;; amdgpu-corpus repo=ROCm/rocBLAS kind=compiled arch=gfx1201 opt=O3
	.amdgcn_target "amdgcn-amd-amdhsa--gfx1201"
	.amdhsa_code_object_version 6
	.section	.text._ZL34rocblas_gemvn_sm_mn_batched_kernelILi32ELi24EfPKffEviiT2_lPKT1_lilS5_lilS2_lPT3_lili,"axG",@progbits,_ZL34rocblas_gemvn_sm_mn_batched_kernelILi32ELi24EfPKffEviiT2_lPKT1_lilS5_lilS2_lPT3_lili,comdat
	.globl	_ZL34rocblas_gemvn_sm_mn_batched_kernelILi32ELi24EfPKffEviiT2_lPKT1_lilS5_lilS2_lPT3_lili ; -- Begin function _ZL34rocblas_gemvn_sm_mn_batched_kernelILi32ELi24EfPKffEviiT2_lPKT1_lilS5_lilS2_lPT3_lili
	.p2align	8
	.type	_ZL34rocblas_gemvn_sm_mn_batched_kernelILi32ELi24EfPKffEviiT2_lPKT1_lilS5_lilS2_lPT3_lili,@function
_ZL34rocblas_gemvn_sm_mn_batched_kernelILi32ELi24EfPKffEviiT2_lPKT1_lilS5_lilS2_lPT3_lili: ; @_ZL34rocblas_gemvn_sm_mn_batched_kernelILi32ELi24EfPKffEviiT2_lPKT1_lilS5_lilS2_lPT3_lili
; %bb.0:
	s_endpgm
	.section	.rodata,"a",@progbits
	.p2align	6, 0x0
	.amdhsa_kernel _ZL34rocblas_gemvn_sm_mn_batched_kernelILi32ELi24EfPKffEviiT2_lPKT1_lilS5_lilS2_lPT3_lili
		.amdhsa_group_segment_fixed_size 0
		.amdhsa_private_segment_fixed_size 0
		.amdhsa_kernarg_size 140
		.amdhsa_user_sgpr_count 2
		.amdhsa_user_sgpr_dispatch_ptr 0
		.amdhsa_user_sgpr_queue_ptr 0
		.amdhsa_user_sgpr_kernarg_segment_ptr 1
		.amdhsa_user_sgpr_dispatch_id 0
		.amdhsa_user_sgpr_private_segment_size 0
		.amdhsa_wavefront_size32 1
		.amdhsa_uses_dynamic_stack 0
		.amdhsa_enable_private_segment 0
		.amdhsa_system_sgpr_workgroup_id_x 1
		.amdhsa_system_sgpr_workgroup_id_y 0
		.amdhsa_system_sgpr_workgroup_id_z 0
		.amdhsa_system_sgpr_workgroup_info 0
		.amdhsa_system_vgpr_workitem_id 0
		.amdhsa_next_free_vgpr 1
		.amdhsa_next_free_sgpr 1
		.amdhsa_reserve_vcc 0
		.amdhsa_float_round_mode_32 0
		.amdhsa_float_round_mode_16_64 0
		.amdhsa_float_denorm_mode_32 3
		.amdhsa_float_denorm_mode_16_64 3
		.amdhsa_fp16_overflow 0
		.amdhsa_workgroup_processor_mode 1
		.amdhsa_memory_ordered 1
		.amdhsa_forward_progress 1
		.amdhsa_inst_pref_size 1
		.amdhsa_round_robin_scheduling 0
		.amdhsa_exception_fp_ieee_invalid_op 0
		.amdhsa_exception_fp_denorm_src 0
		.amdhsa_exception_fp_ieee_div_zero 0
		.amdhsa_exception_fp_ieee_overflow 0
		.amdhsa_exception_fp_ieee_underflow 0
		.amdhsa_exception_fp_ieee_inexact 0
		.amdhsa_exception_int_div_zero 0
	.end_amdhsa_kernel
	.section	.text._ZL34rocblas_gemvn_sm_mn_batched_kernelILi32ELi24EfPKffEviiT2_lPKT1_lilS5_lilS2_lPT3_lili,"axG",@progbits,_ZL34rocblas_gemvn_sm_mn_batched_kernelILi32ELi24EfPKffEviiT2_lPKT1_lilS5_lilS2_lPT3_lili,comdat
.Lfunc_end0:
	.size	_ZL34rocblas_gemvn_sm_mn_batched_kernelILi32ELi24EfPKffEviiT2_lPKT1_lilS5_lilS2_lPT3_lili, .Lfunc_end0-_ZL34rocblas_gemvn_sm_mn_batched_kernelILi32ELi24EfPKffEviiT2_lPKT1_lilS5_lilS2_lPT3_lili
                                        ; -- End function
	.set _ZL34rocblas_gemvn_sm_mn_batched_kernelILi32ELi24EfPKffEviiT2_lPKT1_lilS5_lilS2_lPT3_lili.num_vgpr, 0
	.set _ZL34rocblas_gemvn_sm_mn_batched_kernelILi32ELi24EfPKffEviiT2_lPKT1_lilS5_lilS2_lPT3_lili.num_agpr, 0
	.set _ZL34rocblas_gemvn_sm_mn_batched_kernelILi32ELi24EfPKffEviiT2_lPKT1_lilS5_lilS2_lPT3_lili.numbered_sgpr, 0
	.set _ZL34rocblas_gemvn_sm_mn_batched_kernelILi32ELi24EfPKffEviiT2_lPKT1_lilS5_lilS2_lPT3_lili.num_named_barrier, 0
	.set _ZL34rocblas_gemvn_sm_mn_batched_kernelILi32ELi24EfPKffEviiT2_lPKT1_lilS5_lilS2_lPT3_lili.private_seg_size, 0
	.set _ZL34rocblas_gemvn_sm_mn_batched_kernelILi32ELi24EfPKffEviiT2_lPKT1_lilS5_lilS2_lPT3_lili.uses_vcc, 0
	.set _ZL34rocblas_gemvn_sm_mn_batched_kernelILi32ELi24EfPKffEviiT2_lPKT1_lilS5_lilS2_lPT3_lili.uses_flat_scratch, 0
	.set _ZL34rocblas_gemvn_sm_mn_batched_kernelILi32ELi24EfPKffEviiT2_lPKT1_lilS5_lilS2_lPT3_lili.has_dyn_sized_stack, 0
	.set _ZL34rocblas_gemvn_sm_mn_batched_kernelILi32ELi24EfPKffEviiT2_lPKT1_lilS5_lilS2_lPT3_lili.has_recursion, 0
	.set _ZL34rocblas_gemvn_sm_mn_batched_kernelILi32ELi24EfPKffEviiT2_lPKT1_lilS5_lilS2_lPT3_lili.has_indirect_call, 0
	.section	.AMDGPU.csdata,"",@progbits
; Kernel info:
; codeLenInByte = 4
; TotalNumSgprs: 0
; NumVgprs: 0
; ScratchSize: 0
; MemoryBound: 0
; FloatMode: 240
; IeeeMode: 1
; LDSByteSize: 0 bytes/workgroup (compile time only)
; SGPRBlocks: 0
; VGPRBlocks: 0
; NumSGPRsForWavesPerEU: 1
; NumVGPRsForWavesPerEU: 1
; Occupancy: 16
; WaveLimiterHint : 0
; COMPUTE_PGM_RSRC2:SCRATCH_EN: 0
; COMPUTE_PGM_RSRC2:USER_SGPR: 2
; COMPUTE_PGM_RSRC2:TRAP_HANDLER: 0
; COMPUTE_PGM_RSRC2:TGID_X_EN: 1
; COMPUTE_PGM_RSRC2:TGID_Y_EN: 0
; COMPUTE_PGM_RSRC2:TGID_Z_EN: 0
; COMPUTE_PGM_RSRC2:TIDIG_COMP_CNT: 0
	.section	.text._ZL34rocblas_gemvn_sm_mn_batched_kernelILi32ELi24EfffEviiT2_lPKT1_lilS3_lilS0_lPT3_lili,"axG",@progbits,_ZL34rocblas_gemvn_sm_mn_batched_kernelILi32ELi24EfffEviiT2_lPKT1_lilS3_lilS0_lPT3_lili,comdat
	.globl	_ZL34rocblas_gemvn_sm_mn_batched_kernelILi32ELi24EfffEviiT2_lPKT1_lilS3_lilS0_lPT3_lili ; -- Begin function _ZL34rocblas_gemvn_sm_mn_batched_kernelILi32ELi24EfffEviiT2_lPKT1_lilS3_lilS0_lPT3_lili
	.p2align	8
	.type	_ZL34rocblas_gemvn_sm_mn_batched_kernelILi32ELi24EfffEviiT2_lPKT1_lilS3_lilS0_lPT3_lili,@function
_ZL34rocblas_gemvn_sm_mn_batched_kernelILi32ELi24EfffEviiT2_lPKT1_lilS3_lilS0_lPT3_lili: ; @_ZL34rocblas_gemvn_sm_mn_batched_kernelILi32ELi24EfffEviiT2_lPKT1_lilS3_lilS0_lPT3_lili
; %bb.0:
	s_endpgm
	.section	.rodata,"a",@progbits
	.p2align	6, 0x0
	.amdhsa_kernel _ZL34rocblas_gemvn_sm_mn_batched_kernelILi32ELi24EfffEviiT2_lPKT1_lilS3_lilS0_lPT3_lili
		.amdhsa_group_segment_fixed_size 0
		.amdhsa_private_segment_fixed_size 0
		.amdhsa_kernarg_size 140
		.amdhsa_user_sgpr_count 2
		.amdhsa_user_sgpr_dispatch_ptr 0
		.amdhsa_user_sgpr_queue_ptr 0
		.amdhsa_user_sgpr_kernarg_segment_ptr 1
		.amdhsa_user_sgpr_dispatch_id 0
		.amdhsa_user_sgpr_private_segment_size 0
		.amdhsa_wavefront_size32 1
		.amdhsa_uses_dynamic_stack 0
		.amdhsa_enable_private_segment 0
		.amdhsa_system_sgpr_workgroup_id_x 1
		.amdhsa_system_sgpr_workgroup_id_y 0
		.amdhsa_system_sgpr_workgroup_id_z 0
		.amdhsa_system_sgpr_workgroup_info 0
		.amdhsa_system_vgpr_workitem_id 0
		.amdhsa_next_free_vgpr 1
		.amdhsa_next_free_sgpr 1
		.amdhsa_reserve_vcc 0
		.amdhsa_float_round_mode_32 0
		.amdhsa_float_round_mode_16_64 0
		.amdhsa_float_denorm_mode_32 3
		.amdhsa_float_denorm_mode_16_64 3
		.amdhsa_fp16_overflow 0
		.amdhsa_workgroup_processor_mode 1
		.amdhsa_memory_ordered 1
		.amdhsa_forward_progress 1
		.amdhsa_inst_pref_size 1
		.amdhsa_round_robin_scheduling 0
		.amdhsa_exception_fp_ieee_invalid_op 0
		.amdhsa_exception_fp_denorm_src 0
		.amdhsa_exception_fp_ieee_div_zero 0
		.amdhsa_exception_fp_ieee_overflow 0
		.amdhsa_exception_fp_ieee_underflow 0
		.amdhsa_exception_fp_ieee_inexact 0
		.amdhsa_exception_int_div_zero 0
	.end_amdhsa_kernel
	.section	.text._ZL34rocblas_gemvn_sm_mn_batched_kernelILi32ELi24EfffEviiT2_lPKT1_lilS3_lilS0_lPT3_lili,"axG",@progbits,_ZL34rocblas_gemvn_sm_mn_batched_kernelILi32ELi24EfffEviiT2_lPKT1_lilS3_lilS0_lPT3_lili,comdat
.Lfunc_end1:
	.size	_ZL34rocblas_gemvn_sm_mn_batched_kernelILi32ELi24EfffEviiT2_lPKT1_lilS3_lilS0_lPT3_lili, .Lfunc_end1-_ZL34rocblas_gemvn_sm_mn_batched_kernelILi32ELi24EfffEviiT2_lPKT1_lilS3_lilS0_lPT3_lili
                                        ; -- End function
	.set _ZL34rocblas_gemvn_sm_mn_batched_kernelILi32ELi24EfffEviiT2_lPKT1_lilS3_lilS0_lPT3_lili.num_vgpr, 0
	.set _ZL34rocblas_gemvn_sm_mn_batched_kernelILi32ELi24EfffEviiT2_lPKT1_lilS3_lilS0_lPT3_lili.num_agpr, 0
	.set _ZL34rocblas_gemvn_sm_mn_batched_kernelILi32ELi24EfffEviiT2_lPKT1_lilS3_lilS0_lPT3_lili.numbered_sgpr, 0
	.set _ZL34rocblas_gemvn_sm_mn_batched_kernelILi32ELi24EfffEviiT2_lPKT1_lilS3_lilS0_lPT3_lili.num_named_barrier, 0
	.set _ZL34rocblas_gemvn_sm_mn_batched_kernelILi32ELi24EfffEviiT2_lPKT1_lilS3_lilS0_lPT3_lili.private_seg_size, 0
	.set _ZL34rocblas_gemvn_sm_mn_batched_kernelILi32ELi24EfffEviiT2_lPKT1_lilS3_lilS0_lPT3_lili.uses_vcc, 0
	.set _ZL34rocblas_gemvn_sm_mn_batched_kernelILi32ELi24EfffEviiT2_lPKT1_lilS3_lilS0_lPT3_lili.uses_flat_scratch, 0
	.set _ZL34rocblas_gemvn_sm_mn_batched_kernelILi32ELi24EfffEviiT2_lPKT1_lilS3_lilS0_lPT3_lili.has_dyn_sized_stack, 0
	.set _ZL34rocblas_gemvn_sm_mn_batched_kernelILi32ELi24EfffEviiT2_lPKT1_lilS3_lilS0_lPT3_lili.has_recursion, 0
	.set _ZL34rocblas_gemvn_sm_mn_batched_kernelILi32ELi24EfffEviiT2_lPKT1_lilS3_lilS0_lPT3_lili.has_indirect_call, 0
	.section	.AMDGPU.csdata,"",@progbits
; Kernel info:
; codeLenInByte = 4
; TotalNumSgprs: 0
; NumVgprs: 0
; ScratchSize: 0
; MemoryBound: 0
; FloatMode: 240
; IeeeMode: 1
; LDSByteSize: 0 bytes/workgroup (compile time only)
; SGPRBlocks: 0
; VGPRBlocks: 0
; NumSGPRsForWavesPerEU: 1
; NumVGPRsForWavesPerEU: 1
; Occupancy: 16
; WaveLimiterHint : 0
; COMPUTE_PGM_RSRC2:SCRATCH_EN: 0
; COMPUTE_PGM_RSRC2:USER_SGPR: 2
; COMPUTE_PGM_RSRC2:TRAP_HANDLER: 0
; COMPUTE_PGM_RSRC2:TGID_X_EN: 1
; COMPUTE_PGM_RSRC2:TGID_Y_EN: 0
; COMPUTE_PGM_RSRC2:TGID_Z_EN: 0
; COMPUTE_PGM_RSRC2:TIDIG_COMP_CNT: 0
	.section	.text._ZL20rocblas_gemvn_kernelILi64ELi4EifPKffEviiT3_lPKT2_lT1_lS5_lS6_lS2_lPT4_lS6_li,"axG",@progbits,_ZL20rocblas_gemvn_kernelILi64ELi4EifPKffEviiT3_lPKT2_lT1_lS5_lS6_lS2_lPT4_lS6_li,comdat
	.globl	_ZL20rocblas_gemvn_kernelILi64ELi4EifPKffEviiT3_lPKT2_lT1_lS5_lS6_lS2_lPT4_lS6_li ; -- Begin function _ZL20rocblas_gemvn_kernelILi64ELi4EifPKffEviiT3_lPKT2_lT1_lS5_lS6_lS2_lPT4_lS6_li
	.p2align	8
	.type	_ZL20rocblas_gemvn_kernelILi64ELi4EifPKffEviiT3_lPKT2_lT1_lS5_lS6_lS2_lPT4_lS6_li,@function
_ZL20rocblas_gemvn_kernelILi64ELi4EifPKffEviiT3_lPKT2_lT1_lS5_lS6_lS2_lPT4_lS6_li: ; @_ZL20rocblas_gemvn_kernelILi64ELi4EifPKffEviiT3_lPKT2_lT1_lS5_lS6_lS2_lPT4_lS6_li
; %bb.0:
	s_load_b64 s[2:3], s[0:1], 0x9c
	s_wait_kmcnt 0x0
	s_lshr_b32 s4, s2, 16
	s_and_b32 s2, s2, 0xffff
	s_and_b32 s3, s3, 0xffff
	s_mul_i32 s2, s4, s2
	s_delay_alu instid0(SALU_CYCLE_1) | instskip(NEXT) | instid1(SALU_CYCLE_1)
	s_mul_i32 s2, s2, s3
	s_cmp_lg_u32 s2, 0x100
	s_cbranch_scc1 .LBB2_53
; %bb.1:
	s_load_b32 s31, s[0:1], 0x88
	s_lshr_b32 s34, ttmp7, 16
	s_wait_kmcnt 0x0
	s_cmp_ge_u32 s34, s31
	s_cbranch_scc1 .LBB2_53
; %bb.2:
	s_clause 0x3
	s_load_b96 s[4:6], s[0:1], 0x70
	s_load_b256 s[8:15], s[0:1], 0x8
	s_load_b96 s[28:30], s[0:1], 0x40
	s_load_b64 s[36:37], s[0:1], 0x0
	v_and_b32_e32 v9, 0x3ff, v0
	v_bfe_u32 v8, v0, 10, 10
	s_clause 0x2
	s_load_b32 s33, s[0:1], 0x28
	s_load_b128 s[24:27], s[0:1], 0x30
	s_load_b256 s[16:23], s[0:1], 0x50
	s_lshl_b32 s42, ttmp9, 8
	v_mov_b32_e32 v1, 0
	v_or_b32_e32 v19, s42, v9
	v_lshl_add_u32 v5, v8, 6, v9
	v_lshlrev_b32_e32 v20, 2, v8
	s_load_b64 s[38:39], s[0:1], 0x80
	s_mov_b32 s35, 0
	v_add_nc_u32_e32 v7, 0x80, v19
	v_add_nc_u32_e32 v0, s42, v5
	v_or_b32_e32 v11, s42, v5
	v_add_nc_u32_e32 v6, 64, v19
	v_add_nc_u32_e32 v10, 0xc0, v19
	v_or_b32_e32 v12, 3, v20
	s_wait_kmcnt 0x0
	v_mad_co_u64_u32 v[2:3], null, s6, v0, 0
	s_lshl_b64 s[2:3], s[14:15], 2
	s_ashr_i32 s1, s6, 31
	s_ashr_i32 s7, s37, 31
	s_add_nc_u64 s[12:13], s[12:13], s[2:3]
	v_cmp_gt_i32_e64 s3, s36, v7
	v_mul_lo_u32 v7, s33, v20
	s_lshl_b64 s[4:5], s[4:5], 2
	s_wait_alu 0xfffe
	s_lshr_b32 s2, s7, 28
	v_mad_co_u64_u32 v[3:4], null, s1, v0, v[3:4]
	v_mul_lo_u32 v4, s6, v11
	v_cmp_gt_i32_e64 s6, s36, v11
	v_mul_lo_u32 v11, v8, s33
	s_add_co_i32 s1, s37, s2
	s_add_nc_u64 s[22:23], s[22:23], s[4:5]
	v_cmp_gt_i32_e64 s2, s36, v6
	v_cmp_gt_i32_e64 s4, s36, v10
	v_lshlrev_b32_e32 v6, 2, v9
	v_or_b32_e32 v10, 2, v20
	v_mul_lo_u32 v13, v8, s30
	s_lshl_b64 s[14:15], s[28:29], 2
	s_ashr_i32 s29, s36, 31
	s_mov_b32 s28, s36
	s_wait_alu 0xfffe
	s_and_b32 s43, s1, -16
	s_add_nc_u64 s[14:15], s[26:27], s[14:15]
	v_cmp_gt_i64_e32 vcc_lo, s[28:29], v[0:1]
	v_lshl_add_u32 v0, v8, 10, v6
	v_lshl_add_u32 v21, v8, 8, v6
	v_add3_u32 v22, v7, s33, v9
	v_mad_co_u64_u32 v[6:7], null, s33, v10, v[9:10]
	s_mov_b32 s26, s30
	s_wait_alu 0xfffe
	s_sub_co_i32 s5, s37, s43
	v_mad_co_u64_u32 v[7:8], null, s33, v12, v[9:10]
	v_lshl_add_u32 v23, v11, 2, v9
	v_mad_co_u64_u32 v[8:9], null, s30, v20, s[26:27]
	v_mul_lo_u32 v24, s30, v10
	v_mul_lo_u32 v25, s30, v12
	s_cmp_gt_i32 s5, 0
	v_cmp_gt_u32_e64 s5, 0x100, v5
	v_lshlrev_b64_e32 v[9:10], 2, v[2:3]
	v_cmp_gt_i32_e64 s0, s36, v19
	v_cmp_gt_i32_e64 s1, s43, v20
	v_ashrrev_i32_e32 v5, 31, v4
	v_lshlrev_b32_e32 v26, 2, v13
	s_cselect_b32 s36, -1, 0
	s_and_b32 s44, s5, vcc_lo
	s_lshl_b32 s45, s33, 4
	s_lshl_b32 s46, s30, 4
	s_branch .LBB2_5
.LBB2_3:                                ;   in Loop: Header=BB2_5 Depth=1
	s_wait_alu 0xfffe
	s_or_b32 exec_lo, exec_lo, s7
.LBB2_4:                                ;   in Loop: Header=BB2_5 Depth=1
	s_add_co_i32 s34, s34, 0x10000
	s_delay_alu instid0(SALU_CYCLE_1)
	s_cmp_lt_u32 s34, s31
	s_cbranch_scc0 .LBB2_53
.LBB2_5:                                ; =>This Loop Header: Depth=1
                                        ;     Child Loop BB2_21 Depth 2
	s_mul_u64 s[26:27], s[10:11], s[34:35]
	s_mul_u64 s[28:29], s[20:21], s[34:35]
	s_wait_alu 0xfffe
	s_lshl_b64 s[26:27], s[26:27], 2
	s_lshl_b64 s[28:29], s[28:29], 2
	s_wait_alu 0xfffe
	s_add_nc_u64 s[26:27], s[8:9], s[26:27]
	s_add_nc_u64 s[28:29], s[18:19], s[28:29]
	s_clause 0x1
	global_load_b32 v27, v1, s[26:27]
	global_load_b32 v11, v1, s[28:29]
	s_wait_loadcnt 0x1
	v_cmp_eq_f32_e32 vcc_lo, 0, v27
	s_wait_loadcnt 0x0
	v_cmp_eq_f32_e64 s7, 1.0, v11
	v_readfirstlane_b32 s47, v11
	s_and_b32 s7, vcc_lo, s7
	s_wait_alu 0xfffe
	s_and_b32 vcc_lo, exec_lo, s7
	s_wait_alu 0xfffe
	s_cbranch_vccnz .LBB2_4
; %bb.6:                                ;   in Loop: Header=BB2_5 Depth=1
	v_cmp_neq_f32_e32 vcc_lo, 0, v27
	s_mul_u64 s[26:27], s[38:39], s[34:35]
	s_wait_alu 0xfffe
	s_lshl_b64 s[26:27], s[26:27], 2
	s_wait_alu 0xfffe
	s_add_nc_u64 s[26:27], s[22:23], s[26:27]
	s_cbranch_vccnz .LBB2_10
; %bb.7:                                ;   in Loop: Header=BB2_5 Depth=1
	s_mov_b32 s7, 0
	s_mov_b32 s48, 0
                                        ; implicit-def: $vgpr13
	s_and_saveexec_b32 s28, s44
	s_cbranch_execz .LBB2_11
; %bb.8:                                ;   in Loop: Header=BB2_5 Depth=1
	s_cmp_eq_f32 s47, 0
	s_cbranch_scc1 .LBB2_13
; %bb.9:                                ;   in Loop: Header=BB2_5 Depth=1
	s_wait_alu 0xfffe
	v_add_co_u32 v11, vcc_lo, s26, v9
	s_wait_alu 0xfffd
	v_add_co_ci_u32_e64 v12, null, s27, v10, vcc_lo
	global_load_b32 v11, v[11:12], off
	s_wait_loadcnt 0x0
	v_mul_f32_e32 v13, s47, v11
	s_branch .LBB2_14
.LBB2_10:                               ;   in Loop: Header=BB2_5 Depth=1
	s_mov_b32 s48, 0
                                        ; implicit-def: $vgpr13
	s_cbranch_execz .LBB2_12
	s_branch .LBB2_15
.LBB2_11:                               ;   in Loop: Header=BB2_5 Depth=1
	s_wait_alu 0xfffe
	s_or_b32 exec_lo, exec_lo, s28
	s_delay_alu instid0(SALU_CYCLE_1)
	s_and_b32 vcc_lo, exec_lo, s7
	s_wait_alu 0xfffe
	s_cbranch_vccnz .LBB2_15
.LBB2_12:                               ;   in Loop: Header=BB2_5 Depth=1
	v_dual_mov_b32 v12, v3 :: v_dual_mov_b32 v11, v2
	s_and_saveexec_b32 s7, s48
	s_cbranch_execz .LBB2_3
	s_branch .LBB2_52
.LBB2_13:                               ;   in Loop: Header=BB2_5 Depth=1
	v_mov_b32_e32 v13, 0
.LBB2_14:                               ;   in Loop: Header=BB2_5 Depth=1
	s_mov_b32 s48, exec_lo
	s_wait_alu 0xfffe
	s_or_b32 exec_lo, exec_lo, s28
	s_delay_alu instid0(SALU_CYCLE_1)
	s_and_b32 vcc_lo, exec_lo, s7
	s_wait_alu 0xfffe
	s_cbranch_vccz .LBB2_12
.LBB2_15:                               ;   in Loop: Header=BB2_5 Depth=1
	s_mul_u64 s[28:29], s[24:25], s[34:35]
	s_mul_u64 s[40:41], s[16:17], s[34:35]
	v_dual_mov_b32 v28, 0 :: v_dual_mov_b32 v29, 0
	v_dual_mov_b32 v32, v20 :: v_dual_mov_b32 v31, 0
	v_mov_b32_e32 v30, 0
	s_wait_alu 0xfffe
	s_lshl_b64 s[28:29], s[28:29], 2
	s_lshl_b64 s[40:41], s[40:41], 2
	s_wait_alu 0xfffe
	s_add_nc_u64 s[28:29], s[12:13], s[28:29]
	s_add_nc_u64 s[40:41], s[14:15], s[40:41]
	s_and_saveexec_b32 s7, s1
	s_cbranch_execz .LBB2_27
; %bb.16:                               ;   in Loop: Header=BB2_5 Depth=1
	v_dual_mov_b32 v28, 0 :: v_dual_mov_b32 v33, v23
	v_dual_mov_b32 v34, v7 :: v_dual_mov_b32 v35, v6
	;; [unrolled: 1-line block ×4, first 2 shown]
	v_mov_b32_e32 v30, 0
	s_mov_b32 s49, 0
	s_mov_b32 s50, 0
	s_branch .LBB2_21
.LBB2_17:                               ;   in Loop: Header=BB2_21 Depth=2
	s_or_b32 exec_lo, exec_lo, s54
	s_wait_loadcnt 0x3
	v_fmac_f32_e32 v30, v40, v52
	s_wait_loadcnt 0x2
	s_delay_alu instid0(VALU_DEP_1) | instskip(SKIP_1) | instid1(VALU_DEP_1)
	v_fmac_f32_e32 v30, v39, v51
	s_wait_loadcnt 0x1
	v_fmac_f32_e32 v30, v38, v50
	s_wait_loadcnt 0x0
	s_delay_alu instid0(VALU_DEP_1)
	v_fmac_f32_e32 v30, v37, v49
.LBB2_18:                               ;   in Loop: Header=BB2_21 Depth=2
	s_or_b32 exec_lo, exec_lo, s53
	s_wait_loadcnt 0x3
	v_fmac_f32_e32 v29, v40, v48
	s_wait_loadcnt 0x2
	s_delay_alu instid0(VALU_DEP_1) | instskip(SKIP_1) | instid1(VALU_DEP_1)
	v_fmac_f32_e32 v29, v39, v47
	s_wait_loadcnt 0x1
	v_fmac_f32_e32 v29, v38, v46
	s_wait_loadcnt 0x0
	s_delay_alu instid0(VALU_DEP_1)
	v_fmac_f32_e32 v29, v37, v45
.LBB2_19:                               ;   in Loop: Header=BB2_21 Depth=2
	s_or_b32 exec_lo, exec_lo, s52
	s_wait_loadcnt 0x3
	v_fmac_f32_e32 v28, v40, v44
	s_wait_loadcnt 0x2
	s_delay_alu instid0(VALU_DEP_1) | instskip(SKIP_1) | instid1(VALU_DEP_1)
	v_fmac_f32_e32 v28, v39, v42
	s_wait_loadcnt 0x1
	v_fmac_f32_e32 v28, v38, v41
	s_wait_loadcnt 0x0
	s_delay_alu instid0(VALU_DEP_1)
	v_fmac_f32_e32 v28, v37, v43
.LBB2_20:                               ;   in Loop: Header=BB2_21 Depth=2
	s_wait_alu 0xfffe
	s_or_b32 exec_lo, exec_lo, s51
	v_add_nc_u32_e32 v32, 16, v32
	v_add_nc_u32_e32 v36, s45, v36
	;; [unrolled: 1-line block ×5, first 2 shown]
	v_cmp_le_i32_e32 vcc_lo, s43, v32
	s_add_co_i32 s50, s50, s46
	s_or_b32 s49, vcc_lo, s49
	s_delay_alu instid0(SALU_CYCLE_1)
	s_and_not1_b32 exec_lo, exec_lo, s49
	s_cbranch_execz .LBB2_26
.LBB2_21:                               ;   Parent Loop BB2_5 Depth=1
                                        ; =>  This Inner Loop Header: Depth=2
	s_and_saveexec_b32 s51, s0
	s_cbranch_execz .LBB2_20
; %bb.22:                               ;   in Loop: Header=BB2_21 Depth=2
	s_wait_alu 0xfffe
	v_add_nc_u32_e32 v11, s50, v26
	v_add_nc_u32_e32 v13, s50, v8
	;; [unrolled: 1-line block ×5, first 2 shown]
	v_ashrrev_i32_e32 v12, 31, v11
	v_ashrrev_i32_e32 v14, 31, v13
	v_ashrrev_i32_e32 v16, 31, v15
	v_ashrrev_i32_e32 v18, 31, v17
	v_ashrrev_i32_e32 v38, 31, v37
	v_lshlrev_b64_e32 v[11:12], 2, v[11:12]
	v_lshlrev_b64_e32 v[13:14], 2, v[13:14]
	;; [unrolled: 1-line block ×3, first 2 shown]
	s_delay_alu instid0(VALU_DEP_3) | instskip(SKIP_1) | instid1(VALU_DEP_4)
	v_add_co_u32 v39, vcc_lo, s40, v11
	s_wait_alu 0xfffd
	v_add_co_ci_u32_e64 v40, null, s41, v12, vcc_lo
	s_delay_alu instid0(VALU_DEP_4)
	v_add_co_u32 v41, vcc_lo, s40, v13
	v_add_nc_u32_e32 v13, s42, v36
	s_wait_alu 0xfffd
	v_add_co_ci_u32_e64 v42, null, s41, v14, vcc_lo
	v_lshlrev_b64_e32 v[11:12], 2, v[17:18]
	v_add_co_u32 v43, vcc_lo, s40, v15
	v_add_nc_u32_e32 v17, s42, v35
	s_wait_alu 0xfffd
	v_add_co_ci_u32_e64 v44, null, s41, v16, vcc_lo
	v_lshlrev_b64_e32 v[15:16], 2, v[37:38]
	v_add_nc_u32_e32 v37, s42, v34
	v_ashrrev_i32_e32 v14, 31, v13
	v_ashrrev_i32_e32 v18, 31, v17
	v_add_co_u32 v45, vcc_lo, s40, v11
	s_delay_alu instid0(VALU_DEP_4)
	v_ashrrev_i32_e32 v38, 31, v37
	s_wait_alu 0xfffd
	v_add_co_ci_u32_e64 v46, null, s41, v12, vcc_lo
	v_lshlrev_b64_e32 v[13:14], 2, v[13:14]
	v_add_co_u32 v11, vcc_lo, s28, v15
	s_wait_alu 0xfffd
	v_add_co_ci_u32_e64 v12, null, s29, v16, vcc_lo
	v_lshlrev_b64_e32 v[15:16], 2, v[17:18]
	v_lshlrev_b64_e32 v[37:38], 2, v[37:38]
	v_add_co_u32 v13, vcc_lo, s28, v13
	s_wait_alu 0xfffd
	v_add_co_ci_u32_e64 v14, null, s29, v14, vcc_lo
	s_delay_alu instid0(VALU_DEP_4)
	v_add_co_u32 v17, vcc_lo, s28, v15
	s_wait_alu 0xfffd
	v_add_co_ci_u32_e64 v18, null, s29, v16, vcc_lo
	v_add_co_u32 v15, vcc_lo, s28, v37
	s_wait_alu 0xfffd
	v_add_co_ci_u32_e64 v16, null, s29, v38, vcc_lo
	s_clause 0x3
	global_load_b32 v40, v[39:40], off
	global_load_b32 v39, v[41:42], off
	;; [unrolled: 1-line block ×4, first 2 shown]
	s_clause 0x3
	global_load_b32 v44, v[11:12], off
	global_load_b32 v42, v[13:14], off
	;; [unrolled: 1-line block ×4, first 2 shown]
	s_and_saveexec_b32 s52, s2
	s_cbranch_execz .LBB2_19
; %bb.23:                               ;   in Loop: Header=BB2_21 Depth=2
	s_clause 0x3
	global_load_b32 v48, v[11:12], off offset:256
	global_load_b32 v47, v[13:14], off offset:256
	global_load_b32 v46, v[17:18], off offset:256
	global_load_b32 v45, v[15:16], off offset:256
	s_and_saveexec_b32 s53, s3
	s_cbranch_execz .LBB2_18
; %bb.24:                               ;   in Loop: Header=BB2_21 Depth=2
	s_clause 0x3
	global_load_b32 v52, v[11:12], off offset:512
	global_load_b32 v51, v[13:14], off offset:512
	global_load_b32 v50, v[17:18], off offset:512
	global_load_b32 v49, v[15:16], off offset:512
	;; [unrolled: 8-line block ×3, first 2 shown]
	s_wait_loadcnt 0x3
	v_fmac_f32_e32 v31, v40, v11
	s_wait_loadcnt 0x2
	s_delay_alu instid0(VALU_DEP_1) | instskip(SKIP_1) | instid1(VALU_DEP_1)
	v_fmac_f32_e32 v31, v39, v12
	s_wait_loadcnt 0x1
	v_fmac_f32_e32 v31, v38, v13
	s_wait_loadcnt 0x0
	s_delay_alu instid0(VALU_DEP_1)
	v_fmac_f32_e32 v31, v37, v14
	s_branch .LBB2_17
.LBB2_26:                               ;   in Loop: Header=BB2_5 Depth=1
	s_or_b32 exec_lo, exec_lo, s49
.LBB2_27:                               ;   in Loop: Header=BB2_5 Depth=1
	s_wait_alu 0xfffe
	s_or_b32 exec_lo, exec_lo, s7
	s_delay_alu instid0(SALU_CYCLE_1)
	s_and_not1_b32 vcc_lo, exec_lo, s36
	s_wait_alu 0xfffe
	s_cbranch_vccnz .LBB2_45
; %bb.28:                               ;   in Loop: Header=BB2_5 Depth=1
	v_cmp_gt_i32_e32 vcc_lo, s37, v32
	v_dual_mov_b32 v36, 0 :: v_dual_mov_b32 v35, 0
	v_or_b32_e32 v11, 1, v32
	v_dual_mov_b32 v34, 0 :: v_dual_mov_b32 v33, 0
	s_and_saveexec_b32 s49, vcc_lo
	s_cbranch_execz .LBB2_36
; %bb.29:                               ;   in Loop: Header=BB2_5 Depth=1
	v_mul_lo_u32 v12, v32, s30
	v_dual_mov_b32 v34, 0 :: v_dual_mov_b32 v35, 0
	v_mov_b32_e32 v36, 0
	s_mov_b32 s50, exec_lo
	s_delay_alu instid0(VALU_DEP_3) | instskip(NEXT) | instid1(VALU_DEP_1)
	v_ashrrev_i32_e32 v13, 31, v12
	v_lshlrev_b64_e32 v[12:13], 2, v[12:13]
	s_delay_alu instid0(VALU_DEP_1) | instskip(SKIP_1) | instid1(VALU_DEP_2)
	v_add_co_u32 v12, s7, s40, v12
	s_wait_alu 0xf1ff
	v_add_co_ci_u32_e64 v13, null, s41, v13, s7
	global_load_b32 v33, v[12:13], off
	v_cmpx_gt_i32_e64 s37, v11
	s_cbranch_execz .LBB2_35
; %bb.30:                               ;   in Loop: Header=BB2_5 Depth=1
	v_mul_lo_u32 v12, v11, s30
	v_dual_mov_b32 v35, 0 :: v_dual_mov_b32 v36, 0
	s_mov_b32 s51, exec_lo
	s_delay_alu instid0(VALU_DEP_2) | instskip(NEXT) | instid1(VALU_DEP_1)
	v_ashrrev_i32_e32 v13, 31, v12
	v_lshlrev_b64_e32 v[12:13], 2, v[12:13]
	s_delay_alu instid0(VALU_DEP_1) | instskip(SKIP_1) | instid1(VALU_DEP_2)
	v_add_co_u32 v12, s7, s40, v12
	s_wait_alu 0xf1ff
	v_add_co_ci_u32_e64 v13, null, s41, v13, s7
	global_load_b32 v34, v[12:13], off
	v_or_b32_e32 v12, 2, v32
	s_delay_alu instid0(VALU_DEP_1)
	v_cmpx_gt_i32_e64 s37, v12
	s_cbranch_execz .LBB2_34
; %bb.31:                               ;   in Loop: Header=BB2_5 Depth=1
	v_mul_lo_u32 v12, v12, s30
	v_mov_b32_e32 v36, 0
	s_mov_b32 s52, exec_lo
	s_delay_alu instid0(VALU_DEP_2) | instskip(NEXT) | instid1(VALU_DEP_1)
	v_ashrrev_i32_e32 v13, 31, v12
	v_lshlrev_b64_e32 v[12:13], 2, v[12:13]
	s_delay_alu instid0(VALU_DEP_1) | instskip(SKIP_1) | instid1(VALU_DEP_2)
	v_add_co_u32 v12, s7, s40, v12
	s_wait_alu 0xf1ff
	v_add_co_ci_u32_e64 v13, null, s41, v13, s7
	global_load_b32 v35, v[12:13], off
	v_or_b32_e32 v12, 3, v32
	s_delay_alu instid0(VALU_DEP_1)
	v_cmpx_gt_i32_e64 s37, v12
	s_cbranch_execz .LBB2_33
; %bb.32:                               ;   in Loop: Header=BB2_5 Depth=1
	v_mul_lo_u32 v12, v12, s30
	s_delay_alu instid0(VALU_DEP_1) | instskip(NEXT) | instid1(VALU_DEP_1)
	v_ashrrev_i32_e32 v13, 31, v12
	v_lshlrev_b64_e32 v[12:13], 2, v[12:13]
	s_delay_alu instid0(VALU_DEP_1) | instskip(SKIP_1) | instid1(VALU_DEP_2)
	v_add_co_u32 v12, s7, s40, v12
	s_wait_alu 0xf1ff
	v_add_co_ci_u32_e64 v13, null, s41, v13, s7
	global_load_b32 v36, v[12:13], off
.LBB2_33:                               ;   in Loop: Header=BB2_5 Depth=1
	s_or_b32 exec_lo, exec_lo, s52
.LBB2_34:                               ;   in Loop: Header=BB2_5 Depth=1
	s_wait_alu 0xfffe
	s_or_b32 exec_lo, exec_lo, s51
.LBB2_35:                               ;   in Loop: Header=BB2_5 Depth=1
	s_wait_alu 0xfffe
	s_or_b32 exec_lo, exec_lo, s50
.LBB2_36:                               ;   in Loop: Header=BB2_5 Depth=1
	s_delay_alu instid0(SALU_CYCLE_1)
	s_or_b32 exec_lo, exec_lo, s49
	s_and_saveexec_b32 s7, s0
	s_cbranch_execz .LBB2_44
; %bb.37:                               ;   in Loop: Header=BB2_5 Depth=1
	v_mul_lo_u32 v13, v32, s33
	v_or_b32_e32 v12, 2, v32
	v_mul_lo_u32 v15, v11, s33
	v_or_b32_e32 v14, 3, v32
	s_delay_alu instid0(VALU_DEP_3) | instskip(NEXT) | instid1(VALU_DEP_2)
	v_mul_lo_u32 v16, v12, s33
	v_mul_lo_u32 v17, v14, s33
	v_cndmask_b32_e32 v13, 0, v13, vcc_lo
	v_cmp_gt_i32_e32 vcc_lo, s37, v11
	s_wait_alu 0xfffd
	v_cndmask_b32_e32 v15, 0, v15, vcc_lo
	v_cmp_gt_i32_e32 vcc_lo, s37, v12
	s_wait_alu 0xfffd
	;; [unrolled: 3-line block ×3, first 2 shown]
	v_dual_cndmask_b32 v14, 0, v17 :: v_dual_add_nc_u32 v11, v13, v19
	v_add_nc_u32_e32 v13, v15, v19
	v_add_nc_u32_e32 v15, v12, v19
	s_delay_alu instid0(VALU_DEP_3) | instskip(NEXT) | instid1(VALU_DEP_4)
	v_ashrrev_i32_e32 v12, 31, v11
	v_add_nc_u32_e32 v17, v14, v19
	s_delay_alu instid0(VALU_DEP_4) | instskip(NEXT) | instid1(VALU_DEP_4)
	v_ashrrev_i32_e32 v14, 31, v13
	v_ashrrev_i32_e32 v16, 31, v15
	s_delay_alu instid0(VALU_DEP_4) | instskip(NEXT) | instid1(VALU_DEP_4)
	v_lshlrev_b64_e32 v[11:12], 2, v[11:12]
	v_ashrrev_i32_e32 v18, 31, v17
	s_delay_alu instid0(VALU_DEP_4) | instskip(NEXT) | instid1(VALU_DEP_4)
	v_lshlrev_b64_e32 v[13:14], 2, v[13:14]
	v_lshlrev_b64_e32 v[37:38], 2, v[15:16]
	s_delay_alu instid0(VALU_DEP_3)
	v_lshlrev_b64_e32 v[39:40], 2, v[17:18]
	v_add_co_u32 v17, vcc_lo, s28, v11
	s_wait_alu 0xfffd
	v_add_co_ci_u32_e64 v18, null, s29, v12, vcc_lo
	v_add_co_u32 v15, vcc_lo, s28, v13
	s_wait_alu 0xfffd
	v_add_co_ci_u32_e64 v16, null, s29, v14, vcc_lo
	;; [unrolled: 3-line block ×4, first 2 shown]
	s_clause 0x3
	global_load_b32 v39, v[17:18], off
	global_load_b32 v37, v[15:16], off
	;; [unrolled: 1-line block ×4, first 2 shown]
	s_and_saveexec_b32 s28, s2
	s_cbranch_execz .LBB2_43
; %bb.38:                               ;   in Loop: Header=BB2_5 Depth=1
	s_clause 0x3
	global_load_b32 v43, v[17:18], off offset:256
	global_load_b32 v42, v[15:16], off offset:256
	global_load_b32 v41, v[13:14], off offset:256
	global_load_b32 v40, v[11:12], off offset:256
	s_and_saveexec_b32 s29, s3
	s_cbranch_execz .LBB2_42
; %bb.39:                               ;   in Loop: Header=BB2_5 Depth=1
	s_clause 0x3
	global_load_b32 v47, v[17:18], off offset:512
	global_load_b32 v46, v[15:16], off offset:512
	global_load_b32 v45, v[13:14], off offset:512
	global_load_b32 v44, v[11:12], off offset:512
	;; [unrolled: 8-line block ×3, first 2 shown]
	s_wait_loadcnt 0x3
	v_fmac_f32_e32 v31, v33, v17
	s_wait_loadcnt 0x2
	s_delay_alu instid0(VALU_DEP_1) | instskip(SKIP_1) | instid1(VALU_DEP_1)
	v_fmac_f32_e32 v31, v34, v15
	s_wait_loadcnt 0x1
	v_fmac_f32_e32 v31, v35, v13
	s_wait_loadcnt 0x0
	s_delay_alu instid0(VALU_DEP_1)
	v_fmac_f32_e32 v31, v36, v11
.LBB2_41:                               ;   in Loop: Header=BB2_5 Depth=1
	s_wait_alu 0xfffe
	s_or_b32 exec_lo, exec_lo, s40
	s_wait_loadcnt 0x3
	v_fmac_f32_e32 v30, v33, v47
	s_wait_loadcnt 0x2
	s_delay_alu instid0(VALU_DEP_1) | instskip(SKIP_1) | instid1(VALU_DEP_1)
	v_fmac_f32_e32 v30, v34, v46
	s_wait_loadcnt 0x1
	v_fmac_f32_e32 v30, v35, v45
	s_wait_loadcnt 0x0
	s_delay_alu instid0(VALU_DEP_1)
	v_fmac_f32_e32 v30, v36, v44
.LBB2_42:                               ;   in Loop: Header=BB2_5 Depth=1
	s_wait_alu 0xfffe
	s_or_b32 exec_lo, exec_lo, s29
	s_wait_loadcnt 0x3
	v_fmac_f32_e32 v29, v33, v43
	s_wait_loadcnt 0x2
	s_delay_alu instid0(VALU_DEP_1) | instskip(SKIP_1) | instid1(VALU_DEP_1)
	v_fmac_f32_e32 v29, v34, v42
	s_wait_loadcnt 0x1
	v_fmac_f32_e32 v29, v35, v41
	s_wait_loadcnt 0x0
	s_delay_alu instid0(VALU_DEP_1)
	v_fmac_f32_e32 v29, v36, v40
.LBB2_43:                               ;   in Loop: Header=BB2_5 Depth=1
	s_wait_alu 0xfffe
	s_or_b32 exec_lo, exec_lo, s28
	s_wait_loadcnt 0x3
	v_fmac_f32_e32 v28, v33, v39
	s_wait_loadcnt 0x2
	s_delay_alu instid0(VALU_DEP_1) | instskip(SKIP_1) | instid1(VALU_DEP_1)
	v_fmac_f32_e32 v28, v34, v37
	s_wait_loadcnt 0x1
	v_fmac_f32_e32 v28, v35, v32
	s_wait_loadcnt 0x0
	s_delay_alu instid0(VALU_DEP_1)
	v_fmac_f32_e32 v28, v36, v38
.LBB2_44:                               ;   in Loop: Header=BB2_5 Depth=1
	s_wait_alu 0xfffe
	s_or_b32 exec_lo, exec_lo, s7
.LBB2_45:                               ;   in Loop: Header=BB2_5 Depth=1
	ds_store_2addr_stride64_b32 v0, v28, v29 offset1:1
	ds_store_2addr_stride64_b32 v0, v30, v31 offset0:2 offset1:3
	s_wait_loadcnt_dscnt 0x0
	s_barrier_signal -1
	s_barrier_wait -1
	global_inv scope:SCOPE_SE
                                        ; implicit-def: $vgpr13
	s_and_saveexec_b32 s7, s5
	s_cbranch_execz .LBB2_51
; %bb.46:                               ;   in Loop: Header=BB2_5 Depth=1
	ds_load_2addr_stride64_b32 v[11:12], v21 offset1:4
	ds_load_2addr_stride64_b32 v[13:14], v21 offset0:8 offset1:12
	s_mov_b32 s29, s48
	s_wait_dscnt 0x1
	v_add_f32_e32 v11, v11, v12
	s_wait_dscnt 0x0
	s_delay_alu instid0(VALU_DEP_1) | instskip(NEXT) | instid1(VALU_DEP_1)
	v_add_f32_e32 v11, v13, v11
                                        ; implicit-def: $vgpr13
	v_add_f32_e32 v11, v14, v11
	ds_store_b32 v21, v11
	s_and_saveexec_b32 s28, s6
	s_cbranch_execz .LBB2_50
; %bb.47:                               ;   in Loop: Header=BB2_5 Depth=1
	v_mul_f32_e32 v13, v27, v11
	s_cmp_eq_f32 s47, 0
	s_cbranch_scc1 .LBB2_49
; %bb.48:                               ;   in Loop: Header=BB2_5 Depth=1
	v_lshlrev_b64_e32 v[11:12], 2, v[4:5]
	s_delay_alu instid0(VALU_DEP_1) | instskip(SKIP_1) | instid1(VALU_DEP_2)
	v_add_co_u32 v11, vcc_lo, s26, v11
	s_wait_alu 0xfffd
	v_add_co_ci_u32_e64 v12, null, s27, v12, vcc_lo
	global_load_b32 v11, v[11:12], off
	s_wait_loadcnt 0x0
	v_fmac_f32_e32 v13, s47, v11
.LBB2_49:                               ;   in Loop: Header=BB2_5 Depth=1
	s_or_b32 s29, s48, exec_lo
.LBB2_50:                               ;   in Loop: Header=BB2_5 Depth=1
	s_wait_alu 0xfffe
	s_or_b32 exec_lo, exec_lo, s28
	s_delay_alu instid0(SALU_CYCLE_1)
	s_and_not1_b32 s28, s48, exec_lo
	s_and_b32 s29, s29, exec_lo
	s_wait_alu 0xfffe
	s_or_b32 s48, s28, s29
.LBB2_51:                               ;   in Loop: Header=BB2_5 Depth=1
	s_wait_alu 0xfffe
	s_or_b32 exec_lo, exec_lo, s7
	v_dual_mov_b32 v12, v5 :: v_dual_mov_b32 v11, v4
	s_and_saveexec_b32 s7, s48
	s_cbranch_execz .LBB2_3
.LBB2_52:                               ;   in Loop: Header=BB2_5 Depth=1
	s_delay_alu instid0(VALU_DEP_1) | instskip(SKIP_1) | instid1(VALU_DEP_1)
	v_lshlrev_b64_e32 v[11:12], 2, v[11:12]
	s_wait_alu 0xfffe
	v_add_co_u32 v11, vcc_lo, s26, v11
	s_wait_alu 0xfffd
	s_delay_alu instid0(VALU_DEP_2)
	v_add_co_ci_u32_e64 v12, null, s27, v12, vcc_lo
	global_store_b32 v[11:12], v13, off
	s_branch .LBB2_3
.LBB2_53:
	s_endpgm
	.section	.rodata,"a",@progbits
	.p2align	6, 0x0
	.amdhsa_kernel _ZL20rocblas_gemvn_kernelILi64ELi4EifPKffEviiT3_lPKT2_lT1_lS5_lS6_lS2_lPT4_lS6_li
		.amdhsa_group_segment_fixed_size 4096
		.amdhsa_private_segment_fixed_size 0
		.amdhsa_kernarg_size 400
		.amdhsa_user_sgpr_count 2
		.amdhsa_user_sgpr_dispatch_ptr 0
		.amdhsa_user_sgpr_queue_ptr 0
		.amdhsa_user_sgpr_kernarg_segment_ptr 1
		.amdhsa_user_sgpr_dispatch_id 0
		.amdhsa_user_sgpr_private_segment_size 0
		.amdhsa_wavefront_size32 1
		.amdhsa_uses_dynamic_stack 0
		.amdhsa_enable_private_segment 0
		.amdhsa_system_sgpr_workgroup_id_x 1
		.amdhsa_system_sgpr_workgroup_id_y 0
		.amdhsa_system_sgpr_workgroup_id_z 1
		.amdhsa_system_sgpr_workgroup_info 0
		.amdhsa_system_vgpr_workitem_id 1
		.amdhsa_next_free_vgpr 53
		.amdhsa_next_free_sgpr 55
		.amdhsa_reserve_vcc 1
		.amdhsa_float_round_mode_32 0
		.amdhsa_float_round_mode_16_64 0
		.amdhsa_float_denorm_mode_32 3
		.amdhsa_float_denorm_mode_16_64 3
		.amdhsa_fp16_overflow 0
		.amdhsa_workgroup_processor_mode 1
		.amdhsa_memory_ordered 1
		.amdhsa_forward_progress 1
		.amdhsa_inst_pref_size 25
		.amdhsa_round_robin_scheduling 0
		.amdhsa_exception_fp_ieee_invalid_op 0
		.amdhsa_exception_fp_denorm_src 0
		.amdhsa_exception_fp_ieee_div_zero 0
		.amdhsa_exception_fp_ieee_overflow 0
		.amdhsa_exception_fp_ieee_underflow 0
		.amdhsa_exception_fp_ieee_inexact 0
		.amdhsa_exception_int_div_zero 0
	.end_amdhsa_kernel
	.section	.text._ZL20rocblas_gemvn_kernelILi64ELi4EifPKffEviiT3_lPKT2_lT1_lS5_lS6_lS2_lPT4_lS6_li,"axG",@progbits,_ZL20rocblas_gemvn_kernelILi64ELi4EifPKffEviiT3_lPKT2_lT1_lS5_lS6_lS2_lPT4_lS6_li,comdat
.Lfunc_end2:
	.size	_ZL20rocblas_gemvn_kernelILi64ELi4EifPKffEviiT3_lPKT2_lT1_lS5_lS6_lS2_lPT4_lS6_li, .Lfunc_end2-_ZL20rocblas_gemvn_kernelILi64ELi4EifPKffEviiT3_lPKT2_lT1_lS5_lS6_lS2_lPT4_lS6_li
                                        ; -- End function
	.set _ZL20rocblas_gemvn_kernelILi64ELi4EifPKffEviiT3_lPKT2_lT1_lS5_lS6_lS2_lPT4_lS6_li.num_vgpr, 53
	.set _ZL20rocblas_gemvn_kernelILi64ELi4EifPKffEviiT3_lPKT2_lT1_lS5_lS6_lS2_lPT4_lS6_li.num_agpr, 0
	.set _ZL20rocblas_gemvn_kernelILi64ELi4EifPKffEviiT3_lPKT2_lT1_lS5_lS6_lS2_lPT4_lS6_li.numbered_sgpr, 55
	.set _ZL20rocblas_gemvn_kernelILi64ELi4EifPKffEviiT3_lPKT2_lT1_lS5_lS6_lS2_lPT4_lS6_li.num_named_barrier, 0
	.set _ZL20rocblas_gemvn_kernelILi64ELi4EifPKffEviiT3_lPKT2_lT1_lS5_lS6_lS2_lPT4_lS6_li.private_seg_size, 0
	.set _ZL20rocblas_gemvn_kernelILi64ELi4EifPKffEviiT3_lPKT2_lT1_lS5_lS6_lS2_lPT4_lS6_li.uses_vcc, 1
	.set _ZL20rocblas_gemvn_kernelILi64ELi4EifPKffEviiT3_lPKT2_lT1_lS5_lS6_lS2_lPT4_lS6_li.uses_flat_scratch, 0
	.set _ZL20rocblas_gemvn_kernelILi64ELi4EifPKffEviiT3_lPKT2_lT1_lS5_lS6_lS2_lPT4_lS6_li.has_dyn_sized_stack, 0
	.set _ZL20rocblas_gemvn_kernelILi64ELi4EifPKffEviiT3_lPKT2_lT1_lS5_lS6_lS2_lPT4_lS6_li.has_recursion, 0
	.set _ZL20rocblas_gemvn_kernelILi64ELi4EifPKffEviiT3_lPKT2_lT1_lS5_lS6_lS2_lPT4_lS6_li.has_indirect_call, 0
	.section	.AMDGPU.csdata,"",@progbits
; Kernel info:
; codeLenInByte = 3100
; TotalNumSgprs: 57
; NumVgprs: 53
; ScratchSize: 0
; MemoryBound: 0
; FloatMode: 240
; IeeeMode: 1
; LDSByteSize: 4096 bytes/workgroup (compile time only)
; SGPRBlocks: 0
; VGPRBlocks: 6
; NumSGPRsForWavesPerEU: 57
; NumVGPRsForWavesPerEU: 53
; Occupancy: 16
; WaveLimiterHint : 1
; COMPUTE_PGM_RSRC2:SCRATCH_EN: 0
; COMPUTE_PGM_RSRC2:USER_SGPR: 2
; COMPUTE_PGM_RSRC2:TRAP_HANDLER: 0
; COMPUTE_PGM_RSRC2:TGID_X_EN: 1
; COMPUTE_PGM_RSRC2:TGID_Y_EN: 0
; COMPUTE_PGM_RSRC2:TGID_Z_EN: 1
; COMPUTE_PGM_RSRC2:TIDIG_COMP_CNT: 1
	.section	.text._ZL20rocblas_gemvn_kernelILi64ELi4ElfPKffEviiT3_lPKT2_lT1_lS5_lS6_lS2_lPT4_lS6_li,"axG",@progbits,_ZL20rocblas_gemvn_kernelILi64ELi4ElfPKffEviiT3_lPKT2_lT1_lS5_lS6_lS2_lPT4_lS6_li,comdat
	.globl	_ZL20rocblas_gemvn_kernelILi64ELi4ElfPKffEviiT3_lPKT2_lT1_lS5_lS6_lS2_lPT4_lS6_li ; -- Begin function _ZL20rocblas_gemvn_kernelILi64ELi4ElfPKffEviiT3_lPKT2_lT1_lS5_lS6_lS2_lPT4_lS6_li
	.p2align	8
	.type	_ZL20rocblas_gemvn_kernelILi64ELi4ElfPKffEviiT3_lPKT2_lT1_lS5_lS6_lS2_lPT4_lS6_li,@function
_ZL20rocblas_gemvn_kernelILi64ELi4ElfPKffEviiT3_lPKT2_lT1_lS5_lS6_lS2_lPT4_lS6_li: ; @_ZL20rocblas_gemvn_kernelILi64ELi4ElfPKffEviiT3_lPKT2_lT1_lS5_lS6_lS2_lPT4_lS6_li
; %bb.0:
	s_load_b64 s[2:3], s[0:1], 0x9c
	s_wait_kmcnt 0x0
	s_lshr_b32 s4, s2, 16
	s_and_b32 s2, s2, 0xffff
	s_and_b32 s3, s3, 0xffff
	s_mul_i32 s2, s4, s2
	s_delay_alu instid0(SALU_CYCLE_1) | instskip(NEXT) | instid1(SALU_CYCLE_1)
	s_mul_i32 s2, s2, s3
	s_cmp_lg_u32 s2, 0x100
	s_cbranch_scc1 .LBB3_53
; %bb.1:
	s_load_b32 s33, s[0:1], 0x88
	s_lshr_b32 s10, ttmp7, 16
	s_wait_kmcnt 0x0
	s_cmp_ge_u32 s10, s33
	s_cbranch_scc1 .LBB3_53
; %bb.2:
	s_clause 0x2
	s_load_b512 s[12:27], s[0:1], 0x8
	s_load_b512 s[36:51], s[0:1], 0x48
	s_load_b64 s[8:9], s[0:1], 0x0
	v_and_b32_e32 v5, 0x3ff, v0
	v_bfe_u32 v17, v0, 10, 10
	s_lshl_b32 s34, ttmp9, 8
	v_mov_b32_e32 v1, 0
	s_mov_b32 s11, 0
	v_or_b32_e32 v6, s34, v5
	v_lshlrev_b32_e32 v18, 2, v17
	v_lshl_add_u32 v10, v17, 6, v5
	s_delay_alu instid0(VALU_DEP_3) | instskip(SKIP_1) | instid1(VALU_DEP_4)
	v_add_nc_u32_e32 v8, 0x80, v6
	v_add_nc_u32_e32 v9, 0xc0, v6
	v_or_b32_e32 v20, 3, v18
	s_delay_alu instid0(VALU_DEP_4)
	v_add_nc_u32_e32 v0, s34, v10
	v_or_b32_e32 v21, s34, v10
	v_or_b32_e32 v24, 2, v18
	v_ashrrev_i32_e32 v7, 31, v6
	s_wait_kmcnt 0x0
	s_lshl_b64 s[4:5], s[18:19], 2
	s_lshl_b64 s[18:19], s[26:27], 2
	s_ashr_i32 s28, s9, 31
	s_add_nc_u64 s[16:17], s[16:17], s[4:5]
	s_lshr_b32 s4, s28, 28
	s_lshl_b64 s[6:7], s[46:47], 2
	s_add_co_i32 s4, s9, s4
	s_ashr_i32 s31, s8, 31
	s_and_b32 s52, s4, -16
	v_cmp_gt_i32_e64 s2, s8, v8
	s_sub_co_i32 s5, s9, s52
	v_cmp_gt_i32_e64 s3, s8, v9
	s_cmp_gt_i32 s5, 0
	v_mad_co_u64_u32 v[8:9], null, s36, v17, 0
	v_cmp_gt_u32_e64 s5, 0x100, v10
	v_mad_co_u64_u32 v[10:11], null, s20, v20, 0
	s_mov_b32 s30, s8
	s_add_nc_u64 s[28:29], s[44:45], s[6:7]
	s_cselect_b32 s53, -1, 0
	v_mul_lo_u32 v22, s49, v21
	s_ashr_i32 s6, s34, 31
	v_mad_co_u64_u32 v[28:29], null, s36, v24, 0
	v_mad_co_u64_u32 v[12:13], null, s37, v17, v[9:10]
	v_mov_b32_e32 v9, v11
	v_mad_co_u64_u32 v[13:14], null, s36, v20, 0
	v_mad_co_u64_u32 v[2:3], null, s48, v0, 0
	s_delay_alu instid0(VALU_DEP_3) | instskip(SKIP_1) | instid1(VALU_DEP_4)
	v_mad_co_u64_u32 v[15:16], null, s21, v20, v[9:10]
	v_dual_mov_b32 v9, v12 :: v_dual_add_nc_u32 v4, 64, v6
	v_mov_b32_e32 v12, v14
	v_cmp_gt_i64_e32 vcc_lo, s[30:31], v[0:1]
	s_mul_i32 s7, s48, s6
	s_delay_alu instid0(VALU_DEP_3)
	v_cmp_gt_i32_e64 s1, s8, v4
	v_mad_co_u64_u32 v[3:4], null, s49, v0, v[3:4]
	v_lshlrev_b64_e32 v[8:9], 4, v[8:9]
	v_dual_mov_b32 v11, v15 :: v_dual_lshlrev_b32 v4, 2, v5
	v_mad_co_u64_u32 v[14:15], null, s37, v20, v[12:13]
	v_mad_co_u64_u32 v[15:16], null, s20, v17, 0
	s_delay_alu instid0(VALU_DEP_3)
	v_lshl_add_u32 v0, v17, 10, v4
	v_lshl_add_u32 v19, v17, 8, v4
	v_mad_co_u64_u32 v[4:5], null, s48, v21, 0
	s_and_b32 s54, s5, vcc_lo
	v_add_co_u32 v20, vcc_lo, s24, v8
	v_cmp_gt_i32_e64 s6, s8, v21
	v_add_co_ci_u32_e64 v21, null, s25, v9, vcc_lo
	v_lshlrev_b64_e32 v[8:9], 2, v[10:11]
	v_mad_co_u64_u32 v[11:12], null, s20, v24, 0
	v_mov_b32_e32 v10, v16
	v_add3_u32 v5, v5, s7, v22
	v_mad_co_u64_u32 v[30:31], null, s36, v18, s[36:37]
	v_add_co_u32 v22, vcc_lo, s16, v8
	s_delay_alu instid0(VALU_DEP_4)
	v_mad_co_u64_u32 v[16:17], null, s21, v17, v[10:11]
	s_wait_alu 0xfffd
	v_add_co_ci_u32_e64 v23, null, s17, v9, vcc_lo
	v_lshlrev_b64_e32 v[9:10], 2, v[13:14]
	v_mov_b32_e32 v8, v12
	v_mov_b32_e32 v12, v29
	v_mad_co_u64_u32 v[32:33], null, s20, v18, s[20:21]
	v_cmp_gt_i32_e64 s0, s8, v6
	s_delay_alu instid0(VALU_DEP_4)
	v_mad_co_u64_u32 v[13:14], null, s21, v24, v[8:9]
	v_mov_b32_e32 v8, v31
	v_lshlrev_b64_e32 v[6:7], 2, v[6:7]
	v_cmp_gt_i32_e64 s4, s52, v18
	s_add_nc_u64 s[26:27], s[24:25], s[18:19]
	s_lshl_b64 s[30:31], s[38:39], 2
	s_lshl_b64 s[34:35], s[22:23], 2
	v_mad_co_u64_u32 v[26:27], null, s37, v24, v[12:13]
	v_add_co_u32 v24, vcc_lo, s24, v9
	s_wait_alu 0xfffd
	v_add_co_ci_u32_e64 v25, null, s25, v10, vcc_lo
	v_lshlrev_b64_e32 v[9:10], 4, v[15:16]
	s_delay_alu instid0(VALU_DEP_4) | instskip(SKIP_1) | instid1(VALU_DEP_2)
	v_dual_mov_b32 v12, v13 :: v_dual_mov_b32 v29, v26
	s_lshl_b64 s[44:45], s[20:21], 6
	v_add_co_u32 v26, vcc_lo, s16, v9
	v_mad_co_u64_u32 v[13:14], null, s37, v18, v[8:9]
	s_wait_alu 0xfffd
	v_add_co_ci_u32_e64 v27, null, s17, v10, vcc_lo
	v_lshlrev_b64_e32 v[9:10], 2, v[11:12]
	v_mov_b32_e32 v8, v33
	v_lshlrev_b64_e32 v[14:15], 2, v[28:29]
	v_mov_b32_e32 v31, v13
	s_delay_alu instid0(VALU_DEP_3) | instskip(SKIP_1) | instid1(VALU_DEP_3)
	v_mad_co_u64_u32 v[11:12], null, s21, v18, v[8:9]
	v_add_co_u32 v28, vcc_lo, s16, v9
	v_lshlrev_b64_e32 v[8:9], 2, v[30:31]
	s_wait_alu 0xfffd
	v_add_co_ci_u32_e64 v29, null, s17, v10, vcc_lo
	v_add_co_u32 v30, vcc_lo, s24, v14
	v_mov_b32_e32 v33, v11
	s_wait_alu 0xfffd
	v_add_co_ci_u32_e64 v31, null, s25, v15, vcc_lo
	s_delay_alu instid0(VALU_DEP_2) | instskip(SKIP_4) | instid1(VALU_DEP_4)
	v_lshlrev_b64_e32 v[10:11], 2, v[32:33]
	v_add_co_u32 v32, vcc_lo, s24, v8
	s_wait_alu 0xfffd
	v_add_co_ci_u32_e64 v33, null, s25, v9, vcc_lo
	v_lshlrev_b64_e32 v[8:9], 2, v[2:3]
	v_add_co_u32 v34, vcc_lo, s16, v10
	s_wait_alu 0xfffd
	v_add_co_ci_u32_e64 v35, null, s17, v11, vcc_lo
	s_lshl_b64 s[24:25], s[36:37], 6
	s_branch .LBB3_5
.LBB3_3:                                ;   in Loop: Header=BB3_5 Depth=1
	s_wait_alu 0xfffe
	s_or_b32 exec_lo, exec_lo, s7
.LBB3_4:                                ;   in Loop: Header=BB3_5 Depth=1
	s_add_co_i32 s10, s10, 0x10000
	s_delay_alu instid0(SALU_CYCLE_1)
	s_cmp_lt_u32 s10, s33
	s_cbranch_scc0 .LBB3_53
.LBB3_5:                                ; =>This Loop Header: Depth=1
                                        ;     Child Loop BB3_21 Depth 2
	s_mul_u64 s[46:47], s[14:15], s[10:11]
	s_mul_u64 s[48:49], s[42:43], s[10:11]
	s_wait_alu 0xfffe
	s_lshl_b64 s[46:47], s[46:47], 2
	s_lshl_b64 s[48:49], s[48:49], 2
	s_wait_alu 0xfffe
	s_add_nc_u64 s[46:47], s[12:13], s[46:47]
	s_add_nc_u64 s[48:49], s[40:41], s[48:49]
	s_clause 0x1
	global_load_b32 v36, v1, s[46:47]
	global_load_b32 v10, v1, s[48:49]
	s_wait_loadcnt 0x1
	v_cmp_eq_f32_e32 vcc_lo, 0, v36
	s_wait_loadcnt 0x0
	v_cmp_eq_f32_e64 s7, 1.0, v10
	v_readfirstlane_b32 s55, v10
	s_and_b32 s7, vcc_lo, s7
	s_wait_alu 0xfffe
	s_and_b32 vcc_lo, exec_lo, s7
	s_wait_alu 0xfffe
	s_cbranch_vccnz .LBB3_4
; %bb.6:                                ;   in Loop: Header=BB3_5 Depth=1
	v_cmp_neq_f32_e32 vcc_lo, 0, v36
	s_mul_u64 s[46:47], s[50:51], s[10:11]
	s_wait_alu 0xfffe
	s_lshl_b64 s[46:47], s[46:47], 2
	s_wait_alu 0xfffe
	s_add_nc_u64 s[46:47], s[28:29], s[46:47]
	s_cbranch_vccnz .LBB3_10
; %bb.7:                                ;   in Loop: Header=BB3_5 Depth=1
	s_mov_b32 s7, 0
	s_mov_b32 s56, 0
                                        ; implicit-def: $vgpr12
	s_and_saveexec_b32 s8, s54
	s_cbranch_execz .LBB3_11
; %bb.8:                                ;   in Loop: Header=BB3_5 Depth=1
	s_cmp_eq_f32 s55, 0
	s_cbranch_scc1 .LBB3_13
; %bb.9:                                ;   in Loop: Header=BB3_5 Depth=1
	s_wait_alu 0xfffe
	v_add_co_u32 v10, vcc_lo, s46, v8
	s_wait_alu 0xfffd
	v_add_co_ci_u32_e64 v11, null, s47, v9, vcc_lo
	global_load_b32 v10, v[10:11], off
	s_wait_loadcnt 0x0
	v_mul_f32_e32 v12, s55, v10
	s_branch .LBB3_14
.LBB3_10:                               ;   in Loop: Header=BB3_5 Depth=1
	s_mov_b32 s56, 0
                                        ; implicit-def: $vgpr12
	s_cbranch_execz .LBB3_12
	s_branch .LBB3_15
.LBB3_11:                               ;   in Loop: Header=BB3_5 Depth=1
	s_wait_alu 0xfffe
	s_or_b32 exec_lo, exec_lo, s8
	s_delay_alu instid0(SALU_CYCLE_1)
	s_and_b32 vcc_lo, exec_lo, s7
	s_wait_alu 0xfffe
	s_cbranch_vccnz .LBB3_15
.LBB3_12:                               ;   in Loop: Header=BB3_5 Depth=1
	v_dual_mov_b32 v11, v3 :: v_dual_mov_b32 v10, v2
	s_and_saveexec_b32 s7, s56
	s_cbranch_execz .LBB3_3
	s_branch .LBB3_52
.LBB3_13:                               ;   in Loop: Header=BB3_5 Depth=1
	v_mov_b32_e32 v12, 0
.LBB3_14:                               ;   in Loop: Header=BB3_5 Depth=1
	s_mov_b32 s56, exec_lo
	s_wait_alu 0xfffe
	s_or_b32 exec_lo, exec_lo, s8
	s_delay_alu instid0(SALU_CYCLE_1)
	s_and_b32 vcc_lo, exec_lo, s7
	s_wait_alu 0xfffe
	s_cbranch_vccz .LBB3_12
.LBB3_15:                               ;   in Loop: Header=BB3_5 Depth=1
	v_dual_mov_b32 v37, 0 :: v_dual_mov_b32 v38, 0
	v_dual_mov_b32 v41, v18 :: v_dual_mov_b32 v40, 0
	v_mov_b32_e32 v39, 0
	s_and_saveexec_b32 s8, s4
	s_cbranch_execz .LBB3_27
; %bb.16:                               ;   in Loop: Header=BB3_5 Depth=1
	s_mul_u64 s[48:49], s[30:31], s[10:11]
	s_mul_u64 s[58:59], s[34:35], s[10:11]
	s_wait_alu 0xfffe
	v_add_co_u32 v42, vcc_lo, v20, s48
	s_wait_alu 0xfffd
	v_add_co_ci_u32_e64 v43, null, s49, v21, vcc_lo
	v_add_co_u32 v44, vcc_lo, v22, s58
	s_wait_alu 0xfffd
	v_add_co_ci_u32_e64 v45, null, s59, v23, vcc_lo
	;; [unrolled: 3-line block ×8, first 2 shown]
	v_dual_mov_b32 v37, 0 :: v_dual_mov_b32 v38, 0
	v_dual_mov_b32 v41, v18 :: v_dual_mov_b32 v40, 0
	v_mov_b32_e32 v39, 0
	s_mov_b32 s48, 0
	s_branch .LBB3_21
.LBB3_17:                               ;   in Loop: Header=BB3_21 Depth=2
	s_wait_alu 0xfffe
	s_or_b32 exec_lo, exec_lo, s58
	s_wait_loadcnt 0x3
	v_fmac_f32_e32 v39, v59, v73
	s_wait_loadcnt 0x2
	s_delay_alu instid0(VALU_DEP_1) | instskip(SKIP_1) | instid1(VALU_DEP_1)
	v_fmac_f32_e32 v39, v58, v72
	s_wait_loadcnt 0x1
	v_fmac_f32_e32 v39, v60, v71
	s_wait_loadcnt 0x0
	s_delay_alu instid0(VALU_DEP_1)
	v_fmac_f32_e32 v39, v61, v70
.LBB3_18:                               ;   in Loop: Header=BB3_21 Depth=2
	s_or_b32 exec_lo, exec_lo, s57
	s_wait_loadcnt 0x3
	v_fmac_f32_e32 v38, v59, v69
	s_wait_loadcnt 0x2
	s_delay_alu instid0(VALU_DEP_1) | instskip(SKIP_1) | instid1(VALU_DEP_1)
	v_fmac_f32_e32 v38, v58, v68
	s_wait_loadcnt 0x1
	v_fmac_f32_e32 v38, v60, v67
	s_wait_loadcnt 0x0
	s_delay_alu instid0(VALU_DEP_1)
	v_fmac_f32_e32 v38, v61, v66
.LBB3_19:                               ;   in Loop: Header=BB3_21 Depth=2
	s_wait_alu 0xfffe
	s_or_b32 exec_lo, exec_lo, s49
	s_wait_loadcnt 0x3
	v_fmac_f32_e32 v37, v59, v65
	s_wait_loadcnt 0x2
	s_delay_alu instid0(VALU_DEP_1) | instskip(SKIP_1) | instid1(VALU_DEP_1)
	v_fmac_f32_e32 v37, v58, v63
	s_wait_loadcnt 0x1
	v_fmac_f32_e32 v37, v60, v62
	s_wait_loadcnt 0x0
	s_delay_alu instid0(VALU_DEP_1)
	v_fmac_f32_e32 v37, v61, v64
.LBB3_20:                               ;   in Loop: Header=BB3_21 Depth=2
	s_wait_alu 0xfffe
	s_or_b32 exec_lo, exec_lo, s7
	v_add_co_u32 v42, vcc_lo, v42, s24
	s_wait_alu 0xfffd
	v_add_co_ci_u32_e64 v43, null, s25, v43, vcc_lo
	v_add_co_u32 v44, vcc_lo, v44, s44
	s_wait_alu 0xfffd
	v_add_co_ci_u32_e64 v45, null, s45, v45, vcc_lo
	v_add_co_u32 v46, vcc_lo, v46, s24
	s_wait_alu 0xfffd
	v_add_co_ci_u32_e64 v47, null, s25, v47, vcc_lo
	v_add_co_u32 v48, vcc_lo, v48, s44
	s_wait_alu 0xfffd
	v_add_co_ci_u32_e64 v49, null, s45, v49, vcc_lo
	v_add_co_u32 v50, vcc_lo, v50, s44
	v_add_nc_u32_e32 v41, 16, v41
	s_wait_alu 0xfffd
	v_add_co_ci_u32_e64 v51, null, s45, v51, vcc_lo
	v_add_co_u32 v52, vcc_lo, v52, s24
	s_wait_alu 0xfffd
	v_add_co_ci_u32_e64 v53, null, s25, v53, vcc_lo
	v_add_co_u32 v54, vcc_lo, v54, s24
	s_wait_alu 0xfffd
	v_add_co_ci_u32_e64 v55, null, s25, v55, vcc_lo
	v_cmp_le_i32_e32 vcc_lo, s52, v41
	v_add_co_u32 v56, s7, v56, s44
	s_wait_alu 0xf1ff
	v_add_co_ci_u32_e64 v57, null, s45, v57, s7
	s_or_b32 s48, vcc_lo, s48
	s_wait_alu 0xfffe
	s_and_not1_b32 exec_lo, exec_lo, s48
	s_cbranch_execz .LBB3_26
.LBB3_21:                               ;   Parent Loop BB3_5 Depth=1
                                        ; =>  This Inner Loop Header: Depth=2
	s_and_saveexec_b32 s7, s0
	s_cbranch_execz .LBB3_20
; %bb.22:                               ;   in Loop: Header=BB3_21 Depth=2
	v_add_co_u32 v10, vcc_lo, v42, s18
	s_wait_alu 0xfffd
	v_add_co_ci_u32_e64 v11, null, s19, v43, vcc_lo
	v_add_co_u32 v12, vcc_lo, v54, s18
	s_wait_alu 0xfffd
	v_add_co_ci_u32_e64 v13, null, s19, v55, vcc_lo
	v_add_co_u32 v14, vcc_lo, v52, s18
	s_wait_alu 0xfffd
	v_add_co_ci_u32_e64 v15, null, s19, v53, vcc_lo
	v_add_co_u32 v61, vcc_lo, v46, s18
	global_load_b32 v59, v[10:11], off
	global_load_b32 v58, v[12:13], off
	;; [unrolled: 1-line block ×3, first 2 shown]
	s_wait_alu 0xfffd
	v_add_co_ci_u32_e64 v62, null, s19, v47, vcc_lo
	v_add_co_u32 v10, vcc_lo, v48, v6
	s_wait_alu 0xfffd
	v_add_co_ci_u32_e64 v11, null, v49, v7, vcc_lo
	v_add_co_u32 v12, vcc_lo, v56, v6
	;; [unrolled: 3-line block ×4, first 2 shown]
	s_wait_alu 0xfffd
	v_add_co_ci_u32_e64 v17, null, v45, v7, vcc_lo
	global_load_b32 v61, v[61:62], off
	global_load_b32 v65, v[10:11], off
	;; [unrolled: 1-line block ×5, first 2 shown]
	s_and_saveexec_b32 s49, s1
	s_cbranch_execz .LBB3_19
; %bb.23:                               ;   in Loop: Header=BB3_21 Depth=2
	global_load_b32 v69, v[10:11], off offset:256
	global_load_b32 v68, v[12:13], off offset:256
	global_load_b32 v67, v[14:15], off offset:256
	global_load_b32 v66, v[16:17], off offset:256
	s_and_saveexec_b32 s57, s2
	s_cbranch_execz .LBB3_18
; %bb.24:                               ;   in Loop: Header=BB3_21 Depth=2
	global_load_b32 v73, v[10:11], off offset:512
	global_load_b32 v72, v[12:13], off offset:512
	global_load_b32 v71, v[14:15], off offset:512
	global_load_b32 v70, v[16:17], off offset:512
	;; [unrolled: 7-line block ×3, first 2 shown]
	s_wait_loadcnt 0x3
	v_fmac_f32_e32 v40, v59, v10
	s_wait_loadcnt 0x2
	s_delay_alu instid0(VALU_DEP_1) | instskip(SKIP_1) | instid1(VALU_DEP_1)
	v_fmac_f32_e32 v40, v58, v11
	s_wait_loadcnt 0x1
	v_fmac_f32_e32 v40, v60, v12
	s_wait_loadcnt 0x0
	s_delay_alu instid0(VALU_DEP_1)
	v_fmac_f32_e32 v40, v61, v13
	s_branch .LBB3_17
.LBB3_26:                               ;   in Loop: Header=BB3_5 Depth=1
	s_or_b32 exec_lo, exec_lo, s48
.LBB3_27:                               ;   in Loop: Header=BB3_5 Depth=1
	s_wait_alu 0xfffe
	s_or_b32 exec_lo, exec_lo, s8
	s_delay_alu instid0(SALU_CYCLE_1)
	s_and_not1_b32 vcc_lo, exec_lo, s53
	s_wait_alu 0xfffe
	s_cbranch_vccnz .LBB3_45
; %bb.28:                               ;   in Loop: Header=BB3_5 Depth=1
	v_cmp_gt_i32_e32 vcc_lo, s9, v41
	v_dual_mov_b32 v45, 0 :: v_dual_mov_b32 v44, 0
	v_or_b32_e32 v10, 1, v41
	v_dual_mov_b32 v43, 0 :: v_dual_mov_b32 v42, 0
	s_and_saveexec_b32 s8, vcc_lo
	s_cbranch_execz .LBB3_36
; %bb.29:                               ;   in Loop: Header=BB3_5 Depth=1
	v_mad_co_u64_u32 v[11:12], null, s36, v41, 0
	s_mul_u64 s[48:49], s[38:39], s[10:11]
	v_dual_mov_b32 v43, 0 :: v_dual_mov_b32 v44, 0
	s_wait_alu 0xfffe
	s_lshl_b64 s[48:49], s[48:49], 2
	v_mov_b32_e32 v45, 0
	s_wait_alu 0xfffe
	s_add_nc_u64 s[48:49], s[26:27], s[48:49]
	v_mad_co_u64_u32 v[12:13], null, s37, v41, v[12:13]
	s_mov_b32 s57, exec_lo
	v_lshlrev_b64_e32 v[11:12], 2, v[11:12]
	s_wait_alu 0xfffe
	s_delay_alu instid0(VALU_DEP_1) | instskip(SKIP_1) | instid1(VALU_DEP_2)
	v_add_co_u32 v11, s7, s48, v11
	s_wait_alu 0xf1ff
	v_add_co_ci_u32_e64 v12, null, s49, v12, s7
	global_load_b32 v42, v[11:12], off
	v_cmpx_gt_i32_e64 s9, v10
	s_cbranch_execz .LBB3_35
; %bb.30:                               ;   in Loop: Header=BB3_5 Depth=1
	v_mad_co_u64_u32 v[11:12], null, s36, v10, 0
	v_dual_mov_b32 v44, 0 :: v_dual_mov_b32 v45, 0
	s_mov_b32 s58, exec_lo
	s_delay_alu instid0(VALU_DEP_2) | instskip(NEXT) | instid1(VALU_DEP_1)
	v_mad_co_u64_u32 v[12:13], null, s37, v10, v[12:13]
	v_lshlrev_b64_e32 v[11:12], 2, v[11:12]
	s_delay_alu instid0(VALU_DEP_1) | instskip(SKIP_1) | instid1(VALU_DEP_2)
	v_add_co_u32 v11, s7, s48, v11
	s_wait_alu 0xf1ff
	v_add_co_ci_u32_e64 v12, null, s49, v12, s7
	global_load_b32 v43, v[11:12], off
	v_or_b32_e32 v11, 2, v41
	s_delay_alu instid0(VALU_DEP_1)
	v_cmpx_gt_i32_e64 s9, v11
	s_cbranch_execz .LBB3_34
; %bb.31:                               ;   in Loop: Header=BB3_5 Depth=1
	v_mad_co_u64_u32 v[12:13], null, s36, v11, 0
	v_mov_b32_e32 v45, 0
	s_mov_b32 s59, exec_lo
	s_delay_alu instid0(VALU_DEP_2) | instskip(NEXT) | instid1(VALU_DEP_1)
	v_mad_co_u64_u32 v[13:14], null, s37, v11, v[13:14]
	v_lshlrev_b64_e32 v[11:12], 2, v[12:13]
	s_delay_alu instid0(VALU_DEP_1) | instskip(SKIP_1) | instid1(VALU_DEP_2)
	v_add_co_u32 v11, s7, s48, v11
	s_wait_alu 0xf1ff
	v_add_co_ci_u32_e64 v12, null, s49, v12, s7
	global_load_b32 v44, v[11:12], off
	v_or_b32_e32 v11, 3, v41
	s_delay_alu instid0(VALU_DEP_1)
	v_cmpx_gt_i32_e64 s9, v11
	s_cbranch_execz .LBB3_33
; %bb.32:                               ;   in Loop: Header=BB3_5 Depth=1
	v_mad_co_u64_u32 v[12:13], null, s36, v11, 0
	s_delay_alu instid0(VALU_DEP_1) | instskip(NEXT) | instid1(VALU_DEP_1)
	v_mad_co_u64_u32 v[13:14], null, s37, v11, v[13:14]
	v_lshlrev_b64_e32 v[11:12], 2, v[12:13]
	s_delay_alu instid0(VALU_DEP_1) | instskip(SKIP_1) | instid1(VALU_DEP_2)
	v_add_co_u32 v11, s7, s48, v11
	s_wait_alu 0xf1ff
	v_add_co_ci_u32_e64 v12, null, s49, v12, s7
	global_load_b32 v45, v[11:12], off
.LBB3_33:                               ;   in Loop: Header=BB3_5 Depth=1
	s_wait_alu 0xfffe
	s_or_b32 exec_lo, exec_lo, s59
.LBB3_34:                               ;   in Loop: Header=BB3_5 Depth=1
	s_wait_alu 0xfffe
	s_or_b32 exec_lo, exec_lo, s58
.LBB3_35:                               ;   in Loop: Header=BB3_5 Depth=1
	s_delay_alu instid0(SALU_CYCLE_1)
	s_or_b32 exec_lo, exec_lo, s57
.LBB3_36:                               ;   in Loop: Header=BB3_5 Depth=1
	s_wait_alu 0xfffe
	s_or_b32 exec_lo, exec_lo, s8
	s_and_saveexec_b32 s48, s0
	s_cbranch_execz .LBB3_44
; %bb.37:                               ;   in Loop: Header=BB3_5 Depth=1
	v_mad_co_u64_u32 v[11:12], null, s20, v41, 0
	v_mad_co_u64_u32 v[13:14], null, s20, v10, 0
	v_or_b32_e32 v50, 2, v41
	v_or_b32_e32 v51, 3, v41
	s_mul_u64 s[58:59], s[22:23], s[10:11]
	s_wait_alu 0xfffe
	s_lshl_b64 s[58:59], s[58:59], 2
	v_cmp_gt_i32_e64 s7, s9, v50
	s_delay_alu instid0(VALU_DEP_4) | instskip(SKIP_4) | instid1(VALU_DEP_2)
	v_mad_co_u64_u32 v[15:16], null, s21, v41, v[12:13]
	v_mad_co_u64_u32 v[16:17], null, s20, v50, 0
	;; [unrolled: 1-line block ×3, first 2 shown]
	s_wait_alu 0xfffe
	s_add_nc_u64 s[58:59], s[16:17], s[58:59]
	v_dual_cndmask_b32 v12, 0, v15 :: v_dual_mov_b32 v15, v17
	s_delay_alu instid0(VALU_DEP_2) | instskip(NEXT) | instid1(VALU_DEP_2)
	v_mov_b32_e32 v17, v47
	v_mad_co_u64_u32 v[48:49], null, s21, v10, v[14:15]
	v_cndmask_b32_e32 v11, 0, v11, vcc_lo
	v_cmp_gt_i32_e32 vcc_lo, s9, v10
	s_wait_alu 0xfffd
	s_delay_alu instid0(VALU_DEP_3) | instskip(NEXT) | instid1(VALU_DEP_3)
	v_dual_cndmask_b32 v13, 0, v13 :: v_dual_cndmask_b32 v14, 0, v48
	v_lshlrev_b64_e32 v[11:12], 2, v[11:12]
	s_wait_alu 0xfffe
	s_delay_alu instid0(VALU_DEP_1) | instskip(SKIP_1) | instid1(VALU_DEP_2)
	v_add_co_u32 v10, s8, s58, v11
	s_wait_alu 0xf1ff
	v_add_co_ci_u32_e64 v11, null, s59, v12, s8
	v_lshlrev_b64_e32 v[12:13], 2, v[13:14]
	s_delay_alu instid0(VALU_DEP_3) | instskip(SKIP_1) | instid1(VALU_DEP_3)
	v_add_co_u32 v10, vcc_lo, v10, v6
	s_wait_alu 0xfffd
	v_add_co_ci_u32_e64 v11, null, v11, v7, vcc_lo
	v_cmp_gt_i32_e32 vcc_lo, s9, v51
	v_cndmask_b32_e64 v14, 0, v16, s7
	s_wait_alu 0xfffd
	v_cndmask_b32_e32 v46, 0, v46, vcc_lo
	v_mad_co_u64_u32 v[49:50], null, s21, v50, v[15:16]
	v_mad_co_u64_u32 v[16:17], null, s21, v51, v[17:18]
	s_delay_alu instid0(VALU_DEP_2) | instskip(SKIP_1) | instid1(VALU_DEP_3)
	v_cndmask_b32_e64 v15, 0, v49, s7
	v_add_co_u32 v12, s7, s58, v12
	v_cndmask_b32_e32 v47, 0, v16, vcc_lo
	s_wait_alu 0xf1ff
	v_add_co_ci_u32_e64 v13, null, s59, v13, s7
	v_lshlrev_b64_e32 v[14:15], 2, v[14:15]
	v_add_co_u32 v12, vcc_lo, v12, v6
	v_lshlrev_b64_e32 v[16:17], 2, v[46:47]
	s_wait_alu 0xfffd
	v_add_co_ci_u32_e64 v13, null, v13, v7, vcc_lo
	s_delay_alu instid0(VALU_DEP_4)
	v_add_co_u32 v14, vcc_lo, s58, v14
	s_wait_alu 0xfffd
	v_add_co_ci_u32_e64 v15, null, s59, v15, vcc_lo
	v_add_co_u32 v41, vcc_lo, s58, v16
	s_wait_alu 0xfffd
	v_add_co_ci_u32_e64 v46, null, s59, v17, vcc_lo
	;; [unrolled: 3-line block ×4, first 2 shown]
	s_clause 0x3
	global_load_b32 v48, v[10:11], off
	global_load_b32 v46, v[12:13], off
	;; [unrolled: 1-line block ×4, first 2 shown]
	s_and_saveexec_b32 s7, s1
	s_cbranch_execz .LBB3_43
; %bb.38:                               ;   in Loop: Header=BB3_5 Depth=1
	s_clause 0x3
	global_load_b32 v52, v[10:11], off offset:256
	global_load_b32 v51, v[12:13], off offset:256
	global_load_b32 v50, v[16:17], off offset:256
	global_load_b32 v49, v[14:15], off offset:256
	s_and_saveexec_b32 s8, s2
	s_cbranch_execz .LBB3_42
; %bb.39:                               ;   in Loop: Header=BB3_5 Depth=1
	s_clause 0x3
	global_load_b32 v56, v[10:11], off offset:512
	global_load_b32 v55, v[12:13], off offset:512
	global_load_b32 v54, v[16:17], off offset:512
	global_load_b32 v53, v[14:15], off offset:512
	;; [unrolled: 8-line block ×3, first 2 shown]
	s_wait_loadcnt 0x3
	v_fmac_f32_e32 v40, v42, v10
	s_wait_loadcnt 0x2
	s_delay_alu instid0(VALU_DEP_1) | instskip(SKIP_1) | instid1(VALU_DEP_1)
	v_fmac_f32_e32 v40, v43, v11
	s_wait_loadcnt 0x1
	v_fmac_f32_e32 v40, v44, v12
	s_wait_loadcnt 0x0
	s_delay_alu instid0(VALU_DEP_1)
	v_fmac_f32_e32 v40, v45, v13
.LBB3_41:                               ;   in Loop: Header=BB3_5 Depth=1
	s_wait_alu 0xfffe
	s_or_b32 exec_lo, exec_lo, s49
	s_wait_loadcnt 0x3
	v_fmac_f32_e32 v39, v42, v56
	s_wait_loadcnt 0x2
	s_delay_alu instid0(VALU_DEP_1) | instskip(SKIP_1) | instid1(VALU_DEP_1)
	v_fmac_f32_e32 v39, v43, v55
	s_wait_loadcnt 0x1
	v_fmac_f32_e32 v39, v44, v54
	s_wait_loadcnt 0x0
	s_delay_alu instid0(VALU_DEP_1)
	v_fmac_f32_e32 v39, v45, v53
.LBB3_42:                               ;   in Loop: Header=BB3_5 Depth=1
	s_wait_alu 0xfffe
	s_or_b32 exec_lo, exec_lo, s8
	s_wait_loadcnt 0x3
	v_fmac_f32_e32 v38, v42, v52
	s_wait_loadcnt 0x2
	s_delay_alu instid0(VALU_DEP_1) | instskip(SKIP_1) | instid1(VALU_DEP_1)
	v_fmac_f32_e32 v38, v43, v51
	s_wait_loadcnt 0x1
	v_fmac_f32_e32 v38, v44, v50
	s_wait_loadcnt 0x0
	s_delay_alu instid0(VALU_DEP_1)
	v_fmac_f32_e32 v38, v45, v49
.LBB3_43:                               ;   in Loop: Header=BB3_5 Depth=1
	s_wait_alu 0xfffe
	s_or_b32 exec_lo, exec_lo, s7
	s_wait_loadcnt 0x3
	v_fmac_f32_e32 v37, v42, v48
	s_wait_loadcnt 0x2
	s_delay_alu instid0(VALU_DEP_1) | instskip(SKIP_1) | instid1(VALU_DEP_1)
	v_fmac_f32_e32 v37, v43, v46
	s_wait_loadcnt 0x1
	v_fmac_f32_e32 v37, v44, v41
	s_wait_loadcnt 0x0
	s_delay_alu instid0(VALU_DEP_1)
	v_fmac_f32_e32 v37, v45, v47
.LBB3_44:                               ;   in Loop: Header=BB3_5 Depth=1
	s_wait_alu 0xfffe
	s_or_b32 exec_lo, exec_lo, s48
.LBB3_45:                               ;   in Loop: Header=BB3_5 Depth=1
	ds_store_2addr_stride64_b32 v0, v37, v38 offset1:1
	ds_store_2addr_stride64_b32 v0, v39, v40 offset0:2 offset1:3
	s_wait_loadcnt_dscnt 0x0
	s_barrier_signal -1
	s_barrier_wait -1
	global_inv scope:SCOPE_SE
                                        ; implicit-def: $vgpr12
	s_and_saveexec_b32 s7, s5
	s_cbranch_execz .LBB3_51
; %bb.46:                               ;   in Loop: Header=BB3_5 Depth=1
	ds_load_2addr_stride64_b32 v[10:11], v19 offset1:4
	ds_load_2addr_stride64_b32 v[12:13], v19 offset0:8 offset1:12
	s_mov_b32 s48, s56
	s_wait_dscnt 0x1
	v_add_f32_e32 v10, v10, v11
	s_wait_dscnt 0x0
	s_delay_alu instid0(VALU_DEP_1) | instskip(NEXT) | instid1(VALU_DEP_1)
	v_add_f32_e32 v10, v12, v10
                                        ; implicit-def: $vgpr12
	v_add_f32_e32 v10, v13, v10
	ds_store_b32 v19, v10
	s_and_saveexec_b32 s8, s6
	s_cbranch_execz .LBB3_50
; %bb.47:                               ;   in Loop: Header=BB3_5 Depth=1
	v_mul_f32_e32 v12, v36, v10
	s_cmp_eq_f32 s55, 0
	s_cbranch_scc1 .LBB3_49
; %bb.48:                               ;   in Loop: Header=BB3_5 Depth=1
	v_lshlrev_b64_e32 v[10:11], 2, v[4:5]
	s_delay_alu instid0(VALU_DEP_1) | instskip(SKIP_1) | instid1(VALU_DEP_2)
	v_add_co_u32 v10, vcc_lo, s46, v10
	s_wait_alu 0xfffd
	v_add_co_ci_u32_e64 v11, null, s47, v11, vcc_lo
	global_load_b32 v10, v[10:11], off
	s_wait_loadcnt 0x0
	v_fmac_f32_e32 v12, s55, v10
.LBB3_49:                               ;   in Loop: Header=BB3_5 Depth=1
	s_or_b32 s48, s56, exec_lo
.LBB3_50:                               ;   in Loop: Header=BB3_5 Depth=1
	s_wait_alu 0xfffe
	s_or_b32 exec_lo, exec_lo, s8
	s_delay_alu instid0(SALU_CYCLE_1)
	s_and_not1_b32 s8, s56, exec_lo
	s_and_b32 s48, s48, exec_lo
	s_wait_alu 0xfffe
	s_or_b32 s56, s8, s48
.LBB3_51:                               ;   in Loop: Header=BB3_5 Depth=1
	s_wait_alu 0xfffe
	s_or_b32 exec_lo, exec_lo, s7
	v_dual_mov_b32 v11, v5 :: v_dual_mov_b32 v10, v4
	s_and_saveexec_b32 s7, s56
	s_cbranch_execz .LBB3_3
.LBB3_52:                               ;   in Loop: Header=BB3_5 Depth=1
	s_delay_alu instid0(VALU_DEP_1) | instskip(SKIP_1) | instid1(VALU_DEP_1)
	v_lshlrev_b64_e32 v[10:11], 2, v[10:11]
	s_wait_alu 0xfffe
	v_add_co_u32 v10, vcc_lo, s46, v10
	s_wait_alu 0xfffd
	s_delay_alu instid0(VALU_DEP_2)
	v_add_co_ci_u32_e64 v11, null, s47, v11, vcc_lo
	global_store_b32 v[10:11], v12, off
	s_branch .LBB3_3
.LBB3_53:
	s_endpgm
	.section	.rodata,"a",@progbits
	.p2align	6, 0x0
	.amdhsa_kernel _ZL20rocblas_gemvn_kernelILi64ELi4ElfPKffEviiT3_lPKT2_lT1_lS5_lS6_lS2_lPT4_lS6_li
		.amdhsa_group_segment_fixed_size 4096
		.amdhsa_private_segment_fixed_size 0
		.amdhsa_kernarg_size 400
		.amdhsa_user_sgpr_count 2
		.amdhsa_user_sgpr_dispatch_ptr 0
		.amdhsa_user_sgpr_queue_ptr 0
		.amdhsa_user_sgpr_kernarg_segment_ptr 1
		.amdhsa_user_sgpr_dispatch_id 0
		.amdhsa_user_sgpr_private_segment_size 0
		.amdhsa_wavefront_size32 1
		.amdhsa_uses_dynamic_stack 0
		.amdhsa_enable_private_segment 0
		.amdhsa_system_sgpr_workgroup_id_x 1
		.amdhsa_system_sgpr_workgroup_id_y 0
		.amdhsa_system_sgpr_workgroup_id_z 1
		.amdhsa_system_sgpr_workgroup_info 0
		.amdhsa_system_vgpr_workitem_id 1
		.amdhsa_next_free_vgpr 74
		.amdhsa_next_free_sgpr 60
		.amdhsa_reserve_vcc 1
		.amdhsa_float_round_mode_32 0
		.amdhsa_float_round_mode_16_64 0
		.amdhsa_float_denorm_mode_32 3
		.amdhsa_float_denorm_mode_16_64 3
		.amdhsa_fp16_overflow 0
		.amdhsa_workgroup_processor_mode 1
		.amdhsa_memory_ordered 1
		.amdhsa_forward_progress 1
		.amdhsa_inst_pref_size 29
		.amdhsa_round_robin_scheduling 0
		.amdhsa_exception_fp_ieee_invalid_op 0
		.amdhsa_exception_fp_denorm_src 0
		.amdhsa_exception_fp_ieee_div_zero 0
		.amdhsa_exception_fp_ieee_overflow 0
		.amdhsa_exception_fp_ieee_underflow 0
		.amdhsa_exception_fp_ieee_inexact 0
		.amdhsa_exception_int_div_zero 0
	.end_amdhsa_kernel
	.section	.text._ZL20rocblas_gemvn_kernelILi64ELi4ElfPKffEviiT3_lPKT2_lT1_lS5_lS6_lS2_lPT4_lS6_li,"axG",@progbits,_ZL20rocblas_gemvn_kernelILi64ELi4ElfPKffEviiT3_lPKT2_lT1_lS5_lS6_lS2_lPT4_lS6_li,comdat
.Lfunc_end3:
	.size	_ZL20rocblas_gemvn_kernelILi64ELi4ElfPKffEviiT3_lPKT2_lT1_lS5_lS6_lS2_lPT4_lS6_li, .Lfunc_end3-_ZL20rocblas_gemvn_kernelILi64ELi4ElfPKffEviiT3_lPKT2_lT1_lS5_lS6_lS2_lPT4_lS6_li
                                        ; -- End function
	.set _ZL20rocblas_gemvn_kernelILi64ELi4ElfPKffEviiT3_lPKT2_lT1_lS5_lS6_lS2_lPT4_lS6_li.num_vgpr, 74
	.set _ZL20rocblas_gemvn_kernelILi64ELi4ElfPKffEviiT3_lPKT2_lT1_lS5_lS6_lS2_lPT4_lS6_li.num_agpr, 0
	.set _ZL20rocblas_gemvn_kernelILi64ELi4ElfPKffEviiT3_lPKT2_lT1_lS5_lS6_lS2_lPT4_lS6_li.numbered_sgpr, 60
	.set _ZL20rocblas_gemvn_kernelILi64ELi4ElfPKffEviiT3_lPKT2_lT1_lS5_lS6_lS2_lPT4_lS6_li.num_named_barrier, 0
	.set _ZL20rocblas_gemvn_kernelILi64ELi4ElfPKffEviiT3_lPKT2_lT1_lS5_lS6_lS2_lPT4_lS6_li.private_seg_size, 0
	.set _ZL20rocblas_gemvn_kernelILi64ELi4ElfPKffEviiT3_lPKT2_lT1_lS5_lS6_lS2_lPT4_lS6_li.uses_vcc, 1
	.set _ZL20rocblas_gemvn_kernelILi64ELi4ElfPKffEviiT3_lPKT2_lT1_lS5_lS6_lS2_lPT4_lS6_li.uses_flat_scratch, 0
	.set _ZL20rocblas_gemvn_kernelILi64ELi4ElfPKffEviiT3_lPKT2_lT1_lS5_lS6_lS2_lPT4_lS6_li.has_dyn_sized_stack, 0
	.set _ZL20rocblas_gemvn_kernelILi64ELi4ElfPKffEviiT3_lPKT2_lT1_lS5_lS6_lS2_lPT4_lS6_li.has_recursion, 0
	.set _ZL20rocblas_gemvn_kernelILi64ELi4ElfPKffEviiT3_lPKT2_lT1_lS5_lS6_lS2_lPT4_lS6_li.has_indirect_call, 0
	.section	.AMDGPU.csdata,"",@progbits
; Kernel info:
; codeLenInByte = 3708
; TotalNumSgprs: 62
; NumVgprs: 74
; ScratchSize: 0
; MemoryBound: 0
; FloatMode: 240
; IeeeMode: 1
; LDSByteSize: 4096 bytes/workgroup (compile time only)
; SGPRBlocks: 0
; VGPRBlocks: 9
; NumSGPRsForWavesPerEU: 62
; NumVGPRsForWavesPerEU: 74
; Occupancy: 16
; WaveLimiterHint : 1
; COMPUTE_PGM_RSRC2:SCRATCH_EN: 0
; COMPUTE_PGM_RSRC2:USER_SGPR: 2
; COMPUTE_PGM_RSRC2:TRAP_HANDLER: 0
; COMPUTE_PGM_RSRC2:TGID_X_EN: 1
; COMPUTE_PGM_RSRC2:TGID_Y_EN: 0
; COMPUTE_PGM_RSRC2:TGID_Z_EN: 1
; COMPUTE_PGM_RSRC2:TIDIG_COMP_CNT: 1
	.section	.text._ZL20rocblas_gemvn_kernelILi64ELi4EifffEviiT3_lPKT2_lT1_lS3_lS4_lS0_lPT4_lS4_li,"axG",@progbits,_ZL20rocblas_gemvn_kernelILi64ELi4EifffEviiT3_lPKT2_lT1_lS3_lS4_lS0_lPT4_lS4_li,comdat
	.globl	_ZL20rocblas_gemvn_kernelILi64ELi4EifffEviiT3_lPKT2_lT1_lS3_lS4_lS0_lPT4_lS4_li ; -- Begin function _ZL20rocblas_gemvn_kernelILi64ELi4EifffEviiT3_lPKT2_lT1_lS3_lS4_lS0_lPT4_lS4_li
	.p2align	8
	.type	_ZL20rocblas_gemvn_kernelILi64ELi4EifffEviiT3_lPKT2_lT1_lS3_lS4_lS0_lPT4_lS4_li,@function
_ZL20rocblas_gemvn_kernelILi64ELi4EifffEviiT3_lPKT2_lT1_lS3_lS4_lS0_lPT4_lS4_li: ; @_ZL20rocblas_gemvn_kernelILi64ELi4EifffEviiT3_lPKT2_lT1_lS3_lS4_lS0_lPT4_lS4_li
; %bb.0:
	s_load_b64 s[2:3], s[0:1], 0x9c
	s_wait_kmcnt 0x0
	s_lshr_b32 s4, s2, 16
	s_and_b32 s2, s2, 0xffff
	s_and_b32 s3, s3, 0xffff
	s_mul_i32 s2, s4, s2
	s_delay_alu instid0(SALU_CYCLE_1) | instskip(NEXT) | instid1(SALU_CYCLE_1)
	s_mul_i32 s2, s2, s3
	s_cmp_lg_u32 s2, 0x100
	s_cbranch_scc1 .LBB4_53
; %bb.1:
	s_load_b32 s19, s[0:1], 0x88
	s_lshr_b32 s28, ttmp7, 16
	s_wait_kmcnt 0x0
	s_cmp_ge_u32 s28, s19
	s_cbranch_scc1 .LBB4_53
; %bb.2:
	s_clause 0x8
	s_load_b128 s[4:7], s[0:1], 0x18
	s_load_b96 s[16:18], s[0:1], 0x40
	s_load_b128 s[12:15], s[0:1], 0x68
	s_load_b32 s34, s[0:1], 0x78
	s_load_b96 s[20:22], s[0:1], 0x0
	s_load_b32 s23, s[0:1], 0x28
	s_load_b128 s[8:11], s[0:1], 0x30
	s_load_b96 s[24:26], s[0:1], 0x50
	s_load_b64 s[30:31], s[0:1], 0x80
	v_dual_mov_b32 v4, 0 :: v_dual_and_b32 v7, 0x3ff, v0
	v_bfe_u32 v6, v0, 10, 10
	s_mov_b32 s29, 0
	s_delay_alu instid0(VALU_DEP_2) | instskip(NEXT) | instid1(VALU_DEP_2)
	v_lshlrev_b32_e32 v5, 2, v7
	v_lshl_add_u32 v8, v6, 6, v7
	v_lshlrev_b32_e32 v17, 2, v6
	s_delay_alu instid0(VALU_DEP_3)
	v_lshl_add_u32 v18, v6, 10, v5
	s_wait_kmcnt 0x0
	s_lshl_b64 s[0:1], s[6:7], 2
	s_lshl_b64 s[2:3], s[16:17], 2
	;; [unrolled: 1-line block ×3, first 2 shown]
	s_ashr_i32 s35, s34, 31
	s_cmp_eq_f32 s22, 0
	s_add_nc_u64 s[14:15], s[4:5], s[0:1]
	v_mul_lo_u32 v9, s23, v17
	s_mov_b32 s16, s20
	s_cselect_b32 s27, -1, 0
	s_cmp_neq_f32 s22, 0
	s_add_nc_u64 s[10:11], s[10:11], s[2:3]
	s_add_nc_u64 s[12:13], s[12:13], s[6:7]
	v_lshl_add_u32 v20, v6, 8, v5
	s_cselect_b32 s36, -1, 0
	s_cmp_neq_f32 s26, 1.0
	v_add3_u32 v21, v9, s23, v7
	v_or_b32_e32 v9, 3, v17
	s_cselect_b32 s0, -1, 0
	s_lshl_b32 s33, ttmp9, 8
	s_ashr_i32 s17, s20, 31
	v_add_nc_u32_e32 v3, s33, v8
	v_or_b32_e32 v10, s33, v8
	s_or_b32 s38, s36, s0
	s_cmp_neq_f32 s26, 0
	v_or_b32_e32 v19, s33, v7
	v_mad_co_u64_u32 v[0:1], null, s34, v3, 0
	v_mul_lo_u32 v2, s34, v10
	s_cselect_b32 s39, -1, 0
	s_ashr_i32 s1, s21, 31
	v_cmp_gt_i64_e32 vcc_lo, s[16:17], v[3:4]
	s_lshr_b32 s1, s1, 28
	v_add_nc_u32_e32 v11, 64, v19
	s_add_co_i32 s3, s21, s1
	v_cmp_gt_i32_e64 s6, s20, v10
	v_mad_co_u64_u32 v[3:4], null, s35, v3, v[1:2]
	s_and_b32 s40, s3, -16
	v_mul_lo_u32 v10, v6, s23
	s_sub_co_i32 s5, s21, s40
	v_cmp_gt_i32_e64 s1, s20, v11
	s_cmp_gt_i32 s5, 0
	v_cmp_gt_u32_e64 s5, 0x100, v8
	v_or_b32_e32 v8, 2, v17
	v_mul_lo_u32 v11, v6, s18
	v_dual_mov_b32 v1, v3 :: v_dual_add_nc_u32 v12, 0x80, v19
	v_add_nc_u32_e32 v13, 0xc0, v19
	s_delay_alu instid0(VALU_DEP_4)
	v_mad_co_u64_u32 v[4:5], null, s23, v8, v[7:8]
	s_mov_b32 s16, s18
	v_mad_co_u64_u32 v[5:6], null, s23, v9, v[7:8]
	v_lshl_add_u32 v22, v10, 2, v7
	s_wait_alu 0xfffe
	v_mad_co_u64_u32 v[6:7], null, s18, v17, s[16:17]
	v_mul_lo_u32 v23, s18, v8
	v_mul_lo_u32 v24, s18, v9
	v_lshlrev_b64_e32 v[7:8], 2, v[0:1]
	v_cmp_gt_i32_e64 s0, s20, v19
	v_cmp_gt_i32_e64 s2, s20, v12
	;; [unrolled: 1-line block ×4, first 2 shown]
	v_ashrrev_i32_e32 v3, 31, v2
	v_lshlrev_b32_e32 v25, 2, v11
	s_cselect_b32 s20, -1, 0
	s_and_b32 s41, s5, vcc_lo
	s_lshl_b32 s42, s23, 4
	s_lshl_b32 s43, s18, 4
	s_branch .LBB4_5
.LBB4_3:                                ;   in Loop: Header=BB4_5 Depth=1
	s_wait_alu 0xfffe
	s_or_b32 exec_lo, exec_lo, s7
.LBB4_4:                                ;   in Loop: Header=BB4_5 Depth=1
	s_add_co_i32 s28, s28, 0x10000
	s_delay_alu instid0(SALU_CYCLE_1)
	s_cmp_lt_u32 s28, s19
	s_cbranch_scc0 .LBB4_53
.LBB4_5:                                ; =>This Loop Header: Depth=1
                                        ;     Child Loop BB4_21 Depth 2
	s_and_not1_b32 vcc_lo, exec_lo, s38
	s_wait_alu 0xfffe
	s_cbranch_vccnz .LBB4_4
; %bb.6:                                ;   in Loop: Header=BB4_5 Depth=1
	s_mul_u64 s[16:17], s[30:31], s[28:29]
	s_and_not1_b32 vcc_lo, exec_lo, s27
	s_wait_alu 0xfffe
	s_lshl_b64 s[16:17], s[16:17], 2
	s_wait_alu 0xfffe
	s_add_nc_u64 s[16:17], s[12:13], s[16:17]
	s_cbranch_vccnz .LBB4_10
; %bb.7:                                ;   in Loop: Header=BB4_5 Depth=1
	s_mov_b32 s7, 0
	s_mov_b32 s44, 0
                                        ; implicit-def: $vgpr11
	s_and_saveexec_b32 s34, s41
	s_cbranch_execz .LBB4_11
; %bb.8:                                ;   in Loop: Header=BB4_5 Depth=1
	s_and_not1_b32 vcc_lo, exec_lo, s39
	s_wait_alu 0xfffe
	s_cbranch_vccnz .LBB4_13
; %bb.9:                                ;   in Loop: Header=BB4_5 Depth=1
	v_add_co_u32 v9, vcc_lo, s16, v7
	s_wait_alu 0xfffd
	v_add_co_ci_u32_e64 v10, null, s17, v8, vcc_lo
	global_load_b32 v9, v[9:10], off
	s_wait_loadcnt 0x0
	v_mul_f32_e32 v11, s26, v9
	s_branch .LBB4_14
.LBB4_10:                               ;   in Loop: Header=BB4_5 Depth=1
	s_mov_b32 s44, 0
                                        ; implicit-def: $vgpr11
	s_cbranch_execz .LBB4_12
	s_branch .LBB4_15
.LBB4_11:                               ;   in Loop: Header=BB4_5 Depth=1
	s_wait_alu 0xfffe
	s_or_b32 exec_lo, exec_lo, s34
	s_delay_alu instid0(SALU_CYCLE_1)
	s_and_b32 vcc_lo, exec_lo, s7
	s_wait_alu 0xfffe
	s_cbranch_vccnz .LBB4_15
.LBB4_12:                               ;   in Loop: Header=BB4_5 Depth=1
	v_dual_mov_b32 v10, v1 :: v_dual_mov_b32 v9, v0
	s_and_saveexec_b32 s7, s44
	s_cbranch_execz .LBB4_3
	s_branch .LBB4_52
.LBB4_13:                               ;   in Loop: Header=BB4_5 Depth=1
	v_mov_b32_e32 v11, 0
.LBB4_14:                               ;   in Loop: Header=BB4_5 Depth=1
	s_mov_b32 s44, exec_lo
	s_wait_alu 0xfffe
	s_or_b32 exec_lo, exec_lo, s34
	s_delay_alu instid0(SALU_CYCLE_1)
	s_and_b32 vcc_lo, exec_lo, s7
	s_wait_alu 0xfffe
	s_cbranch_vccz .LBB4_12
.LBB4_15:                               ;   in Loop: Header=BB4_5 Depth=1
	s_mul_u64 s[34:35], s[8:9], s[28:29]
	s_mul_u64 s[36:37], s[24:25], s[28:29]
	v_dual_mov_b32 v26, 0 :: v_dual_mov_b32 v27, 0
	v_dual_mov_b32 v30, v17 :: v_dual_mov_b32 v29, 0
	v_mov_b32_e32 v28, 0
	s_wait_alu 0xfffe
	s_lshl_b64 s[34:35], s[34:35], 2
	s_lshl_b64 s[36:37], s[36:37], 2
	s_wait_alu 0xfffe
	s_add_nc_u64 s[34:35], s[14:15], s[34:35]
	s_add_nc_u64 s[36:37], s[10:11], s[36:37]
	s_and_saveexec_b32 s7, s4
	s_cbranch_execz .LBB4_27
; %bb.16:                               ;   in Loop: Header=BB4_5 Depth=1
	v_dual_mov_b32 v26, 0 :: v_dual_mov_b32 v31, v22
	v_dual_mov_b32 v32, v5 :: v_dual_mov_b32 v33, v4
	;; [unrolled: 1-line block ×4, first 2 shown]
	v_mov_b32_e32 v28, 0
	s_mov_b32 s45, 0
	s_mov_b32 s46, 0
	s_branch .LBB4_21
.LBB4_17:                               ;   in Loop: Header=BB4_21 Depth=2
	s_or_b32 exec_lo, exec_lo, s50
	s_wait_loadcnt 0x3
	v_fmac_f32_e32 v28, v38, v50
	s_wait_loadcnt 0x2
	s_delay_alu instid0(VALU_DEP_1) | instskip(SKIP_1) | instid1(VALU_DEP_1)
	v_fmac_f32_e32 v28, v37, v49
	s_wait_loadcnt 0x1
	v_fmac_f32_e32 v28, v36, v48
	s_wait_loadcnt 0x0
	s_delay_alu instid0(VALU_DEP_1)
	v_fmac_f32_e32 v28, v35, v47
.LBB4_18:                               ;   in Loop: Header=BB4_21 Depth=2
	s_or_b32 exec_lo, exec_lo, s49
	s_wait_loadcnt 0x3
	v_fmac_f32_e32 v27, v38, v46
	s_wait_loadcnt 0x2
	s_delay_alu instid0(VALU_DEP_1) | instskip(SKIP_1) | instid1(VALU_DEP_1)
	v_fmac_f32_e32 v27, v37, v45
	s_wait_loadcnt 0x1
	v_fmac_f32_e32 v27, v36, v44
	s_wait_loadcnt 0x0
	s_delay_alu instid0(VALU_DEP_1)
	v_fmac_f32_e32 v27, v35, v43
.LBB4_19:                               ;   in Loop: Header=BB4_21 Depth=2
	s_or_b32 exec_lo, exec_lo, s48
	s_wait_loadcnt 0x3
	v_fmac_f32_e32 v26, v38, v42
	s_wait_loadcnt 0x2
	s_delay_alu instid0(VALU_DEP_1) | instskip(SKIP_1) | instid1(VALU_DEP_1)
	v_fmac_f32_e32 v26, v37, v40
	s_wait_loadcnt 0x1
	v_fmac_f32_e32 v26, v36, v39
	s_wait_loadcnt 0x0
	s_delay_alu instid0(VALU_DEP_1)
	v_fmac_f32_e32 v26, v35, v41
.LBB4_20:                               ;   in Loop: Header=BB4_21 Depth=2
	s_wait_alu 0xfffe
	s_or_b32 exec_lo, exec_lo, s47
	v_add_nc_u32_e32 v30, 16, v30
	v_add_nc_u32_e32 v34, s42, v34
	;; [unrolled: 1-line block ×5, first 2 shown]
	v_cmp_le_i32_e32 vcc_lo, s40, v30
	s_add_co_i32 s46, s46, s43
	s_or_b32 s45, vcc_lo, s45
	s_delay_alu instid0(SALU_CYCLE_1)
	s_and_not1_b32 exec_lo, exec_lo, s45
	s_cbranch_execz .LBB4_26
.LBB4_21:                               ;   Parent Loop BB4_5 Depth=1
                                        ; =>  This Inner Loop Header: Depth=2
	s_and_saveexec_b32 s47, s0
	s_cbranch_execz .LBB4_20
; %bb.22:                               ;   in Loop: Header=BB4_21 Depth=2
	s_wait_alu 0xfffe
	v_add_nc_u32_e32 v9, s46, v25
	v_add_nc_u32_e32 v11, s46, v6
	v_add_nc_u32_e32 v13, s46, v23
	v_add_nc_u32_e32 v15, s46, v24
	v_add_nc_u32_e32 v35, s33, v31
	v_ashrrev_i32_e32 v10, 31, v9
	v_ashrrev_i32_e32 v12, 31, v11
	;; [unrolled: 1-line block ×5, first 2 shown]
	v_lshlrev_b64_e32 v[9:10], 2, v[9:10]
	v_lshlrev_b64_e32 v[11:12], 2, v[11:12]
	;; [unrolled: 1-line block ×3, first 2 shown]
	s_delay_alu instid0(VALU_DEP_3) | instskip(SKIP_1) | instid1(VALU_DEP_4)
	v_add_co_u32 v37, vcc_lo, s36, v9
	s_wait_alu 0xfffd
	v_add_co_ci_u32_e64 v38, null, s37, v10, vcc_lo
	s_delay_alu instid0(VALU_DEP_4)
	v_add_co_u32 v39, vcc_lo, s36, v11
	v_add_nc_u32_e32 v11, s33, v34
	s_wait_alu 0xfffd
	v_add_co_ci_u32_e64 v40, null, s37, v12, vcc_lo
	v_lshlrev_b64_e32 v[9:10], 2, v[15:16]
	v_add_co_u32 v41, vcc_lo, s36, v13
	v_add_nc_u32_e32 v15, s33, v33
	s_wait_alu 0xfffd
	v_add_co_ci_u32_e64 v42, null, s37, v14, vcc_lo
	v_lshlrev_b64_e32 v[13:14], 2, v[35:36]
	v_add_nc_u32_e32 v35, s33, v32
	v_ashrrev_i32_e32 v12, 31, v11
	v_ashrrev_i32_e32 v16, 31, v15
	v_add_co_u32 v43, vcc_lo, s36, v9
	s_delay_alu instid0(VALU_DEP_4)
	v_ashrrev_i32_e32 v36, 31, v35
	s_wait_alu 0xfffd
	v_add_co_ci_u32_e64 v44, null, s37, v10, vcc_lo
	v_lshlrev_b64_e32 v[11:12], 2, v[11:12]
	v_add_co_u32 v9, vcc_lo, s34, v13
	s_wait_alu 0xfffd
	v_add_co_ci_u32_e64 v10, null, s35, v14, vcc_lo
	v_lshlrev_b64_e32 v[13:14], 2, v[15:16]
	v_lshlrev_b64_e32 v[35:36], 2, v[35:36]
	v_add_co_u32 v11, vcc_lo, s34, v11
	s_wait_alu 0xfffd
	v_add_co_ci_u32_e64 v12, null, s35, v12, vcc_lo
	s_delay_alu instid0(VALU_DEP_4)
	v_add_co_u32 v15, vcc_lo, s34, v13
	s_wait_alu 0xfffd
	v_add_co_ci_u32_e64 v16, null, s35, v14, vcc_lo
	v_add_co_u32 v13, vcc_lo, s34, v35
	s_wait_alu 0xfffd
	v_add_co_ci_u32_e64 v14, null, s35, v36, vcc_lo
	s_clause 0x3
	global_load_b32 v38, v[37:38], off
	global_load_b32 v37, v[39:40], off
	;; [unrolled: 1-line block ×4, first 2 shown]
	s_clause 0x3
	global_load_b32 v42, v[9:10], off
	global_load_b32 v40, v[11:12], off
	;; [unrolled: 1-line block ×4, first 2 shown]
	s_and_saveexec_b32 s48, s1
	s_cbranch_execz .LBB4_19
; %bb.23:                               ;   in Loop: Header=BB4_21 Depth=2
	s_clause 0x3
	global_load_b32 v46, v[9:10], off offset:256
	global_load_b32 v45, v[11:12], off offset:256
	global_load_b32 v44, v[15:16], off offset:256
	global_load_b32 v43, v[13:14], off offset:256
	s_and_saveexec_b32 s49, s2
	s_cbranch_execz .LBB4_18
; %bb.24:                               ;   in Loop: Header=BB4_21 Depth=2
	s_clause 0x3
	global_load_b32 v50, v[9:10], off offset:512
	global_load_b32 v49, v[11:12], off offset:512
	global_load_b32 v48, v[15:16], off offset:512
	global_load_b32 v47, v[13:14], off offset:512
	;; [unrolled: 8-line block ×3, first 2 shown]
	s_wait_loadcnt 0x3
	v_fmac_f32_e32 v29, v38, v9
	s_wait_loadcnt 0x2
	s_delay_alu instid0(VALU_DEP_1) | instskip(SKIP_1) | instid1(VALU_DEP_1)
	v_fmac_f32_e32 v29, v37, v10
	s_wait_loadcnt 0x1
	v_fmac_f32_e32 v29, v36, v11
	s_wait_loadcnt 0x0
	s_delay_alu instid0(VALU_DEP_1)
	v_fmac_f32_e32 v29, v35, v12
	s_branch .LBB4_17
.LBB4_26:                               ;   in Loop: Header=BB4_5 Depth=1
	s_or_b32 exec_lo, exec_lo, s45
.LBB4_27:                               ;   in Loop: Header=BB4_5 Depth=1
	s_wait_alu 0xfffe
	s_or_b32 exec_lo, exec_lo, s7
	s_delay_alu instid0(SALU_CYCLE_1)
	s_and_not1_b32 vcc_lo, exec_lo, s20
	s_wait_alu 0xfffe
	s_cbranch_vccnz .LBB4_45
; %bb.28:                               ;   in Loop: Header=BB4_5 Depth=1
	v_cmp_gt_i32_e32 vcc_lo, s21, v30
	v_dual_mov_b32 v34, 0 :: v_dual_mov_b32 v33, 0
	v_or_b32_e32 v9, 1, v30
	v_dual_mov_b32 v32, 0 :: v_dual_mov_b32 v31, 0
	s_and_saveexec_b32 s45, vcc_lo
	s_cbranch_execz .LBB4_36
; %bb.29:                               ;   in Loop: Header=BB4_5 Depth=1
	v_mul_lo_u32 v10, v30, s18
	v_dual_mov_b32 v32, 0 :: v_dual_mov_b32 v33, 0
	v_mov_b32_e32 v34, 0
	s_mov_b32 s46, exec_lo
	s_delay_alu instid0(VALU_DEP_3) | instskip(NEXT) | instid1(VALU_DEP_1)
	v_ashrrev_i32_e32 v11, 31, v10
	v_lshlrev_b64_e32 v[10:11], 2, v[10:11]
	s_delay_alu instid0(VALU_DEP_1) | instskip(SKIP_1) | instid1(VALU_DEP_2)
	v_add_co_u32 v10, s7, s36, v10
	s_wait_alu 0xf1ff
	v_add_co_ci_u32_e64 v11, null, s37, v11, s7
	global_load_b32 v31, v[10:11], off
	v_cmpx_gt_i32_e64 s21, v9
	s_cbranch_execz .LBB4_35
; %bb.30:                               ;   in Loop: Header=BB4_5 Depth=1
	v_mul_lo_u32 v10, v9, s18
	v_dual_mov_b32 v33, 0 :: v_dual_mov_b32 v34, 0
	s_mov_b32 s47, exec_lo
	s_delay_alu instid0(VALU_DEP_2) | instskip(NEXT) | instid1(VALU_DEP_1)
	v_ashrrev_i32_e32 v11, 31, v10
	v_lshlrev_b64_e32 v[10:11], 2, v[10:11]
	s_delay_alu instid0(VALU_DEP_1) | instskip(SKIP_1) | instid1(VALU_DEP_2)
	v_add_co_u32 v10, s7, s36, v10
	s_wait_alu 0xf1ff
	v_add_co_ci_u32_e64 v11, null, s37, v11, s7
	global_load_b32 v32, v[10:11], off
	v_or_b32_e32 v10, 2, v30
	s_delay_alu instid0(VALU_DEP_1)
	v_cmpx_gt_i32_e64 s21, v10
	s_cbranch_execz .LBB4_34
; %bb.31:                               ;   in Loop: Header=BB4_5 Depth=1
	v_mul_lo_u32 v10, v10, s18
	v_mov_b32_e32 v34, 0
	s_mov_b32 s48, exec_lo
	s_delay_alu instid0(VALU_DEP_2) | instskip(NEXT) | instid1(VALU_DEP_1)
	v_ashrrev_i32_e32 v11, 31, v10
	v_lshlrev_b64_e32 v[10:11], 2, v[10:11]
	s_delay_alu instid0(VALU_DEP_1) | instskip(SKIP_1) | instid1(VALU_DEP_2)
	v_add_co_u32 v10, s7, s36, v10
	s_wait_alu 0xf1ff
	v_add_co_ci_u32_e64 v11, null, s37, v11, s7
	global_load_b32 v33, v[10:11], off
	v_or_b32_e32 v10, 3, v30
	s_delay_alu instid0(VALU_DEP_1)
	v_cmpx_gt_i32_e64 s21, v10
	s_cbranch_execz .LBB4_33
; %bb.32:                               ;   in Loop: Header=BB4_5 Depth=1
	v_mul_lo_u32 v10, v10, s18
	s_delay_alu instid0(VALU_DEP_1) | instskip(NEXT) | instid1(VALU_DEP_1)
	v_ashrrev_i32_e32 v11, 31, v10
	v_lshlrev_b64_e32 v[10:11], 2, v[10:11]
	s_delay_alu instid0(VALU_DEP_1) | instskip(SKIP_1) | instid1(VALU_DEP_2)
	v_add_co_u32 v10, s7, s36, v10
	s_wait_alu 0xf1ff
	v_add_co_ci_u32_e64 v11, null, s37, v11, s7
	global_load_b32 v34, v[10:11], off
.LBB4_33:                               ;   in Loop: Header=BB4_5 Depth=1
	s_or_b32 exec_lo, exec_lo, s48
.LBB4_34:                               ;   in Loop: Header=BB4_5 Depth=1
	s_wait_alu 0xfffe
	s_or_b32 exec_lo, exec_lo, s47
.LBB4_35:                               ;   in Loop: Header=BB4_5 Depth=1
	s_wait_alu 0xfffe
	s_or_b32 exec_lo, exec_lo, s46
.LBB4_36:                               ;   in Loop: Header=BB4_5 Depth=1
	s_delay_alu instid0(SALU_CYCLE_1)
	s_or_b32 exec_lo, exec_lo, s45
	s_and_saveexec_b32 s7, s0
	s_cbranch_execz .LBB4_44
; %bb.37:                               ;   in Loop: Header=BB4_5 Depth=1
	v_mul_lo_u32 v11, v30, s23
	v_or_b32_e32 v10, 2, v30
	v_mul_lo_u32 v13, v9, s23
	v_or_b32_e32 v12, 3, v30
	s_delay_alu instid0(VALU_DEP_3) | instskip(NEXT) | instid1(VALU_DEP_2)
	v_mul_lo_u32 v14, v10, s23
	v_mul_lo_u32 v15, v12, s23
	v_cndmask_b32_e32 v11, 0, v11, vcc_lo
	v_cmp_gt_i32_e32 vcc_lo, s21, v9
	s_wait_alu 0xfffd
	v_cndmask_b32_e32 v13, 0, v13, vcc_lo
	v_cmp_gt_i32_e32 vcc_lo, s21, v10
	s_wait_alu 0xfffd
	v_cndmask_b32_e32 v10, 0, v14, vcc_lo
	v_cmp_gt_i32_e32 vcc_lo, s21, v12
	v_add_nc_u32_e32 v9, v11, v19
	s_wait_alu 0xfffd
	v_cndmask_b32_e32 v12, 0, v15, vcc_lo
	v_add_nc_u32_e32 v11, v13, v19
	v_add_nc_u32_e32 v13, v10, v19
	v_ashrrev_i32_e32 v10, 31, v9
	s_delay_alu instid0(VALU_DEP_4) | instskip(NEXT) | instid1(VALU_DEP_4)
	v_add_nc_u32_e32 v15, v12, v19
	v_ashrrev_i32_e32 v12, 31, v11
	s_delay_alu instid0(VALU_DEP_4) | instskip(NEXT) | instid1(VALU_DEP_4)
	v_ashrrev_i32_e32 v14, 31, v13
	v_lshlrev_b64_e32 v[9:10], 2, v[9:10]
	s_delay_alu instid0(VALU_DEP_4) | instskip(NEXT) | instid1(VALU_DEP_4)
	v_ashrrev_i32_e32 v16, 31, v15
	v_lshlrev_b64_e32 v[11:12], 2, v[11:12]
	s_delay_alu instid0(VALU_DEP_4) | instskip(NEXT) | instid1(VALU_DEP_3)
	v_lshlrev_b64_e32 v[35:36], 2, v[13:14]
	v_lshlrev_b64_e32 v[37:38], 2, v[15:16]
	v_add_co_u32 v15, vcc_lo, s34, v9
	s_wait_alu 0xfffd
	v_add_co_ci_u32_e64 v16, null, s35, v10, vcc_lo
	v_add_co_u32 v13, vcc_lo, s34, v11
	s_wait_alu 0xfffd
	v_add_co_ci_u32_e64 v14, null, s35, v12, vcc_lo
	;; [unrolled: 3-line block ×4, first 2 shown]
	s_clause 0x3
	global_load_b32 v37, v[15:16], off
	global_load_b32 v35, v[13:14], off
	;; [unrolled: 1-line block ×4, first 2 shown]
	s_and_saveexec_b32 s34, s1
	s_cbranch_execz .LBB4_43
; %bb.38:                               ;   in Loop: Header=BB4_5 Depth=1
	s_clause 0x3
	global_load_b32 v41, v[15:16], off offset:256
	global_load_b32 v40, v[13:14], off offset:256
	global_load_b32 v39, v[11:12], off offset:256
	global_load_b32 v38, v[9:10], off offset:256
	s_and_saveexec_b32 s35, s2
	s_cbranch_execz .LBB4_42
; %bb.39:                               ;   in Loop: Header=BB4_5 Depth=1
	s_clause 0x3
	global_load_b32 v45, v[15:16], off offset:512
	global_load_b32 v44, v[13:14], off offset:512
	global_load_b32 v43, v[11:12], off offset:512
	global_load_b32 v42, v[9:10], off offset:512
	;; [unrolled: 8-line block ×3, first 2 shown]
	s_wait_loadcnt 0x3
	v_fmac_f32_e32 v29, v31, v15
	s_wait_loadcnt 0x2
	s_delay_alu instid0(VALU_DEP_1) | instskip(SKIP_1) | instid1(VALU_DEP_1)
	v_fmac_f32_e32 v29, v32, v13
	s_wait_loadcnt 0x1
	v_fmac_f32_e32 v29, v33, v11
	s_wait_loadcnt 0x0
	s_delay_alu instid0(VALU_DEP_1)
	v_fmac_f32_e32 v29, v34, v9
.LBB4_41:                               ;   in Loop: Header=BB4_5 Depth=1
	s_wait_alu 0xfffe
	s_or_b32 exec_lo, exec_lo, s36
	s_wait_loadcnt 0x3
	v_fmac_f32_e32 v28, v31, v45
	s_wait_loadcnt 0x2
	s_delay_alu instid0(VALU_DEP_1) | instskip(SKIP_1) | instid1(VALU_DEP_1)
	v_fmac_f32_e32 v28, v32, v44
	s_wait_loadcnt 0x1
	v_fmac_f32_e32 v28, v33, v43
	s_wait_loadcnt 0x0
	s_delay_alu instid0(VALU_DEP_1)
	v_fmac_f32_e32 v28, v34, v42
.LBB4_42:                               ;   in Loop: Header=BB4_5 Depth=1
	s_wait_alu 0xfffe
	s_or_b32 exec_lo, exec_lo, s35
	s_wait_loadcnt 0x3
	v_fmac_f32_e32 v27, v31, v41
	s_wait_loadcnt 0x2
	s_delay_alu instid0(VALU_DEP_1) | instskip(SKIP_1) | instid1(VALU_DEP_1)
	v_fmac_f32_e32 v27, v32, v40
	s_wait_loadcnt 0x1
	v_fmac_f32_e32 v27, v33, v39
	s_wait_loadcnt 0x0
	s_delay_alu instid0(VALU_DEP_1)
	v_fmac_f32_e32 v27, v34, v38
.LBB4_43:                               ;   in Loop: Header=BB4_5 Depth=1
	s_wait_alu 0xfffe
	s_or_b32 exec_lo, exec_lo, s34
	s_wait_loadcnt 0x3
	v_fmac_f32_e32 v26, v31, v37
	s_wait_loadcnt 0x2
	s_delay_alu instid0(VALU_DEP_1) | instskip(SKIP_1) | instid1(VALU_DEP_1)
	v_fmac_f32_e32 v26, v32, v35
	s_wait_loadcnt 0x1
	v_fmac_f32_e32 v26, v33, v30
	s_wait_loadcnt 0x0
	s_delay_alu instid0(VALU_DEP_1)
	v_fmac_f32_e32 v26, v34, v36
.LBB4_44:                               ;   in Loop: Header=BB4_5 Depth=1
	s_wait_alu 0xfffe
	s_or_b32 exec_lo, exec_lo, s7
.LBB4_45:                               ;   in Loop: Header=BB4_5 Depth=1
	ds_store_2addr_stride64_b32 v18, v26, v27 offset1:1
	ds_store_2addr_stride64_b32 v18, v28, v29 offset0:2 offset1:3
	s_wait_loadcnt_dscnt 0x0
	s_barrier_signal -1
	s_barrier_wait -1
	global_inv scope:SCOPE_SE
                                        ; implicit-def: $vgpr11
	s_and_saveexec_b32 s7, s5
	s_cbranch_execz .LBB4_51
; %bb.46:                               ;   in Loop: Header=BB4_5 Depth=1
	ds_load_2addr_stride64_b32 v[9:10], v20 offset1:4
	ds_load_2addr_stride64_b32 v[11:12], v20 offset0:8 offset1:12
	s_mov_b32 s35, s44
	s_wait_dscnt 0x1
	v_add_f32_e32 v9, v9, v10
	s_wait_dscnt 0x0
	s_delay_alu instid0(VALU_DEP_1) | instskip(NEXT) | instid1(VALU_DEP_1)
	v_add_f32_e32 v9, v11, v9
                                        ; implicit-def: $vgpr11
	v_add_f32_e32 v9, v12, v9
	ds_store_b32 v20, v9
	s_and_saveexec_b32 s34, s6
	s_cbranch_execz .LBB4_50
; %bb.47:                               ;   in Loop: Header=BB4_5 Depth=1
	v_mul_f32_e32 v11, s22, v9
	s_and_not1_b32 vcc_lo, exec_lo, s39
	s_wait_alu 0xfffe
	s_cbranch_vccnz .LBB4_49
; %bb.48:                               ;   in Loop: Header=BB4_5 Depth=1
	v_lshlrev_b64_e32 v[9:10], 2, v[2:3]
	s_delay_alu instid0(VALU_DEP_1) | instskip(SKIP_1) | instid1(VALU_DEP_2)
	v_add_co_u32 v9, vcc_lo, s16, v9
	s_wait_alu 0xfffd
	v_add_co_ci_u32_e64 v10, null, s17, v10, vcc_lo
	global_load_b32 v9, v[9:10], off
	s_wait_loadcnt 0x0
	v_fmac_f32_e32 v11, s26, v9
.LBB4_49:                               ;   in Loop: Header=BB4_5 Depth=1
	s_or_b32 s35, s44, exec_lo
.LBB4_50:                               ;   in Loop: Header=BB4_5 Depth=1
	s_wait_alu 0xfffe
	s_or_b32 exec_lo, exec_lo, s34
	s_delay_alu instid0(SALU_CYCLE_1)
	s_and_not1_b32 s34, s44, exec_lo
	s_and_b32 s35, s35, exec_lo
	s_wait_alu 0xfffe
	s_or_b32 s44, s34, s35
.LBB4_51:                               ;   in Loop: Header=BB4_5 Depth=1
	s_wait_alu 0xfffe
	s_or_b32 exec_lo, exec_lo, s7
	v_dual_mov_b32 v10, v3 :: v_dual_mov_b32 v9, v2
	s_and_saveexec_b32 s7, s44
	s_cbranch_execz .LBB4_3
.LBB4_52:                               ;   in Loop: Header=BB4_5 Depth=1
	s_delay_alu instid0(VALU_DEP_1) | instskip(SKIP_1) | instid1(VALU_DEP_1)
	v_lshlrev_b64_e32 v[9:10], 2, v[9:10]
	s_wait_alu 0xfffe
	v_add_co_u32 v9, vcc_lo, s16, v9
	s_wait_alu 0xfffd
	s_delay_alu instid0(VALU_DEP_2)
	v_add_co_ci_u32_e64 v10, null, s17, v10, vcc_lo
	global_store_b32 v[9:10], v11, off
	s_branch .LBB4_3
.LBB4_53:
	s_endpgm
	.section	.rodata,"a",@progbits
	.p2align	6, 0x0
	.amdhsa_kernel _ZL20rocblas_gemvn_kernelILi64ELi4EifffEviiT3_lPKT2_lT1_lS3_lS4_lS0_lPT4_lS4_li
		.amdhsa_group_segment_fixed_size 4096
		.amdhsa_private_segment_fixed_size 0
		.amdhsa_kernarg_size 400
		.amdhsa_user_sgpr_count 2
		.amdhsa_user_sgpr_dispatch_ptr 0
		.amdhsa_user_sgpr_queue_ptr 0
		.amdhsa_user_sgpr_kernarg_segment_ptr 1
		.amdhsa_user_sgpr_dispatch_id 0
		.amdhsa_user_sgpr_private_segment_size 0
		.amdhsa_wavefront_size32 1
		.amdhsa_uses_dynamic_stack 0
		.amdhsa_enable_private_segment 0
		.amdhsa_system_sgpr_workgroup_id_x 1
		.amdhsa_system_sgpr_workgroup_id_y 0
		.amdhsa_system_sgpr_workgroup_id_z 1
		.amdhsa_system_sgpr_workgroup_info 0
		.amdhsa_system_vgpr_workitem_id 1
		.amdhsa_next_free_vgpr 51
		.amdhsa_next_free_sgpr 51
		.amdhsa_reserve_vcc 1
		.amdhsa_float_round_mode_32 0
		.amdhsa_float_round_mode_16_64 0
		.amdhsa_float_denorm_mode_32 3
		.amdhsa_float_denorm_mode_16_64 3
		.amdhsa_fp16_overflow 0
		.amdhsa_workgroup_processor_mode 1
		.amdhsa_memory_ordered 1
		.amdhsa_forward_progress 1
		.amdhsa_inst_pref_size 24
		.amdhsa_round_robin_scheduling 0
		.amdhsa_exception_fp_ieee_invalid_op 0
		.amdhsa_exception_fp_denorm_src 0
		.amdhsa_exception_fp_ieee_div_zero 0
		.amdhsa_exception_fp_ieee_overflow 0
		.amdhsa_exception_fp_ieee_underflow 0
		.amdhsa_exception_fp_ieee_inexact 0
		.amdhsa_exception_int_div_zero 0
	.end_amdhsa_kernel
	.section	.text._ZL20rocblas_gemvn_kernelILi64ELi4EifffEviiT3_lPKT2_lT1_lS3_lS4_lS0_lPT4_lS4_li,"axG",@progbits,_ZL20rocblas_gemvn_kernelILi64ELi4EifffEviiT3_lPKT2_lT1_lS3_lS4_lS0_lPT4_lS4_li,comdat
.Lfunc_end4:
	.size	_ZL20rocblas_gemvn_kernelILi64ELi4EifffEviiT3_lPKT2_lT1_lS3_lS4_lS0_lPT4_lS4_li, .Lfunc_end4-_ZL20rocblas_gemvn_kernelILi64ELi4EifffEviiT3_lPKT2_lT1_lS3_lS4_lS0_lPT4_lS4_li
                                        ; -- End function
	.set _ZL20rocblas_gemvn_kernelILi64ELi4EifffEviiT3_lPKT2_lT1_lS3_lS4_lS0_lPT4_lS4_li.num_vgpr, 51
	.set _ZL20rocblas_gemvn_kernelILi64ELi4EifffEviiT3_lPKT2_lT1_lS3_lS4_lS0_lPT4_lS4_li.num_agpr, 0
	.set _ZL20rocblas_gemvn_kernelILi64ELi4EifffEviiT3_lPKT2_lT1_lS3_lS4_lS0_lPT4_lS4_li.numbered_sgpr, 51
	.set _ZL20rocblas_gemvn_kernelILi64ELi4EifffEviiT3_lPKT2_lT1_lS3_lS4_lS0_lPT4_lS4_li.num_named_barrier, 0
	.set _ZL20rocblas_gemvn_kernelILi64ELi4EifffEviiT3_lPKT2_lT1_lS3_lS4_lS0_lPT4_lS4_li.private_seg_size, 0
	.set _ZL20rocblas_gemvn_kernelILi64ELi4EifffEviiT3_lPKT2_lT1_lS3_lS4_lS0_lPT4_lS4_li.uses_vcc, 1
	.set _ZL20rocblas_gemvn_kernelILi64ELi4EifffEviiT3_lPKT2_lT1_lS3_lS4_lS0_lPT4_lS4_li.uses_flat_scratch, 0
	.set _ZL20rocblas_gemvn_kernelILi64ELi4EifffEviiT3_lPKT2_lT1_lS3_lS4_lS0_lPT4_lS4_li.has_dyn_sized_stack, 0
	.set _ZL20rocblas_gemvn_kernelILi64ELi4EifffEviiT3_lPKT2_lT1_lS3_lS4_lS0_lPT4_lS4_li.has_recursion, 0
	.set _ZL20rocblas_gemvn_kernelILi64ELi4EifffEviiT3_lPKT2_lT1_lS3_lS4_lS0_lPT4_lS4_li.has_indirect_call, 0
	.section	.AMDGPU.csdata,"",@progbits
; Kernel info:
; codeLenInByte = 3056
; TotalNumSgprs: 53
; NumVgprs: 51
; ScratchSize: 0
; MemoryBound: 0
; FloatMode: 240
; IeeeMode: 1
; LDSByteSize: 4096 bytes/workgroup (compile time only)
; SGPRBlocks: 0
; VGPRBlocks: 6
; NumSGPRsForWavesPerEU: 53
; NumVGPRsForWavesPerEU: 51
; Occupancy: 16
; WaveLimiterHint : 1
; COMPUTE_PGM_RSRC2:SCRATCH_EN: 0
; COMPUTE_PGM_RSRC2:USER_SGPR: 2
; COMPUTE_PGM_RSRC2:TRAP_HANDLER: 0
; COMPUTE_PGM_RSRC2:TGID_X_EN: 1
; COMPUTE_PGM_RSRC2:TGID_Y_EN: 0
; COMPUTE_PGM_RSRC2:TGID_Z_EN: 1
; COMPUTE_PGM_RSRC2:TIDIG_COMP_CNT: 1
	.section	.text._ZL20rocblas_gemvn_kernelILi64ELi4ElfffEviiT3_lPKT2_lT1_lS3_lS4_lS0_lPT4_lS4_li,"axG",@progbits,_ZL20rocblas_gemvn_kernelILi64ELi4ElfffEviiT3_lPKT2_lT1_lS3_lS4_lS0_lPT4_lS4_li,comdat
	.globl	_ZL20rocblas_gemvn_kernelILi64ELi4ElfffEviiT3_lPKT2_lT1_lS3_lS4_lS0_lPT4_lS4_li ; -- Begin function _ZL20rocblas_gemvn_kernelILi64ELi4ElfffEviiT3_lPKT2_lT1_lS3_lS4_lS0_lPT4_lS4_li
	.p2align	8
	.type	_ZL20rocblas_gemvn_kernelILi64ELi4ElfffEviiT3_lPKT2_lT1_lS3_lS4_lS0_lPT4_lS4_li,@function
_ZL20rocblas_gemvn_kernelILi64ELi4ElfffEviiT3_lPKT2_lT1_lS3_lS4_lS0_lPT4_lS4_li: ; @_ZL20rocblas_gemvn_kernelILi64ELi4ElfffEviiT3_lPKT2_lT1_lS3_lS4_lS0_lPT4_lS4_li
; %bb.0:
	s_load_b64 s[2:3], s[0:1], 0x9c
	s_wait_kmcnt 0x0
	s_lshr_b32 s4, s2, 16
	s_and_b32 s2, s2, 0xffff
	s_and_b32 s3, s3, 0xffff
	s_mul_i32 s2, s4, s2
	s_delay_alu instid0(SALU_CYCLE_1) | instskip(NEXT) | instid1(SALU_CYCLE_1)
	s_mul_i32 s2, s2, s3
	s_cmp_lg_u32 s2, 0x100
	s_cbranch_scc1 .LBB5_53
; %bb.1:
	s_load_b32 s33, s[0:1], 0x88
	s_lshr_b32 s34, ttmp7, 16
	s_wait_kmcnt 0x0
	s_cmp_ge_u32 s34, s33
	s_cbranch_scc1 .LBB5_53
; %bb.2:
	s_clause 0x3
	s_load_b512 s[8:23], s[0:1], 0x18
	s_load_b256 s[24:31], s[0:1], 0x68
	s_load_b96 s[36:38], s[0:1], 0x0
	s_load_b32 s39, s[0:1], 0x58
	v_bfe_u32 v15, v0, 10, 10
	v_and_b32_e32 v1, 0x3ff, v0
	s_mov_b32 s35, 0
	s_delay_alu instid0(VALU_DEP_2) | instskip(NEXT) | instid1(VALU_DEP_2)
	v_dual_mov_b32 v3, 0 :: v_dual_lshlrev_b32 v16, 2, v15
	v_lshlrev_b32_e32 v10, 2, v1
	s_delay_alu instid0(VALU_DEP_2) | instskip(NEXT) | instid1(VALU_DEP_2)
	v_or_b32_e32 v19, 3, v16
	v_lshl_add_u32 v17, v15, 10, v10
	v_lshl_add_u32 v18, v15, 8, v10
	s_wait_kmcnt 0x0
	s_lshl_b64 s[2:3], s[10:11], 2
	s_lshl_b64 s[10:11], s[18:19], 2
	;; [unrolled: 1-line block ×3, first 2 shown]
	s_cmp_eq_f32 s38, 0
	s_add_nc_u64 s[18:19], s[8:9], s[2:3]
	v_mad_co_u64_u32 v[4:5], null, s20, v15, 0
	s_cselect_b32 s46, -1, 0
	s_cmp_neq_f32 s38, 0
	v_mad_co_u64_u32 v[6:7], null, s12, v19, 0
	s_add_nc_u64 s[24:25], s[24:25], s[4:5]
	s_cselect_b32 s1, -1, 0
	s_cmp_neq_f32 s39, 1.0
	s_mov_b32 s6, s36
	s_add_nc_u64 s[26:27], s[16:17], s[10:11]
	s_cselect_b32 s2, -1, 0
	s_lshl_b32 s8, ttmp9, 8
	s_ashr_i32 s7, s36, 31
	s_or_b32 s47, s1, s2
	v_or_b32_e32 v8, s8, v1
	s_cmp_neq_f32 s39, 0
	s_cselect_b32 s48, -1, 0
	s_ashr_i32 s2, s37, 31
	s_delay_alu instid0(VALU_DEP_1)
	v_add_nc_u32_e32 v11, 0x80, v8
	s_lshr_b32 s2, s2, 28
	v_ashrrev_i32_e32 v9, 31, v8
	s_add_co_i32 s3, s37, s2
	v_cmp_gt_i32_e64 s1, s36, v8
	s_and_b32 s49, s3, -16
	v_cmp_gt_i32_e64 s3, s36, v11
	v_mad_co_u64_u32 v[10:11], null, s21, v15, v[5:6]
	v_dual_mov_b32 v5, v7 :: v_dual_add_nc_u32 v12, 0xc0, v8
	s_sub_co_i32 s5, s37, s49
	v_or_b32_e32 v23, 2, v16
	s_cmp_gt_i32 s5, 0
	v_mad_co_u64_u32 v[29:30], null, s20, v16, s[20:21]
	v_mad_co_u64_u32 v[13:14], null, s13, v19, v[5:6]
	v_mov_b32_e32 v5, v10
	v_cmp_gt_i32_e64 s4, s36, v12
	v_mad_co_u64_u32 v[11:12], null, s20, v19, 0
	s_cselect_b32 s50, -1, 0
	v_lshlrev_b64_e32 v[4:5], 4, v[4:5]
	v_mov_b32_e32 v7, v13
	v_mad_co_u64_u32 v[27:28], null, s20, v23, 0
	v_mad_co_u64_u32 v[31:32], null, s12, v16, s[12:13]
	v_mov_b32_e32 v10, v12
	v_lshl_add_u32 v0, v15, 6, v1
	v_lshlrev_b64_e32 v[6:7], 2, v[6:7]
	v_cmp_gt_i32_e64 s5, s49, v16
	s_lshl_b64 s[40:41], s[14:15], 2
	v_mad_co_u64_u32 v[12:13], null, s21, v19, v[10:11]
	v_add_nc_u32_e32 v2, s8, v0
	v_cmp_gt_u32_e64 s0, 0x100, v0
	v_or_b32_e32 v20, s8, v0
	v_mad_co_u64_u32 v[13:14], null, s12, v15, 0
	s_delay_alu instid0(VALU_DEP_4)
	v_mad_co_u64_u32 v[0:1], null, s28, v2, 0
	v_cmp_gt_i64_e32 vcc_lo, s[6:7], v[2:3]
	v_add_nc_u32_e32 v3, 64, v8
	s_ashr_i32 s6, s8, 31
	v_mul_lo_u32 v21, s29, v20
	s_wait_alu 0xfffe
	s_mul_i32 s7, s28, s6
	v_cmp_gt_i32_e64 s6, s36, v20
	v_mad_co_u64_u32 v[1:2], null, s29, v2, v[1:2]
	v_cmp_gt_i32_e64 s2, s36, v3
	v_mad_co_u64_u32 v[2:3], null, s28, v20, 0
	s_and_b32 s36, s0, vcc_lo
	v_add_co_u32 v19, vcc_lo, s16, v4
	s_delay_alu instid0(VALU_DEP_1)
	v_add_co_ci_u32_e64 v20, null, s17, v5, vcc_lo
	v_lshlrev_b64_e32 v[4:5], 2, v[8:9]
	v_mad_co_u64_u32 v[9:10], null, s12, v23, 0
	v_mov_b32_e32 v8, v14
	s_wait_alu 0xfffe
	v_add3_u32 v3, v3, s7, v21
	v_add_co_u32 v21, vcc_lo, s18, v6
	s_wait_alu 0xfffd
	v_add_co_ci_u32_e64 v22, null, s19, v7, vcc_lo
	v_mad_co_u64_u32 v[14:15], null, s13, v15, v[8:9]
	v_lshlrev_b64_e32 v[7:8], 2, v[11:12]
	v_mov_b32_e32 v6, v10
	v_mov_b32_e32 v10, v28
	s_lshl_b64 s[28:29], s[22:23], 2
	s_lshl_b64 s[42:43], s[12:13], 6
	s_delay_alu instid0(VALU_DEP_2) | instskip(SKIP_1) | instid1(VALU_DEP_2)
	v_mad_co_u64_u32 v[11:12], null, s13, v23, v[6:7]
	v_mov_b32_e32 v6, v30
	v_mad_co_u64_u32 v[25:26], null, s21, v23, v[10:11]
	v_add_co_u32 v23, vcc_lo, s16, v7
	s_wait_alu 0xfffd
	v_add_co_ci_u32_e64 v24, null, s17, v8, vcc_lo
	v_lshlrev_b64_e32 v[7:8], 4, v[13:14]
	v_mov_b32_e32 v10, v11
	v_mov_b32_e32 v28, v25
	s_delay_alu instid0(VALU_DEP_3)
	v_add_co_u32 v25, vcc_lo, s18, v7
	v_mad_co_u64_u32 v[11:12], null, s21, v16, v[6:7]
	s_wait_alu 0xfffd
	v_add_co_ci_u32_e64 v26, null, s19, v8, vcc_lo
	v_lshlrev_b64_e32 v[7:8], 2, v[9:10]
	v_mov_b32_e32 v6, v32
	v_lshlrev_b64_e32 v[12:13], 2, v[27:28]
	v_mov_b32_e32 v30, v11
	s_delay_alu instid0(VALU_DEP_3) | instskip(SKIP_1) | instid1(VALU_DEP_3)
	v_mad_co_u64_u32 v[9:10], null, s13, v16, v[6:7]
	v_add_co_u32 v27, vcc_lo, s18, v7
	v_lshlrev_b64_e32 v[6:7], 2, v[29:30]
	s_wait_alu 0xfffd
	v_add_co_ci_u32_e64 v28, null, s19, v8, vcc_lo
	v_add_co_u32 v29, vcc_lo, s16, v12
	v_mov_b32_e32 v32, v9
	s_wait_alu 0xfffd
	v_add_co_ci_u32_e64 v30, null, s17, v13, vcc_lo
	s_delay_alu instid0(VALU_DEP_2) | instskip(SKIP_4) | instid1(VALU_DEP_4)
	v_lshlrev_b64_e32 v[8:9], 2, v[31:32]
	v_add_co_u32 v31, vcc_lo, s16, v6
	s_wait_alu 0xfffd
	v_add_co_ci_u32_e64 v32, null, s17, v7, vcc_lo
	v_lshlrev_b64_e32 v[6:7], 2, v[0:1]
	v_add_co_u32 v33, vcc_lo, s18, v8
	s_wait_alu 0xfffd
	v_add_co_ci_u32_e64 v34, null, s19, v9, vcc_lo
	s_lshl_b64 s[16:17], s[20:21], 6
	s_branch .LBB5_5
.LBB5_3:                                ;   in Loop: Header=BB5_5 Depth=1
	s_wait_alu 0xfffe
	s_or_b32 exec_lo, exec_lo, s7
.LBB5_4:                                ;   in Loop: Header=BB5_5 Depth=1
	s_add_co_i32 s34, s34, 0x10000
	s_delay_alu instid0(SALU_CYCLE_1)
	s_cmp_lt_u32 s34, s33
	s_cbranch_scc0 .LBB5_53
.LBB5_5:                                ; =>This Loop Header: Depth=1
                                        ;     Child Loop BB5_21 Depth 2
	s_and_not1_b32 vcc_lo, exec_lo, s47
	s_wait_alu 0xfffe
	s_cbranch_vccnz .LBB5_4
; %bb.6:                                ;   in Loop: Header=BB5_5 Depth=1
	s_mul_u64 s[8:9], s[30:31], s[34:35]
	s_and_not1_b32 vcc_lo, exec_lo, s46
	s_wait_alu 0xfffe
	s_lshl_b64 s[8:9], s[8:9], 2
	s_wait_alu 0xfffe
	s_add_nc_u64 s[44:45], s[24:25], s[8:9]
	s_cbranch_vccnz .LBB5_10
; %bb.7:                                ;   in Loop: Header=BB5_5 Depth=1
	s_mov_b32 s7, 0
	s_mov_b32 s51, 0
                                        ; implicit-def: $vgpr10
	s_and_saveexec_b32 s8, s36
	s_cbranch_execz .LBB5_11
; %bb.8:                                ;   in Loop: Header=BB5_5 Depth=1
	s_and_not1_b32 vcc_lo, exec_lo, s48
	s_wait_alu 0xfffe
	s_cbranch_vccnz .LBB5_13
; %bb.9:                                ;   in Loop: Header=BB5_5 Depth=1
	v_add_co_u32 v8, vcc_lo, s44, v6
	s_wait_alu 0xfffd
	v_add_co_ci_u32_e64 v9, null, s45, v7, vcc_lo
	global_load_b32 v8, v[8:9], off
	s_wait_loadcnt 0x0
	v_mul_f32_e32 v10, s39, v8
	s_branch .LBB5_14
.LBB5_10:                               ;   in Loop: Header=BB5_5 Depth=1
	s_mov_b32 s51, 0
                                        ; implicit-def: $vgpr10
	s_cbranch_execz .LBB5_12
	s_branch .LBB5_15
.LBB5_11:                               ;   in Loop: Header=BB5_5 Depth=1
	s_wait_alu 0xfffe
	s_or_b32 exec_lo, exec_lo, s8
	s_delay_alu instid0(SALU_CYCLE_1)
	s_and_b32 vcc_lo, exec_lo, s7
	s_wait_alu 0xfffe
	s_cbranch_vccnz .LBB5_15
.LBB5_12:                               ;   in Loop: Header=BB5_5 Depth=1
	v_dual_mov_b32 v9, v1 :: v_dual_mov_b32 v8, v0
	s_and_saveexec_b32 s7, s51
	s_cbranch_execz .LBB5_3
	s_branch .LBB5_52
.LBB5_13:                               ;   in Loop: Header=BB5_5 Depth=1
	v_mov_b32_e32 v10, 0
.LBB5_14:                               ;   in Loop: Header=BB5_5 Depth=1
	s_mov_b32 s51, exec_lo
	s_or_b32 exec_lo, exec_lo, s8
	s_delay_alu instid0(SALU_CYCLE_1)
	s_and_b32 vcc_lo, exec_lo, s7
	s_wait_alu 0xfffe
	s_cbranch_vccz .LBB5_12
.LBB5_15:                               ;   in Loop: Header=BB5_5 Depth=1
	v_dual_mov_b32 v35, 0 :: v_dual_mov_b32 v36, 0
	v_dual_mov_b32 v39, v16 :: v_dual_mov_b32 v38, 0
	v_mov_b32_e32 v37, 0
	s_and_saveexec_b32 s8, s5
	s_cbranch_execz .LBB5_27
; %bb.16:                               ;   in Loop: Header=BB5_5 Depth=1
	s_mul_u64 s[52:53], s[28:29], s[34:35]
	s_mul_u64 s[54:55], s[40:41], s[34:35]
	s_wait_alu 0xfffe
	v_add_co_u32 v40, vcc_lo, v19, s52
	s_wait_alu 0xfffd
	v_add_co_ci_u32_e64 v41, null, s53, v20, vcc_lo
	v_add_co_u32 v42, vcc_lo, v21, s54
	s_wait_alu 0xfffd
	v_add_co_ci_u32_e64 v43, null, s55, v22, vcc_lo
	;; [unrolled: 3-line block ×8, first 2 shown]
	v_dual_mov_b32 v35, 0 :: v_dual_mov_b32 v36, 0
	v_dual_mov_b32 v39, v16 :: v_dual_mov_b32 v38, 0
	v_mov_b32_e32 v37, 0
	s_mov_b32 s9, 0
	s_branch .LBB5_21
.LBB5_17:                               ;   in Loop: Header=BB5_21 Depth=2
	s_wait_alu 0xfffe
	s_or_b32 exec_lo, exec_lo, s54
	s_wait_loadcnt 0x3
	v_fmac_f32_e32 v37, v57, v71
	s_wait_loadcnt 0x2
	s_delay_alu instid0(VALU_DEP_1) | instskip(SKIP_1) | instid1(VALU_DEP_1)
	v_fmac_f32_e32 v37, v56, v70
	s_wait_loadcnt 0x1
	v_fmac_f32_e32 v37, v58, v69
	s_wait_loadcnt 0x0
	s_delay_alu instid0(VALU_DEP_1)
	v_fmac_f32_e32 v37, v59, v68
.LBB5_18:                               ;   in Loop: Header=BB5_21 Depth=2
	s_wait_alu 0xfffe
	s_or_b32 exec_lo, exec_lo, s53
	s_wait_loadcnt 0x3
	v_fmac_f32_e32 v36, v57, v67
	s_wait_loadcnt 0x2
	s_delay_alu instid0(VALU_DEP_1) | instskip(SKIP_1) | instid1(VALU_DEP_1)
	v_fmac_f32_e32 v36, v56, v66
	s_wait_loadcnt 0x1
	v_fmac_f32_e32 v36, v58, v65
	s_wait_loadcnt 0x0
	s_delay_alu instid0(VALU_DEP_1)
	v_fmac_f32_e32 v36, v59, v64
.LBB5_19:                               ;   in Loop: Header=BB5_21 Depth=2
	s_wait_alu 0xfffe
	s_or_b32 exec_lo, exec_lo, s52
	s_wait_loadcnt 0x3
	v_fmac_f32_e32 v35, v57, v63
	s_wait_loadcnt 0x2
	s_delay_alu instid0(VALU_DEP_1) | instskip(SKIP_1) | instid1(VALU_DEP_1)
	v_fmac_f32_e32 v35, v56, v61
	s_wait_loadcnt 0x1
	v_fmac_f32_e32 v35, v58, v60
	s_wait_loadcnt 0x0
	s_delay_alu instid0(VALU_DEP_1)
	v_fmac_f32_e32 v35, v59, v62
.LBB5_20:                               ;   in Loop: Header=BB5_21 Depth=2
	s_wait_alu 0xfffe
	s_or_b32 exec_lo, exec_lo, s7
	v_add_co_u32 v40, vcc_lo, v40, s16
	s_wait_alu 0xfffd
	v_add_co_ci_u32_e64 v41, null, s17, v41, vcc_lo
	v_add_co_u32 v42, vcc_lo, v42, s42
	s_wait_alu 0xfffd
	v_add_co_ci_u32_e64 v43, null, s43, v43, vcc_lo
	;; [unrolled: 3-line block ×4, first 2 shown]
	v_add_co_u32 v48, vcc_lo, v48, s42
	v_add_nc_u32_e32 v39, 16, v39
	s_wait_alu 0xfffd
	v_add_co_ci_u32_e64 v49, null, s43, v49, vcc_lo
	v_add_co_u32 v50, vcc_lo, v50, s16
	s_wait_alu 0xfffd
	v_add_co_ci_u32_e64 v51, null, s17, v51, vcc_lo
	v_add_co_u32 v52, vcc_lo, v52, s16
	s_wait_alu 0xfffd
	v_add_co_ci_u32_e64 v53, null, s17, v53, vcc_lo
	v_cmp_le_i32_e32 vcc_lo, s49, v39
	v_add_co_u32 v54, s7, v54, s42
	s_wait_alu 0xf1ff
	v_add_co_ci_u32_e64 v55, null, s43, v55, s7
	s_or_b32 s9, vcc_lo, s9
	s_wait_alu 0xfffe
	s_and_not1_b32 exec_lo, exec_lo, s9
	s_cbranch_execz .LBB5_26
.LBB5_21:                               ;   Parent Loop BB5_5 Depth=1
                                        ; =>  This Inner Loop Header: Depth=2
	s_and_saveexec_b32 s7, s1
	s_cbranch_execz .LBB5_20
; %bb.22:                               ;   in Loop: Header=BB5_21 Depth=2
	v_add_co_u32 v8, vcc_lo, v40, s10
	s_wait_alu 0xfffd
	v_add_co_ci_u32_e64 v9, null, s11, v41, vcc_lo
	v_add_co_u32 v10, vcc_lo, v52, s10
	s_wait_alu 0xfffd
	v_add_co_ci_u32_e64 v11, null, s11, v53, vcc_lo
	;; [unrolled: 3-line block ×3, first 2 shown]
	v_add_co_u32 v59, vcc_lo, v44, s10
	global_load_b32 v57, v[8:9], off
	global_load_b32 v56, v[10:11], off
	;; [unrolled: 1-line block ×3, first 2 shown]
	s_wait_alu 0xfffd
	v_add_co_ci_u32_e64 v60, null, s11, v45, vcc_lo
	v_add_co_u32 v8, vcc_lo, v46, v4
	s_wait_alu 0xfffd
	v_add_co_ci_u32_e64 v9, null, v47, v5, vcc_lo
	v_add_co_u32 v10, vcc_lo, v54, v4
	;; [unrolled: 3-line block ×4, first 2 shown]
	s_wait_alu 0xfffd
	v_add_co_ci_u32_e64 v15, null, v43, v5, vcc_lo
	global_load_b32 v59, v[59:60], off
	global_load_b32 v63, v[8:9], off
	;; [unrolled: 1-line block ×5, first 2 shown]
	s_and_saveexec_b32 s52, s2
	s_cbranch_execz .LBB5_19
; %bb.23:                               ;   in Loop: Header=BB5_21 Depth=2
	global_load_b32 v67, v[8:9], off offset:256
	global_load_b32 v66, v[10:11], off offset:256
	global_load_b32 v65, v[12:13], off offset:256
	global_load_b32 v64, v[14:15], off offset:256
	s_and_saveexec_b32 s53, s3
	s_cbranch_execz .LBB5_18
; %bb.24:                               ;   in Loop: Header=BB5_21 Depth=2
	global_load_b32 v71, v[8:9], off offset:512
	global_load_b32 v70, v[10:11], off offset:512
	global_load_b32 v69, v[12:13], off offset:512
	global_load_b32 v68, v[14:15], off offset:512
	;; [unrolled: 7-line block ×3, first 2 shown]
	s_wait_loadcnt 0x3
	v_fmac_f32_e32 v38, v57, v8
	s_wait_loadcnt 0x2
	s_delay_alu instid0(VALU_DEP_1) | instskip(SKIP_1) | instid1(VALU_DEP_1)
	v_fmac_f32_e32 v38, v56, v9
	s_wait_loadcnt 0x1
	v_fmac_f32_e32 v38, v58, v10
	s_wait_loadcnt 0x0
	s_delay_alu instid0(VALU_DEP_1)
	v_fmac_f32_e32 v38, v59, v11
	s_branch .LBB5_17
.LBB5_26:                               ;   in Loop: Header=BB5_5 Depth=1
	s_or_b32 exec_lo, exec_lo, s9
.LBB5_27:                               ;   in Loop: Header=BB5_5 Depth=1
	s_wait_alu 0xfffe
	s_or_b32 exec_lo, exec_lo, s8
	s_delay_alu instid0(SALU_CYCLE_1)
	s_and_not1_b32 vcc_lo, exec_lo, s50
	s_wait_alu 0xfffe
	s_cbranch_vccnz .LBB5_45
; %bb.28:                               ;   in Loop: Header=BB5_5 Depth=1
	v_cmp_gt_i32_e32 vcc_lo, s37, v39
	v_dual_mov_b32 v43, 0 :: v_dual_mov_b32 v42, 0
	v_or_b32_e32 v8, 1, v39
	v_dual_mov_b32 v41, 0 :: v_dual_mov_b32 v40, 0
	s_and_saveexec_b32 s52, vcc_lo
	s_cbranch_execz .LBB5_36
; %bb.29:                               ;   in Loop: Header=BB5_5 Depth=1
	v_mad_co_u64_u32 v[9:10], null, s20, v39, 0
	s_mul_u64 s[8:9], s[22:23], s[34:35]
	v_dual_mov_b32 v41, 0 :: v_dual_mov_b32 v42, 0
	s_wait_alu 0xfffe
	s_lshl_b64 s[8:9], s[8:9], 2
	v_mov_b32_e32 v43, 0
	s_wait_alu 0xfffe
	s_add_nc_u64 s[8:9], s[26:27], s[8:9]
	v_mad_co_u64_u32 v[10:11], null, s21, v39, v[10:11]
	s_mov_b32 s53, exec_lo
	v_lshlrev_b64_e32 v[9:10], 2, v[9:10]
	s_wait_alu 0xfffe
	s_delay_alu instid0(VALU_DEP_1) | instskip(SKIP_1) | instid1(VALU_DEP_2)
	v_add_co_u32 v9, s7, s8, v9
	s_wait_alu 0xf1ff
	v_add_co_ci_u32_e64 v10, null, s9, v10, s7
	global_load_b32 v40, v[9:10], off
	v_cmpx_gt_i32_e64 s37, v8
	s_cbranch_execz .LBB5_35
; %bb.30:                               ;   in Loop: Header=BB5_5 Depth=1
	v_mad_co_u64_u32 v[9:10], null, s20, v8, 0
	v_dual_mov_b32 v42, 0 :: v_dual_mov_b32 v43, 0
	s_mov_b32 s54, exec_lo
	s_delay_alu instid0(VALU_DEP_2) | instskip(NEXT) | instid1(VALU_DEP_1)
	v_mad_co_u64_u32 v[10:11], null, s21, v8, v[10:11]
	v_lshlrev_b64_e32 v[9:10], 2, v[9:10]
	s_delay_alu instid0(VALU_DEP_1) | instskip(SKIP_1) | instid1(VALU_DEP_2)
	v_add_co_u32 v9, s7, s8, v9
	s_wait_alu 0xf1ff
	v_add_co_ci_u32_e64 v10, null, s9, v10, s7
	global_load_b32 v41, v[9:10], off
	v_or_b32_e32 v9, 2, v39
	s_delay_alu instid0(VALU_DEP_1)
	v_cmpx_gt_i32_e64 s37, v9
	s_cbranch_execz .LBB5_34
; %bb.31:                               ;   in Loop: Header=BB5_5 Depth=1
	v_mad_co_u64_u32 v[10:11], null, s20, v9, 0
	v_mov_b32_e32 v43, 0
	s_mov_b32 s55, exec_lo
	s_delay_alu instid0(VALU_DEP_2) | instskip(NEXT) | instid1(VALU_DEP_1)
	v_mad_co_u64_u32 v[11:12], null, s21, v9, v[11:12]
	v_lshlrev_b64_e32 v[9:10], 2, v[10:11]
	s_delay_alu instid0(VALU_DEP_1) | instskip(SKIP_1) | instid1(VALU_DEP_2)
	v_add_co_u32 v9, s7, s8, v9
	s_wait_alu 0xf1ff
	v_add_co_ci_u32_e64 v10, null, s9, v10, s7
	global_load_b32 v42, v[9:10], off
	v_or_b32_e32 v9, 3, v39
	s_delay_alu instid0(VALU_DEP_1)
	v_cmpx_gt_i32_e64 s37, v9
	s_cbranch_execz .LBB5_33
; %bb.32:                               ;   in Loop: Header=BB5_5 Depth=1
	v_mad_co_u64_u32 v[10:11], null, s20, v9, 0
	s_delay_alu instid0(VALU_DEP_1) | instskip(NEXT) | instid1(VALU_DEP_1)
	v_mad_co_u64_u32 v[11:12], null, s21, v9, v[11:12]
	v_lshlrev_b64_e32 v[9:10], 2, v[10:11]
	s_delay_alu instid0(VALU_DEP_1) | instskip(SKIP_1) | instid1(VALU_DEP_2)
	v_add_co_u32 v9, s7, s8, v9
	s_wait_alu 0xf1ff
	v_add_co_ci_u32_e64 v10, null, s9, v10, s7
	global_load_b32 v43, v[9:10], off
.LBB5_33:                               ;   in Loop: Header=BB5_5 Depth=1
	s_wait_alu 0xfffe
	s_or_b32 exec_lo, exec_lo, s55
.LBB5_34:                               ;   in Loop: Header=BB5_5 Depth=1
	s_wait_alu 0xfffe
	s_or_b32 exec_lo, exec_lo, s54
.LBB5_35:                               ;   in Loop: Header=BB5_5 Depth=1
	s_delay_alu instid0(SALU_CYCLE_1)
	s_or_b32 exec_lo, exec_lo, s53
.LBB5_36:                               ;   in Loop: Header=BB5_5 Depth=1
	s_wait_alu 0xfffe
	s_or_b32 exec_lo, exec_lo, s52
	s_and_saveexec_b32 s9, s1
	s_cbranch_execz .LBB5_44
; %bb.37:                               ;   in Loop: Header=BB5_5 Depth=1
	v_mad_co_u64_u32 v[9:10], null, s12, v39, 0
	v_mad_co_u64_u32 v[11:12], null, s12, v8, 0
	v_or_b32_e32 v48, 2, v39
	v_or_b32_e32 v49, 3, v39
	s_mul_u64 s[52:53], s[14:15], s[34:35]
	s_wait_alu 0xfffe
	s_lshl_b64 s[52:53], s[52:53], 2
	v_cmp_gt_i32_e64 s7, s37, v48
	s_delay_alu instid0(VALU_DEP_4) | instskip(SKIP_4) | instid1(VALU_DEP_2)
	v_mad_co_u64_u32 v[13:14], null, s13, v39, v[10:11]
	v_mad_co_u64_u32 v[14:15], null, s12, v48, 0
	v_mad_co_u64_u32 v[44:45], null, s12, v49, 0
	s_wait_alu 0xfffe
	s_add_nc_u64 s[52:53], s[18:19], s[52:53]
	v_dual_cndmask_b32 v10, 0, v13 :: v_dual_mov_b32 v13, v15
	s_delay_alu instid0(VALU_DEP_2) | instskip(NEXT) | instid1(VALU_DEP_2)
	v_mov_b32_e32 v15, v45
	v_mad_co_u64_u32 v[46:47], null, s13, v8, v[12:13]
	v_cndmask_b32_e32 v9, 0, v9, vcc_lo
	v_cmp_gt_i32_e32 vcc_lo, s37, v8
	s_wait_alu 0xfffd
	s_delay_alu instid0(VALU_DEP_3) | instskip(NEXT) | instid1(VALU_DEP_3)
	v_dual_cndmask_b32 v11, 0, v11 :: v_dual_cndmask_b32 v12, 0, v46
	v_lshlrev_b64_e32 v[9:10], 2, v[9:10]
	s_wait_alu 0xfffe
	s_delay_alu instid0(VALU_DEP_1) | instskip(SKIP_1) | instid1(VALU_DEP_2)
	v_add_co_u32 v8, s8, s52, v9
	s_wait_alu 0xf1ff
	v_add_co_ci_u32_e64 v9, null, s53, v10, s8
	v_lshlrev_b64_e32 v[10:11], 2, v[11:12]
	s_delay_alu instid0(VALU_DEP_3) | instskip(SKIP_1) | instid1(VALU_DEP_3)
	v_add_co_u32 v8, vcc_lo, v8, v4
	s_wait_alu 0xfffd
	v_add_co_ci_u32_e64 v9, null, v9, v5, vcc_lo
	v_cmp_gt_i32_e32 vcc_lo, s37, v49
	v_cndmask_b32_e64 v12, 0, v14, s7
	s_wait_alu 0xfffd
	v_cndmask_b32_e32 v44, 0, v44, vcc_lo
	v_mad_co_u64_u32 v[47:48], null, s13, v48, v[13:14]
	v_mad_co_u64_u32 v[14:15], null, s13, v49, v[15:16]
	s_delay_alu instid0(VALU_DEP_2) | instskip(SKIP_1) | instid1(VALU_DEP_3)
	v_cndmask_b32_e64 v13, 0, v47, s7
	v_add_co_u32 v10, s7, s52, v10
	v_cndmask_b32_e32 v45, 0, v14, vcc_lo
	s_wait_alu 0xf1ff
	v_add_co_ci_u32_e64 v11, null, s53, v11, s7
	v_lshlrev_b64_e32 v[12:13], 2, v[12:13]
	v_add_co_u32 v10, vcc_lo, v10, v4
	v_lshlrev_b64_e32 v[14:15], 2, v[44:45]
	s_wait_alu 0xfffd
	v_add_co_ci_u32_e64 v11, null, v11, v5, vcc_lo
	s_delay_alu instid0(VALU_DEP_4)
	v_add_co_u32 v12, vcc_lo, s52, v12
	s_wait_alu 0xfffd
	v_add_co_ci_u32_e64 v13, null, s53, v13, vcc_lo
	v_add_co_u32 v39, vcc_lo, s52, v14
	s_wait_alu 0xfffd
	v_add_co_ci_u32_e64 v44, null, s53, v15, vcc_lo
	;; [unrolled: 3-line block ×4, first 2 shown]
	s_clause 0x3
	global_load_b32 v46, v[8:9], off
	global_load_b32 v44, v[10:11], off
	;; [unrolled: 1-line block ×4, first 2 shown]
	s_and_saveexec_b32 s7, s2
	s_cbranch_execz .LBB5_43
; %bb.38:                               ;   in Loop: Header=BB5_5 Depth=1
	s_clause 0x3
	global_load_b32 v50, v[8:9], off offset:256
	global_load_b32 v49, v[10:11], off offset:256
	global_load_b32 v48, v[14:15], off offset:256
	global_load_b32 v47, v[12:13], off offset:256
	s_and_saveexec_b32 s8, s3
	s_cbranch_execz .LBB5_42
; %bb.39:                               ;   in Loop: Header=BB5_5 Depth=1
	s_clause 0x3
	global_load_b32 v54, v[8:9], off offset:512
	global_load_b32 v53, v[10:11], off offset:512
	global_load_b32 v52, v[14:15], off offset:512
	global_load_b32 v51, v[12:13], off offset:512
	;; [unrolled: 8-line block ×3, first 2 shown]
	s_wait_loadcnt 0x3
	v_fmac_f32_e32 v38, v40, v8
	s_wait_loadcnt 0x2
	s_delay_alu instid0(VALU_DEP_1) | instskip(SKIP_1) | instid1(VALU_DEP_1)
	v_fmac_f32_e32 v38, v41, v9
	s_wait_loadcnt 0x1
	v_fmac_f32_e32 v38, v42, v10
	s_wait_loadcnt 0x0
	s_delay_alu instid0(VALU_DEP_1)
	v_fmac_f32_e32 v38, v43, v11
.LBB5_41:                               ;   in Loop: Header=BB5_5 Depth=1
	s_wait_alu 0xfffe
	s_or_b32 exec_lo, exec_lo, s52
	s_wait_loadcnt 0x3
	v_fmac_f32_e32 v37, v40, v54
	s_wait_loadcnt 0x2
	s_delay_alu instid0(VALU_DEP_1) | instskip(SKIP_1) | instid1(VALU_DEP_1)
	v_fmac_f32_e32 v37, v41, v53
	s_wait_loadcnt 0x1
	v_fmac_f32_e32 v37, v42, v52
	s_wait_loadcnt 0x0
	s_delay_alu instid0(VALU_DEP_1)
	v_fmac_f32_e32 v37, v43, v51
.LBB5_42:                               ;   in Loop: Header=BB5_5 Depth=1
	s_wait_alu 0xfffe
	s_or_b32 exec_lo, exec_lo, s8
	s_wait_loadcnt 0x3
	v_fmac_f32_e32 v36, v40, v50
	s_wait_loadcnt 0x2
	s_delay_alu instid0(VALU_DEP_1) | instskip(SKIP_1) | instid1(VALU_DEP_1)
	v_fmac_f32_e32 v36, v41, v49
	s_wait_loadcnt 0x1
	v_fmac_f32_e32 v36, v42, v48
	s_wait_loadcnt 0x0
	s_delay_alu instid0(VALU_DEP_1)
	v_fmac_f32_e32 v36, v43, v47
.LBB5_43:                               ;   in Loop: Header=BB5_5 Depth=1
	s_wait_alu 0xfffe
	s_or_b32 exec_lo, exec_lo, s7
	s_wait_loadcnt 0x3
	v_fmac_f32_e32 v35, v40, v46
	s_wait_loadcnt 0x2
	s_delay_alu instid0(VALU_DEP_1) | instskip(SKIP_1) | instid1(VALU_DEP_1)
	v_fmac_f32_e32 v35, v41, v44
	s_wait_loadcnt 0x1
	v_fmac_f32_e32 v35, v42, v39
	s_wait_loadcnt 0x0
	s_delay_alu instid0(VALU_DEP_1)
	v_fmac_f32_e32 v35, v43, v45
.LBB5_44:                               ;   in Loop: Header=BB5_5 Depth=1
	s_wait_alu 0xfffe
	s_or_b32 exec_lo, exec_lo, s9
.LBB5_45:                               ;   in Loop: Header=BB5_5 Depth=1
	ds_store_2addr_stride64_b32 v17, v35, v36 offset1:1
	ds_store_2addr_stride64_b32 v17, v37, v38 offset0:2 offset1:3
	s_wait_loadcnt_dscnt 0x0
	s_barrier_signal -1
	s_barrier_wait -1
	global_inv scope:SCOPE_SE
                                        ; implicit-def: $vgpr10
	s_and_saveexec_b32 s7, s0
	s_cbranch_execz .LBB5_51
; %bb.46:                               ;   in Loop: Header=BB5_5 Depth=1
	ds_load_2addr_stride64_b32 v[8:9], v18 offset1:4
	ds_load_2addr_stride64_b32 v[10:11], v18 offset0:8 offset1:12
	s_mov_b32 s9, s51
	s_wait_dscnt 0x1
	v_add_f32_e32 v8, v8, v9
	s_wait_dscnt 0x0
	s_delay_alu instid0(VALU_DEP_1) | instskip(NEXT) | instid1(VALU_DEP_1)
	v_add_f32_e32 v8, v10, v8
                                        ; implicit-def: $vgpr10
	v_add_f32_e32 v8, v11, v8
	ds_store_b32 v18, v8
	s_and_saveexec_b32 s8, s6
	s_cbranch_execz .LBB5_50
; %bb.47:                               ;   in Loop: Header=BB5_5 Depth=1
	v_mul_f32_e32 v10, s38, v8
	s_and_not1_b32 vcc_lo, exec_lo, s48
	s_wait_alu 0xfffe
	s_cbranch_vccnz .LBB5_49
; %bb.48:                               ;   in Loop: Header=BB5_5 Depth=1
	v_lshlrev_b64_e32 v[8:9], 2, v[2:3]
	s_delay_alu instid0(VALU_DEP_1) | instskip(SKIP_1) | instid1(VALU_DEP_2)
	v_add_co_u32 v8, vcc_lo, s44, v8
	s_wait_alu 0xfffd
	v_add_co_ci_u32_e64 v9, null, s45, v9, vcc_lo
	global_load_b32 v8, v[8:9], off
	s_wait_loadcnt 0x0
	v_fmac_f32_e32 v10, s39, v8
.LBB5_49:                               ;   in Loop: Header=BB5_5 Depth=1
	s_or_b32 s9, s51, exec_lo
.LBB5_50:                               ;   in Loop: Header=BB5_5 Depth=1
	s_wait_alu 0xfffe
	s_or_b32 exec_lo, exec_lo, s8
	s_delay_alu instid0(SALU_CYCLE_1)
	s_and_not1_b32 s8, s51, exec_lo
	s_and_b32 s9, s9, exec_lo
	s_wait_alu 0xfffe
	s_or_b32 s51, s8, s9
.LBB5_51:                               ;   in Loop: Header=BB5_5 Depth=1
	s_wait_alu 0xfffe
	s_or_b32 exec_lo, exec_lo, s7
	v_dual_mov_b32 v9, v3 :: v_dual_mov_b32 v8, v2
	s_and_saveexec_b32 s7, s51
	s_cbranch_execz .LBB5_3
.LBB5_52:                               ;   in Loop: Header=BB5_5 Depth=1
	s_delay_alu instid0(VALU_DEP_1) | instskip(SKIP_1) | instid1(VALU_DEP_1)
	v_lshlrev_b64_e32 v[8:9], 2, v[8:9]
	s_wait_alu 0xfffe
	v_add_co_u32 v8, vcc_lo, s44, v8
	s_wait_alu 0xfffd
	s_delay_alu instid0(VALU_DEP_2)
	v_add_co_ci_u32_e64 v9, null, s45, v9, vcc_lo
	global_store_b32 v[8:9], v10, off
	s_branch .LBB5_3
.LBB5_53:
	s_endpgm
	.section	.rodata,"a",@progbits
	.p2align	6, 0x0
	.amdhsa_kernel _ZL20rocblas_gemvn_kernelILi64ELi4ElfffEviiT3_lPKT2_lT1_lS3_lS4_lS0_lPT4_lS4_li
		.amdhsa_group_segment_fixed_size 4096
		.amdhsa_private_segment_fixed_size 0
		.amdhsa_kernarg_size 400
		.amdhsa_user_sgpr_count 2
		.amdhsa_user_sgpr_dispatch_ptr 0
		.amdhsa_user_sgpr_queue_ptr 0
		.amdhsa_user_sgpr_kernarg_segment_ptr 1
		.amdhsa_user_sgpr_dispatch_id 0
		.amdhsa_user_sgpr_private_segment_size 0
		.amdhsa_wavefront_size32 1
		.amdhsa_uses_dynamic_stack 0
		.amdhsa_enable_private_segment 0
		.amdhsa_system_sgpr_workgroup_id_x 1
		.amdhsa_system_sgpr_workgroup_id_y 0
		.amdhsa_system_sgpr_workgroup_id_z 1
		.amdhsa_system_sgpr_workgroup_info 0
		.amdhsa_system_vgpr_workitem_id 1
		.amdhsa_next_free_vgpr 72
		.amdhsa_next_free_sgpr 56
		.amdhsa_reserve_vcc 1
		.amdhsa_float_round_mode_32 0
		.amdhsa_float_round_mode_16_64 0
		.amdhsa_float_denorm_mode_32 3
		.amdhsa_float_denorm_mode_16_64 3
		.amdhsa_fp16_overflow 0
		.amdhsa_workgroup_processor_mode 1
		.amdhsa_memory_ordered 1
		.amdhsa_forward_progress 1
		.amdhsa_inst_pref_size 29
		.amdhsa_round_robin_scheduling 0
		.amdhsa_exception_fp_ieee_invalid_op 0
		.amdhsa_exception_fp_denorm_src 0
		.amdhsa_exception_fp_ieee_div_zero 0
		.amdhsa_exception_fp_ieee_overflow 0
		.amdhsa_exception_fp_ieee_underflow 0
		.amdhsa_exception_fp_ieee_inexact 0
		.amdhsa_exception_int_div_zero 0
	.end_amdhsa_kernel
	.section	.text._ZL20rocblas_gemvn_kernelILi64ELi4ElfffEviiT3_lPKT2_lT1_lS3_lS4_lS0_lPT4_lS4_li,"axG",@progbits,_ZL20rocblas_gemvn_kernelILi64ELi4ElfffEviiT3_lPKT2_lT1_lS3_lS4_lS0_lPT4_lS4_li,comdat
.Lfunc_end5:
	.size	_ZL20rocblas_gemvn_kernelILi64ELi4ElfffEviiT3_lPKT2_lT1_lS3_lS4_lS0_lPT4_lS4_li, .Lfunc_end5-_ZL20rocblas_gemvn_kernelILi64ELi4ElfffEviiT3_lPKT2_lT1_lS3_lS4_lS0_lPT4_lS4_li
                                        ; -- End function
	.set _ZL20rocblas_gemvn_kernelILi64ELi4ElfffEviiT3_lPKT2_lT1_lS3_lS4_lS0_lPT4_lS4_li.num_vgpr, 72
	.set _ZL20rocblas_gemvn_kernelILi64ELi4ElfffEviiT3_lPKT2_lT1_lS3_lS4_lS0_lPT4_lS4_li.num_agpr, 0
	.set _ZL20rocblas_gemvn_kernelILi64ELi4ElfffEviiT3_lPKT2_lT1_lS3_lS4_lS0_lPT4_lS4_li.numbered_sgpr, 56
	.set _ZL20rocblas_gemvn_kernelILi64ELi4ElfffEviiT3_lPKT2_lT1_lS3_lS4_lS0_lPT4_lS4_li.num_named_barrier, 0
	.set _ZL20rocblas_gemvn_kernelILi64ELi4ElfffEviiT3_lPKT2_lT1_lS3_lS4_lS0_lPT4_lS4_li.private_seg_size, 0
	.set _ZL20rocblas_gemvn_kernelILi64ELi4ElfffEviiT3_lPKT2_lT1_lS3_lS4_lS0_lPT4_lS4_li.uses_vcc, 1
	.set _ZL20rocblas_gemvn_kernelILi64ELi4ElfffEviiT3_lPKT2_lT1_lS3_lS4_lS0_lPT4_lS4_li.uses_flat_scratch, 0
	.set _ZL20rocblas_gemvn_kernelILi64ELi4ElfffEviiT3_lPKT2_lT1_lS3_lS4_lS0_lPT4_lS4_li.has_dyn_sized_stack, 0
	.set _ZL20rocblas_gemvn_kernelILi64ELi4ElfffEviiT3_lPKT2_lT1_lS3_lS4_lS0_lPT4_lS4_li.has_recursion, 0
	.set _ZL20rocblas_gemvn_kernelILi64ELi4ElfffEviiT3_lPKT2_lT1_lS3_lS4_lS0_lPT4_lS4_li.has_indirect_call, 0
	.section	.AMDGPU.csdata,"",@progbits
; Kernel info:
; codeLenInByte = 3668
; TotalNumSgprs: 58
; NumVgprs: 72
; ScratchSize: 0
; MemoryBound: 0
; FloatMode: 240
; IeeeMode: 1
; LDSByteSize: 4096 bytes/workgroup (compile time only)
; SGPRBlocks: 0
; VGPRBlocks: 8
; NumSGPRsForWavesPerEU: 58
; NumVGPRsForWavesPerEU: 72
; Occupancy: 16
; WaveLimiterHint : 1
; COMPUTE_PGM_RSRC2:SCRATCH_EN: 0
; COMPUTE_PGM_RSRC2:USER_SGPR: 2
; COMPUTE_PGM_RSRC2:TRAP_HANDLER: 0
; COMPUTE_PGM_RSRC2:TGID_X_EN: 1
; COMPUTE_PGM_RSRC2:TGID_Y_EN: 0
; COMPUTE_PGM_RSRC2:TGID_Z_EN: 1
; COMPUTE_PGM_RSRC2:TIDIG_COMP_CNT: 1
	.section	.text._ZL24rocblas_gemv_scal_kernelILi256EPKfPfEviT0_lT1_lili,"axG",@progbits,_ZL24rocblas_gemv_scal_kernelILi256EPKfPfEviT0_lT1_lili,comdat
	.globl	_ZL24rocblas_gemv_scal_kernelILi256EPKfPfEviT0_lT1_lili ; -- Begin function _ZL24rocblas_gemv_scal_kernelILi256EPKfPfEviT0_lT1_lili
	.p2align	8
	.type	_ZL24rocblas_gemv_scal_kernelILi256EPKfPfEviT0_lT1_lili,@function
_ZL24rocblas_gemv_scal_kernelILi256EPKfPfEviT0_lT1_lili: ; @_ZL24rocblas_gemv_scal_kernelILi256EPKfPfEviT0_lT1_lili
; %bb.0:
	s_load_b32 s18, s[0:1], 0x38
	s_lshr_b32 s2, ttmp7, 16
	s_wait_kmcnt 0x0
	s_cmp_ge_u32 s2, s18
	s_cbranch_scc1 .LBB6_10
; %bb.1:
	s_clause 0x3
	s_load_b32 s12, s[0:1], 0x0
	s_load_b256 s[4:11], s[0:1], 0x8
	s_load_b32 s19, s[0:1], 0x28
	s_load_b64 s[14:15], s[0:1], 0x30
	v_mov_b32_e32 v2, 0
	s_add_nc_u64 s[16:17], s[0:1], 64
	s_mov_b32 s3, 0
	s_wait_kmcnt 0x0
	s_ashr_i32 s13, s12, 31
	s_lshl_b64 s[10:11], s[10:11], 2
	s_ashr_i32 s1, s19, 31
	s_add_nc_u64 s[8:9], s[8:9], s[10:11]
	s_branch .LBB6_6
.LBB6_2:                                ;   in Loop: Header=BB6_6 Depth=1
	global_load_b32 v1, v[3:4], off
	s_wait_loadcnt 0x0
	v_mul_f32_e32 v1, v5, v1
.LBB6_3:                                ;   in Loop: Header=BB6_6 Depth=1
	global_store_b32 v[3:4], v1, off
.LBB6_4:                                ;   in Loop: Header=BB6_6 Depth=1
	s_or_b32 exec_lo, exec_lo, s10
.LBB6_5:                                ;   in Loop: Header=BB6_6 Depth=1
	s_add_co_i32 s2, s2, 0x10000
	s_delay_alu instid0(SALU_CYCLE_1)
	s_cmp_lt_u32 s2, s18
	s_cbranch_scc0 .LBB6_10
.LBB6_6:                                ; =>This Inner Loop Header: Depth=1
	s_mul_u64 s[10:11], s[6:7], s[2:3]
	s_delay_alu instid0(SALU_CYCLE_1) | instskip(NEXT) | instid1(SALU_CYCLE_1)
	s_lshl_b64 s[10:11], s[10:11], 2
	s_add_nc_u64 s[10:11], s[4:5], s[10:11]
	global_load_b32 v5, v2, s[10:11]
	s_wait_loadcnt 0x0
	v_cmp_eq_f32_e32 vcc_lo, 1.0, v5
	s_cbranch_vccnz .LBB6_5
; %bb.7:                                ;   in Loop: Header=BB6_6 Depth=1
	s_load_b32 s0, s[16:17], 0xc
	s_mov_b32 s10, exec_lo
	s_wait_kmcnt 0x0
	s_and_b32 s0, s0, 0xffff
	s_wait_alu 0xfffe
	v_mad_co_u64_u32 v[3:4], null, ttmp9, s0, v[0:1]
	s_delay_alu instid0(VALU_DEP_1) | instskip(NEXT) | instid1(VALU_DEP_1)
	v_mov_b32_e32 v1, v3
	v_cmpx_gt_i64_e64 s[12:13], v[1:2]
	s_cbranch_execz .LBB6_4
; %bb.8:                                ;   in Loop: Header=BB6_6 Depth=1
	v_mad_co_u64_u32 v[3:4], null, v1, s19, 0
	s_mul_u64 s[20:21], s[14:15], s[2:3]
	v_cmp_eq_f32_e32 vcc_lo, 0, v5
	s_wait_alu 0xfffe
	s_lshl_b64 s[20:21], s[20:21], 2
	s_wait_alu 0xfffe
	s_add_nc_u64 s[20:21], s[8:9], s[20:21]
	s_and_b32 vcc_lo, exec_lo, vcc_lo
	v_mad_co_u64_u32 v[6:7], null, v1, s1, v[4:5]
	s_delay_alu instid0(VALU_DEP_1) | instskip(NEXT) | instid1(VALU_DEP_1)
	v_mov_b32_e32 v4, v6
	v_lshlrev_b64_e32 v[3:4], 2, v[3:4]
	s_wait_alu 0xfffe
	s_delay_alu instid0(VALU_DEP_1) | instskip(SKIP_1) | instid1(VALU_DEP_2)
	v_add_co_u32 v3, s0, s20, v3
	s_wait_alu 0xf1ff
	v_add_co_ci_u32_e64 v4, null, s21, v4, s0
	s_cbranch_vccz .LBB6_2
; %bb.9:                                ;   in Loop: Header=BB6_6 Depth=1
	v_mov_b32_e32 v1, 0
	s_branch .LBB6_3
.LBB6_10:
	s_endpgm
	.section	.rodata,"a",@progbits
	.p2align	6, 0x0
	.amdhsa_kernel _ZL24rocblas_gemv_scal_kernelILi256EPKfPfEviT0_lT1_lili
		.amdhsa_group_segment_fixed_size 0
		.amdhsa_private_segment_fixed_size 0
		.amdhsa_kernarg_size 320
		.amdhsa_user_sgpr_count 2
		.amdhsa_user_sgpr_dispatch_ptr 0
		.amdhsa_user_sgpr_queue_ptr 0
		.amdhsa_user_sgpr_kernarg_segment_ptr 1
		.amdhsa_user_sgpr_dispatch_id 0
		.amdhsa_user_sgpr_private_segment_size 0
		.amdhsa_wavefront_size32 1
		.amdhsa_uses_dynamic_stack 0
		.amdhsa_enable_private_segment 0
		.amdhsa_system_sgpr_workgroup_id_x 1
		.amdhsa_system_sgpr_workgroup_id_y 0
		.amdhsa_system_sgpr_workgroup_id_z 1
		.amdhsa_system_sgpr_workgroup_info 0
		.amdhsa_system_vgpr_workitem_id 0
		.amdhsa_next_free_vgpr 8
		.amdhsa_next_free_sgpr 22
		.amdhsa_reserve_vcc 1
		.amdhsa_float_round_mode_32 0
		.amdhsa_float_round_mode_16_64 0
		.amdhsa_float_denorm_mode_32 3
		.amdhsa_float_denorm_mode_16_64 3
		.amdhsa_fp16_overflow 0
		.amdhsa_workgroup_processor_mode 1
		.amdhsa_memory_ordered 1
		.amdhsa_forward_progress 1
		.amdhsa_inst_pref_size 3
		.amdhsa_round_robin_scheduling 0
		.amdhsa_exception_fp_ieee_invalid_op 0
		.amdhsa_exception_fp_denorm_src 0
		.amdhsa_exception_fp_ieee_div_zero 0
		.amdhsa_exception_fp_ieee_overflow 0
		.amdhsa_exception_fp_ieee_underflow 0
		.amdhsa_exception_fp_ieee_inexact 0
		.amdhsa_exception_int_div_zero 0
	.end_amdhsa_kernel
	.section	.text._ZL24rocblas_gemv_scal_kernelILi256EPKfPfEviT0_lT1_lili,"axG",@progbits,_ZL24rocblas_gemv_scal_kernelILi256EPKfPfEviT0_lT1_lili,comdat
.Lfunc_end6:
	.size	_ZL24rocblas_gemv_scal_kernelILi256EPKfPfEviT0_lT1_lili, .Lfunc_end6-_ZL24rocblas_gemv_scal_kernelILi256EPKfPfEviT0_lT1_lili
                                        ; -- End function
	.set _ZL24rocblas_gemv_scal_kernelILi256EPKfPfEviT0_lT1_lili.num_vgpr, 8
	.set _ZL24rocblas_gemv_scal_kernelILi256EPKfPfEviT0_lT1_lili.num_agpr, 0
	.set _ZL24rocblas_gemv_scal_kernelILi256EPKfPfEviT0_lT1_lili.numbered_sgpr, 22
	.set _ZL24rocblas_gemv_scal_kernelILi256EPKfPfEviT0_lT1_lili.num_named_barrier, 0
	.set _ZL24rocblas_gemv_scal_kernelILi256EPKfPfEviT0_lT1_lili.private_seg_size, 0
	.set _ZL24rocblas_gemv_scal_kernelILi256EPKfPfEviT0_lT1_lili.uses_vcc, 1
	.set _ZL24rocblas_gemv_scal_kernelILi256EPKfPfEviT0_lT1_lili.uses_flat_scratch, 0
	.set _ZL24rocblas_gemv_scal_kernelILi256EPKfPfEviT0_lT1_lili.has_dyn_sized_stack, 0
	.set _ZL24rocblas_gemv_scal_kernelILi256EPKfPfEviT0_lT1_lili.has_recursion, 0
	.set _ZL24rocblas_gemv_scal_kernelILi256EPKfPfEviT0_lT1_lili.has_indirect_call, 0
	.section	.AMDGPU.csdata,"",@progbits
; Kernel info:
; codeLenInByte = 348
; TotalNumSgprs: 24
; NumVgprs: 8
; ScratchSize: 0
; MemoryBound: 0
; FloatMode: 240
; IeeeMode: 1
; LDSByteSize: 0 bytes/workgroup (compile time only)
; SGPRBlocks: 0
; VGPRBlocks: 0
; NumSGPRsForWavesPerEU: 24
; NumVGPRsForWavesPerEU: 8
; Occupancy: 16
; WaveLimiterHint : 0
; COMPUTE_PGM_RSRC2:SCRATCH_EN: 0
; COMPUTE_PGM_RSRC2:USER_SGPR: 2
; COMPUTE_PGM_RSRC2:TRAP_HANDLER: 0
; COMPUTE_PGM_RSRC2:TGID_X_EN: 1
; COMPUTE_PGM_RSRC2:TGID_Y_EN: 0
; COMPUTE_PGM_RSRC2:TGID_Z_EN: 1
; COMPUTE_PGM_RSRC2:TIDIG_COMP_CNT: 0
	.section	.text._ZL24rocblas_gemv_scal_kernelILi256EfPfEviT0_lT1_lili,"axG",@progbits,_ZL24rocblas_gemv_scal_kernelILi256EfPfEviT0_lT1_lili,comdat
	.globl	_ZL24rocblas_gemv_scal_kernelILi256EfPfEviT0_lT1_lili ; -- Begin function _ZL24rocblas_gemv_scal_kernelILi256EfPfEviT0_lT1_lili
	.p2align	8
	.type	_ZL24rocblas_gemv_scal_kernelILi256EfPfEviT0_lT1_lili,@function
_ZL24rocblas_gemv_scal_kernelILi256EfPfEviT0_lT1_lili: ; @_ZL24rocblas_gemv_scal_kernelILi256EfPfEviT0_lT1_lili
; %bb.0:
	s_load_b32 s12, s[0:1], 0x30
	s_lshr_b32 s2, ttmp7, 16
	s_wait_kmcnt 0x0
	s_cmp_ge_u32 s2, s12
	s_cbranch_scc1 .LBB7_10
; %bb.1:
	s_clause 0x3
	s_load_b32 s13, s[0:1], 0x20
	s_load_b128 s[16:19], s[0:1], 0x10
	s_load_b64 s[4:5], s[0:1], 0x0
	s_load_b64 s[6:7], s[0:1], 0x28
	v_mov_b32_e32 v2, 0
	s_add_nc_u64 s[0:1], s[0:1], 56
	s_mov_b32 s3, 0
	s_wait_kmcnt 0x0
	s_ashr_i32 s14, s13, 31
	s_lshl_b64 s[10:11], s[18:19], 2
	s_cmp_neq_f32 s5, 1.0
	s_add_nc_u64 s[10:11], s[16:17], s[10:11]
	s_mov_b32 s8, s4
	s_cselect_b32 s15, -1, 0
	s_ashr_i32 s9, s4, 31
	s_cmp_neq_f32 s5, 0
	s_cselect_b32 s16, -1, 0
	s_branch .LBB7_6
.LBB7_2:                                ;   in Loop: Header=BB7_6 Depth=1
	global_load_b32 v1, v[3:4], off
	s_wait_loadcnt 0x0
	v_mul_f32_e32 v1, s5, v1
.LBB7_3:                                ;   in Loop: Header=BB7_6 Depth=1
	global_store_b32 v[3:4], v1, off
.LBB7_4:                                ;   in Loop: Header=BB7_6 Depth=1
	s_wait_alu 0xfffe
	s_or_b32 exec_lo, exec_lo, s4
.LBB7_5:                                ;   in Loop: Header=BB7_6 Depth=1
	s_add_co_i32 s2, s2, 0x10000
	s_delay_alu instid0(SALU_CYCLE_1)
	s_cmp_lt_u32 s2, s12
	s_cbranch_scc0 .LBB7_10
.LBB7_6:                                ; =>This Inner Loop Header: Depth=1
	s_and_not1_b32 vcc_lo, exec_lo, s15
	s_wait_alu 0xfffe
	s_cbranch_vccnz .LBB7_5
; %bb.7:                                ;   in Loop: Header=BB7_6 Depth=1
	s_load_b32 s4, s[0:1], 0xc
	s_wait_kmcnt 0x0
	s_and_b32 s4, s4, 0xffff
	s_wait_alu 0xfffe
	v_mad_co_u64_u32 v[3:4], null, ttmp9, s4, v[0:1]
	s_mov_b32 s4, exec_lo
	v_mov_b32_e32 v1, v3
	s_delay_alu instid0(VALU_DEP_1)
	v_cmpx_gt_i64_e64 s[8:9], v[1:2]
	s_cbranch_execz .LBB7_4
; %bb.8:                                ;   in Loop: Header=BB7_6 Depth=1
	v_mad_co_u64_u32 v[3:4], null, v1, s13, 0
	s_mul_u64 s[18:19], s[6:7], s[2:3]
	s_wait_alu 0xfffe
	s_lshl_b64 s[18:19], s[18:19], 2
	s_wait_alu 0xfffe
	s_add_nc_u64 s[18:19], s[10:11], s[18:19]
	v_mad_co_u64_u32 v[4:5], null, v1, s14, v[4:5]
	s_delay_alu instid0(VALU_DEP_1) | instskip(SKIP_1) | instid1(VALU_DEP_1)
	v_lshlrev_b64_e32 v[3:4], 2, v[3:4]
	s_wait_alu 0xfffe
	v_add_co_u32 v3, vcc_lo, s18, v3
	s_wait_alu 0xfffd
	s_delay_alu instid0(VALU_DEP_2)
	v_add_co_ci_u32_e64 v4, null, s19, v4, vcc_lo
	s_and_not1_b32 vcc_lo, exec_lo, s16
	s_wait_alu 0xfffe
	s_cbranch_vccz .LBB7_2
; %bb.9:                                ;   in Loop: Header=BB7_6 Depth=1
	v_mov_b32_e32 v1, 0
	s_branch .LBB7_3
.LBB7_10:
	s_endpgm
	.section	.rodata,"a",@progbits
	.p2align	6, 0x0
	.amdhsa_kernel _ZL24rocblas_gemv_scal_kernelILi256EfPfEviT0_lT1_lili
		.amdhsa_group_segment_fixed_size 0
		.amdhsa_private_segment_fixed_size 0
		.amdhsa_kernarg_size 312
		.amdhsa_user_sgpr_count 2
		.amdhsa_user_sgpr_dispatch_ptr 0
		.amdhsa_user_sgpr_queue_ptr 0
		.amdhsa_user_sgpr_kernarg_segment_ptr 1
		.amdhsa_user_sgpr_dispatch_id 0
		.amdhsa_user_sgpr_private_segment_size 0
		.amdhsa_wavefront_size32 1
		.amdhsa_uses_dynamic_stack 0
		.amdhsa_enable_private_segment 0
		.amdhsa_system_sgpr_workgroup_id_x 1
		.amdhsa_system_sgpr_workgroup_id_y 0
		.amdhsa_system_sgpr_workgroup_id_z 1
		.amdhsa_system_sgpr_workgroup_info 0
		.amdhsa_system_vgpr_workitem_id 0
		.amdhsa_next_free_vgpr 6
		.amdhsa_next_free_sgpr 20
		.amdhsa_reserve_vcc 1
		.amdhsa_float_round_mode_32 0
		.amdhsa_float_round_mode_16_64 0
		.amdhsa_float_denorm_mode_32 3
		.amdhsa_float_denorm_mode_16_64 3
		.amdhsa_fp16_overflow 0
		.amdhsa_workgroup_processor_mode 1
		.amdhsa_memory_ordered 1
		.amdhsa_forward_progress 1
		.amdhsa_inst_pref_size 3
		.amdhsa_round_robin_scheduling 0
		.amdhsa_exception_fp_ieee_invalid_op 0
		.amdhsa_exception_fp_denorm_src 0
		.amdhsa_exception_fp_ieee_div_zero 0
		.amdhsa_exception_fp_ieee_overflow 0
		.amdhsa_exception_fp_ieee_underflow 0
		.amdhsa_exception_fp_ieee_inexact 0
		.amdhsa_exception_int_div_zero 0
	.end_amdhsa_kernel
	.section	.text._ZL24rocblas_gemv_scal_kernelILi256EfPfEviT0_lT1_lili,"axG",@progbits,_ZL24rocblas_gemv_scal_kernelILi256EfPfEviT0_lT1_lili,comdat
.Lfunc_end7:
	.size	_ZL24rocblas_gemv_scal_kernelILi256EfPfEviT0_lT1_lili, .Lfunc_end7-_ZL24rocblas_gemv_scal_kernelILi256EfPfEviT0_lT1_lili
                                        ; -- End function
	.set _ZL24rocblas_gemv_scal_kernelILi256EfPfEviT0_lT1_lili.num_vgpr, 6
	.set _ZL24rocblas_gemv_scal_kernelILi256EfPfEviT0_lT1_lili.num_agpr, 0
	.set _ZL24rocblas_gemv_scal_kernelILi256EfPfEviT0_lT1_lili.numbered_sgpr, 20
	.set _ZL24rocblas_gemv_scal_kernelILi256EfPfEviT0_lT1_lili.num_named_barrier, 0
	.set _ZL24rocblas_gemv_scal_kernelILi256EfPfEviT0_lT1_lili.private_seg_size, 0
	.set _ZL24rocblas_gemv_scal_kernelILi256EfPfEviT0_lT1_lili.uses_vcc, 1
	.set _ZL24rocblas_gemv_scal_kernelILi256EfPfEviT0_lT1_lili.uses_flat_scratch, 0
	.set _ZL24rocblas_gemv_scal_kernelILi256EfPfEviT0_lT1_lili.has_dyn_sized_stack, 0
	.set _ZL24rocblas_gemv_scal_kernelILi256EfPfEviT0_lT1_lili.has_recursion, 0
	.set _ZL24rocblas_gemv_scal_kernelILi256EfPfEviT0_lT1_lili.has_indirect_call, 0
	.section	.AMDGPU.csdata,"",@progbits
; Kernel info:
; codeLenInByte = 340
; TotalNumSgprs: 22
; NumVgprs: 6
; ScratchSize: 0
; MemoryBound: 0
; FloatMode: 240
; IeeeMode: 1
; LDSByteSize: 0 bytes/workgroup (compile time only)
; SGPRBlocks: 0
; VGPRBlocks: 0
; NumSGPRsForWavesPerEU: 22
; NumVGPRsForWavesPerEU: 6
; Occupancy: 16
; WaveLimiterHint : 0
; COMPUTE_PGM_RSRC2:SCRATCH_EN: 0
; COMPUTE_PGM_RSRC2:USER_SGPR: 2
; COMPUTE_PGM_RSRC2:TRAP_HANDLER: 0
; COMPUTE_PGM_RSRC2:TGID_X_EN: 1
; COMPUTE_PGM_RSRC2:TGID_Y_EN: 0
; COMPUTE_PGM_RSRC2:TGID_Z_EN: 1
; COMPUTE_PGM_RSRC2:TIDIG_COMP_CNT: 0
	.section	.text._ZL36rocblas_gemvn_double_buffered_kernelILi128ELi8ELi8EfPKffEviiT3_lPKT2_lilS5_lilPT4_lili,"axG",@progbits,_ZL36rocblas_gemvn_double_buffered_kernelILi128ELi8ELi8EfPKffEviiT3_lPKT2_lilS5_lilPT4_lili,comdat
	.globl	_ZL36rocblas_gemvn_double_buffered_kernelILi128ELi8ELi8EfPKffEviiT3_lPKT2_lilS5_lilPT4_lili ; -- Begin function _ZL36rocblas_gemvn_double_buffered_kernelILi128ELi8ELi8EfPKffEviiT3_lPKT2_lilS5_lilPT4_lili
	.p2align	8
	.type	_ZL36rocblas_gemvn_double_buffered_kernelILi128ELi8ELi8EfPKffEviiT3_lPKT2_lilS5_lilPT4_lili,@function
_ZL36rocblas_gemvn_double_buffered_kernelILi128ELi8ELi8EfPKffEviiT3_lPKT2_lilS5_lilPT4_lili: ; @_ZL36rocblas_gemvn_double_buffered_kernelILi128ELi8ELi8EfPKffEviiT3_lPKT2_lilS5_lilPT4_lili
; %bb.0:
	s_load_b32 s33, s[0:1], 0x78
	s_lshr_b32 s2, ttmp7, 16
	s_wait_kmcnt 0x0
	s_cmp_ge_u32 s2, s33
	s_cbranch_scc1 .LBB8_15
; %bb.1:
	s_and_b32 s42, ttmp7, 0xffff
	s_clause 0x5
	s_load_b32 s28, s[0:1], 0x28
	s_load_b96 s[20:22], s[0:1], 0x40
	s_load_b96 s[24:26], s[0:1], 0x60
	s_load_b32 s3, s[0:1], 0x4
	s_load_b256 s[4:11], s[0:1], 0x8
	s_load_b128 s[16:19], s[0:1], 0x50
	v_cvt_f64_i32_e32 v[2:3], s42
	v_and_b32_e32 v8, 0x3ff, v0
	v_bfe_u32 v9, v0, 10, 10
	s_clause 0x1
	s_load_b128 s[12:15], s[0:1], 0x30
	s_load_b64 s[30:31], s[0:1], 0x70
	v_and_b32_e32 v0, 63, v0
	v_lshl_add_u32 v1, v9, 7, v8
	s_delay_alu instid0(VALU_DEP_1)
	v_lshrrev_b32_e32 v10, 6, v1
	v_mov_b32_e32 v1, 0
	v_lshlrev_b32_e32 v27, 2, v8
	s_wait_kmcnt 0x0
	s_ashr_i32 s29, s28, 31
	s_lshl_b64 s[24:25], s[24:25], 2
	s_ashr_i32 s37, s26, 31
	s_mov_b32 s36, s26
	s_add_nc_u64 s[40:41], s[18:19], s[24:25]
	s_lshl_b32 s18, ttmp9, 7
	v_lshlrev_b32_e32 v30, 5, v10
	s_ashr_i32 s19, s18, 31
	v_mad_co_i64_i32 v[4:5], null, s26, v8, 0
	s_mul_u64 s[36:37], s[36:37], s[18:19]
	s_lshl_b64 s[44:45], s[18:19], 2
	s_add_nc_u64 s[18:19], s[0:1], 0x80
	s_lshl_b64 s[0:1], s[36:37], 2
	v_lshlrev_b32_e32 v6, 3, v10
	s_add_nc_u64 s[36:37], s[40:41], s[0:1]
	v_add_co_u32 v31, s1, 0x200, v30
	s_delay_alu instid0(VALU_DEP_1)
	v_add_co_ci_u32_e64 v32, null, 0, 0, s1
	v_add_co_u32 v33, s1, 0x208, v30
	s_wait_alu 0xf1ff
	v_add_co_ci_u32_e64 v34, null, 0, 0, s1
	v_max_num_f64_e32 v[2:3], v[2:3], v[2:3]
	v_add_co_u32 v35, s1, 0x20c, v30
	s_wait_alu 0xf1ff
	v_add_co_ci_u32_e64 v36, null, 0, 0, s1
	v_add_co_u32 v37, s1, 0x210, v30
	v_mad_co_i64_i32 v[6:7], null, s28, v6, v[0:1]
	v_lshlrev_b64_e32 v[4:5], 2, v[4:5]
	s_wait_alu 0xf1ff
	v_add_co_ci_u32_e64 v38, null, 0, 0, s1
	v_add_co_u32 v39, s1, 0x214, v30
	s_wait_alu 0xf1ff
	v_add_co_ci_u32_e64 v40, null, 0, 0, s1
	v_add_co_u32 v41, s1, 0x218, v30
	s_lshl_b64 s[38:39], s[10:11], 2
	s_ashr_i32 s10, s3, 31
	v_lshlrev_b32_e32 v0, 2, v0
	s_wait_alu 0xf1ff
	v_add_co_ci_u32_e64 v42, null, 0, 0, s1
	v_add_co_u32 v43, s1, 0x21c, v30
	s_lshr_b32 s10, s10, 25
	v_add_co_u32 v28, vcc_lo, s36, v4
	s_wait_alu 0xf1ff
	v_add_co_ci_u32_e64 v44, null, 0, 0, s1
	v_add_co_u32 v45, s1, 0x204, v30
	s_add_co_i32 s3, s3, s10
	s_lshl_b32 s40, s22, 7
	v_add_co_ci_u32_e64 v29, null, s37, v5, vcc_lo
	s_add_nc_u64 s[36:37], s[38:39], s[44:45]
	v_lshlrev_b64_e32 v[4:5], 2, v[6:7]
	v_lshl_or_b32 v26, v10, 9, v0
	v_cmp_eq_u32_e64 s0, 0, v9
	s_wait_alu 0xf1ff
	v_add_co_ci_u32_e64 v46, null, 0, 0, s1
	s_ashr_i32 s35, s22, 31
	s_mov_b32 s34, s22
	s_add_nc_u64 s[24:25], s[8:9], s[38:39]
	s_ashr_i32 s10, s3, 7
	s_mov_b32 s3, 0
	s_ashr_i32 s41, s40, 31
	s_wait_alu 0xfffe
	s_add_nc_u64 s[8:9], s[8:9], s[36:37]
	s_lshl_b64 s[20:21], s[20:21], 2
	s_add_nc_u64 s[24:25], s[24:25], s[44:45]
	s_lshl_b64 s[26:27], s[28:29], 9
	s_mov_b32 s11, s3
	s_lshl_b64 s[22:23], s[28:29], 2
	s_add_nc_u64 s[36:37], s[8:9], 0x100
	s_lshl_b64 s[38:39], s[12:13], 2
	s_add_nc_u64 s[14:15], s[14:15], s[20:21]
	s_lshl_b64 s[16:17], s[16:17], 2
	s_lshl_b64 s[20:21], s[40:41], 2
	;; [unrolled: 1-line block ×3, first 2 shown]
	s_branch .LBB8_4
.LBB8_2:                                ;   in Loop: Header=BB8_4 Depth=1
	s_wait_alu 0xfffe
	s_or_b32 exec_lo, exec_lo, s1
.LBB8_3:                                ;   in Loop: Header=BB8_4 Depth=1
	s_add_co_i32 s2, s2, 0x10000
	s_delay_alu instid0(SALU_CYCLE_1)
	s_cmp_lt_u32 s2, s33
	s_cbranch_scc0 .LBB8_15
.LBB8_4:                                ; =>This Loop Header: Depth=1
                                        ;     Child Loop BB8_8 Depth 2
	s_mul_u64 s[44:45], s[6:7], s[2:3]
	s_wait_alu 0xfffe
	s_lshl_b64 s[44:45], s[44:45], 2
	s_wait_alu 0xfffe
	s_add_nc_u64 s[44:45], s[4:5], s[44:45]
	global_load_b32 v47, v1, s[44:45]
	s_wait_loadcnt 0x0
	v_cmp_eq_f32_e32 vcc_lo, 0, v47
	s_cbranch_vccnz .LBB8_3
; %bb.5:                                ;   in Loop: Header=BB8_4 Depth=1
	s_load_b32 s1, s[18:19], 0x4
	s_mov_b32 s45, s3
	s_wait_kmcnt 0x0
	s_cvt_f32_u32 s43, s1
	s_sub_co_i32 s44, 0, s1
	s_wait_alu 0xfffe
	s_delay_alu instid0(SALU_CYCLE_1) | instskip(NEXT) | instid1(TRANS32_DEP_1)
	v_rcp_iflag_f32_e32 v6, s43
	v_readfirstlane_b32 s43, v6
	s_mul_f32 s43, s43, 0x4f7ffffe
	s_wait_alu 0xfffe
	s_delay_alu instid0(SALU_CYCLE_2) | instskip(SKIP_1) | instid1(SALU_CYCLE_2)
	s_cvt_u32_f32 s43, s43
	s_wait_alu 0xfffe
	s_mul_i32 s44, s44, s43
	s_wait_alu 0xfffe
	s_mul_hi_u32 s44, s43, s44
	s_wait_alu 0xfffe
	s_add_co_i32 s44, s43, s44
	s_wait_alu 0xfffe
	s_mul_u64 s[44:45], s[10:11], s[44:45]
	s_wait_alu 0xfffe
	s_mul_i32 s43, s45, s1
	s_add_co_i32 s44, s45, 1
	s_wait_alu 0xfffe
	s_sub_co_i32 s43, s10, s43
	s_wait_alu 0xfffe
	s_sub_co_i32 s46, s43, s1
	s_cmp_ge_u32 s43, s1
	s_cselect_b32 s44, s44, s45
	s_wait_alu 0xfffe
	s_cselect_b32 s43, s46, s43
	s_add_co_i32 s45, s44, 1
	s_wait_alu 0xfffe
	s_cmp_ge_u32 s43, s1
	s_cselect_b32 s43, s45, s44
	s_wait_alu 0xfffe
	s_mul_i32 s1, s43, s1
	s_wait_alu 0xfffe
	s_sub_co_i32 s44, s10, s1
	s_wait_alu 0xfffe
	s_cmp_lt_u32 s42, s44
	s_cselect_b32 s1, -1, 0
	s_wait_alu 0xfffe
	s_cmp_lg_u32 s1, 0
	s_add_co_ci_u32 s1, s43, 0
	s_wait_alu 0xfffe
	s_cmp_eq_u32 s1, 0
	s_cbranch_scc1 .LBB8_3
; %bb.6:                                ;   in Loop: Header=BB8_4 Depth=1
	s_cmp_lt_i32 s1, 1
	s_cbranch_scc1 .LBB8_12
; %bb.7:                                ;   in Loop: Header=BB8_4 Depth=1
	v_cvt_f64_u32_e32 v[6:7], s44
	s_mul_i32 s43, s43, s42
	s_mul_u64 s[46:47], s[12:13], s[2:3]
	s_wait_alu 0xfffe
	v_cvt_f64_u32_e32 v[8:9], s43
	s_lshl_b64 s[46:47], s[46:47], 2
	s_wait_alu 0xfffe
	s_add_nc_u64 s[46:47], s[24:25], s[46:47]
	s_delay_alu instid0(VALU_DEP_2) | instskip(NEXT) | instid1(VALU_DEP_1)
	v_min_num_f64_e32 v[6:7], v[2:3], v[6:7]
	v_add_f64_e32 v[6:7], v[6:7], v[8:9]
	s_delay_alu instid0(VALU_DEP_1) | instskip(NEXT) | instid1(VALU_DEP_1)
	v_cvt_i32_f64_e32 v6, v[6:7]
	v_readfirstlane_b32 s43, v6
	s_lshl_b32 s44, s43, 7
	s_wait_alu 0xfffe
	s_ashr_i32 s45, s44, 31
	s_wait_alu 0xfffe
	s_mul_u64 s[48:49], s[44:45], s[28:29]
	s_lshl_b64 s[44:45], s[44:45], 2
	s_wait_alu 0xfffe
	s_lshl_b64 s[48:49], s[48:49], 2
	v_add_co_u32 v24, s43, v30, s44
	s_wait_alu 0xfffe
	s_add_nc_u64 s[46:47], s[46:47], s[48:49]
	v_add_co_ci_u32_e64 v25, null, 0, s45, s43
	s_wait_alu 0xfffe
	v_add_co_u32 v6, vcc_lo, s46, v4
	s_wait_alu 0xfffd
	v_add_co_ci_u32_e64 v7, null, s47, v5, vcc_lo
	s_mul_u64 s[46:47], s[38:39], s[2:3]
	v_add_co_u32 v8, vcc_lo, v6, s22
	s_wait_alu 0xfffd
	v_add_co_ci_u32_e64 v9, null, s23, v7, vcc_lo
	s_wait_alu 0xfffe
	s_add_nc_u64 s[48:49], s[36:37], s[46:47]
	v_add_co_u32 v10, vcc_lo, v8, s22
	s_wait_alu 0xfffd
	v_add_co_ci_u32_e64 v11, null, s23, v9, vcc_lo
	s_add_nc_u64 s[46:47], s[8:9], s[46:47]
	v_add_co_u32 v12, vcc_lo, v10, s22
	s_wait_alu 0xfffd
	v_add_co_ci_u32_e64 v13, null, s23, v11, vcc_lo
	v_mul_lo_u32 v70, s34, v25
	s_delay_alu instid0(VALU_DEP_3) | instskip(SKIP_1) | instid1(VALU_DEP_3)
	v_add_co_u32 v14, vcc_lo, v12, s22
	s_wait_alu 0xfffd
	v_add_co_ci_u32_e64 v15, null, s23, v13, vcc_lo
	v_mul_lo_u32 v71, s35, v24
	s_delay_alu instid0(VALU_DEP_3) | instskip(SKIP_1) | instid1(VALU_DEP_3)
	v_add_co_u32 v16, vcc_lo, v14, s22
	s_wait_alu 0xfffd
	v_add_co_ci_u32_e64 v17, null, s23, v15, vcc_lo
	s_add_co_i32 s43, s1, -1
	v_add_co_u32 v18, vcc_lo, v16, s22
	s_wait_alu 0xfffd
	v_add_co_ci_u32_e64 v19, null, s23, v17, vcc_lo
	s_delay_alu instid0(VALU_DEP_2) | instskip(SKIP_1) | instid1(VALU_DEP_2)
	v_add_co_u32 v20, vcc_lo, v18, s22
	s_wait_alu 0xfffd
	v_add_co_ci_u32_e64 v21, null, s23, v19, vcc_lo
	s_clause 0x5
	global_load_b32 v55, v[6:7], off
	global_load_b32 v54, v[8:9], off
	;; [unrolled: 1-line block ×8, first 2 shown]
	v_add_co_u32 v8, vcc_lo, v31, s44
	s_wait_alu 0xfffd
	v_add_co_ci_u32_e64 v9, null, s45, v32, vcc_lo
	v_mul_lo_u32 v10, s28, v25
	s_delay_alu instid0(VALU_DEP_3) | instskip(SKIP_1) | instid1(VALU_DEP_4)
	v_mul_lo_u32 v13, s29, v8
	v_mul_lo_u32 v11, s29, v24
	;; [unrolled: 1-line block ×3, first 2 shown]
	s_wait_alu 0xfffe
	v_mad_co_u64_u32 v[8:9], null, s28, v8, s[46:47]
	v_mad_co_u64_u32 v[6:7], null, s28, v24, s[48:49]
	v_add_co_u32 v14, vcc_lo, v33, s44
	s_wait_alu 0xfffd
	v_add_co_ci_u32_e64 v15, null, s45, v34, vcc_lo
	s_delay_alu instid0(VALU_DEP_4)
	v_add3_u32 v9, v13, v9, v12
	v_add_co_u32 v12, vcc_lo, v35, s44
	v_add3_u32 v7, v11, v7, v10
	v_mul_lo_u32 v57, s29, v14
	v_mad_co_u64_u32 v[10:11], null, s28, v14, s[46:47]
	s_wait_alu 0xfffd
	v_add_co_ci_u32_e64 v13, null, s45, v36, vcc_lo
	v_add_co_u32 v14, vcc_lo, v37, s44
	v_mul_lo_u32 v56, s28, v15
	s_wait_alu 0xfffd
	v_add_co_ci_u32_e64 v15, null, s45, v38, vcc_lo
	v_add_co_u32 v16, vcc_lo, v39, s44
	s_wait_alu 0xfffd
	v_add_co_ci_u32_e64 v17, null, s45, v40, vcc_lo
	v_add_co_u32 v18, vcc_lo, v41, s44
	;; [unrolled: 3-line block ×4, first 2 shown]
	s_wait_alu 0xfffd
	v_add_co_ci_u32_e64 v23, null, s45, v46, vcc_lo
	s_mul_u64 s[48:49], s[16:17], s[2:3]
	v_mul_lo_u32 v58, s28, v13
	s_wait_alu 0xfffe
	s_add_nc_u64 s[44:45], s[14:15], s[48:49]
	v_mul_lo_u32 v59, s29, v12
	v_mad_co_u64_u32 v[12:13], null, s28, v12, s[46:47]
	v_mul_lo_u32 v60, s28, v15
	v_mul_lo_u32 v61, s29, v14
	v_mad_co_u64_u32 v[14:15], null, s28, v14, s[46:47]
	v_mul_lo_u32 v62, s28, v17
	;; [unrolled: 3-line block ×5, first 2 shown]
	v_mul_lo_u32 v69, s29, v22
	v_mad_co_u64_u32 v[22:23], null, s28, v22, s[46:47]
	s_wait_alu 0xfffe
	v_mad_co_u64_u32 v[24:25], null, s34, v24, s[44:45]
	v_add3_u32 v11, v57, v11, v56
	v_add3_u32 v13, v59, v13, v58
	;; [unrolled: 1-line block ×8, first 2 shown]
	v_dual_mov_b32 v56, 0 :: v_dual_mov_b32 v57, 0
	s_mov_b32 s44, 0
	s_wait_loadcnt 0x6
	v_dual_mov_b32 v58, v55 :: v_dual_mov_b32 v59, v54
	s_wait_loadcnt 0x4
	v_dual_mov_b32 v60, v53 :: v_dual_mov_b32 v61, v52
	;; [unrolled: 2-line block ×4, first 2 shown]
.LBB8_8:                                ;   Parent Loop BB8_4 Depth=1
                                        ; =>  This Inner Loop Header: Depth=2
	v_add_co_u32 v66, vcc_lo, v6, v0
	s_wait_alu 0xfffd
	v_add_co_ci_u32_e64 v67, null, 0, v7, vcc_lo
	s_wait_alu 0xfffe
	s_cmp_eq_u32 s43, s44
	v_add_co_u32 v68, vcc_lo, v66, s22
	s_wait_alu 0xfffd
	v_add_co_ci_u32_e64 v69, null, s23, v67, vcc_lo
	s_delay_alu instid0(VALU_DEP_2) | instskip(SKIP_1) | instid1(VALU_DEP_2)
	v_add_co_u32 v70, vcc_lo, v68, s22
	s_wait_alu 0xfffd
	v_add_co_ci_u32_e64 v71, null, s23, v69, vcc_lo
	v_add_co_u32 v72, vcc_lo, v24, s40
	s_wait_alu 0xfffd
	v_add_co_ci_u32_e64 v73, null, s41, v25, vcc_lo
	;; [unrolled: 3-line block ×12, first 2 shown]
	s_clause 0x7
	global_load_b32 v78, v[66:67], off
	global_load_b32 v77, v[68:69], off
	;; [unrolled: 1-line block ×8, first 2 shown]
	v_add_co_u32 v84, vcc_lo, v98, s40
	s_wait_alu 0xfffd
	v_add_co_ci_u32_e64 v85, null, s41, v99, vcc_lo
	s_clause 0x7
	global_load_b32 v81, v[24:25], off
	global_load_b32 v80, v[72:73], off
	;; [unrolled: 1-line block ×8, first 2 shown]
	s_cbranch_scc1 .LBB8_10
; %bb.9:                                ;   in Loop: Header=BB8_8 Depth=2
	v_add_co_u32 v58, vcc_lo, v8, v0
	s_wait_alu 0xfffd
	v_add_co_ci_u32_e64 v59, null, 0, v9, vcc_lo
	v_add_co_u32 v60, vcc_lo, v22, v0
	s_wait_alu 0xfffd
	v_add_co_ci_u32_e64 v61, null, 0, v23, vcc_lo
	;; [unrolled: 3-line block ×3, first 2 shown]
	global_load_b32 v58, v[58:59], off
	global_load_b32 v59, v[60:61], off
	;; [unrolled: 1-line block ×3, first 2 shown]
	v_add_co_u32 v61, vcc_lo, v12, v0
	s_wait_alu 0xfffd
	v_add_co_ci_u32_e64 v62, null, 0, v13, vcc_lo
	v_add_co_u32 v63, vcc_lo, v14, v0
	s_wait_alu 0xfffd
	v_add_co_ci_u32_e64 v64, null, 0, v15, vcc_lo
	;; [unrolled: 3-line block ×5, first 2 shown]
	global_load_b32 v61, v[61:62], off
	global_load_b32 v62, v[63:64], off
	;; [unrolled: 1-line block ×5, first 2 shown]
.LBB8_10:                               ;   in Loop: Header=BB8_8 Depth=2
	s_wait_loadcnt 0x7
	v_fmac_f32_e32 v56, v78, v81
	v_fmac_f32_e32 v57, v55, v81
	v_add_co_u32 v6, vcc_lo, v6, s26
	s_wait_alu 0xfffd
	v_add_co_ci_u32_e64 v7, null, s27, v7, vcc_lo
	s_wait_loadcnt 0x6
	v_fmac_f32_e32 v56, v77, v80
	v_fmac_f32_e32 v57, v54, v80
	v_add_co_u32 v8, vcc_lo, v8, s26
	s_wait_alu 0xfffd
	v_add_co_ci_u32_e64 v9, null, s27, v9, vcc_lo
	;; [unrolled: 6-line block ×6, first 2 shown]
	v_add_co_u32 v18, vcc_lo, v18, s26
	s_wait_alu 0xfffd
	v_add_co_ci_u32_e64 v19, null, s27, v19, vcc_lo
	v_add_co_u32 v20, vcc_lo, v20, s26
	s_wait_loadcnt 0x1
	v_fmac_f32_e32 v56, v67, v72
	v_fmac_f32_e32 v57, v49, v72
	s_wait_alu 0xfffd
	v_add_co_ci_u32_e64 v21, null, s27, v21, vcc_lo
	v_add_co_u32 v22, vcc_lo, v22, s26
	s_wait_alu 0xfffd
	v_add_co_ci_u32_e64 v23, null, s27, v23, vcc_lo
	v_add_co_u32 v24, vcc_lo, v24, s20
	s_wait_loadcnt 0x0
	v_fmac_f32_e32 v56, v66, v70
	v_fmac_f32_e32 v57, v48, v70
	s_wait_alu 0xfffd
	v_add_co_ci_u32_e64 v25, null, s21, v25, vcc_lo
	s_add_co_i32 s44, s44, 1
	s_wait_alu 0xfffe
	s_cmp_lt_i32 s44, s1
	s_cbranch_scc0 .LBB8_13
; %bb.11:                               ;   in Loop: Header=BB8_8 Depth=2
	v_dual_mov_b32 v55, v58 :: v_dual_mov_b32 v54, v59
	v_dual_mov_b32 v53, v60 :: v_dual_mov_b32 v52, v61
	;; [unrolled: 1-line block ×4, first 2 shown]
	s_branch .LBB8_8
.LBB8_12:                               ;   in Loop: Header=BB8_4 Depth=1
	v_dual_mov_b32 v56, 0 :: v_dual_mov_b32 v57, 0
.LBB8_13:                               ;   in Loop: Header=BB8_4 Depth=1
	ds_store_2addr_stride64_b32 v26, v57, v56 offset1:1
	s_wait_dscnt 0x0
	s_barrier_signal -1
	s_barrier_wait -1
	global_inv scope:SCOPE_SE
	s_and_saveexec_b32 s1, s0
	s_cbranch_execz .LBB8_2
; %bb.14:                               ;   in Loop: Header=BB8_4 Depth=1
	ds_load_2addr_stride64_b32 v[6:7], v27 offset1:2
	ds_load_2addr_stride64_b32 v[8:9], v27 offset0:4 offset1:6
	ds_load_2addr_stride64_b32 v[10:11], v27 offset0:8 offset1:10
	s_mul_u64 s[44:45], s[30:31], s[2:3]
	s_wait_alu 0xfffe
	s_lshl_b64 s[44:45], s[44:45], 2
	s_wait_dscnt 0x2
	v_add_f32_e32 v6, 0, v6
	s_delay_alu instid0(VALU_DEP_1) | instskip(SKIP_3) | instid1(VALU_DEP_1)
	v_add_f32_e32 v12, v6, v7
	ds_load_2addr_stride64_b32 v[6:7], v27 offset0:12 offset1:14
	s_wait_dscnt 0x2
	v_add_f32_e32 v8, v12, v8
	v_add_f32_e32 v12, v8, v9
	ds_load_2addr_stride64_b32 v[8:9], v27 offset0:16 offset1:18
	s_wait_dscnt 0x2
	v_add_f32_e32 v10, v12, v10
	s_delay_alu instid0(VALU_DEP_1) | instskip(SKIP_3) | instid1(VALU_DEP_1)
	v_add_f32_e32 v12, v10, v11
	ds_load_2addr_stride64_b32 v[10:11], v27 offset0:20 offset1:22
	s_wait_dscnt 0x2
	v_add_f32_e32 v6, v12, v6
	v_add_f32_e32 v12, v6, v7
	ds_load_2addr_stride64_b32 v[6:7], v27 offset0:24 offset1:26
	s_wait_dscnt 0x2
	v_add_f32_e32 v8, v12, v8
	s_delay_alu instid0(VALU_DEP_1) | instskip(SKIP_3) | instid1(VALU_DEP_1)
	v_add_f32_e32 v12, v8, v9
	ds_load_2addr_stride64_b32 v[8:9], v27 offset0:28 offset1:30
	s_wait_dscnt 0x2
	v_add_f32_e32 v10, v12, v10
	v_add_f32_e32 v10, v10, v11
	s_wait_dscnt 0x1
	s_delay_alu instid0(VALU_DEP_1) | instskip(NEXT) | instid1(VALU_DEP_1)
	v_add_f32_e32 v6, v10, v6
	v_add_f32_e32 v6, v6, v7
	s_wait_dscnt 0x0
	s_delay_alu instid0(VALU_DEP_1) | instskip(NEXT) | instid1(VALU_DEP_1)
	v_add_f32_e32 v6, v6, v8
	v_add_f32_e32 v8, v6, v9
	s_wait_alu 0xfffe
	v_add_co_u32 v6, vcc_lo, v28, s44
	s_wait_alu 0xfffd
	v_add_co_ci_u32_e64 v7, null, s45, v29, vcc_lo
	v_mul_f32_e32 v8, v47, v8
	global_atomic_add_f32 v[6:7], v8, off scope:SCOPE_DEV
	s_branch .LBB8_2
.LBB8_15:
	s_nop 0
	s_sendmsg sendmsg(MSG_DEALLOC_VGPRS)
	s_endpgm
	.section	.rodata,"a",@progbits
	.p2align	6, 0x0
	.amdhsa_kernel _ZL36rocblas_gemvn_double_buffered_kernelILi128ELi8ELi8EfPKffEviiT3_lPKT2_lilS5_lilPT4_lili
		.amdhsa_group_segment_fixed_size 8192
		.amdhsa_private_segment_fixed_size 0
		.amdhsa_kernarg_size 384
		.amdhsa_user_sgpr_count 2
		.amdhsa_user_sgpr_dispatch_ptr 0
		.amdhsa_user_sgpr_queue_ptr 0
		.amdhsa_user_sgpr_kernarg_segment_ptr 1
		.amdhsa_user_sgpr_dispatch_id 0
		.amdhsa_user_sgpr_private_segment_size 0
		.amdhsa_wavefront_size32 1
		.amdhsa_uses_dynamic_stack 0
		.amdhsa_enable_private_segment 0
		.amdhsa_system_sgpr_workgroup_id_x 1
		.amdhsa_system_sgpr_workgroup_id_y 1
		.amdhsa_system_sgpr_workgroup_id_z 1
		.amdhsa_system_sgpr_workgroup_info 0
		.amdhsa_system_vgpr_workitem_id 1
		.amdhsa_next_free_vgpr 100
		.amdhsa_next_free_sgpr 50
		.amdhsa_reserve_vcc 1
		.amdhsa_float_round_mode_32 0
		.amdhsa_float_round_mode_16_64 0
		.amdhsa_float_denorm_mode_32 3
		.amdhsa_float_denorm_mode_16_64 3
		.amdhsa_fp16_overflow 0
		.amdhsa_workgroup_processor_mode 1
		.amdhsa_memory_ordered 1
		.amdhsa_forward_progress 1
		.amdhsa_inst_pref_size 26
		.amdhsa_round_robin_scheduling 0
		.amdhsa_exception_fp_ieee_invalid_op 0
		.amdhsa_exception_fp_denorm_src 0
		.amdhsa_exception_fp_ieee_div_zero 0
		.amdhsa_exception_fp_ieee_overflow 0
		.amdhsa_exception_fp_ieee_underflow 0
		.amdhsa_exception_fp_ieee_inexact 0
		.amdhsa_exception_int_div_zero 0
	.end_amdhsa_kernel
	.section	.text._ZL36rocblas_gemvn_double_buffered_kernelILi128ELi8ELi8EfPKffEviiT3_lPKT2_lilS5_lilPT4_lili,"axG",@progbits,_ZL36rocblas_gemvn_double_buffered_kernelILi128ELi8ELi8EfPKffEviiT3_lPKT2_lilS5_lilPT4_lili,comdat
.Lfunc_end8:
	.size	_ZL36rocblas_gemvn_double_buffered_kernelILi128ELi8ELi8EfPKffEviiT3_lPKT2_lilS5_lilPT4_lili, .Lfunc_end8-_ZL36rocblas_gemvn_double_buffered_kernelILi128ELi8ELi8EfPKffEviiT3_lPKT2_lilS5_lilPT4_lili
                                        ; -- End function
	.set _ZL36rocblas_gemvn_double_buffered_kernelILi128ELi8ELi8EfPKffEviiT3_lPKT2_lilS5_lilPT4_lili.num_vgpr, 100
	.set _ZL36rocblas_gemvn_double_buffered_kernelILi128ELi8ELi8EfPKffEviiT3_lPKT2_lilS5_lilPT4_lili.num_agpr, 0
	.set _ZL36rocblas_gemvn_double_buffered_kernelILi128ELi8ELi8EfPKffEviiT3_lPKT2_lilS5_lilPT4_lili.numbered_sgpr, 50
	.set _ZL36rocblas_gemvn_double_buffered_kernelILi128ELi8ELi8EfPKffEviiT3_lPKT2_lilS5_lilPT4_lili.num_named_barrier, 0
	.set _ZL36rocblas_gemvn_double_buffered_kernelILi128ELi8ELi8EfPKffEviiT3_lPKT2_lilS5_lilPT4_lili.private_seg_size, 0
	.set _ZL36rocblas_gemvn_double_buffered_kernelILi128ELi8ELi8EfPKffEviiT3_lPKT2_lilS5_lilPT4_lili.uses_vcc, 1
	.set _ZL36rocblas_gemvn_double_buffered_kernelILi128ELi8ELi8EfPKffEviiT3_lPKT2_lilS5_lilPT4_lili.uses_flat_scratch, 0
	.set _ZL36rocblas_gemvn_double_buffered_kernelILi128ELi8ELi8EfPKffEviiT3_lPKT2_lilS5_lilPT4_lili.has_dyn_sized_stack, 0
	.set _ZL36rocblas_gemvn_double_buffered_kernelILi128ELi8ELi8EfPKffEviiT3_lPKT2_lilS5_lilPT4_lili.has_recursion, 0
	.set _ZL36rocblas_gemvn_double_buffered_kernelILi128ELi8ELi8EfPKffEviiT3_lPKT2_lilS5_lilPT4_lili.has_indirect_call, 0
	.section	.AMDGPU.csdata,"",@progbits
; Kernel info:
; codeLenInByte = 3256
; TotalNumSgprs: 52
; NumVgprs: 100
; ScratchSize: 0
; MemoryBound: 0
; FloatMode: 240
; IeeeMode: 1
; LDSByteSize: 8192 bytes/workgroup (compile time only)
; SGPRBlocks: 0
; VGPRBlocks: 12
; NumSGPRsForWavesPerEU: 52
; NumVGPRsForWavesPerEU: 100
; Occupancy: 12
; WaveLimiterHint : 0
; COMPUTE_PGM_RSRC2:SCRATCH_EN: 0
; COMPUTE_PGM_RSRC2:USER_SGPR: 2
; COMPUTE_PGM_RSRC2:TRAP_HANDLER: 0
; COMPUTE_PGM_RSRC2:TGID_X_EN: 1
; COMPUTE_PGM_RSRC2:TGID_Y_EN: 1
; COMPUTE_PGM_RSRC2:TGID_Z_EN: 1
; COMPUTE_PGM_RSRC2:TIDIG_COMP_CNT: 1
	.section	.text._ZL36rocblas_gemvn_double_buffered_kernelILi128ELi8ELi8EfffEviiT3_lPKT2_lilS3_lilPT4_lili,"axG",@progbits,_ZL36rocblas_gemvn_double_buffered_kernelILi128ELi8ELi8EfffEviiT3_lPKT2_lilS3_lilPT4_lili,comdat
	.globl	_ZL36rocblas_gemvn_double_buffered_kernelILi128ELi8ELi8EfffEviiT3_lPKT2_lilS3_lilPT4_lili ; -- Begin function _ZL36rocblas_gemvn_double_buffered_kernelILi128ELi8ELi8EfffEviiT3_lPKT2_lilS3_lilPT4_lili
	.p2align	8
	.type	_ZL36rocblas_gemvn_double_buffered_kernelILi128ELi8ELi8EfffEviiT3_lPKT2_lilS3_lilPT4_lili,@function
_ZL36rocblas_gemvn_double_buffered_kernelILi128ELi8ELi8EfffEviiT3_lPKT2_lilS3_lilPT4_lili: ; @_ZL36rocblas_gemvn_double_buffered_kernelILi128ELi8ELi8EfffEviiT3_lPKT2_lilS3_lilPT4_lili
; %bb.0:
	s_load_b32 s33, s[0:1], 0x78
	s_lshr_b32 s2, ttmp7, 16
	s_wait_kmcnt 0x0
	s_cmp_ge_u32 s2, s33
	s_cbranch_scc1 .LBB9_15
; %bb.1:
	s_clause 0x6
	s_load_b32 s24, s[0:1], 0x28
	s_load_b96 s[16:18], s[0:1], 0x40
	s_load_b96 s[20:22], s[0:1], 0x60
	s_load_b128 s[12:15], s[0:1], 0x18
	s_load_b64 s[26:27], s[0:1], 0x4
	s_load_b128 s[4:7], s[0:1], 0x30
	s_load_b128 s[8:11], s[0:1], 0x50
	v_dual_mov_b32 v1, 0 :: v_dual_and_b32 v6, 0x3ff, v0
	v_bfe_u32 v4, v0, 10, 10
	s_load_b64 s[28:29], s[0:1], 0x70
	s_add_nc_u64 s[30:31], s[0:1], 0x80
	v_and_b32_e32 v0, 63, v0
	v_lshlrev_b32_e32 v25, 2, v6
	v_lshl_add_u32 v2, v4, 7, v6
	v_cmp_eq_u32_e64 s0, 0, v4
	s_mov_b32 s3, 0
	v_lshlrev_b32_e32 v24, 2, v0
	v_lshrrev_b32_e32 v5, 6, v2
	s_wait_kmcnt 0x0
	s_ashr_i32 s25, s24, 31
	s_ashr_i32 s35, s18, 31
	;; [unrolled: 1-line block ×3, first 2 shown]
	s_lshl_b64 s[20:21], s[20:21], 2
	s_lshl_b64 s[38:39], s[14:15], 2
	s_cmp_neq_f32 s27, 0
	v_lshlrev_b32_e32 v4, 3, v5
	v_lshl_or_b32 v26, v5, 9, v24
	v_lshlrev_b32_e32 v27, 5, v5
	s_cselect_b32 s1, -1, 0
	s_and_b32 s40, ttmp7, 0xffff
	v_mad_co_i64_i32 v[4:5], null, s24, v4, v[0:1]
	v_cvt_f64_i32_e32 v[2:3], s40
	v_mad_co_i64_i32 v[0:1], null, s22, v6, 0
	s_lshl_b32 s44, ttmp9, 7
	s_mov_b32 s36, s22
	s_ashr_i32 s45, s44, 31
	s_add_nc_u64 s[22:23], s[12:13], s[38:39]
	s_lshl_b64 s[48:49], s[44:45], 2
	s_mul_u64 s[36:37], s[36:37], s[44:45]
	v_lshlrev_b64_e32 v[0:1], 2, v[0:1]
	s_add_nc_u64 s[38:39], s[38:39], s[48:49]
	s_add_nc_u64 s[42:43], s[10:11], s[20:21]
	;; [unrolled: 1-line block ×3, first 2 shown]
	s_lshl_b64 s[38:39], s[36:37], 2
	s_ashr_i32 s14, s26, 31
	s_add_nc_u64 s[38:39], s[42:43], s[38:39]
	s_lshr_b32 s14, s14, 25
	v_add_co_u32 v28, vcc_lo, s38, v0
	s_delay_alu instid0(VALU_DEP_1) | instskip(SKIP_2) | instid1(VALU_DEP_1)
	v_add_co_ci_u32_e64 v29, null, s39, v1, vcc_lo
	s_add_co_i32 s14, s26, s14
	v_add_co_u32 v30, s26, 0x200, v27
	v_add_co_ci_u32_e64 v31, null, 0, 0, s26
	v_add_co_u32 v32, s26, 0x208, v27
	s_wait_alu 0xf1ff
	v_add_co_ci_u32_e64 v33, null, 0, 0, s26
	v_add_co_u32 v34, s26, 0x20c, v27
	s_wait_alu 0xf1ff
	;; [unrolled: 3-line block ×3, first 2 shown]
	v_add_co_ci_u32_e64 v37, null, 0, 0, s26
	v_max_num_f64_e32 v[0:1], v[2:3], v[2:3]
	v_add_co_u32 v38, s26, 0x214, v27
	s_wait_alu 0xf1ff
	v_add_co_ci_u32_e64 v39, null, 0, 0, s26
	v_add_co_u32 v40, s26, 0x218, v27
	s_wait_alu 0xf1ff
	v_add_co_ci_u32_e64 v41, null, 0, 0, s26
	;; [unrolled: 3-line block ×3, first 2 shown]
	v_add_co_u32 v44, s26, 0x204, v27
	s_lshl_b32 s46, s18, 7
	v_lshlrev_b64_e32 v[2:3], 2, v[4:5]
	s_wait_alu 0xf1ff
	v_add_co_ci_u32_e64 v45, null, 0, 0, s26
	s_mov_b32 s34, s18
	s_ashr_i32 s47, s46, 31
	s_lshl_b64 s[16:17], s[16:17], 2
	s_mov_b32 s15, s3
	s_lshl_b64 s[10:11], s[24:25], 9
	s_lshl_b64 s[18:19], s[24:25], 2
	;; [unrolled: 1-line block ×3, first 2 shown]
	s_ashr_i32 s14, s14, 7
	s_wait_alu 0xfffe
	s_add_nc_u64 s[22:23], s[22:23], s[48:49]
	s_add_nc_u64 s[36:37], s[12:13], 0x100
	;; [unrolled: 1-line block ×3, first 2 shown]
	s_lshl_b64 s[8:9], s[8:9], 2
	s_lshl_b64 s[16:17], s[46:47], 2
	;; [unrolled: 1-line block ×3, first 2 shown]
	s_branch .LBB9_4
.LBB9_2:                                ;   in Loop: Header=BB9_4 Depth=1
	s_wait_alu 0xfffe
	s_or_b32 exec_lo, exec_lo, s26
.LBB9_3:                                ;   in Loop: Header=BB9_4 Depth=1
	s_add_co_i32 s2, s2, 0x10000
	s_delay_alu instid0(SALU_CYCLE_1)
	s_cmp_lt_u32 s2, s33
	s_cbranch_scc0 .LBB9_15
.LBB9_4:                                ; =>This Loop Header: Depth=1
                                        ;     Child Loop BB9_8 Depth 2
	s_and_not1_b32 vcc_lo, exec_lo, s1
	s_wait_alu 0xfffe
	s_cbranch_vccnz .LBB9_3
; %bb.5:                                ;   in Loop: Header=BB9_4 Depth=1
	s_load_b32 s26, s[30:31], 0x4
	s_mov_b32 s43, s3
	s_wait_kmcnt 0x0
	s_cvt_f32_u32 s41, s26
	s_sub_co_i32 s42, 0, s26
	s_wait_alu 0xfffe
	s_delay_alu instid0(SALU_CYCLE_1) | instskip(NEXT) | instid1(TRANS32_DEP_1)
	v_rcp_iflag_f32_e32 v4, s41
	v_readfirstlane_b32 s41, v4
	s_mul_f32 s41, s41, 0x4f7ffffe
	s_wait_alu 0xfffe
	s_delay_alu instid0(SALU_CYCLE_2) | instskip(SKIP_1) | instid1(SALU_CYCLE_2)
	s_cvt_u32_f32 s41, s41
	s_wait_alu 0xfffe
	s_mul_i32 s42, s42, s41
	s_wait_alu 0xfffe
	s_mul_hi_u32 s42, s41, s42
	s_wait_alu 0xfffe
	s_add_co_i32 s42, s41, s42
	s_wait_alu 0xfffe
	s_mul_u64 s[42:43], s[14:15], s[42:43]
	s_wait_alu 0xfffe
	s_mul_i32 s41, s43, s26
	s_add_co_i32 s42, s43, 1
	s_wait_alu 0xfffe
	s_sub_co_i32 s41, s14, s41
	s_wait_alu 0xfffe
	s_sub_co_i32 s44, s41, s26
	s_cmp_ge_u32 s41, s26
	s_cselect_b32 s42, s42, s43
	s_wait_alu 0xfffe
	s_cselect_b32 s41, s44, s41
	s_add_co_i32 s43, s42, 1
	s_wait_alu 0xfffe
	s_cmp_ge_u32 s41, s26
	s_cselect_b32 s41, s43, s42
	s_wait_alu 0xfffe
	s_mul_i32 s26, s41, s26
	s_wait_alu 0xfffe
	s_sub_co_i32 s42, s14, s26
	s_wait_alu 0xfffe
	s_cmp_lt_u32 s40, s42
	s_cselect_b32 s26, -1, 0
	s_wait_alu 0xfffe
	s_cmp_lg_u32 s26, 0
	s_add_co_ci_u32 s26, s41, 0
	s_wait_alu 0xfffe
	s_cmp_eq_u32 s26, 0
	s_cbranch_scc1 .LBB9_3
; %bb.6:                                ;   in Loop: Header=BB9_4 Depth=1
	s_cmp_lt_i32 s26, 1
	s_cbranch_scc1 .LBB9_12
; %bb.7:                                ;   in Loop: Header=BB9_4 Depth=1
	v_cvt_f64_u32_e32 v[4:5], s42
	s_mul_i32 s41, s41, s40
	s_mul_u64 s[44:45], s[4:5], s[2:3]
	s_wait_alu 0xfffe
	v_cvt_f64_u32_e32 v[6:7], s41
	s_lshl_b64 s[44:45], s[44:45], 2
	s_wait_alu 0xfffe
	s_add_nc_u64 s[44:45], s[22:23], s[44:45]
	s_delay_alu instid0(VALU_DEP_2) | instskip(NEXT) | instid1(VALU_DEP_1)
	v_min_num_f64_e32 v[4:5], v[0:1], v[4:5]
	v_add_f64_e32 v[4:5], v[4:5], v[6:7]
	s_delay_alu instid0(VALU_DEP_1) | instskip(NEXT) | instid1(VALU_DEP_1)
	v_cvt_i32_f64_e32 v4, v[4:5]
	v_readfirstlane_b32 s41, v4
	s_lshl_b32 s42, s41, 7
	s_wait_alu 0xfffe
	s_ashr_i32 s43, s42, 31
	s_wait_alu 0xfffe
	s_mul_u64 s[46:47], s[42:43], s[24:25]
	s_lshl_b64 s[42:43], s[42:43], 2
	s_wait_alu 0xfffe
	s_lshl_b64 s[46:47], s[46:47], 2
	v_add_co_u32 v22, s41, v27, s42
	s_wait_alu 0xfffe
	s_add_nc_u64 s[44:45], s[44:45], s[46:47]
	v_add_co_ci_u32_e64 v23, null, 0, s43, s41
	s_wait_alu 0xfffe
	v_add_co_u32 v4, vcc_lo, s44, v2
	s_wait_alu 0xfffd
	v_add_co_ci_u32_e64 v5, null, s45, v3, vcc_lo
	s_mul_u64 s[44:45], s[20:21], s[2:3]
	v_add_co_u32 v6, vcc_lo, v4, s18
	s_wait_alu 0xfffd
	v_add_co_ci_u32_e64 v7, null, s19, v5, vcc_lo
	s_wait_alu 0xfffe
	s_add_nc_u64 s[46:47], s[36:37], s[44:45]
	v_add_co_u32 v8, vcc_lo, v6, s18
	s_wait_alu 0xfffd
	v_add_co_ci_u32_e64 v9, null, s19, v7, vcc_lo
	s_add_nc_u64 s[44:45], s[12:13], s[44:45]
	v_add_co_u32 v10, vcc_lo, v8, s18
	s_wait_alu 0xfffd
	v_add_co_ci_u32_e64 v11, null, s19, v9, vcc_lo
	v_mul_lo_u32 v68, s34, v23
	s_delay_alu instid0(VALU_DEP_3) | instskip(SKIP_1) | instid1(VALU_DEP_3)
	v_add_co_u32 v12, vcc_lo, v10, s18
	s_wait_alu 0xfffd
	v_add_co_ci_u32_e64 v13, null, s19, v11, vcc_lo
	v_mul_lo_u32 v69, s35, v22
	s_delay_alu instid0(VALU_DEP_3) | instskip(SKIP_1) | instid1(VALU_DEP_3)
	v_add_co_u32 v14, vcc_lo, v12, s18
	s_wait_alu 0xfffd
	v_add_co_ci_u32_e64 v15, null, s19, v13, vcc_lo
	s_add_co_i32 s41, s26, -1
	v_add_co_u32 v16, vcc_lo, v14, s18
	s_wait_alu 0xfffd
	v_add_co_ci_u32_e64 v17, null, s19, v15, vcc_lo
	s_delay_alu instid0(VALU_DEP_2) | instskip(SKIP_1) | instid1(VALU_DEP_2)
	v_add_co_u32 v18, vcc_lo, v16, s18
	s_wait_alu 0xfffd
	v_add_co_ci_u32_e64 v19, null, s19, v17, vcc_lo
	s_clause 0x5
	global_load_b32 v53, v[4:5], off
	global_load_b32 v52, v[6:7], off
	;; [unrolled: 1-line block ×8, first 2 shown]
	v_add_co_u32 v6, vcc_lo, v30, s42
	s_wait_alu 0xfffd
	v_add_co_ci_u32_e64 v7, null, s43, v31, vcc_lo
	v_mul_lo_u32 v8, s24, v23
	s_delay_alu instid0(VALU_DEP_3) | instskip(SKIP_1) | instid1(VALU_DEP_4)
	v_mul_lo_u32 v11, s25, v6
	v_mul_lo_u32 v9, s25, v22
	;; [unrolled: 1-line block ×3, first 2 shown]
	s_wait_alu 0xfffe
	v_mad_co_u64_u32 v[6:7], null, s24, v6, s[44:45]
	v_mad_co_u64_u32 v[4:5], null, s24, v22, s[46:47]
	v_add_co_u32 v12, vcc_lo, v32, s42
	s_wait_alu 0xfffd
	v_add_co_ci_u32_e64 v13, null, s43, v33, vcc_lo
	s_delay_alu instid0(VALU_DEP_4)
	v_add3_u32 v7, v11, v7, v10
	v_add_co_u32 v10, vcc_lo, v34, s42
	v_add3_u32 v5, v9, v5, v8
	v_mul_lo_u32 v55, s25, v12
	v_mad_co_u64_u32 v[8:9], null, s24, v12, s[44:45]
	s_wait_alu 0xfffd
	v_add_co_ci_u32_e64 v11, null, s43, v35, vcc_lo
	v_add_co_u32 v12, vcc_lo, v36, s42
	v_mul_lo_u32 v54, s24, v13
	s_wait_alu 0xfffd
	v_add_co_ci_u32_e64 v13, null, s43, v37, vcc_lo
	v_add_co_u32 v14, vcc_lo, v38, s42
	s_wait_alu 0xfffd
	v_add_co_ci_u32_e64 v15, null, s43, v39, vcc_lo
	v_add_co_u32 v16, vcc_lo, v40, s42
	;; [unrolled: 3-line block ×4, first 2 shown]
	s_wait_alu 0xfffd
	v_add_co_ci_u32_e64 v21, null, s43, v45, vcc_lo
	s_mul_u64 s[46:47], s[8:9], s[2:3]
	v_mul_lo_u32 v56, s24, v11
	s_wait_alu 0xfffe
	s_add_nc_u64 s[42:43], s[6:7], s[46:47]
	v_mul_lo_u32 v57, s25, v10
	v_mad_co_u64_u32 v[10:11], null, s24, v10, s[44:45]
	v_mul_lo_u32 v58, s24, v13
	v_mul_lo_u32 v59, s25, v12
	v_mad_co_u64_u32 v[12:13], null, s24, v12, s[44:45]
	v_mul_lo_u32 v60, s24, v15
	;; [unrolled: 3-line block ×5, first 2 shown]
	v_mul_lo_u32 v67, s25, v20
	v_mad_co_u64_u32 v[20:21], null, s24, v20, s[44:45]
	s_wait_alu 0xfffe
	v_mad_co_u64_u32 v[22:23], null, s34, v22, s[42:43]
	v_add3_u32 v9, v55, v9, v54
	v_add3_u32 v11, v57, v11, v56
	;; [unrolled: 1-line block ×8, first 2 shown]
	v_dual_mov_b32 v54, 0 :: v_dual_mov_b32 v55, 0
	s_mov_b32 s42, 0
	s_wait_loadcnt 0x6
	v_dual_mov_b32 v56, v53 :: v_dual_mov_b32 v57, v52
	s_wait_loadcnt 0x4
	v_dual_mov_b32 v58, v51 :: v_dual_mov_b32 v59, v50
	;; [unrolled: 2-line block ×4, first 2 shown]
.LBB9_8:                                ;   Parent Loop BB9_4 Depth=1
                                        ; =>  This Inner Loop Header: Depth=2
	v_add_co_u32 v64, vcc_lo, v4, v24
	s_wait_alu 0xfffd
	v_add_co_ci_u32_e64 v65, null, 0, v5, vcc_lo
	s_wait_alu 0xfffe
	s_cmp_eq_u32 s41, s42
	v_add_co_u32 v66, vcc_lo, v64, s18
	s_wait_alu 0xfffd
	v_add_co_ci_u32_e64 v67, null, s19, v65, vcc_lo
	s_delay_alu instid0(VALU_DEP_2) | instskip(SKIP_1) | instid1(VALU_DEP_2)
	v_add_co_u32 v68, vcc_lo, v66, s18
	s_wait_alu 0xfffd
	v_add_co_ci_u32_e64 v69, null, s19, v67, vcc_lo
	v_add_co_u32 v70, vcc_lo, v22, s38
	s_wait_alu 0xfffd
	v_add_co_ci_u32_e64 v71, null, s39, v23, vcc_lo
	;; [unrolled: 3-line block ×12, first 2 shown]
	s_clause 0x7
	global_load_b32 v76, v[64:65], off
	global_load_b32 v75, v[66:67], off
	;; [unrolled: 1-line block ×8, first 2 shown]
	v_add_co_u32 v82, vcc_lo, v96, s38
	s_wait_alu 0xfffd
	v_add_co_ci_u32_e64 v83, null, s39, v97, vcc_lo
	s_clause 0x7
	global_load_b32 v79, v[22:23], off
	global_load_b32 v78, v[70:71], off
	;; [unrolled: 1-line block ×8, first 2 shown]
	s_cbranch_scc1 .LBB9_10
; %bb.9:                                ;   in Loop: Header=BB9_8 Depth=2
	v_add_co_u32 v56, vcc_lo, v6, v24
	s_wait_alu 0xfffd
	v_add_co_ci_u32_e64 v57, null, 0, v7, vcc_lo
	v_add_co_u32 v58, vcc_lo, v20, v24
	s_wait_alu 0xfffd
	v_add_co_ci_u32_e64 v59, null, 0, v21, vcc_lo
	;; [unrolled: 3-line block ×3, first 2 shown]
	global_load_b32 v56, v[56:57], off
	global_load_b32 v57, v[58:59], off
	;; [unrolled: 1-line block ×3, first 2 shown]
	v_add_co_u32 v59, vcc_lo, v10, v24
	s_wait_alu 0xfffd
	v_add_co_ci_u32_e64 v60, null, 0, v11, vcc_lo
	v_add_co_u32 v61, vcc_lo, v12, v24
	s_wait_alu 0xfffd
	v_add_co_ci_u32_e64 v62, null, 0, v13, vcc_lo
	;; [unrolled: 3-line block ×5, first 2 shown]
	global_load_b32 v59, v[59:60], off
	global_load_b32 v60, v[61:62], off
	;; [unrolled: 1-line block ×5, first 2 shown]
.LBB9_10:                               ;   in Loop: Header=BB9_8 Depth=2
	s_wait_loadcnt 0x7
	v_fmac_f32_e32 v54, v76, v79
	v_fmac_f32_e32 v55, v53, v79
	v_add_co_u32 v4, vcc_lo, v4, s10
	s_wait_alu 0xfffd
	v_add_co_ci_u32_e64 v5, null, s11, v5, vcc_lo
	s_wait_loadcnt 0x6
	v_fmac_f32_e32 v54, v75, v78
	v_fmac_f32_e32 v55, v52, v78
	v_add_co_u32 v6, vcc_lo, v6, s10
	s_wait_alu 0xfffd
	v_add_co_ci_u32_e64 v7, null, s11, v7, vcc_lo
	;; [unrolled: 6-line block ×6, first 2 shown]
	v_add_co_u32 v16, vcc_lo, v16, s10
	s_wait_alu 0xfffd
	v_add_co_ci_u32_e64 v17, null, s11, v17, vcc_lo
	v_add_co_u32 v18, vcc_lo, v18, s10
	s_wait_loadcnt 0x1
	v_fmac_f32_e32 v54, v65, v70
	v_fmac_f32_e32 v55, v47, v70
	s_wait_alu 0xfffd
	v_add_co_ci_u32_e64 v19, null, s11, v19, vcc_lo
	v_add_co_u32 v20, vcc_lo, v20, s10
	s_wait_alu 0xfffd
	v_add_co_ci_u32_e64 v21, null, s11, v21, vcc_lo
	v_add_co_u32 v22, vcc_lo, v22, s16
	s_wait_loadcnt 0x0
	v_fmac_f32_e32 v54, v64, v68
	v_fmac_f32_e32 v55, v46, v68
	s_wait_alu 0xfffd
	v_add_co_ci_u32_e64 v23, null, s17, v23, vcc_lo
	s_add_co_i32 s42, s42, 1
	s_wait_alu 0xfffe
	s_cmp_lt_i32 s42, s26
	s_cbranch_scc0 .LBB9_13
; %bb.11:                               ;   in Loop: Header=BB9_8 Depth=2
	v_dual_mov_b32 v53, v56 :: v_dual_mov_b32 v52, v57
	v_dual_mov_b32 v51, v58 :: v_dual_mov_b32 v50, v59
	;; [unrolled: 1-line block ×4, first 2 shown]
	s_branch .LBB9_8
.LBB9_12:                               ;   in Loop: Header=BB9_4 Depth=1
	v_dual_mov_b32 v54, 0 :: v_dual_mov_b32 v55, 0
.LBB9_13:                               ;   in Loop: Header=BB9_4 Depth=1
	ds_store_2addr_stride64_b32 v26, v55, v54 offset1:1
	s_wait_dscnt 0x0
	s_barrier_signal -1
	s_barrier_wait -1
	global_inv scope:SCOPE_SE
	s_and_saveexec_b32 s26, s0
	s_cbranch_execz .LBB9_2
; %bb.14:                               ;   in Loop: Header=BB9_4 Depth=1
	ds_load_2addr_stride64_b32 v[4:5], v25 offset1:2
	ds_load_2addr_stride64_b32 v[6:7], v25 offset0:4 offset1:6
	ds_load_2addr_stride64_b32 v[8:9], v25 offset0:8 offset1:10
	s_mul_u64 s[42:43], s[28:29], s[2:3]
	s_wait_alu 0xfffe
	s_lshl_b64 s[42:43], s[42:43], 2
	s_wait_dscnt 0x2
	v_add_f32_e32 v4, 0, v4
	s_delay_alu instid0(VALU_DEP_1) | instskip(SKIP_3) | instid1(VALU_DEP_1)
	v_add_f32_e32 v10, v4, v5
	ds_load_2addr_stride64_b32 v[4:5], v25 offset0:12 offset1:14
	s_wait_dscnt 0x2
	v_add_f32_e32 v6, v10, v6
	v_add_f32_e32 v10, v6, v7
	ds_load_2addr_stride64_b32 v[6:7], v25 offset0:16 offset1:18
	s_wait_dscnt 0x2
	v_add_f32_e32 v8, v10, v8
	s_delay_alu instid0(VALU_DEP_1) | instskip(SKIP_3) | instid1(VALU_DEP_1)
	v_add_f32_e32 v10, v8, v9
	ds_load_2addr_stride64_b32 v[8:9], v25 offset0:20 offset1:22
	s_wait_dscnt 0x2
	v_add_f32_e32 v4, v10, v4
	v_add_f32_e32 v10, v4, v5
	ds_load_2addr_stride64_b32 v[4:5], v25 offset0:24 offset1:26
	s_wait_dscnt 0x2
	v_add_f32_e32 v6, v10, v6
	s_delay_alu instid0(VALU_DEP_1) | instskip(SKIP_3) | instid1(VALU_DEP_1)
	v_add_f32_e32 v10, v6, v7
	ds_load_2addr_stride64_b32 v[6:7], v25 offset0:28 offset1:30
	s_wait_dscnt 0x2
	v_add_f32_e32 v8, v10, v8
	v_add_f32_e32 v8, v8, v9
	s_wait_dscnt 0x1
	s_delay_alu instid0(VALU_DEP_1) | instskip(NEXT) | instid1(VALU_DEP_1)
	v_add_f32_e32 v4, v8, v4
	v_add_f32_e32 v4, v4, v5
	s_wait_dscnt 0x0
	s_delay_alu instid0(VALU_DEP_1) | instskip(NEXT) | instid1(VALU_DEP_1)
	v_add_f32_e32 v4, v4, v6
	v_add_f32_e32 v6, v4, v7
	s_wait_alu 0xfffe
	v_add_co_u32 v4, vcc_lo, v28, s42
	s_wait_alu 0xfffd
	v_add_co_ci_u32_e64 v5, null, s43, v29, vcc_lo
	v_mul_f32_e32 v6, s27, v6
	global_atomic_add_f32 v[4:5], v6, off scope:SCOPE_DEV
	s_branch .LBB9_2
.LBB9_15:
	s_nop 0
	s_sendmsg sendmsg(MSG_DEALLOC_VGPRS)
	s_endpgm
	.section	.rodata,"a",@progbits
	.p2align	6, 0x0
	.amdhsa_kernel _ZL36rocblas_gemvn_double_buffered_kernelILi128ELi8ELi8EfffEviiT3_lPKT2_lilS3_lilPT4_lili
		.amdhsa_group_segment_fixed_size 8192
		.amdhsa_private_segment_fixed_size 0
		.amdhsa_kernarg_size 384
		.amdhsa_user_sgpr_count 2
		.amdhsa_user_sgpr_dispatch_ptr 0
		.amdhsa_user_sgpr_queue_ptr 0
		.amdhsa_user_sgpr_kernarg_segment_ptr 1
		.amdhsa_user_sgpr_dispatch_id 0
		.amdhsa_user_sgpr_private_segment_size 0
		.amdhsa_wavefront_size32 1
		.amdhsa_uses_dynamic_stack 0
		.amdhsa_enable_private_segment 0
		.amdhsa_system_sgpr_workgroup_id_x 1
		.amdhsa_system_sgpr_workgroup_id_y 1
		.amdhsa_system_sgpr_workgroup_id_z 1
		.amdhsa_system_sgpr_workgroup_info 0
		.amdhsa_system_vgpr_workitem_id 1
		.amdhsa_next_free_vgpr 98
		.amdhsa_next_free_sgpr 50
		.amdhsa_reserve_vcc 1
		.amdhsa_float_round_mode_32 0
		.amdhsa_float_round_mode_16_64 0
		.amdhsa_float_denorm_mode_32 3
		.amdhsa_float_denorm_mode_16_64 3
		.amdhsa_fp16_overflow 0
		.amdhsa_workgroup_processor_mode 1
		.amdhsa_memory_ordered 1
		.amdhsa_forward_progress 1
		.amdhsa_inst_pref_size 26
		.amdhsa_round_robin_scheduling 0
		.amdhsa_exception_fp_ieee_invalid_op 0
		.amdhsa_exception_fp_denorm_src 0
		.amdhsa_exception_fp_ieee_div_zero 0
		.amdhsa_exception_fp_ieee_overflow 0
		.amdhsa_exception_fp_ieee_underflow 0
		.amdhsa_exception_fp_ieee_inexact 0
		.amdhsa_exception_int_div_zero 0
	.end_amdhsa_kernel
	.section	.text._ZL36rocblas_gemvn_double_buffered_kernelILi128ELi8ELi8EfffEviiT3_lPKT2_lilS3_lilPT4_lili,"axG",@progbits,_ZL36rocblas_gemvn_double_buffered_kernelILi128ELi8ELi8EfffEviiT3_lPKT2_lilS3_lilPT4_lili,comdat
.Lfunc_end9:
	.size	_ZL36rocblas_gemvn_double_buffered_kernelILi128ELi8ELi8EfffEviiT3_lPKT2_lilS3_lilPT4_lili, .Lfunc_end9-_ZL36rocblas_gemvn_double_buffered_kernelILi128ELi8ELi8EfffEviiT3_lPKT2_lilS3_lilPT4_lili
                                        ; -- End function
	.set _ZL36rocblas_gemvn_double_buffered_kernelILi128ELi8ELi8EfffEviiT3_lPKT2_lilS3_lilPT4_lili.num_vgpr, 98
	.set _ZL36rocblas_gemvn_double_buffered_kernelILi128ELi8ELi8EfffEviiT3_lPKT2_lilS3_lilPT4_lili.num_agpr, 0
	.set _ZL36rocblas_gemvn_double_buffered_kernelILi128ELi8ELi8EfffEviiT3_lPKT2_lilS3_lilPT4_lili.numbered_sgpr, 50
	.set _ZL36rocblas_gemvn_double_buffered_kernelILi128ELi8ELi8EfffEviiT3_lPKT2_lilS3_lilPT4_lili.num_named_barrier, 0
	.set _ZL36rocblas_gemvn_double_buffered_kernelILi128ELi8ELi8EfffEviiT3_lPKT2_lilS3_lilPT4_lili.private_seg_size, 0
	.set _ZL36rocblas_gemvn_double_buffered_kernelILi128ELi8ELi8EfffEviiT3_lPKT2_lilS3_lilPT4_lili.uses_vcc, 1
	.set _ZL36rocblas_gemvn_double_buffered_kernelILi128ELi8ELi8EfffEviiT3_lPKT2_lilS3_lilPT4_lili.uses_flat_scratch, 0
	.set _ZL36rocblas_gemvn_double_buffered_kernelILi128ELi8ELi8EfffEviiT3_lPKT2_lilS3_lilPT4_lili.has_dyn_sized_stack, 0
	.set _ZL36rocblas_gemvn_double_buffered_kernelILi128ELi8ELi8EfffEviiT3_lPKT2_lilS3_lilPT4_lili.has_recursion, 0
	.set _ZL36rocblas_gemvn_double_buffered_kernelILi128ELi8ELi8EfffEviiT3_lPKT2_lilS3_lilPT4_lili.has_indirect_call, 0
	.section	.AMDGPU.csdata,"",@progbits
; Kernel info:
; codeLenInByte = 3224
; TotalNumSgprs: 52
; NumVgprs: 98
; ScratchSize: 0
; MemoryBound: 0
; FloatMode: 240
; IeeeMode: 1
; LDSByteSize: 8192 bytes/workgroup (compile time only)
; SGPRBlocks: 0
; VGPRBlocks: 12
; NumSGPRsForWavesPerEU: 52
; NumVGPRsForWavesPerEU: 98
; Occupancy: 12
; WaveLimiterHint : 0
; COMPUTE_PGM_RSRC2:SCRATCH_EN: 0
; COMPUTE_PGM_RSRC2:USER_SGPR: 2
; COMPUTE_PGM_RSRC2:TRAP_HANDLER: 0
; COMPUTE_PGM_RSRC2:TGID_X_EN: 1
; COMPUTE_PGM_RSRC2:TGID_Y_EN: 1
; COMPUTE_PGM_RSRC2:TGID_Z_EN: 1
; COMPUTE_PGM_RSRC2:TIDIG_COMP_CNT: 1
	.section	.text._ZL20rocblas_gemvn_kernelILi32ELi16EifPKffEviiT3_lPKT2_lT1_lS5_lS6_lS2_lPT4_lS6_li,"axG",@progbits,_ZL20rocblas_gemvn_kernelILi32ELi16EifPKffEviiT3_lPKT2_lT1_lS5_lS6_lS2_lPT4_lS6_li,comdat
	.globl	_ZL20rocblas_gemvn_kernelILi32ELi16EifPKffEviiT3_lPKT2_lT1_lS5_lS6_lS2_lPT4_lS6_li ; -- Begin function _ZL20rocblas_gemvn_kernelILi32ELi16EifPKffEviiT3_lPKT2_lT1_lS5_lS6_lS2_lPT4_lS6_li
	.p2align	8
	.type	_ZL20rocblas_gemvn_kernelILi32ELi16EifPKffEviiT3_lPKT2_lT1_lS5_lS6_lS2_lPT4_lS6_li,@function
_ZL20rocblas_gemvn_kernelILi32ELi16EifPKffEviiT3_lPKT2_lT1_lS5_lS6_lS2_lPT4_lS6_li: ; @_ZL20rocblas_gemvn_kernelILi32ELi16EifPKffEviiT3_lPKT2_lT1_lS5_lS6_lS2_lPT4_lS6_li
; %bb.0:
	s_load_b64 s[2:3], s[0:1], 0x9c
	s_wait_kmcnt 0x0
	s_lshr_b32 s4, s2, 16
	s_and_b32 s2, s2, 0xffff
	s_and_b32 s3, s3, 0xffff
	s_mul_i32 s2, s4, s2
	s_delay_alu instid0(SALU_CYCLE_1) | instskip(NEXT) | instid1(SALU_CYCLE_1)
	s_mul_i32 s2, s2, s3
	s_cmp_lg_u32 s2, 0x200
	s_cbranch_scc1 .LBB10_53
; %bb.1:
	s_load_b32 s31, s[0:1], 0x88
	s_lshr_b32 s34, ttmp7, 16
	s_wait_kmcnt 0x0
	s_cmp_ge_u32 s34, s31
	s_cbranch_scc1 .LBB10_53
; %bb.2:
	s_clause 0x3
	s_load_b96 s[4:6], s[0:1], 0x70
	s_load_b256 s[8:15], s[0:1], 0x8
	s_load_b96 s[28:30], s[0:1], 0x40
	s_load_b64 s[36:37], s[0:1], 0x0
	v_and_b32_e32 v9, 0x3ff, v0
	v_bfe_u32 v8, v0, 10, 10
	s_clause 0x2
	s_load_b32 s33, s[0:1], 0x28
	s_load_b128 s[24:27], s[0:1], 0x30
	s_load_b256 s[16:23], s[0:1], 0x50
	s_lshl_b32 s42, ttmp9, 7
	v_mov_b32_e32 v1, 0
	v_add_nc_u32_e32 v21, s42, v9
	v_lshl_add_u32 v5, v8, 5, v9
	v_lshlrev_b32_e32 v22, 2, v8
	s_load_b64 s[38:39], s[0:1], 0x80
	s_mov_b32 s35, 0
	v_add_nc_u32_e32 v7, 64, v21
	v_add_nc_u32_e32 v0, s42, v5
	v_or_b32_e32 v11, s42, v5
	v_add_nc_u32_e32 v6, 32, v21
	v_add_nc_u32_e32 v10, 0x60, v21
	v_or_b32_e32 v12, 3, v22
	s_wait_kmcnt 0x0
	v_mad_co_u64_u32 v[2:3], null, s6, v0, 0
	s_ashr_i32 s1, s6, 31
	s_lshl_b64 s[2:3], s[14:15], 2
	s_ashr_i32 s7, s37, 31
	s_add_nc_u64 s[12:13], s[12:13], s[2:3]
	s_wait_alu 0xfffe
	s_lshr_b32 s2, s7, 26
	v_cmp_gt_i32_e64 s3, s36, v7
	v_mad_co_u64_u32 v[3:4], null, s1, v0, v[3:4]
	v_mul_lo_u32 v4, s6, v11
	v_mul_lo_u32 v7, s33, v22
	s_lshl_b64 s[4:5], s[4:5], 2
	s_add_co_i32 s43, s37, s2
	v_cmp_gt_i32_e64 s6, s36, v11
	v_mul_lo_u32 v11, v8, s33
	s_add_nc_u64 s[22:23], s[22:23], s[4:5]
	s_wait_alu 0xfffe
	s_and_not1_b32 s43, s43, 63
	v_cmp_gt_i32_e64 s2, s36, v6
	v_cmp_gt_i32_e64 s4, s36, v10
	v_lshlrev_b32_e32 v6, 2, v9
	v_or_b32_e32 v10, 2, v22
	s_wait_alu 0xfffe
	s_sub_co_i32 s5, s37, s43
	v_mul_lo_u32 v13, v8, s30
	s_lshl_b64 s[14:15], s[28:29], 2
	s_ashr_i32 s29, s36, 31
	s_mov_b32 s28, s36
	s_cmp_gt_i32 s5, 0
	v_cmp_gt_u32_e64 s5, 0x80, v5
	v_ashrrev_i32_e32 v5, 31, v4
	s_add_nc_u64 s[14:15], s[26:27], s[14:15]
	v_cmp_gt_i64_e32 vcc_lo, s[28:29], v[0:1]
	v_lshl_add_u32 v0, v8, 9, v6
	v_lshl_add_u32 v23, v8, 7, v6
	v_add3_u32 v24, v7, s33, v9
	v_mad_co_u64_u32 v[6:7], null, s33, v10, v[9:10]
	s_mov_b32 s26, s30
	v_mad_co_u64_u32 v[7:8], null, s33, v12, v[9:10]
	v_lshl_add_u32 v25, v11, 2, v9
	v_mad_co_u64_u32 v[8:9], null, s30, v22, s[26:27]
	v_mul_lo_u32 v26, s30, v10
	v_mul_lo_u32 v27, s30, v12
	v_lshlrev_b64_e32 v[9:10], 2, v[2:3]
	v_lshlrev_b64_e32 v[11:12], 2, v[4:5]
	v_cmp_gt_i32_e64 s0, s36, v21
	v_cmp_gt_i32_e64 s1, s43, v22
	v_lshlrev_b32_e32 v28, 2, v13
	s_cselect_b32 s36, -1, 0
	s_and_b32 s44, s5, vcc_lo
	s_lshl_b32 s45, s33, 6
	s_lshl_b32 s46, s30, 6
	s_branch .LBB10_5
.LBB10_3:                               ;   in Loop: Header=BB10_5 Depth=1
	s_wait_alu 0xfffe
	s_or_b32 exec_lo, exec_lo, s7
.LBB10_4:                               ;   in Loop: Header=BB10_5 Depth=1
	s_add_co_i32 s34, s34, 0x10000
	s_delay_alu instid0(SALU_CYCLE_1)
	s_cmp_lt_u32 s34, s31
	s_cbranch_scc0 .LBB10_53
.LBB10_5:                               ; =>This Loop Header: Depth=1
                                        ;     Child Loop BB10_21 Depth 2
	s_mul_u64 s[26:27], s[10:11], s[34:35]
	s_mul_u64 s[28:29], s[20:21], s[34:35]
	s_wait_alu 0xfffe
	s_lshl_b64 s[26:27], s[26:27], 2
	s_lshl_b64 s[28:29], s[28:29], 2
	s_wait_alu 0xfffe
	s_add_nc_u64 s[26:27], s[8:9], s[26:27]
	s_add_nc_u64 s[28:29], s[18:19], s[28:29]
	s_clause 0x1
	global_load_b32 v29, v1, s[26:27]
	global_load_b32 v13, v1, s[28:29]
	s_wait_loadcnt 0x1
	v_cmp_eq_f32_e32 vcc_lo, 0, v29
	s_wait_loadcnt 0x0
	v_cmp_eq_f32_e64 s7, 1.0, v13
	v_readfirstlane_b32 s47, v13
	s_and_b32 s7, vcc_lo, s7
	s_wait_alu 0xfffe
	s_and_b32 vcc_lo, exec_lo, s7
	s_wait_alu 0xfffe
	s_cbranch_vccnz .LBB10_4
; %bb.6:                                ;   in Loop: Header=BB10_5 Depth=1
	v_cmp_neq_f32_e32 vcc_lo, 0, v29
	s_mul_u64 s[26:27], s[38:39], s[34:35]
	s_wait_alu 0xfffe
	s_lshl_b64 s[26:27], s[26:27], 2
	s_wait_alu 0xfffe
	s_add_nc_u64 s[26:27], s[22:23], s[26:27]
	s_cbranch_vccnz .LBB10_10
; %bb.7:                                ;   in Loop: Header=BB10_5 Depth=1
	s_mov_b32 s7, 0
	s_mov_b32 s48, 0
                                        ; implicit-def: $vgpr15
	s_and_saveexec_b32 s28, s44
	s_cbranch_execz .LBB10_11
; %bb.8:                                ;   in Loop: Header=BB10_5 Depth=1
	s_cmp_eq_f32 s47, 0
	s_cbranch_scc1 .LBB10_13
; %bb.9:                                ;   in Loop: Header=BB10_5 Depth=1
	s_wait_alu 0xfffe
	v_add_co_u32 v13, vcc_lo, s26, v9
	s_wait_alu 0xfffd
	v_add_co_ci_u32_e64 v14, null, s27, v10, vcc_lo
	global_load_b32 v13, v[13:14], off
	s_wait_loadcnt 0x0
	v_mul_f32_e32 v15, s47, v13
	s_branch .LBB10_14
.LBB10_10:                              ;   in Loop: Header=BB10_5 Depth=1
	s_mov_b32 s48, 0
                                        ; implicit-def: $vgpr15
	s_cbranch_execz .LBB10_12
	s_branch .LBB10_15
.LBB10_11:                              ;   in Loop: Header=BB10_5 Depth=1
	s_wait_alu 0xfffe
	s_or_b32 exec_lo, exec_lo, s28
	s_delay_alu instid0(SALU_CYCLE_1)
	s_and_b32 vcc_lo, exec_lo, s7
	s_wait_alu 0xfffe
	s_cbranch_vccnz .LBB10_15
.LBB10_12:                              ;   in Loop: Header=BB10_5 Depth=1
	v_dual_mov_b32 v14, v3 :: v_dual_mov_b32 v13, v2
	s_and_saveexec_b32 s7, s48
	s_cbranch_execz .LBB10_3
	s_branch .LBB10_52
.LBB10_13:                              ;   in Loop: Header=BB10_5 Depth=1
	v_mov_b32_e32 v15, 0
.LBB10_14:                              ;   in Loop: Header=BB10_5 Depth=1
	s_mov_b32 s48, exec_lo
	s_wait_alu 0xfffe
	s_or_b32 exec_lo, exec_lo, s28
	s_delay_alu instid0(SALU_CYCLE_1)
	s_and_b32 vcc_lo, exec_lo, s7
	s_wait_alu 0xfffe
	s_cbranch_vccz .LBB10_12
.LBB10_15:                              ;   in Loop: Header=BB10_5 Depth=1
	s_mul_u64 s[28:29], s[24:25], s[34:35]
	s_mul_u64 s[40:41], s[16:17], s[34:35]
	v_dual_mov_b32 v30, 0 :: v_dual_mov_b32 v31, 0
	v_dual_mov_b32 v34, v22 :: v_dual_mov_b32 v33, 0
	v_mov_b32_e32 v32, 0
	s_wait_alu 0xfffe
	s_lshl_b64 s[28:29], s[28:29], 2
	s_lshl_b64 s[40:41], s[40:41], 2
	s_wait_alu 0xfffe
	s_add_nc_u64 s[28:29], s[12:13], s[28:29]
	s_add_nc_u64 s[40:41], s[14:15], s[40:41]
	s_and_saveexec_b32 s7, s1
	s_cbranch_execz .LBB10_27
; %bb.16:                               ;   in Loop: Header=BB10_5 Depth=1
	v_dual_mov_b32 v30, 0 :: v_dual_mov_b32 v35, v25
	v_dual_mov_b32 v36, v7 :: v_dual_mov_b32 v37, v6
	;; [unrolled: 1-line block ×4, first 2 shown]
	v_mov_b32_e32 v32, 0
	s_mov_b32 s49, 0
	s_mov_b32 s50, 0
	s_branch .LBB10_21
.LBB10_17:                              ;   in Loop: Header=BB10_21 Depth=2
	s_or_b32 exec_lo, exec_lo, s54
	s_wait_loadcnt 0x3
	v_fmac_f32_e32 v32, v42, v54
	s_wait_loadcnt 0x2
	s_delay_alu instid0(VALU_DEP_1) | instskip(SKIP_1) | instid1(VALU_DEP_1)
	v_fmac_f32_e32 v32, v41, v53
	s_wait_loadcnt 0x1
	v_fmac_f32_e32 v32, v40, v52
	s_wait_loadcnt 0x0
	s_delay_alu instid0(VALU_DEP_1)
	v_fmac_f32_e32 v32, v39, v51
.LBB10_18:                              ;   in Loop: Header=BB10_21 Depth=2
	s_or_b32 exec_lo, exec_lo, s53
	s_wait_loadcnt 0x3
	v_fmac_f32_e32 v31, v42, v50
	s_wait_loadcnt 0x2
	s_delay_alu instid0(VALU_DEP_1) | instskip(SKIP_1) | instid1(VALU_DEP_1)
	v_fmac_f32_e32 v31, v41, v49
	s_wait_loadcnt 0x1
	v_fmac_f32_e32 v31, v40, v48
	s_wait_loadcnt 0x0
	s_delay_alu instid0(VALU_DEP_1)
	v_fmac_f32_e32 v31, v39, v47
.LBB10_19:                              ;   in Loop: Header=BB10_21 Depth=2
	s_or_b32 exec_lo, exec_lo, s52
	s_wait_loadcnt 0x3
	v_fmac_f32_e32 v30, v42, v46
	s_wait_loadcnt 0x2
	s_delay_alu instid0(VALU_DEP_1) | instskip(SKIP_1) | instid1(VALU_DEP_1)
	v_fmac_f32_e32 v30, v41, v44
	s_wait_loadcnt 0x1
	v_fmac_f32_e32 v30, v40, v43
	s_wait_loadcnt 0x0
	s_delay_alu instid0(VALU_DEP_1)
	v_fmac_f32_e32 v30, v39, v45
.LBB10_20:                              ;   in Loop: Header=BB10_21 Depth=2
	s_wait_alu 0xfffe
	s_or_b32 exec_lo, exec_lo, s51
	v_add_nc_u32_e32 v34, 64, v34
	v_add_nc_u32_e32 v38, s45, v38
	;; [unrolled: 1-line block ×5, first 2 shown]
	v_cmp_le_i32_e32 vcc_lo, s43, v34
	s_add_co_i32 s50, s50, s46
	s_or_b32 s49, vcc_lo, s49
	s_delay_alu instid0(SALU_CYCLE_1)
	s_and_not1_b32 exec_lo, exec_lo, s49
	s_cbranch_execz .LBB10_26
.LBB10_21:                              ;   Parent Loop BB10_5 Depth=1
                                        ; =>  This Inner Loop Header: Depth=2
	s_and_saveexec_b32 s51, s0
	s_cbranch_execz .LBB10_20
; %bb.22:                               ;   in Loop: Header=BB10_21 Depth=2
	s_wait_alu 0xfffe
	v_add_nc_u32_e32 v13, s50, v28
	v_add_nc_u32_e32 v15, s50, v8
	;; [unrolled: 1-line block ×5, first 2 shown]
	v_ashrrev_i32_e32 v14, 31, v13
	v_ashrrev_i32_e32 v16, 31, v15
	;; [unrolled: 1-line block ×5, first 2 shown]
	v_lshlrev_b64_e32 v[13:14], 2, v[13:14]
	v_lshlrev_b64_e32 v[15:16], 2, v[15:16]
	;; [unrolled: 1-line block ×3, first 2 shown]
	s_delay_alu instid0(VALU_DEP_3) | instskip(SKIP_1) | instid1(VALU_DEP_4)
	v_add_co_u32 v41, vcc_lo, s40, v13
	s_wait_alu 0xfffd
	v_add_co_ci_u32_e64 v42, null, s41, v14, vcc_lo
	s_delay_alu instid0(VALU_DEP_4)
	v_add_co_u32 v43, vcc_lo, s40, v15
	v_add_nc_u32_e32 v15, s42, v38
	s_wait_alu 0xfffd
	v_add_co_ci_u32_e64 v44, null, s41, v16, vcc_lo
	v_lshlrev_b64_e32 v[13:14], 2, v[19:20]
	v_add_co_u32 v45, vcc_lo, s40, v17
	v_add_nc_u32_e32 v19, s42, v37
	s_wait_alu 0xfffd
	v_add_co_ci_u32_e64 v46, null, s41, v18, vcc_lo
	v_lshlrev_b64_e32 v[17:18], 2, v[39:40]
	v_add_nc_u32_e32 v39, s42, v36
	v_ashrrev_i32_e32 v16, 31, v15
	v_ashrrev_i32_e32 v20, 31, v19
	v_add_co_u32 v47, vcc_lo, s40, v13
	s_delay_alu instid0(VALU_DEP_4)
	v_ashrrev_i32_e32 v40, 31, v39
	s_wait_alu 0xfffd
	v_add_co_ci_u32_e64 v48, null, s41, v14, vcc_lo
	v_lshlrev_b64_e32 v[15:16], 2, v[15:16]
	v_add_co_u32 v13, vcc_lo, s28, v17
	s_wait_alu 0xfffd
	v_add_co_ci_u32_e64 v14, null, s29, v18, vcc_lo
	v_lshlrev_b64_e32 v[17:18], 2, v[19:20]
	v_lshlrev_b64_e32 v[39:40], 2, v[39:40]
	v_add_co_u32 v15, vcc_lo, s28, v15
	s_wait_alu 0xfffd
	v_add_co_ci_u32_e64 v16, null, s29, v16, vcc_lo
	s_delay_alu instid0(VALU_DEP_4)
	v_add_co_u32 v19, vcc_lo, s28, v17
	s_wait_alu 0xfffd
	v_add_co_ci_u32_e64 v20, null, s29, v18, vcc_lo
	v_add_co_u32 v17, vcc_lo, s28, v39
	s_wait_alu 0xfffd
	v_add_co_ci_u32_e64 v18, null, s29, v40, vcc_lo
	s_clause 0x3
	global_load_b32 v42, v[41:42], off
	global_load_b32 v41, v[43:44], off
	global_load_b32 v40, v[45:46], off
	global_load_b32 v39, v[47:48], off
	s_clause 0x3
	global_load_b32 v46, v[13:14], off
	global_load_b32 v44, v[15:16], off
	;; [unrolled: 1-line block ×4, first 2 shown]
	s_and_saveexec_b32 s52, s2
	s_cbranch_execz .LBB10_19
; %bb.23:                               ;   in Loop: Header=BB10_21 Depth=2
	s_clause 0x3
	global_load_b32 v50, v[13:14], off offset:128
	global_load_b32 v49, v[15:16], off offset:128
	global_load_b32 v48, v[19:20], off offset:128
	global_load_b32 v47, v[17:18], off offset:128
	s_and_saveexec_b32 s53, s3
	s_cbranch_execz .LBB10_18
; %bb.24:                               ;   in Loop: Header=BB10_21 Depth=2
	s_clause 0x3
	global_load_b32 v54, v[13:14], off offset:256
	global_load_b32 v53, v[15:16], off offset:256
	global_load_b32 v52, v[19:20], off offset:256
	global_load_b32 v51, v[17:18], off offset:256
	;; [unrolled: 8-line block ×3, first 2 shown]
	s_wait_loadcnt 0x3
	v_fmac_f32_e32 v33, v42, v13
	s_wait_loadcnt 0x2
	s_delay_alu instid0(VALU_DEP_1) | instskip(SKIP_1) | instid1(VALU_DEP_1)
	v_fmac_f32_e32 v33, v41, v14
	s_wait_loadcnt 0x1
	v_fmac_f32_e32 v33, v40, v15
	s_wait_loadcnt 0x0
	s_delay_alu instid0(VALU_DEP_1)
	v_fmac_f32_e32 v33, v39, v16
	s_branch .LBB10_17
.LBB10_26:                              ;   in Loop: Header=BB10_5 Depth=1
	s_or_b32 exec_lo, exec_lo, s49
.LBB10_27:                              ;   in Loop: Header=BB10_5 Depth=1
	s_wait_alu 0xfffe
	s_or_b32 exec_lo, exec_lo, s7
	s_delay_alu instid0(SALU_CYCLE_1)
	s_and_not1_b32 vcc_lo, exec_lo, s36
	s_wait_alu 0xfffe
	s_cbranch_vccnz .LBB10_45
; %bb.28:                               ;   in Loop: Header=BB10_5 Depth=1
	v_cmp_gt_i32_e32 vcc_lo, s37, v34
	v_dual_mov_b32 v38, 0 :: v_dual_mov_b32 v37, 0
	v_or_b32_e32 v13, 1, v34
	v_dual_mov_b32 v36, 0 :: v_dual_mov_b32 v35, 0
	s_and_saveexec_b32 s49, vcc_lo
	s_cbranch_execz .LBB10_36
; %bb.29:                               ;   in Loop: Header=BB10_5 Depth=1
	v_mul_lo_u32 v14, v34, s30
	v_dual_mov_b32 v36, 0 :: v_dual_mov_b32 v37, 0
	v_mov_b32_e32 v38, 0
	s_mov_b32 s50, exec_lo
	s_delay_alu instid0(VALU_DEP_3) | instskip(NEXT) | instid1(VALU_DEP_1)
	v_ashrrev_i32_e32 v15, 31, v14
	v_lshlrev_b64_e32 v[14:15], 2, v[14:15]
	s_delay_alu instid0(VALU_DEP_1) | instskip(SKIP_1) | instid1(VALU_DEP_2)
	v_add_co_u32 v14, s7, s40, v14
	s_wait_alu 0xf1ff
	v_add_co_ci_u32_e64 v15, null, s41, v15, s7
	global_load_b32 v35, v[14:15], off
	v_cmpx_gt_i32_e64 s37, v13
	s_cbranch_execz .LBB10_35
; %bb.30:                               ;   in Loop: Header=BB10_5 Depth=1
	v_mul_lo_u32 v14, v13, s30
	v_dual_mov_b32 v37, 0 :: v_dual_mov_b32 v38, 0
	s_mov_b32 s51, exec_lo
	s_delay_alu instid0(VALU_DEP_2) | instskip(NEXT) | instid1(VALU_DEP_1)
	v_ashrrev_i32_e32 v15, 31, v14
	v_lshlrev_b64_e32 v[14:15], 2, v[14:15]
	s_delay_alu instid0(VALU_DEP_1) | instskip(SKIP_1) | instid1(VALU_DEP_2)
	v_add_co_u32 v14, s7, s40, v14
	s_wait_alu 0xf1ff
	v_add_co_ci_u32_e64 v15, null, s41, v15, s7
	global_load_b32 v36, v[14:15], off
	v_or_b32_e32 v14, 2, v34
	s_delay_alu instid0(VALU_DEP_1)
	v_cmpx_gt_i32_e64 s37, v14
	s_cbranch_execz .LBB10_34
; %bb.31:                               ;   in Loop: Header=BB10_5 Depth=1
	v_mul_lo_u32 v14, v14, s30
	v_mov_b32_e32 v38, 0
	s_mov_b32 s52, exec_lo
	s_delay_alu instid0(VALU_DEP_2) | instskip(NEXT) | instid1(VALU_DEP_1)
	v_ashrrev_i32_e32 v15, 31, v14
	v_lshlrev_b64_e32 v[14:15], 2, v[14:15]
	s_delay_alu instid0(VALU_DEP_1) | instskip(SKIP_1) | instid1(VALU_DEP_2)
	v_add_co_u32 v14, s7, s40, v14
	s_wait_alu 0xf1ff
	v_add_co_ci_u32_e64 v15, null, s41, v15, s7
	global_load_b32 v37, v[14:15], off
	v_or_b32_e32 v14, 3, v34
	s_delay_alu instid0(VALU_DEP_1)
	v_cmpx_gt_i32_e64 s37, v14
	s_cbranch_execz .LBB10_33
; %bb.32:                               ;   in Loop: Header=BB10_5 Depth=1
	v_mul_lo_u32 v14, v14, s30
	s_delay_alu instid0(VALU_DEP_1) | instskip(NEXT) | instid1(VALU_DEP_1)
	v_ashrrev_i32_e32 v15, 31, v14
	v_lshlrev_b64_e32 v[14:15], 2, v[14:15]
	s_delay_alu instid0(VALU_DEP_1) | instskip(SKIP_1) | instid1(VALU_DEP_2)
	v_add_co_u32 v14, s7, s40, v14
	s_wait_alu 0xf1ff
	v_add_co_ci_u32_e64 v15, null, s41, v15, s7
	global_load_b32 v38, v[14:15], off
.LBB10_33:                              ;   in Loop: Header=BB10_5 Depth=1
	s_or_b32 exec_lo, exec_lo, s52
.LBB10_34:                              ;   in Loop: Header=BB10_5 Depth=1
	s_wait_alu 0xfffe
	s_or_b32 exec_lo, exec_lo, s51
.LBB10_35:                              ;   in Loop: Header=BB10_5 Depth=1
	s_wait_alu 0xfffe
	s_or_b32 exec_lo, exec_lo, s50
.LBB10_36:                              ;   in Loop: Header=BB10_5 Depth=1
	s_delay_alu instid0(SALU_CYCLE_1)
	s_or_b32 exec_lo, exec_lo, s49
	s_and_saveexec_b32 s7, s0
	s_cbranch_execz .LBB10_44
; %bb.37:                               ;   in Loop: Header=BB10_5 Depth=1
	v_mul_lo_u32 v15, v34, s33
	v_or_b32_e32 v14, 2, v34
	v_mul_lo_u32 v17, v13, s33
	v_or_b32_e32 v16, 3, v34
	s_delay_alu instid0(VALU_DEP_3) | instskip(NEXT) | instid1(VALU_DEP_2)
	v_mul_lo_u32 v18, v14, s33
	v_mul_lo_u32 v19, v16, s33
	v_cndmask_b32_e32 v15, 0, v15, vcc_lo
	v_cmp_gt_i32_e32 vcc_lo, s37, v13
	s_wait_alu 0xfffd
	v_cndmask_b32_e32 v17, 0, v17, vcc_lo
	v_cmp_gt_i32_e32 vcc_lo, s37, v14
	s_wait_alu 0xfffd
	;; [unrolled: 3-line block ×3, first 2 shown]
	v_dual_cndmask_b32 v16, 0, v19 :: v_dual_add_nc_u32 v13, v15, v21
	v_add_nc_u32_e32 v15, v17, v21
	v_add_nc_u32_e32 v17, v14, v21
	s_delay_alu instid0(VALU_DEP_3) | instskip(NEXT) | instid1(VALU_DEP_4)
	v_ashrrev_i32_e32 v14, 31, v13
	v_add_nc_u32_e32 v19, v16, v21
	s_delay_alu instid0(VALU_DEP_4) | instskip(NEXT) | instid1(VALU_DEP_4)
	v_ashrrev_i32_e32 v16, 31, v15
	v_ashrrev_i32_e32 v18, 31, v17
	s_delay_alu instid0(VALU_DEP_4) | instskip(NEXT) | instid1(VALU_DEP_4)
	v_lshlrev_b64_e32 v[13:14], 2, v[13:14]
	v_ashrrev_i32_e32 v20, 31, v19
	s_delay_alu instid0(VALU_DEP_4) | instskip(NEXT) | instid1(VALU_DEP_4)
	v_lshlrev_b64_e32 v[15:16], 2, v[15:16]
	v_lshlrev_b64_e32 v[39:40], 2, v[17:18]
	s_delay_alu instid0(VALU_DEP_3)
	v_lshlrev_b64_e32 v[41:42], 2, v[19:20]
	v_add_co_u32 v19, vcc_lo, s28, v13
	s_wait_alu 0xfffd
	v_add_co_ci_u32_e64 v20, null, s29, v14, vcc_lo
	v_add_co_u32 v17, vcc_lo, s28, v15
	s_wait_alu 0xfffd
	v_add_co_ci_u32_e64 v18, null, s29, v16, vcc_lo
	v_add_co_u32 v15, vcc_lo, s28, v39
	s_wait_alu 0xfffd
	v_add_co_ci_u32_e64 v16, null, s29, v40, vcc_lo
	v_add_co_u32 v13, vcc_lo, s28, v41
	s_wait_alu 0xfffd
	v_add_co_ci_u32_e64 v14, null, s29, v42, vcc_lo
	s_clause 0x3
	global_load_b32 v41, v[19:20], off
	global_load_b32 v39, v[17:18], off
	;; [unrolled: 1-line block ×4, first 2 shown]
	s_and_saveexec_b32 s28, s2
	s_cbranch_execz .LBB10_43
; %bb.38:                               ;   in Loop: Header=BB10_5 Depth=1
	s_clause 0x3
	global_load_b32 v45, v[19:20], off offset:128
	global_load_b32 v44, v[17:18], off offset:128
	global_load_b32 v43, v[15:16], off offset:128
	global_load_b32 v42, v[13:14], off offset:128
	s_and_saveexec_b32 s29, s3
	s_cbranch_execz .LBB10_42
; %bb.39:                               ;   in Loop: Header=BB10_5 Depth=1
	s_clause 0x3
	global_load_b32 v49, v[19:20], off offset:256
	global_load_b32 v48, v[17:18], off offset:256
	global_load_b32 v47, v[15:16], off offset:256
	global_load_b32 v46, v[13:14], off offset:256
	;; [unrolled: 8-line block ×3, first 2 shown]
	s_wait_loadcnt 0x3
	v_fmac_f32_e32 v33, v35, v19
	s_wait_loadcnt 0x2
	s_delay_alu instid0(VALU_DEP_1) | instskip(SKIP_1) | instid1(VALU_DEP_1)
	v_fmac_f32_e32 v33, v36, v17
	s_wait_loadcnt 0x1
	v_fmac_f32_e32 v33, v37, v15
	s_wait_loadcnt 0x0
	s_delay_alu instid0(VALU_DEP_1)
	v_fmac_f32_e32 v33, v38, v13
.LBB10_41:                              ;   in Loop: Header=BB10_5 Depth=1
	s_wait_alu 0xfffe
	s_or_b32 exec_lo, exec_lo, s40
	s_wait_loadcnt 0x3
	v_fmac_f32_e32 v32, v35, v49
	s_wait_loadcnt 0x2
	s_delay_alu instid0(VALU_DEP_1) | instskip(SKIP_1) | instid1(VALU_DEP_1)
	v_fmac_f32_e32 v32, v36, v48
	s_wait_loadcnt 0x1
	v_fmac_f32_e32 v32, v37, v47
	s_wait_loadcnt 0x0
	s_delay_alu instid0(VALU_DEP_1)
	v_fmac_f32_e32 v32, v38, v46
.LBB10_42:                              ;   in Loop: Header=BB10_5 Depth=1
	s_wait_alu 0xfffe
	s_or_b32 exec_lo, exec_lo, s29
	s_wait_loadcnt 0x3
	v_fmac_f32_e32 v31, v35, v45
	s_wait_loadcnt 0x2
	s_delay_alu instid0(VALU_DEP_1) | instskip(SKIP_1) | instid1(VALU_DEP_1)
	v_fmac_f32_e32 v31, v36, v44
	s_wait_loadcnt 0x1
	v_fmac_f32_e32 v31, v37, v43
	s_wait_loadcnt 0x0
	s_delay_alu instid0(VALU_DEP_1)
	v_fmac_f32_e32 v31, v38, v42
.LBB10_43:                              ;   in Loop: Header=BB10_5 Depth=1
	s_wait_alu 0xfffe
	s_or_b32 exec_lo, exec_lo, s28
	s_wait_loadcnt 0x3
	v_fmac_f32_e32 v30, v35, v41
	s_wait_loadcnt 0x2
	s_delay_alu instid0(VALU_DEP_1) | instskip(SKIP_1) | instid1(VALU_DEP_1)
	v_fmac_f32_e32 v30, v36, v39
	s_wait_loadcnt 0x1
	v_fmac_f32_e32 v30, v37, v34
	s_wait_loadcnt 0x0
	s_delay_alu instid0(VALU_DEP_1)
	v_fmac_f32_e32 v30, v38, v40
.LBB10_44:                              ;   in Loop: Header=BB10_5 Depth=1
	s_wait_alu 0xfffe
	s_or_b32 exec_lo, exec_lo, s7
.LBB10_45:                              ;   in Loop: Header=BB10_5 Depth=1
	ds_store_2addr_b32 v0, v30, v31 offset1:32
	ds_store_2addr_b32 v0, v32, v33 offset0:64 offset1:96
	s_wait_loadcnt_dscnt 0x0
	s_barrier_signal -1
	s_barrier_wait -1
	global_inv scope:SCOPE_SE
                                        ; implicit-def: $vgpr15
	s_and_saveexec_b32 s7, s5
	s_cbranch_execz .LBB10_51
; %bb.46:                               ;   in Loop: Header=BB10_5 Depth=1
	ds_load_2addr_stride64_b32 v[13:14], v23 offset1:2
	ds_load_2addr_stride64_b32 v[15:16], v23 offset0:4 offset1:6
	ds_load_2addr_stride64_b32 v[17:18], v23 offset0:8 offset1:10
	s_mov_b32 s29, s48
	s_wait_dscnt 0x2
	v_add_f32_e32 v19, v13, v14
	ds_load_2addr_stride64_b32 v[13:14], v23 offset0:12 offset1:14
	s_wait_dscnt 0x2
	v_add_f32_e32 v15, v15, v19
	s_delay_alu instid0(VALU_DEP_1) | instskip(SKIP_3) | instid1(VALU_DEP_1)
	v_add_f32_e32 v19, v16, v15
	ds_load_2addr_stride64_b32 v[15:16], v23 offset0:16 offset1:18
	s_wait_dscnt 0x2
	v_add_f32_e32 v17, v17, v19
	v_add_f32_e32 v19, v18, v17
	ds_load_2addr_stride64_b32 v[17:18], v23 offset0:20 offset1:22
	s_wait_dscnt 0x2
	v_add_f32_e32 v13, v13, v19
	s_delay_alu instid0(VALU_DEP_1) | instskip(SKIP_1) | instid1(VALU_DEP_1)
	v_add_f32_e32 v13, v14, v13
	s_wait_dscnt 0x1
	v_add_f32_e32 v15, v15, v13
	ds_load_2addr_stride64_b32 v[13:14], v23 offset0:24 offset1:26
	v_add_f32_e32 v15, v16, v15
	s_wait_dscnt 0x1
	s_delay_alu instid0(VALU_DEP_1) | instskip(SKIP_3) | instid1(VALU_DEP_1)
	v_add_f32_e32 v17, v17, v15
	ds_load_2addr_stride64_b32 v[15:16], v23 offset0:28 offset1:30
	v_add_f32_e32 v17, v18, v17
	s_wait_dscnt 0x1
	v_add_f32_e32 v13, v13, v17
	s_delay_alu instid0(VALU_DEP_1) | instskip(SKIP_1) | instid1(VALU_DEP_1)
	v_add_f32_e32 v13, v14, v13
	s_wait_dscnt 0x0
	v_add_f32_e32 v13, v15, v13
                                        ; implicit-def: $vgpr15
	s_delay_alu instid0(VALU_DEP_1)
	v_add_f32_e32 v13, v16, v13
	ds_store_b32 v23, v13
	s_and_saveexec_b32 s28, s6
	s_cbranch_execz .LBB10_50
; %bb.47:                               ;   in Loop: Header=BB10_5 Depth=1
	v_mul_f32_e32 v15, v29, v13
	s_cmp_eq_f32 s47, 0
	s_cbranch_scc1 .LBB10_49
; %bb.48:                               ;   in Loop: Header=BB10_5 Depth=1
	v_add_co_u32 v13, vcc_lo, s26, v11
	s_wait_alu 0xfffd
	v_add_co_ci_u32_e64 v14, null, s27, v12, vcc_lo
	global_load_b32 v13, v[13:14], off
	s_wait_loadcnt 0x0
	v_fmac_f32_e32 v15, s47, v13
.LBB10_49:                              ;   in Loop: Header=BB10_5 Depth=1
	s_or_b32 s29, s48, exec_lo
.LBB10_50:                              ;   in Loop: Header=BB10_5 Depth=1
	s_wait_alu 0xfffe
	s_or_b32 exec_lo, exec_lo, s28
	s_delay_alu instid0(SALU_CYCLE_1)
	s_and_not1_b32 s28, s48, exec_lo
	s_and_b32 s29, s29, exec_lo
	s_wait_alu 0xfffe
	s_or_b32 s48, s28, s29
.LBB10_51:                              ;   in Loop: Header=BB10_5 Depth=1
	s_wait_alu 0xfffe
	s_or_b32 exec_lo, exec_lo, s7
	v_dual_mov_b32 v14, v5 :: v_dual_mov_b32 v13, v4
	s_and_saveexec_b32 s7, s48
	s_cbranch_execz .LBB10_3
.LBB10_52:                              ;   in Loop: Header=BB10_5 Depth=1
	s_delay_alu instid0(VALU_DEP_1) | instskip(SKIP_1) | instid1(VALU_DEP_1)
	v_lshlrev_b64_e32 v[13:14], 2, v[13:14]
	s_wait_alu 0xfffe
	v_add_co_u32 v13, vcc_lo, s26, v13
	s_wait_alu 0xfffd
	s_delay_alu instid0(VALU_DEP_2)
	v_add_co_ci_u32_e64 v14, null, s27, v14, vcc_lo
	global_store_b32 v[13:14], v15, off
	s_branch .LBB10_3
.LBB10_53:
	s_endpgm
	.section	.rodata,"a",@progbits
	.p2align	6, 0x0
	.amdhsa_kernel _ZL20rocblas_gemvn_kernelILi32ELi16EifPKffEviiT3_lPKT2_lT1_lS5_lS6_lS2_lPT4_lS6_li
		.amdhsa_group_segment_fixed_size 8192
		.amdhsa_private_segment_fixed_size 0
		.amdhsa_kernarg_size 400
		.amdhsa_user_sgpr_count 2
		.amdhsa_user_sgpr_dispatch_ptr 0
		.amdhsa_user_sgpr_queue_ptr 0
		.amdhsa_user_sgpr_kernarg_segment_ptr 1
		.amdhsa_user_sgpr_dispatch_id 0
		.amdhsa_user_sgpr_private_segment_size 0
		.amdhsa_wavefront_size32 1
		.amdhsa_uses_dynamic_stack 0
		.amdhsa_enable_private_segment 0
		.amdhsa_system_sgpr_workgroup_id_x 1
		.amdhsa_system_sgpr_workgroup_id_y 0
		.amdhsa_system_sgpr_workgroup_id_z 1
		.amdhsa_system_sgpr_workgroup_info 0
		.amdhsa_system_vgpr_workitem_id 1
		.amdhsa_next_free_vgpr 55
		.amdhsa_next_free_sgpr 55
		.amdhsa_reserve_vcc 1
		.amdhsa_float_round_mode_32 0
		.amdhsa_float_round_mode_16_64 0
		.amdhsa_float_denorm_mode_32 3
		.amdhsa_float_denorm_mode_16_64 3
		.amdhsa_fp16_overflow 0
		.amdhsa_workgroup_processor_mode 1
		.amdhsa_memory_ordered 1
		.amdhsa_forward_progress 1
		.amdhsa_inst_pref_size 26
		.amdhsa_round_robin_scheduling 0
		.amdhsa_exception_fp_ieee_invalid_op 0
		.amdhsa_exception_fp_denorm_src 0
		.amdhsa_exception_fp_ieee_div_zero 0
		.amdhsa_exception_fp_ieee_overflow 0
		.amdhsa_exception_fp_ieee_underflow 0
		.amdhsa_exception_fp_ieee_inexact 0
		.amdhsa_exception_int_div_zero 0
	.end_amdhsa_kernel
	.section	.text._ZL20rocblas_gemvn_kernelILi32ELi16EifPKffEviiT3_lPKT2_lT1_lS5_lS6_lS2_lPT4_lS6_li,"axG",@progbits,_ZL20rocblas_gemvn_kernelILi32ELi16EifPKffEviiT3_lPKT2_lT1_lS5_lS6_lS2_lPT4_lS6_li,comdat
.Lfunc_end10:
	.size	_ZL20rocblas_gemvn_kernelILi32ELi16EifPKffEviiT3_lPKT2_lT1_lS5_lS6_lS2_lPT4_lS6_li, .Lfunc_end10-_ZL20rocblas_gemvn_kernelILi32ELi16EifPKffEviiT3_lPKT2_lT1_lS5_lS6_lS2_lPT4_lS6_li
                                        ; -- End function
	.set _ZL20rocblas_gemvn_kernelILi32ELi16EifPKffEviiT3_lPKT2_lT1_lS5_lS6_lS2_lPT4_lS6_li.num_vgpr, 55
	.set _ZL20rocblas_gemvn_kernelILi32ELi16EifPKffEviiT3_lPKT2_lT1_lS5_lS6_lS2_lPT4_lS6_li.num_agpr, 0
	.set _ZL20rocblas_gemvn_kernelILi32ELi16EifPKffEviiT3_lPKT2_lT1_lS5_lS6_lS2_lPT4_lS6_li.numbered_sgpr, 55
	.set _ZL20rocblas_gemvn_kernelILi32ELi16EifPKffEviiT3_lPKT2_lT1_lS5_lS6_lS2_lPT4_lS6_li.num_named_barrier, 0
	.set _ZL20rocblas_gemvn_kernelILi32ELi16EifPKffEviiT3_lPKT2_lT1_lS5_lS6_lS2_lPT4_lS6_li.private_seg_size, 0
	.set _ZL20rocblas_gemvn_kernelILi32ELi16EifPKffEviiT3_lPKT2_lT1_lS5_lS6_lS2_lPT4_lS6_li.uses_vcc, 1
	.set _ZL20rocblas_gemvn_kernelILi32ELi16EifPKffEviiT3_lPKT2_lT1_lS5_lS6_lS2_lPT4_lS6_li.uses_flat_scratch, 0
	.set _ZL20rocblas_gemvn_kernelILi32ELi16EifPKffEviiT3_lPKT2_lT1_lS5_lS6_lS2_lPT4_lS6_li.has_dyn_sized_stack, 0
	.set _ZL20rocblas_gemvn_kernelILi32ELi16EifPKffEviiT3_lPKT2_lT1_lS5_lS6_lS2_lPT4_lS6_li.has_recursion, 0
	.set _ZL20rocblas_gemvn_kernelILi32ELi16EifPKffEviiT3_lPKT2_lT1_lS5_lS6_lS2_lPT4_lS6_li.has_indirect_call, 0
	.section	.AMDGPU.csdata,"",@progbits
; Kernel info:
; codeLenInByte = 3228
; TotalNumSgprs: 57
; NumVgprs: 55
; ScratchSize: 0
; MemoryBound: 0
; FloatMode: 240
; IeeeMode: 1
; LDSByteSize: 8192 bytes/workgroup (compile time only)
; SGPRBlocks: 0
; VGPRBlocks: 6
; NumSGPRsForWavesPerEU: 57
; NumVGPRsForWavesPerEU: 55
; Occupancy: 16
; WaveLimiterHint : 1
; COMPUTE_PGM_RSRC2:SCRATCH_EN: 0
; COMPUTE_PGM_RSRC2:USER_SGPR: 2
; COMPUTE_PGM_RSRC2:TRAP_HANDLER: 0
; COMPUTE_PGM_RSRC2:TGID_X_EN: 1
; COMPUTE_PGM_RSRC2:TGID_Y_EN: 0
; COMPUTE_PGM_RSRC2:TGID_Z_EN: 1
; COMPUTE_PGM_RSRC2:TIDIG_COMP_CNT: 1
	.section	.text._ZL20rocblas_gemvn_kernelILi32ELi16ElfPKffEviiT3_lPKT2_lT1_lS5_lS6_lS2_lPT4_lS6_li,"axG",@progbits,_ZL20rocblas_gemvn_kernelILi32ELi16ElfPKffEviiT3_lPKT2_lT1_lS5_lS6_lS2_lPT4_lS6_li,comdat
	.globl	_ZL20rocblas_gemvn_kernelILi32ELi16ElfPKffEviiT3_lPKT2_lT1_lS5_lS6_lS2_lPT4_lS6_li ; -- Begin function _ZL20rocblas_gemvn_kernelILi32ELi16ElfPKffEviiT3_lPKT2_lT1_lS5_lS6_lS2_lPT4_lS6_li
	.p2align	8
	.type	_ZL20rocblas_gemvn_kernelILi32ELi16ElfPKffEviiT3_lPKT2_lT1_lS5_lS6_lS2_lPT4_lS6_li,@function
_ZL20rocblas_gemvn_kernelILi32ELi16ElfPKffEviiT3_lPKT2_lT1_lS5_lS6_lS2_lPT4_lS6_li: ; @_ZL20rocblas_gemvn_kernelILi32ELi16ElfPKffEviiT3_lPKT2_lT1_lS5_lS6_lS2_lPT4_lS6_li
; %bb.0:
	s_load_b64 s[2:3], s[0:1], 0x9c
	s_wait_kmcnt 0x0
	s_lshr_b32 s4, s2, 16
	s_and_b32 s2, s2, 0xffff
	s_and_b32 s3, s3, 0xffff
	s_mul_i32 s2, s4, s2
	s_delay_alu instid0(SALU_CYCLE_1) | instskip(NEXT) | instid1(SALU_CYCLE_1)
	s_mul_i32 s2, s2, s3
	s_cmp_lg_u32 s2, 0x200
	s_cbranch_scc1 .LBB11_53
; %bb.1:
	s_load_b32 s33, s[0:1], 0x88
	s_lshr_b32 s10, ttmp7, 16
	s_wait_kmcnt 0x0
	s_cmp_ge_u32 s10, s33
	s_cbranch_scc1 .LBB11_53
; %bb.2:
	s_clause 0x2
	s_load_b512 s[12:27], s[0:1], 0x8
	s_load_b512 s[36:51], s[0:1], 0x48
	s_load_b64 s[8:9], s[0:1], 0x0
	v_and_b32_e32 v5, 0x3ff, v0
	v_bfe_u32 v17, v0, 10, 10
	s_lshl_b32 s34, ttmp9, 7
	s_mov_b32 s11, 0
	s_delay_alu instid0(VALU_DEP_2) | instskip(NEXT) | instid1(VALU_DEP_2)
	v_dual_mov_b32 v1, 0 :: v_dual_add_nc_u32 v6, s34, v5
	v_lshlrev_b32_e32 v18, 2, v17
	v_lshl_add_u32 v10, v17, 5, v5
	s_delay_alu instid0(VALU_DEP_3) | instskip(SKIP_1) | instid1(VALU_DEP_4)
	v_add_nc_u32_e32 v8, 64, v6
	v_add_nc_u32_e32 v9, 0x60, v6
	v_or_b32_e32 v20, 3, v18
	s_delay_alu instid0(VALU_DEP_4)
	v_add_nc_u32_e32 v0, s34, v10
	v_or_b32_e32 v21, s34, v10
	v_ashrrev_i32_e32 v7, 31, v6
	s_wait_kmcnt 0x0
	s_lshl_b64 s[4:5], s[18:19], 2
	s_lshl_b64 s[18:19], s[26:27], 2
	s_ashr_i32 s28, s9, 31
	s_add_nc_u64 s[16:17], s[16:17], s[4:5]
	s_lshr_b32 s4, s28, 26
	s_lshl_b64 s[6:7], s[46:47], 2
	s_add_co_i32 s52, s9, s4
	s_ashr_i32 s31, s8, 31
	s_and_not1_b32 s52, s52, 63
	v_cmp_gt_i32_e64 s2, s8, v8
	s_sub_co_i32 s5, s9, s52
	v_cmp_gt_i32_e64 s3, s8, v9
	s_cmp_gt_i32 s5, 0
	v_mad_co_u64_u32 v[8:9], null, s36, v17, 0
	v_cmp_gt_u32_e64 s5, 0x80, v10
	v_mad_co_u64_u32 v[10:11], null, s20, v20, 0
	s_mov_b32 s30, s8
	s_add_nc_u64 s[28:29], s[44:45], s[6:7]
	s_cselect_b32 s53, -1, 0
	v_mul_lo_u32 v22, s49, v21
	s_ashr_i32 s6, s34, 31
	v_cmp_gt_i32_e64 s0, s8, v6
	v_mad_co_u64_u32 v[12:13], null, s37, v17, v[9:10]
	v_mov_b32_e32 v9, v11
	v_mad_co_u64_u32 v[13:14], null, s36, v20, 0
	v_or_b32_e32 v24, 2, v18
	s_mul_i32 s7, s48, s6
	s_delay_alu instid0(VALU_DEP_3)
	v_mad_co_u64_u32 v[15:16], null, s21, v20, v[9:10]
	v_mov_b32_e32 v9, v12
	v_mad_co_u64_u32 v[2:3], null, s48, v0, 0
	v_add_nc_u32_e32 v4, 32, v6
	v_mov_b32_e32 v12, v14
	v_cmp_gt_i64_e32 vcc_lo, s[30:31], v[0:1]
	v_lshlrev_b64_e32 v[8:9], 4, v[8:9]
	v_mov_b32_e32 v11, v15
	v_cmp_gt_i32_e64 s1, s8, v4
	v_mad_co_u64_u32 v[3:4], null, s49, v0, v[3:4]
	v_lshlrev_b32_e32 v4, 2, v5
	v_mad_co_u64_u32 v[14:15], null, s37, v20, v[12:13]
	v_mad_co_u64_u32 v[15:16], null, s20, v17, 0
	s_delay_alu instid0(VALU_DEP_3)
	v_lshl_add_u32 v0, v17, 9, v4
	v_lshl_add_u32 v19, v17, 7, v4
	v_mad_co_u64_u32 v[4:5], null, s48, v21, 0
	s_and_b32 s54, s5, vcc_lo
	v_add_co_u32 v20, vcc_lo, s24, v8
	v_cmp_gt_i32_e64 s6, s8, v21
	v_add_co_ci_u32_e64 v21, null, s25, v9, vcc_lo
	v_lshlrev_b64_e32 v[8:9], 2, v[10:11]
	v_mad_co_u64_u32 v[11:12], null, s20, v24, 0
	v_mov_b32_e32 v10, v16
	v_add3_u32 v5, v5, s7, v22
	v_mad_co_u64_u32 v[28:29], null, s36, v24, 0
	v_add_co_u32 v22, vcc_lo, s16, v8
	s_delay_alu instid0(VALU_DEP_4)
	v_mad_co_u64_u32 v[16:17], null, s21, v17, v[10:11]
	s_wait_alu 0xfffd
	v_add_co_ci_u32_e64 v23, null, s17, v9, vcc_lo
	v_lshlrev_b64_e32 v[9:10], 2, v[13:14]
	v_mov_b32_e32 v8, v12
	v_mov_b32_e32 v12, v29
	v_mad_co_u64_u32 v[30:31], null, s36, v18, s[36:37]
	v_mad_co_u64_u32 v[32:33], null, s20, v18, s[20:21]
	s_delay_alu instid0(VALU_DEP_4)
	v_mad_co_u64_u32 v[13:14], null, s21, v24, v[8:9]
	v_lshlrev_b64_e32 v[6:7], 2, v[6:7]
	v_cmp_gt_i32_e64 s4, s52, v18
	v_mov_b32_e32 v8, v31
	s_add_nc_u64 s[26:27], s[24:25], s[18:19]
	s_lshl_b64 s[30:31], s[38:39], 2
	s_lshl_b64 s[34:35], s[22:23], 2
	v_mad_co_u64_u32 v[26:27], null, s37, v24, v[12:13]
	v_add_co_u32 v24, vcc_lo, s24, v9
	s_wait_alu 0xfffd
	v_add_co_ci_u32_e64 v25, null, s25, v10, vcc_lo
	v_lshlrev_b64_e32 v[9:10], 4, v[15:16]
	s_delay_alu instid0(VALU_DEP_4) | instskip(SKIP_1) | instid1(VALU_DEP_2)
	v_dual_mov_b32 v12, v13 :: v_dual_mov_b32 v29, v26
	s_lshl_b64 s[44:45], s[20:21], 8
	v_add_co_u32 v26, vcc_lo, s16, v9
	v_mad_co_u64_u32 v[13:14], null, s37, v18, v[8:9]
	s_wait_alu 0xfffd
	v_add_co_ci_u32_e64 v27, null, s17, v10, vcc_lo
	v_lshlrev_b64_e32 v[9:10], 2, v[11:12]
	v_mov_b32_e32 v8, v33
	v_lshlrev_b64_e32 v[14:15], 2, v[28:29]
	v_mov_b32_e32 v31, v13
	s_delay_alu instid0(VALU_DEP_3) | instskip(SKIP_1) | instid1(VALU_DEP_3)
	v_mad_co_u64_u32 v[11:12], null, s21, v18, v[8:9]
	v_add_co_u32 v28, vcc_lo, s16, v9
	v_lshlrev_b64_e32 v[8:9], 2, v[30:31]
	s_wait_alu 0xfffd
	v_add_co_ci_u32_e64 v29, null, s17, v10, vcc_lo
	v_add_co_u32 v30, vcc_lo, s24, v14
	v_mov_b32_e32 v33, v11
	s_wait_alu 0xfffd
	v_add_co_ci_u32_e64 v31, null, s25, v15, vcc_lo
	s_delay_alu instid0(VALU_DEP_2) | instskip(SKIP_4) | instid1(VALU_DEP_4)
	v_lshlrev_b64_e32 v[10:11], 2, v[32:33]
	v_add_co_u32 v32, vcc_lo, s24, v8
	s_wait_alu 0xfffd
	v_add_co_ci_u32_e64 v33, null, s25, v9, vcc_lo
	v_lshlrev_b64_e32 v[8:9], 2, v[2:3]
	v_add_co_u32 v34, vcc_lo, s16, v10
	s_wait_alu 0xfffd
	v_add_co_ci_u32_e64 v35, null, s17, v11, vcc_lo
	s_lshl_b64 s[24:25], s[36:37], 8
	s_branch .LBB11_5
.LBB11_3:                               ;   in Loop: Header=BB11_5 Depth=1
	s_wait_alu 0xfffe
	s_or_b32 exec_lo, exec_lo, s7
.LBB11_4:                               ;   in Loop: Header=BB11_5 Depth=1
	s_add_co_i32 s10, s10, 0x10000
	s_delay_alu instid0(SALU_CYCLE_1)
	s_cmp_lt_u32 s10, s33
	s_cbranch_scc0 .LBB11_53
.LBB11_5:                               ; =>This Loop Header: Depth=1
                                        ;     Child Loop BB11_21 Depth 2
	s_mul_u64 s[46:47], s[14:15], s[10:11]
	s_mul_u64 s[48:49], s[42:43], s[10:11]
	s_wait_alu 0xfffe
	s_lshl_b64 s[46:47], s[46:47], 2
	s_lshl_b64 s[48:49], s[48:49], 2
	s_wait_alu 0xfffe
	s_add_nc_u64 s[46:47], s[12:13], s[46:47]
	s_add_nc_u64 s[48:49], s[40:41], s[48:49]
	s_clause 0x1
	global_load_b32 v36, v1, s[46:47]
	global_load_b32 v10, v1, s[48:49]
	s_wait_loadcnt 0x1
	v_cmp_eq_f32_e32 vcc_lo, 0, v36
	s_wait_loadcnt 0x0
	v_cmp_eq_f32_e64 s7, 1.0, v10
	v_readfirstlane_b32 s55, v10
	s_and_b32 s7, vcc_lo, s7
	s_wait_alu 0xfffe
	s_and_b32 vcc_lo, exec_lo, s7
	s_wait_alu 0xfffe
	s_cbranch_vccnz .LBB11_4
; %bb.6:                                ;   in Loop: Header=BB11_5 Depth=1
	v_cmp_neq_f32_e32 vcc_lo, 0, v36
	s_mul_u64 s[46:47], s[50:51], s[10:11]
	s_wait_alu 0xfffe
	s_lshl_b64 s[46:47], s[46:47], 2
	s_wait_alu 0xfffe
	s_add_nc_u64 s[46:47], s[28:29], s[46:47]
	s_cbranch_vccnz .LBB11_10
; %bb.7:                                ;   in Loop: Header=BB11_5 Depth=1
	s_mov_b32 s7, 0
	s_mov_b32 s56, 0
                                        ; implicit-def: $vgpr12
	s_and_saveexec_b32 s8, s54
	s_cbranch_execz .LBB11_11
; %bb.8:                                ;   in Loop: Header=BB11_5 Depth=1
	s_cmp_eq_f32 s55, 0
	s_cbranch_scc1 .LBB11_13
; %bb.9:                                ;   in Loop: Header=BB11_5 Depth=1
	s_wait_alu 0xfffe
	v_add_co_u32 v10, vcc_lo, s46, v8
	s_wait_alu 0xfffd
	v_add_co_ci_u32_e64 v11, null, s47, v9, vcc_lo
	global_load_b32 v10, v[10:11], off
	s_wait_loadcnt 0x0
	v_mul_f32_e32 v12, s55, v10
	s_branch .LBB11_14
.LBB11_10:                              ;   in Loop: Header=BB11_5 Depth=1
	s_mov_b32 s56, 0
                                        ; implicit-def: $vgpr12
	s_cbranch_execz .LBB11_12
	s_branch .LBB11_15
.LBB11_11:                              ;   in Loop: Header=BB11_5 Depth=1
	s_wait_alu 0xfffe
	s_or_b32 exec_lo, exec_lo, s8
	s_delay_alu instid0(SALU_CYCLE_1)
	s_and_b32 vcc_lo, exec_lo, s7
	s_wait_alu 0xfffe
	s_cbranch_vccnz .LBB11_15
.LBB11_12:                              ;   in Loop: Header=BB11_5 Depth=1
	v_dual_mov_b32 v11, v3 :: v_dual_mov_b32 v10, v2
	s_and_saveexec_b32 s7, s56
	s_cbranch_execz .LBB11_3
	s_branch .LBB11_52
.LBB11_13:                              ;   in Loop: Header=BB11_5 Depth=1
	v_mov_b32_e32 v12, 0
.LBB11_14:                              ;   in Loop: Header=BB11_5 Depth=1
	s_mov_b32 s56, exec_lo
	s_wait_alu 0xfffe
	s_or_b32 exec_lo, exec_lo, s8
	s_delay_alu instid0(SALU_CYCLE_1)
	s_and_b32 vcc_lo, exec_lo, s7
	s_wait_alu 0xfffe
	s_cbranch_vccz .LBB11_12
.LBB11_15:                              ;   in Loop: Header=BB11_5 Depth=1
	v_dual_mov_b32 v37, 0 :: v_dual_mov_b32 v38, 0
	v_dual_mov_b32 v41, v18 :: v_dual_mov_b32 v40, 0
	v_mov_b32_e32 v39, 0
	s_and_saveexec_b32 s8, s4
	s_cbranch_execz .LBB11_27
; %bb.16:                               ;   in Loop: Header=BB11_5 Depth=1
	s_mul_u64 s[48:49], s[30:31], s[10:11]
	s_mul_u64 s[58:59], s[34:35], s[10:11]
	s_wait_alu 0xfffe
	v_add_co_u32 v42, vcc_lo, v20, s48
	s_wait_alu 0xfffd
	v_add_co_ci_u32_e64 v43, null, s49, v21, vcc_lo
	v_add_co_u32 v44, vcc_lo, v22, s58
	s_wait_alu 0xfffd
	v_add_co_ci_u32_e64 v45, null, s59, v23, vcc_lo
	;; [unrolled: 3-line block ×8, first 2 shown]
	v_dual_mov_b32 v37, 0 :: v_dual_mov_b32 v38, 0
	v_dual_mov_b32 v41, v18 :: v_dual_mov_b32 v40, 0
	v_mov_b32_e32 v39, 0
	s_mov_b32 s48, 0
	s_branch .LBB11_21
.LBB11_17:                              ;   in Loop: Header=BB11_21 Depth=2
	s_wait_alu 0xfffe
	s_or_b32 exec_lo, exec_lo, s58
	s_wait_loadcnt 0x3
	v_fmac_f32_e32 v39, v59, v73
	s_wait_loadcnt 0x2
	s_delay_alu instid0(VALU_DEP_1) | instskip(SKIP_1) | instid1(VALU_DEP_1)
	v_fmac_f32_e32 v39, v58, v72
	s_wait_loadcnt 0x1
	v_fmac_f32_e32 v39, v60, v71
	s_wait_loadcnt 0x0
	s_delay_alu instid0(VALU_DEP_1)
	v_fmac_f32_e32 v39, v61, v70
.LBB11_18:                              ;   in Loop: Header=BB11_21 Depth=2
	s_or_b32 exec_lo, exec_lo, s57
	s_wait_loadcnt 0x3
	v_fmac_f32_e32 v38, v59, v69
	s_wait_loadcnt 0x2
	s_delay_alu instid0(VALU_DEP_1) | instskip(SKIP_1) | instid1(VALU_DEP_1)
	v_fmac_f32_e32 v38, v58, v68
	s_wait_loadcnt 0x1
	v_fmac_f32_e32 v38, v60, v67
	s_wait_loadcnt 0x0
	s_delay_alu instid0(VALU_DEP_1)
	v_fmac_f32_e32 v38, v61, v66
.LBB11_19:                              ;   in Loop: Header=BB11_21 Depth=2
	s_wait_alu 0xfffe
	s_or_b32 exec_lo, exec_lo, s49
	s_wait_loadcnt 0x3
	v_fmac_f32_e32 v37, v59, v65
	s_wait_loadcnt 0x2
	s_delay_alu instid0(VALU_DEP_1) | instskip(SKIP_1) | instid1(VALU_DEP_1)
	v_fmac_f32_e32 v37, v58, v63
	s_wait_loadcnt 0x1
	v_fmac_f32_e32 v37, v60, v62
	s_wait_loadcnt 0x0
	s_delay_alu instid0(VALU_DEP_1)
	v_fmac_f32_e32 v37, v61, v64
.LBB11_20:                              ;   in Loop: Header=BB11_21 Depth=2
	s_wait_alu 0xfffe
	s_or_b32 exec_lo, exec_lo, s7
	v_add_co_u32 v42, vcc_lo, v42, s24
	s_wait_alu 0xfffd
	v_add_co_ci_u32_e64 v43, null, s25, v43, vcc_lo
	v_add_co_u32 v44, vcc_lo, v44, s44
	s_wait_alu 0xfffd
	v_add_co_ci_u32_e64 v45, null, s45, v45, vcc_lo
	;; [unrolled: 3-line block ×4, first 2 shown]
	v_add_co_u32 v50, vcc_lo, v50, s44
	v_add_nc_u32_e32 v41, 64, v41
	s_wait_alu 0xfffd
	v_add_co_ci_u32_e64 v51, null, s45, v51, vcc_lo
	v_add_co_u32 v52, vcc_lo, v52, s24
	s_wait_alu 0xfffd
	v_add_co_ci_u32_e64 v53, null, s25, v53, vcc_lo
	v_add_co_u32 v54, vcc_lo, v54, s24
	s_wait_alu 0xfffd
	v_add_co_ci_u32_e64 v55, null, s25, v55, vcc_lo
	v_cmp_le_i32_e32 vcc_lo, s52, v41
	v_add_co_u32 v56, s7, v56, s44
	s_wait_alu 0xf1ff
	v_add_co_ci_u32_e64 v57, null, s45, v57, s7
	s_or_b32 s48, vcc_lo, s48
	s_wait_alu 0xfffe
	s_and_not1_b32 exec_lo, exec_lo, s48
	s_cbranch_execz .LBB11_26
.LBB11_21:                              ;   Parent Loop BB11_5 Depth=1
                                        ; =>  This Inner Loop Header: Depth=2
	s_and_saveexec_b32 s7, s0
	s_cbranch_execz .LBB11_20
; %bb.22:                               ;   in Loop: Header=BB11_21 Depth=2
	v_add_co_u32 v10, vcc_lo, v42, s18
	s_wait_alu 0xfffd
	v_add_co_ci_u32_e64 v11, null, s19, v43, vcc_lo
	v_add_co_u32 v12, vcc_lo, v54, s18
	s_wait_alu 0xfffd
	v_add_co_ci_u32_e64 v13, null, s19, v55, vcc_lo
	v_add_co_u32 v14, vcc_lo, v52, s18
	s_wait_alu 0xfffd
	v_add_co_ci_u32_e64 v15, null, s19, v53, vcc_lo
	v_add_co_u32 v61, vcc_lo, v46, s18
	global_load_b32 v59, v[10:11], off
	global_load_b32 v58, v[12:13], off
	global_load_b32 v60, v[14:15], off
	s_wait_alu 0xfffd
	v_add_co_ci_u32_e64 v62, null, s19, v47, vcc_lo
	v_add_co_u32 v10, vcc_lo, v48, v6
	s_wait_alu 0xfffd
	v_add_co_ci_u32_e64 v11, null, v49, v7, vcc_lo
	v_add_co_u32 v12, vcc_lo, v56, v6
	;; [unrolled: 3-line block ×4, first 2 shown]
	s_wait_alu 0xfffd
	v_add_co_ci_u32_e64 v17, null, v45, v7, vcc_lo
	global_load_b32 v61, v[61:62], off
	global_load_b32 v65, v[10:11], off
	;; [unrolled: 1-line block ×5, first 2 shown]
	s_and_saveexec_b32 s49, s1
	s_cbranch_execz .LBB11_19
; %bb.23:                               ;   in Loop: Header=BB11_21 Depth=2
	global_load_b32 v69, v[10:11], off offset:128
	global_load_b32 v68, v[12:13], off offset:128
	global_load_b32 v67, v[14:15], off offset:128
	global_load_b32 v66, v[16:17], off offset:128
	s_and_saveexec_b32 s57, s2
	s_cbranch_execz .LBB11_18
; %bb.24:                               ;   in Loop: Header=BB11_21 Depth=2
	global_load_b32 v73, v[10:11], off offset:256
	global_load_b32 v72, v[12:13], off offset:256
	global_load_b32 v71, v[14:15], off offset:256
	global_load_b32 v70, v[16:17], off offset:256
	;; [unrolled: 7-line block ×3, first 2 shown]
	s_wait_loadcnt 0x3
	v_fmac_f32_e32 v40, v59, v10
	s_wait_loadcnt 0x2
	s_delay_alu instid0(VALU_DEP_1) | instskip(SKIP_1) | instid1(VALU_DEP_1)
	v_fmac_f32_e32 v40, v58, v11
	s_wait_loadcnt 0x1
	v_fmac_f32_e32 v40, v60, v12
	s_wait_loadcnt 0x0
	s_delay_alu instid0(VALU_DEP_1)
	v_fmac_f32_e32 v40, v61, v13
	s_branch .LBB11_17
.LBB11_26:                              ;   in Loop: Header=BB11_5 Depth=1
	s_or_b32 exec_lo, exec_lo, s48
.LBB11_27:                              ;   in Loop: Header=BB11_5 Depth=1
	s_wait_alu 0xfffe
	s_or_b32 exec_lo, exec_lo, s8
	s_delay_alu instid0(SALU_CYCLE_1)
	s_and_not1_b32 vcc_lo, exec_lo, s53
	s_wait_alu 0xfffe
	s_cbranch_vccnz .LBB11_45
; %bb.28:                               ;   in Loop: Header=BB11_5 Depth=1
	v_cmp_gt_i32_e32 vcc_lo, s9, v41
	v_dual_mov_b32 v45, 0 :: v_dual_mov_b32 v44, 0
	v_or_b32_e32 v10, 1, v41
	v_dual_mov_b32 v43, 0 :: v_dual_mov_b32 v42, 0
	s_and_saveexec_b32 s8, vcc_lo
	s_cbranch_execz .LBB11_36
; %bb.29:                               ;   in Loop: Header=BB11_5 Depth=1
	v_mad_co_u64_u32 v[11:12], null, s36, v41, 0
	s_mul_u64 s[48:49], s[38:39], s[10:11]
	v_dual_mov_b32 v43, 0 :: v_dual_mov_b32 v44, 0
	s_wait_alu 0xfffe
	s_lshl_b64 s[48:49], s[48:49], 2
	v_mov_b32_e32 v45, 0
	s_wait_alu 0xfffe
	s_add_nc_u64 s[48:49], s[26:27], s[48:49]
	v_mad_co_u64_u32 v[12:13], null, s37, v41, v[12:13]
	s_mov_b32 s57, exec_lo
	v_lshlrev_b64_e32 v[11:12], 2, v[11:12]
	s_wait_alu 0xfffe
	s_delay_alu instid0(VALU_DEP_1) | instskip(SKIP_1) | instid1(VALU_DEP_2)
	v_add_co_u32 v11, s7, s48, v11
	s_wait_alu 0xf1ff
	v_add_co_ci_u32_e64 v12, null, s49, v12, s7
	global_load_b32 v42, v[11:12], off
	v_cmpx_gt_i32_e64 s9, v10
	s_cbranch_execz .LBB11_35
; %bb.30:                               ;   in Loop: Header=BB11_5 Depth=1
	v_mad_co_u64_u32 v[11:12], null, s36, v10, 0
	v_dual_mov_b32 v44, 0 :: v_dual_mov_b32 v45, 0
	s_mov_b32 s58, exec_lo
	s_delay_alu instid0(VALU_DEP_2) | instskip(NEXT) | instid1(VALU_DEP_1)
	v_mad_co_u64_u32 v[12:13], null, s37, v10, v[12:13]
	v_lshlrev_b64_e32 v[11:12], 2, v[11:12]
	s_delay_alu instid0(VALU_DEP_1) | instskip(SKIP_1) | instid1(VALU_DEP_2)
	v_add_co_u32 v11, s7, s48, v11
	s_wait_alu 0xf1ff
	v_add_co_ci_u32_e64 v12, null, s49, v12, s7
	global_load_b32 v43, v[11:12], off
	v_or_b32_e32 v11, 2, v41
	s_delay_alu instid0(VALU_DEP_1)
	v_cmpx_gt_i32_e64 s9, v11
	s_cbranch_execz .LBB11_34
; %bb.31:                               ;   in Loop: Header=BB11_5 Depth=1
	v_mad_co_u64_u32 v[12:13], null, s36, v11, 0
	v_mov_b32_e32 v45, 0
	s_mov_b32 s59, exec_lo
	s_delay_alu instid0(VALU_DEP_2) | instskip(NEXT) | instid1(VALU_DEP_1)
	v_mad_co_u64_u32 v[13:14], null, s37, v11, v[13:14]
	v_lshlrev_b64_e32 v[11:12], 2, v[12:13]
	s_delay_alu instid0(VALU_DEP_1) | instskip(SKIP_1) | instid1(VALU_DEP_2)
	v_add_co_u32 v11, s7, s48, v11
	s_wait_alu 0xf1ff
	v_add_co_ci_u32_e64 v12, null, s49, v12, s7
	global_load_b32 v44, v[11:12], off
	v_or_b32_e32 v11, 3, v41
	s_delay_alu instid0(VALU_DEP_1)
	v_cmpx_gt_i32_e64 s9, v11
	s_cbranch_execz .LBB11_33
; %bb.32:                               ;   in Loop: Header=BB11_5 Depth=1
	v_mad_co_u64_u32 v[12:13], null, s36, v11, 0
	s_delay_alu instid0(VALU_DEP_1) | instskip(NEXT) | instid1(VALU_DEP_1)
	v_mad_co_u64_u32 v[13:14], null, s37, v11, v[13:14]
	v_lshlrev_b64_e32 v[11:12], 2, v[12:13]
	s_delay_alu instid0(VALU_DEP_1) | instskip(SKIP_1) | instid1(VALU_DEP_2)
	v_add_co_u32 v11, s7, s48, v11
	s_wait_alu 0xf1ff
	v_add_co_ci_u32_e64 v12, null, s49, v12, s7
	global_load_b32 v45, v[11:12], off
.LBB11_33:                              ;   in Loop: Header=BB11_5 Depth=1
	s_wait_alu 0xfffe
	s_or_b32 exec_lo, exec_lo, s59
.LBB11_34:                              ;   in Loop: Header=BB11_5 Depth=1
	s_wait_alu 0xfffe
	s_or_b32 exec_lo, exec_lo, s58
.LBB11_35:                              ;   in Loop: Header=BB11_5 Depth=1
	s_delay_alu instid0(SALU_CYCLE_1)
	s_or_b32 exec_lo, exec_lo, s57
.LBB11_36:                              ;   in Loop: Header=BB11_5 Depth=1
	s_wait_alu 0xfffe
	s_or_b32 exec_lo, exec_lo, s8
	s_and_saveexec_b32 s48, s0
	s_cbranch_execz .LBB11_44
; %bb.37:                               ;   in Loop: Header=BB11_5 Depth=1
	v_mad_co_u64_u32 v[11:12], null, s20, v41, 0
	v_mad_co_u64_u32 v[13:14], null, s20, v10, 0
	v_or_b32_e32 v50, 2, v41
	v_or_b32_e32 v51, 3, v41
	s_mul_u64 s[58:59], s[22:23], s[10:11]
	s_wait_alu 0xfffe
	s_lshl_b64 s[58:59], s[58:59], 2
	v_cmp_gt_i32_e64 s7, s9, v50
	s_delay_alu instid0(VALU_DEP_4) | instskip(SKIP_4) | instid1(VALU_DEP_2)
	v_mad_co_u64_u32 v[15:16], null, s21, v41, v[12:13]
	v_mad_co_u64_u32 v[16:17], null, s20, v50, 0
	;; [unrolled: 1-line block ×3, first 2 shown]
	s_wait_alu 0xfffe
	s_add_nc_u64 s[58:59], s[16:17], s[58:59]
	v_dual_cndmask_b32 v12, 0, v15 :: v_dual_mov_b32 v15, v17
	s_delay_alu instid0(VALU_DEP_2) | instskip(NEXT) | instid1(VALU_DEP_2)
	v_mov_b32_e32 v17, v47
	v_mad_co_u64_u32 v[48:49], null, s21, v10, v[14:15]
	v_cndmask_b32_e32 v11, 0, v11, vcc_lo
	v_cmp_gt_i32_e32 vcc_lo, s9, v10
	s_wait_alu 0xfffd
	s_delay_alu instid0(VALU_DEP_3) | instskip(NEXT) | instid1(VALU_DEP_3)
	v_dual_cndmask_b32 v13, 0, v13 :: v_dual_cndmask_b32 v14, 0, v48
	v_lshlrev_b64_e32 v[11:12], 2, v[11:12]
	s_wait_alu 0xfffe
	s_delay_alu instid0(VALU_DEP_1) | instskip(SKIP_1) | instid1(VALU_DEP_2)
	v_add_co_u32 v10, s8, s58, v11
	s_wait_alu 0xf1ff
	v_add_co_ci_u32_e64 v11, null, s59, v12, s8
	v_lshlrev_b64_e32 v[12:13], 2, v[13:14]
	s_delay_alu instid0(VALU_DEP_3) | instskip(SKIP_1) | instid1(VALU_DEP_3)
	v_add_co_u32 v10, vcc_lo, v10, v6
	s_wait_alu 0xfffd
	v_add_co_ci_u32_e64 v11, null, v11, v7, vcc_lo
	v_cmp_gt_i32_e32 vcc_lo, s9, v51
	v_cndmask_b32_e64 v14, 0, v16, s7
	s_wait_alu 0xfffd
	v_cndmask_b32_e32 v46, 0, v46, vcc_lo
	v_mad_co_u64_u32 v[49:50], null, s21, v50, v[15:16]
	v_mad_co_u64_u32 v[16:17], null, s21, v51, v[17:18]
	s_delay_alu instid0(VALU_DEP_2) | instskip(SKIP_1) | instid1(VALU_DEP_3)
	v_cndmask_b32_e64 v15, 0, v49, s7
	v_add_co_u32 v12, s7, s58, v12
	v_cndmask_b32_e32 v47, 0, v16, vcc_lo
	s_wait_alu 0xf1ff
	v_add_co_ci_u32_e64 v13, null, s59, v13, s7
	v_lshlrev_b64_e32 v[14:15], 2, v[14:15]
	v_add_co_u32 v12, vcc_lo, v12, v6
	v_lshlrev_b64_e32 v[16:17], 2, v[46:47]
	s_wait_alu 0xfffd
	v_add_co_ci_u32_e64 v13, null, v13, v7, vcc_lo
	s_delay_alu instid0(VALU_DEP_4)
	v_add_co_u32 v14, vcc_lo, s58, v14
	s_wait_alu 0xfffd
	v_add_co_ci_u32_e64 v15, null, s59, v15, vcc_lo
	v_add_co_u32 v41, vcc_lo, s58, v16
	s_wait_alu 0xfffd
	v_add_co_ci_u32_e64 v46, null, s59, v17, vcc_lo
	;; [unrolled: 3-line block ×4, first 2 shown]
	s_clause 0x3
	global_load_b32 v48, v[10:11], off
	global_load_b32 v46, v[12:13], off
	;; [unrolled: 1-line block ×4, first 2 shown]
	s_and_saveexec_b32 s7, s1
	s_cbranch_execz .LBB11_43
; %bb.38:                               ;   in Loop: Header=BB11_5 Depth=1
	s_clause 0x3
	global_load_b32 v52, v[10:11], off offset:128
	global_load_b32 v51, v[12:13], off offset:128
	global_load_b32 v50, v[16:17], off offset:128
	global_load_b32 v49, v[14:15], off offset:128
	s_and_saveexec_b32 s8, s2
	s_cbranch_execz .LBB11_42
; %bb.39:                               ;   in Loop: Header=BB11_5 Depth=1
	s_clause 0x3
	global_load_b32 v56, v[10:11], off offset:256
	global_load_b32 v55, v[12:13], off offset:256
	global_load_b32 v54, v[16:17], off offset:256
	global_load_b32 v53, v[14:15], off offset:256
	;; [unrolled: 8-line block ×3, first 2 shown]
	s_wait_loadcnt 0x3
	v_fmac_f32_e32 v40, v42, v10
	s_wait_loadcnt 0x2
	s_delay_alu instid0(VALU_DEP_1) | instskip(SKIP_1) | instid1(VALU_DEP_1)
	v_fmac_f32_e32 v40, v43, v11
	s_wait_loadcnt 0x1
	v_fmac_f32_e32 v40, v44, v12
	s_wait_loadcnt 0x0
	s_delay_alu instid0(VALU_DEP_1)
	v_fmac_f32_e32 v40, v45, v13
.LBB11_41:                              ;   in Loop: Header=BB11_5 Depth=1
	s_wait_alu 0xfffe
	s_or_b32 exec_lo, exec_lo, s49
	s_wait_loadcnt 0x3
	v_fmac_f32_e32 v39, v42, v56
	s_wait_loadcnt 0x2
	s_delay_alu instid0(VALU_DEP_1) | instskip(SKIP_1) | instid1(VALU_DEP_1)
	v_fmac_f32_e32 v39, v43, v55
	s_wait_loadcnt 0x1
	v_fmac_f32_e32 v39, v44, v54
	s_wait_loadcnt 0x0
	s_delay_alu instid0(VALU_DEP_1)
	v_fmac_f32_e32 v39, v45, v53
.LBB11_42:                              ;   in Loop: Header=BB11_5 Depth=1
	s_wait_alu 0xfffe
	s_or_b32 exec_lo, exec_lo, s8
	s_wait_loadcnt 0x3
	v_fmac_f32_e32 v38, v42, v52
	s_wait_loadcnt 0x2
	s_delay_alu instid0(VALU_DEP_1) | instskip(SKIP_1) | instid1(VALU_DEP_1)
	v_fmac_f32_e32 v38, v43, v51
	s_wait_loadcnt 0x1
	v_fmac_f32_e32 v38, v44, v50
	s_wait_loadcnt 0x0
	s_delay_alu instid0(VALU_DEP_1)
	v_fmac_f32_e32 v38, v45, v49
.LBB11_43:                              ;   in Loop: Header=BB11_5 Depth=1
	s_wait_alu 0xfffe
	s_or_b32 exec_lo, exec_lo, s7
	s_wait_loadcnt 0x3
	v_fmac_f32_e32 v37, v42, v48
	s_wait_loadcnt 0x2
	s_delay_alu instid0(VALU_DEP_1) | instskip(SKIP_1) | instid1(VALU_DEP_1)
	v_fmac_f32_e32 v37, v43, v46
	s_wait_loadcnt 0x1
	v_fmac_f32_e32 v37, v44, v41
	s_wait_loadcnt 0x0
	s_delay_alu instid0(VALU_DEP_1)
	v_fmac_f32_e32 v37, v45, v47
.LBB11_44:                              ;   in Loop: Header=BB11_5 Depth=1
	s_wait_alu 0xfffe
	s_or_b32 exec_lo, exec_lo, s48
.LBB11_45:                              ;   in Loop: Header=BB11_5 Depth=1
	ds_store_2addr_b32 v0, v37, v38 offset1:32
	ds_store_2addr_b32 v0, v39, v40 offset0:64 offset1:96
	s_wait_loadcnt_dscnt 0x0
	s_barrier_signal -1
	s_barrier_wait -1
	global_inv scope:SCOPE_SE
                                        ; implicit-def: $vgpr12
	s_and_saveexec_b32 s7, s5
	s_cbranch_execz .LBB11_51
; %bb.46:                               ;   in Loop: Header=BB11_5 Depth=1
	ds_load_2addr_stride64_b32 v[10:11], v19 offset1:2
	ds_load_2addr_stride64_b32 v[12:13], v19 offset0:4 offset1:6
	ds_load_2addr_stride64_b32 v[14:15], v19 offset0:8 offset1:10
	s_mov_b32 s48, s56
	s_wait_dscnt 0x2
	v_add_f32_e32 v16, v10, v11
	ds_load_2addr_stride64_b32 v[10:11], v19 offset0:12 offset1:14
	s_wait_dscnt 0x2
	v_add_f32_e32 v12, v12, v16
	s_delay_alu instid0(VALU_DEP_1) | instskip(SKIP_3) | instid1(VALU_DEP_1)
	v_add_f32_e32 v16, v13, v12
	ds_load_2addr_stride64_b32 v[12:13], v19 offset0:16 offset1:18
	s_wait_dscnt 0x2
	v_add_f32_e32 v14, v14, v16
	v_add_f32_e32 v16, v15, v14
	ds_load_2addr_stride64_b32 v[14:15], v19 offset0:20 offset1:22
	s_wait_dscnt 0x2
	v_add_f32_e32 v10, v10, v16
	s_delay_alu instid0(VALU_DEP_1) | instskip(SKIP_1) | instid1(VALU_DEP_1)
	v_add_f32_e32 v10, v11, v10
	s_wait_dscnt 0x1
	v_add_f32_e32 v12, v12, v10
	ds_load_2addr_stride64_b32 v[10:11], v19 offset0:24 offset1:26
	v_add_f32_e32 v12, v13, v12
	s_wait_dscnt 0x1
	s_delay_alu instid0(VALU_DEP_1) | instskip(SKIP_3) | instid1(VALU_DEP_1)
	v_add_f32_e32 v14, v14, v12
	ds_load_2addr_stride64_b32 v[12:13], v19 offset0:28 offset1:30
	v_add_f32_e32 v14, v15, v14
	s_wait_dscnt 0x1
	v_add_f32_e32 v10, v10, v14
	s_delay_alu instid0(VALU_DEP_1) | instskip(SKIP_1) | instid1(VALU_DEP_1)
	v_add_f32_e32 v10, v11, v10
	s_wait_dscnt 0x0
	v_add_f32_e32 v10, v12, v10
                                        ; implicit-def: $vgpr12
	s_delay_alu instid0(VALU_DEP_1)
	v_add_f32_e32 v10, v13, v10
	ds_store_b32 v19, v10
	s_and_saveexec_b32 s8, s6
	s_cbranch_execz .LBB11_50
; %bb.47:                               ;   in Loop: Header=BB11_5 Depth=1
	v_mul_f32_e32 v12, v36, v10
	s_cmp_eq_f32 s55, 0
	s_cbranch_scc1 .LBB11_49
; %bb.48:                               ;   in Loop: Header=BB11_5 Depth=1
	v_lshlrev_b64_e32 v[10:11], 2, v[4:5]
	s_delay_alu instid0(VALU_DEP_1) | instskip(SKIP_1) | instid1(VALU_DEP_2)
	v_add_co_u32 v10, vcc_lo, s46, v10
	s_wait_alu 0xfffd
	v_add_co_ci_u32_e64 v11, null, s47, v11, vcc_lo
	global_load_b32 v10, v[10:11], off
	s_wait_loadcnt 0x0
	v_fmac_f32_e32 v12, s55, v10
.LBB11_49:                              ;   in Loop: Header=BB11_5 Depth=1
	s_or_b32 s48, s56, exec_lo
.LBB11_50:                              ;   in Loop: Header=BB11_5 Depth=1
	s_wait_alu 0xfffe
	s_or_b32 exec_lo, exec_lo, s8
	s_delay_alu instid0(SALU_CYCLE_1)
	s_and_not1_b32 s8, s56, exec_lo
	s_and_b32 s48, s48, exec_lo
	s_wait_alu 0xfffe
	s_or_b32 s56, s8, s48
.LBB11_51:                              ;   in Loop: Header=BB11_5 Depth=1
	s_wait_alu 0xfffe
	s_or_b32 exec_lo, exec_lo, s7
	v_dual_mov_b32 v11, v5 :: v_dual_mov_b32 v10, v4
	s_and_saveexec_b32 s7, s56
	s_cbranch_execz .LBB11_3
.LBB11_52:                              ;   in Loop: Header=BB11_5 Depth=1
	s_delay_alu instid0(VALU_DEP_1) | instskip(SKIP_1) | instid1(VALU_DEP_1)
	v_lshlrev_b64_e32 v[10:11], 2, v[10:11]
	s_wait_alu 0xfffe
	v_add_co_u32 v10, vcc_lo, s46, v10
	s_wait_alu 0xfffd
	s_delay_alu instid0(VALU_DEP_2)
	v_add_co_ci_u32_e64 v11, null, s47, v11, vcc_lo
	global_store_b32 v[10:11], v12, off
	s_branch .LBB11_3
.LBB11_53:
	s_endpgm
	.section	.rodata,"a",@progbits
	.p2align	6, 0x0
	.amdhsa_kernel _ZL20rocblas_gemvn_kernelILi32ELi16ElfPKffEviiT3_lPKT2_lT1_lS5_lS6_lS2_lPT4_lS6_li
		.amdhsa_group_segment_fixed_size 8192
		.amdhsa_private_segment_fixed_size 0
		.amdhsa_kernarg_size 400
		.amdhsa_user_sgpr_count 2
		.amdhsa_user_sgpr_dispatch_ptr 0
		.amdhsa_user_sgpr_queue_ptr 0
		.amdhsa_user_sgpr_kernarg_segment_ptr 1
		.amdhsa_user_sgpr_dispatch_id 0
		.amdhsa_user_sgpr_private_segment_size 0
		.amdhsa_wavefront_size32 1
		.amdhsa_uses_dynamic_stack 0
		.amdhsa_enable_private_segment 0
		.amdhsa_system_sgpr_workgroup_id_x 1
		.amdhsa_system_sgpr_workgroup_id_y 0
		.amdhsa_system_sgpr_workgroup_id_z 1
		.amdhsa_system_sgpr_workgroup_info 0
		.amdhsa_system_vgpr_workitem_id 1
		.amdhsa_next_free_vgpr 74
		.amdhsa_next_free_sgpr 60
		.amdhsa_reserve_vcc 1
		.amdhsa_float_round_mode_32 0
		.amdhsa_float_round_mode_16_64 0
		.amdhsa_float_denorm_mode_32 3
		.amdhsa_float_denorm_mode_16_64 3
		.amdhsa_fp16_overflow 0
		.amdhsa_workgroup_processor_mode 1
		.amdhsa_memory_ordered 1
		.amdhsa_forward_progress 1
		.amdhsa_inst_pref_size 30
		.amdhsa_round_robin_scheduling 0
		.amdhsa_exception_fp_ieee_invalid_op 0
		.amdhsa_exception_fp_denorm_src 0
		.amdhsa_exception_fp_ieee_div_zero 0
		.amdhsa_exception_fp_ieee_overflow 0
		.amdhsa_exception_fp_ieee_underflow 0
		.amdhsa_exception_fp_ieee_inexact 0
		.amdhsa_exception_int_div_zero 0
	.end_amdhsa_kernel
	.section	.text._ZL20rocblas_gemvn_kernelILi32ELi16ElfPKffEviiT3_lPKT2_lT1_lS5_lS6_lS2_lPT4_lS6_li,"axG",@progbits,_ZL20rocblas_gemvn_kernelILi32ELi16ElfPKffEviiT3_lPKT2_lT1_lS5_lS6_lS2_lPT4_lS6_li,comdat
.Lfunc_end11:
	.size	_ZL20rocblas_gemvn_kernelILi32ELi16ElfPKffEviiT3_lPKT2_lT1_lS5_lS6_lS2_lPT4_lS6_li, .Lfunc_end11-_ZL20rocblas_gemvn_kernelILi32ELi16ElfPKffEviiT3_lPKT2_lT1_lS5_lS6_lS2_lPT4_lS6_li
                                        ; -- End function
	.set _ZL20rocblas_gemvn_kernelILi32ELi16ElfPKffEviiT3_lPKT2_lT1_lS5_lS6_lS2_lPT4_lS6_li.num_vgpr, 74
	.set _ZL20rocblas_gemvn_kernelILi32ELi16ElfPKffEviiT3_lPKT2_lT1_lS5_lS6_lS2_lPT4_lS6_li.num_agpr, 0
	.set _ZL20rocblas_gemvn_kernelILi32ELi16ElfPKffEviiT3_lPKT2_lT1_lS5_lS6_lS2_lPT4_lS6_li.numbered_sgpr, 60
	.set _ZL20rocblas_gemvn_kernelILi32ELi16ElfPKffEviiT3_lPKT2_lT1_lS5_lS6_lS2_lPT4_lS6_li.num_named_barrier, 0
	.set _ZL20rocblas_gemvn_kernelILi32ELi16ElfPKffEviiT3_lPKT2_lT1_lS5_lS6_lS2_lPT4_lS6_li.private_seg_size, 0
	.set _ZL20rocblas_gemvn_kernelILi32ELi16ElfPKffEviiT3_lPKT2_lT1_lS5_lS6_lS2_lPT4_lS6_li.uses_vcc, 1
	.set _ZL20rocblas_gemvn_kernelILi32ELi16ElfPKffEviiT3_lPKT2_lT1_lS5_lS6_lS2_lPT4_lS6_li.uses_flat_scratch, 0
	.set _ZL20rocblas_gemvn_kernelILi32ELi16ElfPKffEviiT3_lPKT2_lT1_lS5_lS6_lS2_lPT4_lS6_li.has_dyn_sized_stack, 0
	.set _ZL20rocblas_gemvn_kernelILi32ELi16ElfPKffEviiT3_lPKT2_lT1_lS5_lS6_lS2_lPT4_lS6_li.has_recursion, 0
	.set _ZL20rocblas_gemvn_kernelILi32ELi16ElfPKffEviiT3_lPKT2_lT1_lS5_lS6_lS2_lPT4_lS6_li.has_indirect_call, 0
	.section	.AMDGPU.csdata,"",@progbits
; Kernel info:
; codeLenInByte = 3840
; TotalNumSgprs: 62
; NumVgprs: 74
; ScratchSize: 0
; MemoryBound: 0
; FloatMode: 240
; IeeeMode: 1
; LDSByteSize: 8192 bytes/workgroup (compile time only)
; SGPRBlocks: 0
; VGPRBlocks: 9
; NumSGPRsForWavesPerEU: 62
; NumVGPRsForWavesPerEU: 74
; Occupancy: 16
; WaveLimiterHint : 1
; COMPUTE_PGM_RSRC2:SCRATCH_EN: 0
; COMPUTE_PGM_RSRC2:USER_SGPR: 2
; COMPUTE_PGM_RSRC2:TRAP_HANDLER: 0
; COMPUTE_PGM_RSRC2:TGID_X_EN: 1
; COMPUTE_PGM_RSRC2:TGID_Y_EN: 0
; COMPUTE_PGM_RSRC2:TGID_Z_EN: 1
; COMPUTE_PGM_RSRC2:TIDIG_COMP_CNT: 1
	.section	.text._ZL20rocblas_gemvn_kernelILi32ELi16EifffEviiT3_lPKT2_lT1_lS3_lS4_lS0_lPT4_lS4_li,"axG",@progbits,_ZL20rocblas_gemvn_kernelILi32ELi16EifffEviiT3_lPKT2_lT1_lS3_lS4_lS0_lPT4_lS4_li,comdat
	.globl	_ZL20rocblas_gemvn_kernelILi32ELi16EifffEviiT3_lPKT2_lT1_lS3_lS4_lS0_lPT4_lS4_li ; -- Begin function _ZL20rocblas_gemvn_kernelILi32ELi16EifffEviiT3_lPKT2_lT1_lS3_lS4_lS0_lPT4_lS4_li
	.p2align	8
	.type	_ZL20rocblas_gemvn_kernelILi32ELi16EifffEviiT3_lPKT2_lT1_lS3_lS4_lS0_lPT4_lS4_li,@function
_ZL20rocblas_gemvn_kernelILi32ELi16EifffEviiT3_lPKT2_lT1_lS3_lS4_lS0_lPT4_lS4_li: ; @_ZL20rocblas_gemvn_kernelILi32ELi16EifffEviiT3_lPKT2_lT1_lS3_lS4_lS0_lPT4_lS4_li
; %bb.0:
	s_load_b64 s[2:3], s[0:1], 0x9c
	s_wait_kmcnt 0x0
	s_lshr_b32 s4, s2, 16
	s_and_b32 s2, s2, 0xffff
	s_and_b32 s3, s3, 0xffff
	s_mul_i32 s2, s4, s2
	s_delay_alu instid0(SALU_CYCLE_1) | instskip(NEXT) | instid1(SALU_CYCLE_1)
	s_mul_i32 s2, s2, s3
	s_cmp_lg_u32 s2, 0x200
	s_cbranch_scc1 .LBB12_53
; %bb.1:
	s_load_b32 s19, s[0:1], 0x88
	s_lshr_b32 s28, ttmp7, 16
	s_wait_kmcnt 0x0
	s_cmp_ge_u32 s28, s19
	s_cbranch_scc1 .LBB12_53
; %bb.2:
	s_clause 0x8
	s_load_b128 s[4:7], s[0:1], 0x18
	s_load_b96 s[16:18], s[0:1], 0x40
	s_load_b128 s[12:15], s[0:1], 0x68
	s_load_b32 s34, s[0:1], 0x78
	s_load_b96 s[20:22], s[0:1], 0x0
	s_load_b32 s23, s[0:1], 0x28
	s_load_b128 s[8:11], s[0:1], 0x30
	s_load_b96 s[24:26], s[0:1], 0x50
	s_load_b64 s[30:31], s[0:1], 0x80
	v_dual_mov_b32 v4, 0 :: v_dual_and_b32 v7, 0x3ff, v0
	v_bfe_u32 v6, v0, 10, 10
	s_mov_b32 s29, 0
	s_delay_alu instid0(VALU_DEP_2) | instskip(NEXT) | instid1(VALU_DEP_2)
	v_lshlrev_b32_e32 v5, 2, v7
	v_lshl_add_u32 v8, v6, 5, v7
	v_lshlrev_b32_e32 v19, 2, v6
	s_delay_alu instid0(VALU_DEP_3)
	v_lshl_add_u32 v20, v6, 9, v5
	s_wait_kmcnt 0x0
	s_lshl_b64 s[0:1], s[6:7], 2
	s_lshl_b64 s[2:3], s[16:17], 2
	;; [unrolled: 1-line block ×3, first 2 shown]
	s_ashr_i32 s35, s34, 31
	s_cmp_eq_f32 s22, 0
	s_add_nc_u64 s[14:15], s[4:5], s[0:1]
	v_mul_lo_u32 v9, s23, v19
	s_mov_b32 s16, s20
	s_cselect_b32 s27, -1, 0
	s_cmp_neq_f32 s22, 0
	s_add_nc_u64 s[12:13], s[12:13], s[6:7]
	v_lshl_add_u32 v22, v6, 7, v5
	s_add_nc_u64 s[10:11], s[10:11], s[2:3]
	s_cselect_b32 s36, -1, 0
	s_cmp_neq_f32 s26, 1.0
	v_add3_u32 v23, v9, s23, v7
	v_or_b32_e32 v9, 3, v19
	s_cselect_b32 s0, -1, 0
	s_lshl_b32 s33, ttmp9, 7
	s_ashr_i32 s17, s20, 31
	v_add_nc_u32_e32 v3, s33, v8
	v_or_b32_e32 v10, s33, v8
	s_or_b32 s38, s36, s0
	s_cmp_neq_f32 s26, 0
	v_add_nc_u32_e32 v21, s33, v7
	v_mad_co_u64_u32 v[0:1], null, s34, v3, 0
	v_mul_lo_u32 v2, s34, v10
	s_cselect_b32 s39, -1, 0
	s_ashr_i32 s1, s21, 31
	v_cmp_gt_i64_e32 vcc_lo, s[16:17], v[3:4]
	s_lshr_b32 s1, s1, 26
	v_add_nc_u32_e32 v11, 32, v21
	s_add_co_i32 s40, s21, s1
	v_cmp_gt_i32_e64 s6, s20, v10
	v_mad_co_u64_u32 v[3:4], null, s35, v3, v[1:2]
	s_and_not1_b32 s40, s40, 63
	v_mul_lo_u32 v10, v6, s23
	s_sub_co_i32 s5, s21, s40
	v_cmp_gt_i32_e64 s1, s20, v11
	s_cmp_gt_i32 s5, 0
	v_cmp_gt_u32_e64 s5, 0x80, v8
	v_or_b32_e32 v8, 2, v19
	v_mul_lo_u32 v11, v6, s18
	v_dual_mov_b32 v1, v3 :: v_dual_add_nc_u32 v12, 64, v21
	v_ashrrev_i32_e32 v3, 31, v2
	v_add_nc_u32_e32 v13, 0x60, v21
	v_mad_co_u64_u32 v[4:5], null, s23, v8, v[7:8]
	s_mov_b32 s16, s18
	v_mad_co_u64_u32 v[5:6], null, s23, v9, v[7:8]
	v_lshl_add_u32 v24, v10, 2, v7
	s_wait_alu 0xfffe
	v_mad_co_u64_u32 v[6:7], null, s18, v19, s[16:17]
	v_mul_lo_u32 v25, s18, v8
	v_mul_lo_u32 v26, s18, v9
	v_lshlrev_b64_e32 v[7:8], 2, v[0:1]
	v_lshlrev_b64_e32 v[9:10], 2, v[2:3]
	v_cmp_gt_i32_e64 s0, s20, v21
	v_cmp_gt_i32_e64 s2, s20, v12
	;; [unrolled: 1-line block ×4, first 2 shown]
	v_lshlrev_b32_e32 v27, 2, v11
	s_cselect_b32 s20, -1, 0
	s_and_b32 s41, s5, vcc_lo
	s_lshl_b32 s42, s23, 6
	s_lshl_b32 s43, s18, 6
	s_branch .LBB12_5
.LBB12_3:                               ;   in Loop: Header=BB12_5 Depth=1
	s_wait_alu 0xfffe
	s_or_b32 exec_lo, exec_lo, s7
.LBB12_4:                               ;   in Loop: Header=BB12_5 Depth=1
	s_add_co_i32 s28, s28, 0x10000
	s_delay_alu instid0(SALU_CYCLE_1)
	s_cmp_lt_u32 s28, s19
	s_cbranch_scc0 .LBB12_53
.LBB12_5:                               ; =>This Loop Header: Depth=1
                                        ;     Child Loop BB12_21 Depth 2
	s_and_not1_b32 vcc_lo, exec_lo, s38
	s_wait_alu 0xfffe
	s_cbranch_vccnz .LBB12_4
; %bb.6:                                ;   in Loop: Header=BB12_5 Depth=1
	s_mul_u64 s[16:17], s[30:31], s[28:29]
	s_and_not1_b32 vcc_lo, exec_lo, s27
	s_wait_alu 0xfffe
	s_lshl_b64 s[16:17], s[16:17], 2
	s_wait_alu 0xfffe
	s_add_nc_u64 s[16:17], s[12:13], s[16:17]
	s_cbranch_vccnz .LBB12_10
; %bb.7:                                ;   in Loop: Header=BB12_5 Depth=1
	s_mov_b32 s7, 0
	s_mov_b32 s44, 0
                                        ; implicit-def: $vgpr13
	s_and_saveexec_b32 s34, s41
	s_cbranch_execz .LBB12_11
; %bb.8:                                ;   in Loop: Header=BB12_5 Depth=1
	s_and_not1_b32 vcc_lo, exec_lo, s39
	s_wait_alu 0xfffe
	s_cbranch_vccnz .LBB12_13
; %bb.9:                                ;   in Loop: Header=BB12_5 Depth=1
	v_add_co_u32 v11, vcc_lo, s16, v7
	s_wait_alu 0xfffd
	v_add_co_ci_u32_e64 v12, null, s17, v8, vcc_lo
	global_load_b32 v11, v[11:12], off
	s_wait_loadcnt 0x0
	v_mul_f32_e32 v13, s26, v11
	s_branch .LBB12_14
.LBB12_10:                              ;   in Loop: Header=BB12_5 Depth=1
	s_mov_b32 s44, 0
                                        ; implicit-def: $vgpr13
	s_cbranch_execz .LBB12_12
	s_branch .LBB12_15
.LBB12_11:                              ;   in Loop: Header=BB12_5 Depth=1
	s_wait_alu 0xfffe
	s_or_b32 exec_lo, exec_lo, s34
	s_delay_alu instid0(SALU_CYCLE_1)
	s_and_b32 vcc_lo, exec_lo, s7
	s_wait_alu 0xfffe
	s_cbranch_vccnz .LBB12_15
.LBB12_12:                              ;   in Loop: Header=BB12_5 Depth=1
	v_dual_mov_b32 v12, v1 :: v_dual_mov_b32 v11, v0
	s_and_saveexec_b32 s7, s44
	s_cbranch_execz .LBB12_3
	s_branch .LBB12_52
.LBB12_13:                              ;   in Loop: Header=BB12_5 Depth=1
	v_mov_b32_e32 v13, 0
.LBB12_14:                              ;   in Loop: Header=BB12_5 Depth=1
	s_mov_b32 s44, exec_lo
	s_wait_alu 0xfffe
	s_or_b32 exec_lo, exec_lo, s34
	s_delay_alu instid0(SALU_CYCLE_1)
	s_and_b32 vcc_lo, exec_lo, s7
	s_wait_alu 0xfffe
	s_cbranch_vccz .LBB12_12
.LBB12_15:                              ;   in Loop: Header=BB12_5 Depth=1
	s_mul_u64 s[34:35], s[8:9], s[28:29]
	s_mul_u64 s[36:37], s[24:25], s[28:29]
	v_dual_mov_b32 v28, 0 :: v_dual_mov_b32 v29, 0
	v_dual_mov_b32 v32, v19 :: v_dual_mov_b32 v31, 0
	v_mov_b32_e32 v30, 0
	s_wait_alu 0xfffe
	s_lshl_b64 s[34:35], s[34:35], 2
	s_lshl_b64 s[36:37], s[36:37], 2
	s_wait_alu 0xfffe
	s_add_nc_u64 s[34:35], s[14:15], s[34:35]
	s_add_nc_u64 s[36:37], s[10:11], s[36:37]
	s_and_saveexec_b32 s7, s4
	s_cbranch_execz .LBB12_27
; %bb.16:                               ;   in Loop: Header=BB12_5 Depth=1
	v_dual_mov_b32 v28, 0 :: v_dual_mov_b32 v33, v24
	v_dual_mov_b32 v34, v5 :: v_dual_mov_b32 v35, v4
	;; [unrolled: 1-line block ×4, first 2 shown]
	v_mov_b32_e32 v30, 0
	s_mov_b32 s45, 0
	s_mov_b32 s46, 0
	s_branch .LBB12_21
.LBB12_17:                              ;   in Loop: Header=BB12_21 Depth=2
	s_or_b32 exec_lo, exec_lo, s50
	s_wait_loadcnt 0x3
	v_fmac_f32_e32 v30, v40, v52
	s_wait_loadcnt 0x2
	s_delay_alu instid0(VALU_DEP_1) | instskip(SKIP_1) | instid1(VALU_DEP_1)
	v_fmac_f32_e32 v30, v39, v51
	s_wait_loadcnt 0x1
	v_fmac_f32_e32 v30, v38, v50
	s_wait_loadcnt 0x0
	s_delay_alu instid0(VALU_DEP_1)
	v_fmac_f32_e32 v30, v37, v49
.LBB12_18:                              ;   in Loop: Header=BB12_21 Depth=2
	s_or_b32 exec_lo, exec_lo, s49
	s_wait_loadcnt 0x3
	v_fmac_f32_e32 v29, v40, v48
	s_wait_loadcnt 0x2
	s_delay_alu instid0(VALU_DEP_1) | instskip(SKIP_1) | instid1(VALU_DEP_1)
	v_fmac_f32_e32 v29, v39, v47
	s_wait_loadcnt 0x1
	v_fmac_f32_e32 v29, v38, v46
	s_wait_loadcnt 0x0
	s_delay_alu instid0(VALU_DEP_1)
	v_fmac_f32_e32 v29, v37, v45
.LBB12_19:                              ;   in Loop: Header=BB12_21 Depth=2
	s_or_b32 exec_lo, exec_lo, s48
	s_wait_loadcnt 0x3
	v_fmac_f32_e32 v28, v40, v44
	s_wait_loadcnt 0x2
	s_delay_alu instid0(VALU_DEP_1) | instskip(SKIP_1) | instid1(VALU_DEP_1)
	v_fmac_f32_e32 v28, v39, v42
	s_wait_loadcnt 0x1
	v_fmac_f32_e32 v28, v38, v41
	s_wait_loadcnt 0x0
	s_delay_alu instid0(VALU_DEP_1)
	v_fmac_f32_e32 v28, v37, v43
.LBB12_20:                              ;   in Loop: Header=BB12_21 Depth=2
	s_wait_alu 0xfffe
	s_or_b32 exec_lo, exec_lo, s47
	v_add_nc_u32_e32 v32, 64, v32
	v_add_nc_u32_e32 v36, s42, v36
	;; [unrolled: 1-line block ×5, first 2 shown]
	v_cmp_le_i32_e32 vcc_lo, s40, v32
	s_add_co_i32 s46, s46, s43
	s_or_b32 s45, vcc_lo, s45
	s_delay_alu instid0(SALU_CYCLE_1)
	s_and_not1_b32 exec_lo, exec_lo, s45
	s_cbranch_execz .LBB12_26
.LBB12_21:                              ;   Parent Loop BB12_5 Depth=1
                                        ; =>  This Inner Loop Header: Depth=2
	s_and_saveexec_b32 s47, s0
	s_cbranch_execz .LBB12_20
; %bb.22:                               ;   in Loop: Header=BB12_21 Depth=2
	s_wait_alu 0xfffe
	v_add_nc_u32_e32 v11, s46, v27
	v_add_nc_u32_e32 v13, s46, v6
	v_add_nc_u32_e32 v15, s46, v25
	v_add_nc_u32_e32 v17, s46, v26
	v_add_nc_u32_e32 v37, s33, v33
	v_ashrrev_i32_e32 v12, 31, v11
	v_ashrrev_i32_e32 v14, 31, v13
	;; [unrolled: 1-line block ×5, first 2 shown]
	v_lshlrev_b64_e32 v[11:12], 2, v[11:12]
	v_lshlrev_b64_e32 v[13:14], 2, v[13:14]
	v_lshlrev_b64_e32 v[15:16], 2, v[15:16]
	s_delay_alu instid0(VALU_DEP_3) | instskip(SKIP_1) | instid1(VALU_DEP_4)
	v_add_co_u32 v39, vcc_lo, s36, v11
	s_wait_alu 0xfffd
	v_add_co_ci_u32_e64 v40, null, s37, v12, vcc_lo
	s_delay_alu instid0(VALU_DEP_4)
	v_add_co_u32 v41, vcc_lo, s36, v13
	v_add_nc_u32_e32 v13, s33, v36
	s_wait_alu 0xfffd
	v_add_co_ci_u32_e64 v42, null, s37, v14, vcc_lo
	v_lshlrev_b64_e32 v[11:12], 2, v[17:18]
	v_add_co_u32 v43, vcc_lo, s36, v15
	v_add_nc_u32_e32 v17, s33, v35
	s_wait_alu 0xfffd
	v_add_co_ci_u32_e64 v44, null, s37, v16, vcc_lo
	v_lshlrev_b64_e32 v[15:16], 2, v[37:38]
	v_add_nc_u32_e32 v37, s33, v34
	v_ashrrev_i32_e32 v14, 31, v13
	v_ashrrev_i32_e32 v18, 31, v17
	v_add_co_u32 v45, vcc_lo, s36, v11
	s_delay_alu instid0(VALU_DEP_4)
	v_ashrrev_i32_e32 v38, 31, v37
	s_wait_alu 0xfffd
	v_add_co_ci_u32_e64 v46, null, s37, v12, vcc_lo
	v_lshlrev_b64_e32 v[13:14], 2, v[13:14]
	v_add_co_u32 v11, vcc_lo, s34, v15
	s_wait_alu 0xfffd
	v_add_co_ci_u32_e64 v12, null, s35, v16, vcc_lo
	v_lshlrev_b64_e32 v[15:16], 2, v[17:18]
	v_lshlrev_b64_e32 v[37:38], 2, v[37:38]
	v_add_co_u32 v13, vcc_lo, s34, v13
	s_wait_alu 0xfffd
	v_add_co_ci_u32_e64 v14, null, s35, v14, vcc_lo
	s_delay_alu instid0(VALU_DEP_4)
	v_add_co_u32 v17, vcc_lo, s34, v15
	s_wait_alu 0xfffd
	v_add_co_ci_u32_e64 v18, null, s35, v16, vcc_lo
	v_add_co_u32 v15, vcc_lo, s34, v37
	s_wait_alu 0xfffd
	v_add_co_ci_u32_e64 v16, null, s35, v38, vcc_lo
	s_clause 0x3
	global_load_b32 v40, v[39:40], off
	global_load_b32 v39, v[41:42], off
	;; [unrolled: 1-line block ×4, first 2 shown]
	s_clause 0x3
	global_load_b32 v44, v[11:12], off
	global_load_b32 v42, v[13:14], off
	;; [unrolled: 1-line block ×4, first 2 shown]
	s_and_saveexec_b32 s48, s1
	s_cbranch_execz .LBB12_19
; %bb.23:                               ;   in Loop: Header=BB12_21 Depth=2
	s_clause 0x3
	global_load_b32 v48, v[11:12], off offset:128
	global_load_b32 v47, v[13:14], off offset:128
	global_load_b32 v46, v[17:18], off offset:128
	global_load_b32 v45, v[15:16], off offset:128
	s_and_saveexec_b32 s49, s2
	s_cbranch_execz .LBB12_18
; %bb.24:                               ;   in Loop: Header=BB12_21 Depth=2
	s_clause 0x3
	global_load_b32 v52, v[11:12], off offset:256
	global_load_b32 v51, v[13:14], off offset:256
	global_load_b32 v50, v[17:18], off offset:256
	global_load_b32 v49, v[15:16], off offset:256
	;; [unrolled: 8-line block ×3, first 2 shown]
	s_wait_loadcnt 0x3
	v_fmac_f32_e32 v31, v40, v11
	s_wait_loadcnt 0x2
	s_delay_alu instid0(VALU_DEP_1) | instskip(SKIP_1) | instid1(VALU_DEP_1)
	v_fmac_f32_e32 v31, v39, v12
	s_wait_loadcnt 0x1
	v_fmac_f32_e32 v31, v38, v13
	s_wait_loadcnt 0x0
	s_delay_alu instid0(VALU_DEP_1)
	v_fmac_f32_e32 v31, v37, v14
	s_branch .LBB12_17
.LBB12_26:                              ;   in Loop: Header=BB12_5 Depth=1
	s_or_b32 exec_lo, exec_lo, s45
.LBB12_27:                              ;   in Loop: Header=BB12_5 Depth=1
	s_wait_alu 0xfffe
	s_or_b32 exec_lo, exec_lo, s7
	s_delay_alu instid0(SALU_CYCLE_1)
	s_and_not1_b32 vcc_lo, exec_lo, s20
	s_wait_alu 0xfffe
	s_cbranch_vccnz .LBB12_45
; %bb.28:                               ;   in Loop: Header=BB12_5 Depth=1
	v_cmp_gt_i32_e32 vcc_lo, s21, v32
	v_dual_mov_b32 v36, 0 :: v_dual_mov_b32 v35, 0
	v_or_b32_e32 v11, 1, v32
	v_dual_mov_b32 v34, 0 :: v_dual_mov_b32 v33, 0
	s_and_saveexec_b32 s45, vcc_lo
	s_cbranch_execz .LBB12_36
; %bb.29:                               ;   in Loop: Header=BB12_5 Depth=1
	v_mul_lo_u32 v12, v32, s18
	v_dual_mov_b32 v34, 0 :: v_dual_mov_b32 v35, 0
	v_mov_b32_e32 v36, 0
	s_mov_b32 s46, exec_lo
	s_delay_alu instid0(VALU_DEP_3) | instskip(NEXT) | instid1(VALU_DEP_1)
	v_ashrrev_i32_e32 v13, 31, v12
	v_lshlrev_b64_e32 v[12:13], 2, v[12:13]
	s_delay_alu instid0(VALU_DEP_1) | instskip(SKIP_1) | instid1(VALU_DEP_2)
	v_add_co_u32 v12, s7, s36, v12
	s_wait_alu 0xf1ff
	v_add_co_ci_u32_e64 v13, null, s37, v13, s7
	global_load_b32 v33, v[12:13], off
	v_cmpx_gt_i32_e64 s21, v11
	s_cbranch_execz .LBB12_35
; %bb.30:                               ;   in Loop: Header=BB12_5 Depth=1
	v_mul_lo_u32 v12, v11, s18
	v_dual_mov_b32 v35, 0 :: v_dual_mov_b32 v36, 0
	s_mov_b32 s47, exec_lo
	s_delay_alu instid0(VALU_DEP_2) | instskip(NEXT) | instid1(VALU_DEP_1)
	v_ashrrev_i32_e32 v13, 31, v12
	v_lshlrev_b64_e32 v[12:13], 2, v[12:13]
	s_delay_alu instid0(VALU_DEP_1) | instskip(SKIP_1) | instid1(VALU_DEP_2)
	v_add_co_u32 v12, s7, s36, v12
	s_wait_alu 0xf1ff
	v_add_co_ci_u32_e64 v13, null, s37, v13, s7
	global_load_b32 v34, v[12:13], off
	v_or_b32_e32 v12, 2, v32
	s_delay_alu instid0(VALU_DEP_1)
	v_cmpx_gt_i32_e64 s21, v12
	s_cbranch_execz .LBB12_34
; %bb.31:                               ;   in Loop: Header=BB12_5 Depth=1
	v_mul_lo_u32 v12, v12, s18
	v_mov_b32_e32 v36, 0
	s_mov_b32 s48, exec_lo
	s_delay_alu instid0(VALU_DEP_2) | instskip(NEXT) | instid1(VALU_DEP_1)
	v_ashrrev_i32_e32 v13, 31, v12
	v_lshlrev_b64_e32 v[12:13], 2, v[12:13]
	s_delay_alu instid0(VALU_DEP_1) | instskip(SKIP_1) | instid1(VALU_DEP_2)
	v_add_co_u32 v12, s7, s36, v12
	s_wait_alu 0xf1ff
	v_add_co_ci_u32_e64 v13, null, s37, v13, s7
	global_load_b32 v35, v[12:13], off
	v_or_b32_e32 v12, 3, v32
	s_delay_alu instid0(VALU_DEP_1)
	v_cmpx_gt_i32_e64 s21, v12
	s_cbranch_execz .LBB12_33
; %bb.32:                               ;   in Loop: Header=BB12_5 Depth=1
	v_mul_lo_u32 v12, v12, s18
	s_delay_alu instid0(VALU_DEP_1) | instskip(NEXT) | instid1(VALU_DEP_1)
	v_ashrrev_i32_e32 v13, 31, v12
	v_lshlrev_b64_e32 v[12:13], 2, v[12:13]
	s_delay_alu instid0(VALU_DEP_1) | instskip(SKIP_1) | instid1(VALU_DEP_2)
	v_add_co_u32 v12, s7, s36, v12
	s_wait_alu 0xf1ff
	v_add_co_ci_u32_e64 v13, null, s37, v13, s7
	global_load_b32 v36, v[12:13], off
.LBB12_33:                              ;   in Loop: Header=BB12_5 Depth=1
	s_or_b32 exec_lo, exec_lo, s48
.LBB12_34:                              ;   in Loop: Header=BB12_5 Depth=1
	s_wait_alu 0xfffe
	s_or_b32 exec_lo, exec_lo, s47
.LBB12_35:                              ;   in Loop: Header=BB12_5 Depth=1
	s_wait_alu 0xfffe
	s_or_b32 exec_lo, exec_lo, s46
.LBB12_36:                              ;   in Loop: Header=BB12_5 Depth=1
	s_delay_alu instid0(SALU_CYCLE_1)
	s_or_b32 exec_lo, exec_lo, s45
	s_and_saveexec_b32 s7, s0
	s_cbranch_execz .LBB12_44
; %bb.37:                               ;   in Loop: Header=BB12_5 Depth=1
	v_mul_lo_u32 v13, v32, s23
	v_or_b32_e32 v12, 2, v32
	v_mul_lo_u32 v15, v11, s23
	v_or_b32_e32 v14, 3, v32
	s_delay_alu instid0(VALU_DEP_3) | instskip(NEXT) | instid1(VALU_DEP_2)
	v_mul_lo_u32 v16, v12, s23
	v_mul_lo_u32 v17, v14, s23
	v_cndmask_b32_e32 v13, 0, v13, vcc_lo
	v_cmp_gt_i32_e32 vcc_lo, s21, v11
	s_wait_alu 0xfffd
	v_cndmask_b32_e32 v15, 0, v15, vcc_lo
	v_cmp_gt_i32_e32 vcc_lo, s21, v12
	s_wait_alu 0xfffd
	v_cndmask_b32_e32 v12, 0, v16, vcc_lo
	v_cmp_gt_i32_e32 vcc_lo, s21, v14
	v_add_nc_u32_e32 v11, v13, v21
	s_wait_alu 0xfffd
	v_cndmask_b32_e32 v14, 0, v17, vcc_lo
	v_add_nc_u32_e32 v13, v15, v21
	v_add_nc_u32_e32 v15, v12, v21
	v_ashrrev_i32_e32 v12, 31, v11
	s_delay_alu instid0(VALU_DEP_4) | instskip(NEXT) | instid1(VALU_DEP_4)
	v_add_nc_u32_e32 v17, v14, v21
	v_ashrrev_i32_e32 v14, 31, v13
	s_delay_alu instid0(VALU_DEP_4) | instskip(NEXT) | instid1(VALU_DEP_4)
	v_ashrrev_i32_e32 v16, 31, v15
	v_lshlrev_b64_e32 v[11:12], 2, v[11:12]
	s_delay_alu instid0(VALU_DEP_4) | instskip(NEXT) | instid1(VALU_DEP_4)
	v_ashrrev_i32_e32 v18, 31, v17
	v_lshlrev_b64_e32 v[13:14], 2, v[13:14]
	s_delay_alu instid0(VALU_DEP_4) | instskip(NEXT) | instid1(VALU_DEP_3)
	v_lshlrev_b64_e32 v[37:38], 2, v[15:16]
	v_lshlrev_b64_e32 v[39:40], 2, v[17:18]
	v_add_co_u32 v17, vcc_lo, s34, v11
	s_wait_alu 0xfffd
	v_add_co_ci_u32_e64 v18, null, s35, v12, vcc_lo
	v_add_co_u32 v15, vcc_lo, s34, v13
	s_wait_alu 0xfffd
	v_add_co_ci_u32_e64 v16, null, s35, v14, vcc_lo
	;; [unrolled: 3-line block ×4, first 2 shown]
	s_clause 0x3
	global_load_b32 v39, v[17:18], off
	global_load_b32 v37, v[15:16], off
	;; [unrolled: 1-line block ×4, first 2 shown]
	s_and_saveexec_b32 s34, s1
	s_cbranch_execz .LBB12_43
; %bb.38:                               ;   in Loop: Header=BB12_5 Depth=1
	s_clause 0x3
	global_load_b32 v43, v[17:18], off offset:128
	global_load_b32 v42, v[15:16], off offset:128
	global_load_b32 v41, v[13:14], off offset:128
	global_load_b32 v40, v[11:12], off offset:128
	s_and_saveexec_b32 s35, s2
	s_cbranch_execz .LBB12_42
; %bb.39:                               ;   in Loop: Header=BB12_5 Depth=1
	s_clause 0x3
	global_load_b32 v47, v[17:18], off offset:256
	global_load_b32 v46, v[15:16], off offset:256
	global_load_b32 v45, v[13:14], off offset:256
	global_load_b32 v44, v[11:12], off offset:256
	;; [unrolled: 8-line block ×3, first 2 shown]
	s_wait_loadcnt 0x3
	v_fmac_f32_e32 v31, v33, v17
	s_wait_loadcnt 0x2
	s_delay_alu instid0(VALU_DEP_1) | instskip(SKIP_1) | instid1(VALU_DEP_1)
	v_fmac_f32_e32 v31, v34, v15
	s_wait_loadcnt 0x1
	v_fmac_f32_e32 v31, v35, v13
	s_wait_loadcnt 0x0
	s_delay_alu instid0(VALU_DEP_1)
	v_fmac_f32_e32 v31, v36, v11
.LBB12_41:                              ;   in Loop: Header=BB12_5 Depth=1
	s_wait_alu 0xfffe
	s_or_b32 exec_lo, exec_lo, s36
	s_wait_loadcnt 0x3
	v_fmac_f32_e32 v30, v33, v47
	s_wait_loadcnt 0x2
	s_delay_alu instid0(VALU_DEP_1) | instskip(SKIP_1) | instid1(VALU_DEP_1)
	v_fmac_f32_e32 v30, v34, v46
	s_wait_loadcnt 0x1
	v_fmac_f32_e32 v30, v35, v45
	s_wait_loadcnt 0x0
	s_delay_alu instid0(VALU_DEP_1)
	v_fmac_f32_e32 v30, v36, v44
.LBB12_42:                              ;   in Loop: Header=BB12_5 Depth=1
	s_wait_alu 0xfffe
	s_or_b32 exec_lo, exec_lo, s35
	s_wait_loadcnt 0x3
	v_fmac_f32_e32 v29, v33, v43
	s_wait_loadcnt 0x2
	s_delay_alu instid0(VALU_DEP_1) | instskip(SKIP_1) | instid1(VALU_DEP_1)
	v_fmac_f32_e32 v29, v34, v42
	s_wait_loadcnt 0x1
	v_fmac_f32_e32 v29, v35, v41
	s_wait_loadcnt 0x0
	s_delay_alu instid0(VALU_DEP_1)
	v_fmac_f32_e32 v29, v36, v40
.LBB12_43:                              ;   in Loop: Header=BB12_5 Depth=1
	s_wait_alu 0xfffe
	s_or_b32 exec_lo, exec_lo, s34
	s_wait_loadcnt 0x3
	v_fmac_f32_e32 v28, v33, v39
	s_wait_loadcnt 0x2
	s_delay_alu instid0(VALU_DEP_1) | instskip(SKIP_1) | instid1(VALU_DEP_1)
	v_fmac_f32_e32 v28, v34, v37
	s_wait_loadcnt 0x1
	v_fmac_f32_e32 v28, v35, v32
	s_wait_loadcnt 0x0
	s_delay_alu instid0(VALU_DEP_1)
	v_fmac_f32_e32 v28, v36, v38
.LBB12_44:                              ;   in Loop: Header=BB12_5 Depth=1
	s_wait_alu 0xfffe
	s_or_b32 exec_lo, exec_lo, s7
.LBB12_45:                              ;   in Loop: Header=BB12_5 Depth=1
	ds_store_2addr_b32 v20, v28, v29 offset1:32
	ds_store_2addr_b32 v20, v30, v31 offset0:64 offset1:96
	s_wait_loadcnt_dscnt 0x0
	s_barrier_signal -1
	s_barrier_wait -1
	global_inv scope:SCOPE_SE
                                        ; implicit-def: $vgpr13
	s_and_saveexec_b32 s7, s5
	s_cbranch_execz .LBB12_51
; %bb.46:                               ;   in Loop: Header=BB12_5 Depth=1
	ds_load_2addr_stride64_b32 v[11:12], v22 offset1:2
	ds_load_2addr_stride64_b32 v[13:14], v22 offset0:4 offset1:6
	ds_load_2addr_stride64_b32 v[15:16], v22 offset0:8 offset1:10
	s_mov_b32 s35, s44
	s_wait_dscnt 0x2
	v_add_f32_e32 v17, v11, v12
	ds_load_2addr_stride64_b32 v[11:12], v22 offset0:12 offset1:14
	s_wait_dscnt 0x2
	v_add_f32_e32 v13, v13, v17
	s_delay_alu instid0(VALU_DEP_1) | instskip(SKIP_3) | instid1(VALU_DEP_1)
	v_add_f32_e32 v17, v14, v13
	ds_load_2addr_stride64_b32 v[13:14], v22 offset0:16 offset1:18
	s_wait_dscnt 0x2
	v_add_f32_e32 v15, v15, v17
	v_add_f32_e32 v17, v16, v15
	ds_load_2addr_stride64_b32 v[15:16], v22 offset0:20 offset1:22
	s_wait_dscnt 0x2
	v_add_f32_e32 v11, v11, v17
	s_delay_alu instid0(VALU_DEP_1) | instskip(SKIP_1) | instid1(VALU_DEP_1)
	v_add_f32_e32 v11, v12, v11
	s_wait_dscnt 0x1
	v_add_f32_e32 v13, v13, v11
	ds_load_2addr_stride64_b32 v[11:12], v22 offset0:24 offset1:26
	v_add_f32_e32 v13, v14, v13
	s_wait_dscnt 0x1
	s_delay_alu instid0(VALU_DEP_1) | instskip(SKIP_3) | instid1(VALU_DEP_1)
	v_add_f32_e32 v15, v15, v13
	ds_load_2addr_stride64_b32 v[13:14], v22 offset0:28 offset1:30
	v_add_f32_e32 v15, v16, v15
	s_wait_dscnt 0x1
	v_add_f32_e32 v11, v11, v15
	s_delay_alu instid0(VALU_DEP_1) | instskip(SKIP_1) | instid1(VALU_DEP_1)
	v_add_f32_e32 v11, v12, v11
	s_wait_dscnt 0x0
	v_add_f32_e32 v11, v13, v11
                                        ; implicit-def: $vgpr13
	s_delay_alu instid0(VALU_DEP_1)
	v_add_f32_e32 v11, v14, v11
	ds_store_b32 v22, v11
	s_and_saveexec_b32 s34, s6
	s_cbranch_execz .LBB12_50
; %bb.47:                               ;   in Loop: Header=BB12_5 Depth=1
	v_mul_f32_e32 v13, s22, v11
	s_and_not1_b32 vcc_lo, exec_lo, s39
	s_wait_alu 0xfffe
	s_cbranch_vccnz .LBB12_49
; %bb.48:                               ;   in Loop: Header=BB12_5 Depth=1
	v_add_co_u32 v11, vcc_lo, s16, v9
	s_wait_alu 0xfffd
	v_add_co_ci_u32_e64 v12, null, s17, v10, vcc_lo
	global_load_b32 v11, v[11:12], off
	s_wait_loadcnt 0x0
	v_fmac_f32_e32 v13, s26, v11
.LBB12_49:                              ;   in Loop: Header=BB12_5 Depth=1
	s_or_b32 s35, s44, exec_lo
.LBB12_50:                              ;   in Loop: Header=BB12_5 Depth=1
	s_wait_alu 0xfffe
	s_or_b32 exec_lo, exec_lo, s34
	s_delay_alu instid0(SALU_CYCLE_1)
	s_and_not1_b32 s34, s44, exec_lo
	s_and_b32 s35, s35, exec_lo
	s_wait_alu 0xfffe
	s_or_b32 s44, s34, s35
.LBB12_51:                              ;   in Loop: Header=BB12_5 Depth=1
	s_wait_alu 0xfffe
	s_or_b32 exec_lo, exec_lo, s7
	v_dual_mov_b32 v12, v3 :: v_dual_mov_b32 v11, v2
	s_and_saveexec_b32 s7, s44
	s_cbranch_execz .LBB12_3
.LBB12_52:                              ;   in Loop: Header=BB12_5 Depth=1
	s_delay_alu instid0(VALU_DEP_1) | instskip(SKIP_1) | instid1(VALU_DEP_1)
	v_lshlrev_b64_e32 v[11:12], 2, v[11:12]
	s_wait_alu 0xfffe
	v_add_co_u32 v11, vcc_lo, s16, v11
	s_wait_alu 0xfffd
	s_delay_alu instid0(VALU_DEP_2)
	v_add_co_ci_u32_e64 v12, null, s17, v12, vcc_lo
	global_store_b32 v[11:12], v13, off
	s_branch .LBB12_3
.LBB12_53:
	s_endpgm
	.section	.rodata,"a",@progbits
	.p2align	6, 0x0
	.amdhsa_kernel _ZL20rocblas_gemvn_kernelILi32ELi16EifffEviiT3_lPKT2_lT1_lS3_lS4_lS0_lPT4_lS4_li
		.amdhsa_group_segment_fixed_size 8192
		.amdhsa_private_segment_fixed_size 0
		.amdhsa_kernarg_size 400
		.amdhsa_user_sgpr_count 2
		.amdhsa_user_sgpr_dispatch_ptr 0
		.amdhsa_user_sgpr_queue_ptr 0
		.amdhsa_user_sgpr_kernarg_segment_ptr 1
		.amdhsa_user_sgpr_dispatch_id 0
		.amdhsa_user_sgpr_private_segment_size 0
		.amdhsa_wavefront_size32 1
		.amdhsa_uses_dynamic_stack 0
		.amdhsa_enable_private_segment 0
		.amdhsa_system_sgpr_workgroup_id_x 1
		.amdhsa_system_sgpr_workgroup_id_y 0
		.amdhsa_system_sgpr_workgroup_id_z 1
		.amdhsa_system_sgpr_workgroup_info 0
		.amdhsa_system_vgpr_workitem_id 1
		.amdhsa_next_free_vgpr 53
		.amdhsa_next_free_sgpr 51
		.amdhsa_reserve_vcc 1
		.amdhsa_float_round_mode_32 0
		.amdhsa_float_round_mode_16_64 0
		.amdhsa_float_denorm_mode_32 3
		.amdhsa_float_denorm_mode_16_64 3
		.amdhsa_fp16_overflow 0
		.amdhsa_workgroup_processor_mode 1
		.amdhsa_memory_ordered 1
		.amdhsa_forward_progress 1
		.amdhsa_inst_pref_size 25
		.amdhsa_round_robin_scheduling 0
		.amdhsa_exception_fp_ieee_invalid_op 0
		.amdhsa_exception_fp_denorm_src 0
		.amdhsa_exception_fp_ieee_div_zero 0
		.amdhsa_exception_fp_ieee_overflow 0
		.amdhsa_exception_fp_ieee_underflow 0
		.amdhsa_exception_fp_ieee_inexact 0
		.amdhsa_exception_int_div_zero 0
	.end_amdhsa_kernel
	.section	.text._ZL20rocblas_gemvn_kernelILi32ELi16EifffEviiT3_lPKT2_lT1_lS3_lS4_lS0_lPT4_lS4_li,"axG",@progbits,_ZL20rocblas_gemvn_kernelILi32ELi16EifffEviiT3_lPKT2_lT1_lS3_lS4_lS0_lPT4_lS4_li,comdat
.Lfunc_end12:
	.size	_ZL20rocblas_gemvn_kernelILi32ELi16EifffEviiT3_lPKT2_lT1_lS3_lS4_lS0_lPT4_lS4_li, .Lfunc_end12-_ZL20rocblas_gemvn_kernelILi32ELi16EifffEviiT3_lPKT2_lT1_lS3_lS4_lS0_lPT4_lS4_li
                                        ; -- End function
	.set _ZL20rocblas_gemvn_kernelILi32ELi16EifffEviiT3_lPKT2_lT1_lS3_lS4_lS0_lPT4_lS4_li.num_vgpr, 53
	.set _ZL20rocblas_gemvn_kernelILi32ELi16EifffEviiT3_lPKT2_lT1_lS3_lS4_lS0_lPT4_lS4_li.num_agpr, 0
	.set _ZL20rocblas_gemvn_kernelILi32ELi16EifffEviiT3_lPKT2_lT1_lS3_lS4_lS0_lPT4_lS4_li.numbered_sgpr, 51
	.set _ZL20rocblas_gemvn_kernelILi32ELi16EifffEviiT3_lPKT2_lT1_lS3_lS4_lS0_lPT4_lS4_li.num_named_barrier, 0
	.set _ZL20rocblas_gemvn_kernelILi32ELi16EifffEviiT3_lPKT2_lT1_lS3_lS4_lS0_lPT4_lS4_li.private_seg_size, 0
	.set _ZL20rocblas_gemvn_kernelILi32ELi16EifffEviiT3_lPKT2_lT1_lS3_lS4_lS0_lPT4_lS4_li.uses_vcc, 1
	.set _ZL20rocblas_gemvn_kernelILi32ELi16EifffEviiT3_lPKT2_lT1_lS3_lS4_lS0_lPT4_lS4_li.uses_flat_scratch, 0
	.set _ZL20rocblas_gemvn_kernelILi32ELi16EifffEviiT3_lPKT2_lT1_lS3_lS4_lS0_lPT4_lS4_li.has_dyn_sized_stack, 0
	.set _ZL20rocblas_gemvn_kernelILi32ELi16EifffEviiT3_lPKT2_lT1_lS3_lS4_lS0_lPT4_lS4_li.has_recursion, 0
	.set _ZL20rocblas_gemvn_kernelILi32ELi16EifffEviiT3_lPKT2_lT1_lS3_lS4_lS0_lPT4_lS4_li.has_indirect_call, 0
	.section	.AMDGPU.csdata,"",@progbits
; Kernel info:
; codeLenInByte = 3180
; TotalNumSgprs: 53
; NumVgprs: 53
; ScratchSize: 0
; MemoryBound: 0
; FloatMode: 240
; IeeeMode: 1
; LDSByteSize: 8192 bytes/workgroup (compile time only)
; SGPRBlocks: 0
; VGPRBlocks: 6
; NumSGPRsForWavesPerEU: 53
; NumVGPRsForWavesPerEU: 53
; Occupancy: 16
; WaveLimiterHint : 1
; COMPUTE_PGM_RSRC2:SCRATCH_EN: 0
; COMPUTE_PGM_RSRC2:USER_SGPR: 2
; COMPUTE_PGM_RSRC2:TRAP_HANDLER: 0
; COMPUTE_PGM_RSRC2:TGID_X_EN: 1
; COMPUTE_PGM_RSRC2:TGID_Y_EN: 0
; COMPUTE_PGM_RSRC2:TGID_Z_EN: 1
; COMPUTE_PGM_RSRC2:TIDIG_COMP_CNT: 1
	.section	.text._ZL20rocblas_gemvn_kernelILi32ELi16ElfffEviiT3_lPKT2_lT1_lS3_lS4_lS0_lPT4_lS4_li,"axG",@progbits,_ZL20rocblas_gemvn_kernelILi32ELi16ElfffEviiT3_lPKT2_lT1_lS3_lS4_lS0_lPT4_lS4_li,comdat
	.globl	_ZL20rocblas_gemvn_kernelILi32ELi16ElfffEviiT3_lPKT2_lT1_lS3_lS4_lS0_lPT4_lS4_li ; -- Begin function _ZL20rocblas_gemvn_kernelILi32ELi16ElfffEviiT3_lPKT2_lT1_lS3_lS4_lS0_lPT4_lS4_li
	.p2align	8
	.type	_ZL20rocblas_gemvn_kernelILi32ELi16ElfffEviiT3_lPKT2_lT1_lS3_lS4_lS0_lPT4_lS4_li,@function
_ZL20rocblas_gemvn_kernelILi32ELi16ElfffEviiT3_lPKT2_lT1_lS3_lS4_lS0_lPT4_lS4_li: ; @_ZL20rocblas_gemvn_kernelILi32ELi16ElfffEviiT3_lPKT2_lT1_lS3_lS4_lS0_lPT4_lS4_li
; %bb.0:
	s_load_b64 s[2:3], s[0:1], 0x9c
	s_wait_kmcnt 0x0
	s_lshr_b32 s4, s2, 16
	s_and_b32 s2, s2, 0xffff
	s_and_b32 s3, s3, 0xffff
	s_mul_i32 s2, s4, s2
	s_delay_alu instid0(SALU_CYCLE_1) | instskip(NEXT) | instid1(SALU_CYCLE_1)
	s_mul_i32 s2, s2, s3
	s_cmp_lg_u32 s2, 0x200
	s_cbranch_scc1 .LBB13_53
; %bb.1:
	s_load_b32 s33, s[0:1], 0x88
	s_lshr_b32 s34, ttmp7, 16
	s_wait_kmcnt 0x0
	s_cmp_ge_u32 s34, s33
	s_cbranch_scc1 .LBB13_53
; %bb.2:
	s_clause 0x3
	s_load_b512 s[8:23], s[0:1], 0x18
	s_load_b256 s[24:31], s[0:1], 0x68
	s_load_b96 s[36:38], s[0:1], 0x0
	s_load_b32 s39, s[0:1], 0x58
	v_bfe_u32 v15, v0, 10, 10
	v_and_b32_e32 v1, 0x3ff, v0
	s_mov_b32 s35, 0
	s_delay_alu instid0(VALU_DEP_2) | instskip(NEXT) | instid1(VALU_DEP_2)
	v_dual_mov_b32 v3, 0 :: v_dual_lshlrev_b32 v16, 2, v15
	v_lshlrev_b32_e32 v10, 2, v1
	s_delay_alu instid0(VALU_DEP_2) | instskip(NEXT) | instid1(VALU_DEP_2)
	v_or_b32_e32 v19, 3, v16
	v_lshl_add_u32 v17, v15, 9, v10
	v_lshl_add_u32 v18, v15, 7, v10
	s_wait_kmcnt 0x0
	s_lshl_b64 s[2:3], s[10:11], 2
	s_lshl_b64 s[10:11], s[18:19], 2
	;; [unrolled: 1-line block ×3, first 2 shown]
	s_cmp_eq_f32 s38, 0
	s_add_nc_u64 s[18:19], s[8:9], s[2:3]
	v_mad_co_u64_u32 v[4:5], null, s20, v15, 0
	s_cselect_b32 s46, -1, 0
	s_cmp_neq_f32 s38, 0
	v_mad_co_u64_u32 v[6:7], null, s12, v19, 0
	s_add_nc_u64 s[24:25], s[24:25], s[4:5]
	s_cselect_b32 s1, -1, 0
	s_cmp_neq_f32 s39, 1.0
	s_mov_b32 s6, s36
	s_add_nc_u64 s[26:27], s[16:17], s[10:11]
	s_cselect_b32 s2, -1, 0
	s_lshl_b32 s8, ttmp9, 7
	s_ashr_i32 s7, s36, 31
	v_add_nc_u32_e32 v8, s8, v1
	s_or_b32 s47, s1, s2
	s_cmp_neq_f32 s39, 0
	s_delay_alu instid0(VALU_DEP_1) | instskip(SKIP_2) | instid1(SALU_CYCLE_1)
	v_add_nc_u32_e32 v11, 64, v8
	s_cselect_b32 s48, -1, 0
	s_ashr_i32 s2, s37, 31
	s_lshr_b32 s2, s2, 26
	s_delay_alu instid0(VALU_DEP_1)
	v_cmp_gt_i32_e64 s3, s36, v11
	v_mad_co_u64_u32 v[10:11], null, s21, v15, v[5:6]
	v_mov_b32_e32 v5, v7
	s_add_co_i32 s49, s37, s2
	v_or_b32_e32 v23, 2, v16
	s_and_not1_b32 s49, s49, 63
	v_mad_co_u64_u32 v[29:30], null, s20, v16, s[20:21]
	v_mad_co_u64_u32 v[13:14], null, s13, v19, v[5:6]
	v_dual_mov_b32 v5, v10 :: v_dual_add_nc_u32 v12, 0x60, v8
	s_sub_co_i32 s5, s37, s49
	v_ashrrev_i32_e32 v9, 31, v8
	s_cmp_gt_i32 s5, 0
	s_delay_alu instid0(VALU_DEP_2)
	v_lshlrev_b64_e32 v[4:5], 4, v[4:5]
	v_cmp_gt_i32_e64 s4, s36, v12
	v_mad_co_u64_u32 v[11:12], null, s20, v19, 0
	s_cselect_b32 s50, -1, 0
	v_cmp_gt_i32_e64 s1, s36, v8
	v_mov_b32_e32 v7, v13
	v_mad_co_u64_u32 v[27:28], null, s20, v23, 0
	v_mad_co_u64_u32 v[31:32], null, s12, v16, s[12:13]
	v_mov_b32_e32 v10, v12
	v_lshl_add_u32 v0, v15, 5, v1
	v_lshlrev_b64_e32 v[6:7], 2, v[6:7]
	v_cmp_gt_i32_e64 s5, s49, v16
	s_lshl_b64 s[40:41], s[14:15], 2
	v_mad_co_u64_u32 v[12:13], null, s21, v19, v[10:11]
	v_add_nc_u32_e32 v2, s8, v0
	v_cmp_gt_u32_e64 s0, 0x80, v0
	v_or_b32_e32 v20, s8, v0
	v_mad_co_u64_u32 v[13:14], null, s12, v15, 0
	s_delay_alu instid0(VALU_DEP_4)
	v_mad_co_u64_u32 v[0:1], null, s28, v2, 0
	v_cmp_gt_i64_e32 vcc_lo, s[6:7], v[2:3]
	v_add_nc_u32_e32 v3, 32, v8
	s_ashr_i32 s6, s8, 31
	v_mul_lo_u32 v21, s29, v20
	s_wait_alu 0xfffe
	s_mul_i32 s7, s28, s6
	v_cmp_gt_i32_e64 s6, s36, v20
	v_mad_co_u64_u32 v[1:2], null, s29, v2, v[1:2]
	v_cmp_gt_i32_e64 s2, s36, v3
	v_mad_co_u64_u32 v[2:3], null, s28, v20, 0
	s_and_b32 s36, s0, vcc_lo
	v_add_co_u32 v19, vcc_lo, s16, v4
	s_delay_alu instid0(VALU_DEP_1)
	v_add_co_ci_u32_e64 v20, null, s17, v5, vcc_lo
	v_lshlrev_b64_e32 v[4:5], 2, v[8:9]
	v_mad_co_u64_u32 v[9:10], null, s12, v23, 0
	v_mov_b32_e32 v8, v14
	s_wait_alu 0xfffe
	v_add3_u32 v3, v3, s7, v21
	v_add_co_u32 v21, vcc_lo, s18, v6
	s_wait_alu 0xfffd
	v_add_co_ci_u32_e64 v22, null, s19, v7, vcc_lo
	v_mad_co_u64_u32 v[14:15], null, s13, v15, v[8:9]
	v_lshlrev_b64_e32 v[7:8], 2, v[11:12]
	v_mov_b32_e32 v6, v10
	v_mov_b32_e32 v10, v28
	s_lshl_b64 s[28:29], s[22:23], 2
	s_lshl_b64 s[42:43], s[12:13], 8
	s_delay_alu instid0(VALU_DEP_2) | instskip(SKIP_1) | instid1(VALU_DEP_2)
	v_mad_co_u64_u32 v[11:12], null, s13, v23, v[6:7]
	v_mov_b32_e32 v6, v30
	v_mad_co_u64_u32 v[25:26], null, s21, v23, v[10:11]
	v_add_co_u32 v23, vcc_lo, s16, v7
	s_wait_alu 0xfffd
	v_add_co_ci_u32_e64 v24, null, s17, v8, vcc_lo
	v_lshlrev_b64_e32 v[7:8], 4, v[13:14]
	v_mov_b32_e32 v10, v11
	v_mov_b32_e32 v28, v25
	s_delay_alu instid0(VALU_DEP_3)
	v_add_co_u32 v25, vcc_lo, s18, v7
	v_mad_co_u64_u32 v[11:12], null, s21, v16, v[6:7]
	s_wait_alu 0xfffd
	v_add_co_ci_u32_e64 v26, null, s19, v8, vcc_lo
	v_lshlrev_b64_e32 v[7:8], 2, v[9:10]
	v_mov_b32_e32 v6, v32
	v_lshlrev_b64_e32 v[12:13], 2, v[27:28]
	v_mov_b32_e32 v30, v11
	s_delay_alu instid0(VALU_DEP_3) | instskip(SKIP_1) | instid1(VALU_DEP_3)
	v_mad_co_u64_u32 v[9:10], null, s13, v16, v[6:7]
	v_add_co_u32 v27, vcc_lo, s18, v7
	v_lshlrev_b64_e32 v[6:7], 2, v[29:30]
	s_wait_alu 0xfffd
	v_add_co_ci_u32_e64 v28, null, s19, v8, vcc_lo
	v_add_co_u32 v29, vcc_lo, s16, v12
	v_mov_b32_e32 v32, v9
	s_wait_alu 0xfffd
	v_add_co_ci_u32_e64 v30, null, s17, v13, vcc_lo
	s_delay_alu instid0(VALU_DEP_2) | instskip(SKIP_4) | instid1(VALU_DEP_4)
	v_lshlrev_b64_e32 v[8:9], 2, v[31:32]
	v_add_co_u32 v31, vcc_lo, s16, v6
	s_wait_alu 0xfffd
	v_add_co_ci_u32_e64 v32, null, s17, v7, vcc_lo
	v_lshlrev_b64_e32 v[6:7], 2, v[0:1]
	v_add_co_u32 v33, vcc_lo, s18, v8
	s_wait_alu 0xfffd
	v_add_co_ci_u32_e64 v34, null, s19, v9, vcc_lo
	s_lshl_b64 s[16:17], s[20:21], 8
	s_branch .LBB13_5
.LBB13_3:                               ;   in Loop: Header=BB13_5 Depth=1
	s_wait_alu 0xfffe
	s_or_b32 exec_lo, exec_lo, s7
.LBB13_4:                               ;   in Loop: Header=BB13_5 Depth=1
	s_add_co_i32 s34, s34, 0x10000
	s_delay_alu instid0(SALU_CYCLE_1)
	s_cmp_lt_u32 s34, s33
	s_cbranch_scc0 .LBB13_53
.LBB13_5:                               ; =>This Loop Header: Depth=1
                                        ;     Child Loop BB13_21 Depth 2
	s_and_not1_b32 vcc_lo, exec_lo, s47
	s_wait_alu 0xfffe
	s_cbranch_vccnz .LBB13_4
; %bb.6:                                ;   in Loop: Header=BB13_5 Depth=1
	s_mul_u64 s[8:9], s[30:31], s[34:35]
	s_and_not1_b32 vcc_lo, exec_lo, s46
	s_wait_alu 0xfffe
	s_lshl_b64 s[8:9], s[8:9], 2
	s_wait_alu 0xfffe
	s_add_nc_u64 s[44:45], s[24:25], s[8:9]
	s_cbranch_vccnz .LBB13_10
; %bb.7:                                ;   in Loop: Header=BB13_5 Depth=1
	s_mov_b32 s7, 0
	s_mov_b32 s51, 0
                                        ; implicit-def: $vgpr10
	s_and_saveexec_b32 s8, s36
	s_cbranch_execz .LBB13_11
; %bb.8:                                ;   in Loop: Header=BB13_5 Depth=1
	s_and_not1_b32 vcc_lo, exec_lo, s48
	s_wait_alu 0xfffe
	s_cbranch_vccnz .LBB13_13
; %bb.9:                                ;   in Loop: Header=BB13_5 Depth=1
	v_add_co_u32 v8, vcc_lo, s44, v6
	s_wait_alu 0xfffd
	v_add_co_ci_u32_e64 v9, null, s45, v7, vcc_lo
	global_load_b32 v8, v[8:9], off
	s_wait_loadcnt 0x0
	v_mul_f32_e32 v10, s39, v8
	s_branch .LBB13_14
.LBB13_10:                              ;   in Loop: Header=BB13_5 Depth=1
	s_mov_b32 s51, 0
                                        ; implicit-def: $vgpr10
	s_cbranch_execz .LBB13_12
	s_branch .LBB13_15
.LBB13_11:                              ;   in Loop: Header=BB13_5 Depth=1
	s_wait_alu 0xfffe
	s_or_b32 exec_lo, exec_lo, s8
	s_delay_alu instid0(SALU_CYCLE_1)
	s_and_b32 vcc_lo, exec_lo, s7
	s_wait_alu 0xfffe
	s_cbranch_vccnz .LBB13_15
.LBB13_12:                              ;   in Loop: Header=BB13_5 Depth=1
	v_dual_mov_b32 v9, v1 :: v_dual_mov_b32 v8, v0
	s_and_saveexec_b32 s7, s51
	s_cbranch_execz .LBB13_3
	s_branch .LBB13_52
.LBB13_13:                              ;   in Loop: Header=BB13_5 Depth=1
	v_mov_b32_e32 v10, 0
.LBB13_14:                              ;   in Loop: Header=BB13_5 Depth=1
	s_mov_b32 s51, exec_lo
	s_or_b32 exec_lo, exec_lo, s8
	s_delay_alu instid0(SALU_CYCLE_1)
	s_and_b32 vcc_lo, exec_lo, s7
	s_wait_alu 0xfffe
	s_cbranch_vccz .LBB13_12
.LBB13_15:                              ;   in Loop: Header=BB13_5 Depth=1
	v_dual_mov_b32 v35, 0 :: v_dual_mov_b32 v36, 0
	v_dual_mov_b32 v39, v16 :: v_dual_mov_b32 v38, 0
	v_mov_b32_e32 v37, 0
	s_and_saveexec_b32 s8, s5
	s_cbranch_execz .LBB13_27
; %bb.16:                               ;   in Loop: Header=BB13_5 Depth=1
	s_mul_u64 s[52:53], s[28:29], s[34:35]
	s_mul_u64 s[54:55], s[40:41], s[34:35]
	s_wait_alu 0xfffe
	v_add_co_u32 v40, vcc_lo, v19, s52
	s_wait_alu 0xfffd
	v_add_co_ci_u32_e64 v41, null, s53, v20, vcc_lo
	v_add_co_u32 v42, vcc_lo, v21, s54
	s_wait_alu 0xfffd
	v_add_co_ci_u32_e64 v43, null, s55, v22, vcc_lo
	;; [unrolled: 3-line block ×8, first 2 shown]
	v_dual_mov_b32 v35, 0 :: v_dual_mov_b32 v36, 0
	v_dual_mov_b32 v39, v16 :: v_dual_mov_b32 v38, 0
	v_mov_b32_e32 v37, 0
	s_mov_b32 s9, 0
	s_branch .LBB13_21
.LBB13_17:                              ;   in Loop: Header=BB13_21 Depth=2
	s_wait_alu 0xfffe
	s_or_b32 exec_lo, exec_lo, s54
	s_wait_loadcnt 0x3
	v_fmac_f32_e32 v37, v57, v71
	s_wait_loadcnt 0x2
	s_delay_alu instid0(VALU_DEP_1) | instskip(SKIP_1) | instid1(VALU_DEP_1)
	v_fmac_f32_e32 v37, v56, v70
	s_wait_loadcnt 0x1
	v_fmac_f32_e32 v37, v58, v69
	s_wait_loadcnt 0x0
	s_delay_alu instid0(VALU_DEP_1)
	v_fmac_f32_e32 v37, v59, v68
.LBB13_18:                              ;   in Loop: Header=BB13_21 Depth=2
	s_wait_alu 0xfffe
	s_or_b32 exec_lo, exec_lo, s53
	s_wait_loadcnt 0x3
	v_fmac_f32_e32 v36, v57, v67
	s_wait_loadcnt 0x2
	s_delay_alu instid0(VALU_DEP_1) | instskip(SKIP_1) | instid1(VALU_DEP_1)
	v_fmac_f32_e32 v36, v56, v66
	s_wait_loadcnt 0x1
	v_fmac_f32_e32 v36, v58, v65
	s_wait_loadcnt 0x0
	s_delay_alu instid0(VALU_DEP_1)
	v_fmac_f32_e32 v36, v59, v64
.LBB13_19:                              ;   in Loop: Header=BB13_21 Depth=2
	s_wait_alu 0xfffe
	s_or_b32 exec_lo, exec_lo, s52
	s_wait_loadcnt 0x3
	v_fmac_f32_e32 v35, v57, v63
	s_wait_loadcnt 0x2
	s_delay_alu instid0(VALU_DEP_1) | instskip(SKIP_1) | instid1(VALU_DEP_1)
	v_fmac_f32_e32 v35, v56, v61
	s_wait_loadcnt 0x1
	v_fmac_f32_e32 v35, v58, v60
	s_wait_loadcnt 0x0
	s_delay_alu instid0(VALU_DEP_1)
	v_fmac_f32_e32 v35, v59, v62
.LBB13_20:                              ;   in Loop: Header=BB13_21 Depth=2
	s_wait_alu 0xfffe
	s_or_b32 exec_lo, exec_lo, s7
	v_add_co_u32 v40, vcc_lo, v40, s16
	s_wait_alu 0xfffd
	v_add_co_ci_u32_e64 v41, null, s17, v41, vcc_lo
	v_add_co_u32 v42, vcc_lo, v42, s42
	s_wait_alu 0xfffd
	v_add_co_ci_u32_e64 v43, null, s43, v43, vcc_lo
	;; [unrolled: 3-line block ×4, first 2 shown]
	v_add_co_u32 v48, vcc_lo, v48, s42
	v_add_nc_u32_e32 v39, 64, v39
	s_wait_alu 0xfffd
	v_add_co_ci_u32_e64 v49, null, s43, v49, vcc_lo
	v_add_co_u32 v50, vcc_lo, v50, s16
	s_wait_alu 0xfffd
	v_add_co_ci_u32_e64 v51, null, s17, v51, vcc_lo
	v_add_co_u32 v52, vcc_lo, v52, s16
	s_wait_alu 0xfffd
	v_add_co_ci_u32_e64 v53, null, s17, v53, vcc_lo
	v_cmp_le_i32_e32 vcc_lo, s49, v39
	v_add_co_u32 v54, s7, v54, s42
	s_wait_alu 0xf1ff
	v_add_co_ci_u32_e64 v55, null, s43, v55, s7
	s_or_b32 s9, vcc_lo, s9
	s_wait_alu 0xfffe
	s_and_not1_b32 exec_lo, exec_lo, s9
	s_cbranch_execz .LBB13_26
.LBB13_21:                              ;   Parent Loop BB13_5 Depth=1
                                        ; =>  This Inner Loop Header: Depth=2
	s_and_saveexec_b32 s7, s1
	s_cbranch_execz .LBB13_20
; %bb.22:                               ;   in Loop: Header=BB13_21 Depth=2
	v_add_co_u32 v8, vcc_lo, v40, s10
	s_wait_alu 0xfffd
	v_add_co_ci_u32_e64 v9, null, s11, v41, vcc_lo
	v_add_co_u32 v10, vcc_lo, v52, s10
	s_wait_alu 0xfffd
	v_add_co_ci_u32_e64 v11, null, s11, v53, vcc_lo
	;; [unrolled: 3-line block ×3, first 2 shown]
	v_add_co_u32 v59, vcc_lo, v44, s10
	global_load_b32 v57, v[8:9], off
	global_load_b32 v56, v[10:11], off
	;; [unrolled: 1-line block ×3, first 2 shown]
	s_wait_alu 0xfffd
	v_add_co_ci_u32_e64 v60, null, s11, v45, vcc_lo
	v_add_co_u32 v8, vcc_lo, v46, v4
	s_wait_alu 0xfffd
	v_add_co_ci_u32_e64 v9, null, v47, v5, vcc_lo
	v_add_co_u32 v10, vcc_lo, v54, v4
	;; [unrolled: 3-line block ×4, first 2 shown]
	s_wait_alu 0xfffd
	v_add_co_ci_u32_e64 v15, null, v43, v5, vcc_lo
	global_load_b32 v59, v[59:60], off
	global_load_b32 v63, v[8:9], off
	;; [unrolled: 1-line block ×5, first 2 shown]
	s_and_saveexec_b32 s52, s2
	s_cbranch_execz .LBB13_19
; %bb.23:                               ;   in Loop: Header=BB13_21 Depth=2
	global_load_b32 v67, v[8:9], off offset:128
	global_load_b32 v66, v[10:11], off offset:128
	global_load_b32 v65, v[12:13], off offset:128
	global_load_b32 v64, v[14:15], off offset:128
	s_and_saveexec_b32 s53, s3
	s_cbranch_execz .LBB13_18
; %bb.24:                               ;   in Loop: Header=BB13_21 Depth=2
	global_load_b32 v71, v[8:9], off offset:256
	global_load_b32 v70, v[10:11], off offset:256
	global_load_b32 v69, v[12:13], off offset:256
	global_load_b32 v68, v[14:15], off offset:256
	;; [unrolled: 7-line block ×3, first 2 shown]
	s_wait_loadcnt 0x3
	v_fmac_f32_e32 v38, v57, v8
	s_wait_loadcnt 0x2
	s_delay_alu instid0(VALU_DEP_1) | instskip(SKIP_1) | instid1(VALU_DEP_1)
	v_fmac_f32_e32 v38, v56, v9
	s_wait_loadcnt 0x1
	v_fmac_f32_e32 v38, v58, v10
	s_wait_loadcnt 0x0
	s_delay_alu instid0(VALU_DEP_1)
	v_fmac_f32_e32 v38, v59, v11
	s_branch .LBB13_17
.LBB13_26:                              ;   in Loop: Header=BB13_5 Depth=1
	s_or_b32 exec_lo, exec_lo, s9
.LBB13_27:                              ;   in Loop: Header=BB13_5 Depth=1
	s_wait_alu 0xfffe
	s_or_b32 exec_lo, exec_lo, s8
	s_delay_alu instid0(SALU_CYCLE_1)
	s_and_not1_b32 vcc_lo, exec_lo, s50
	s_wait_alu 0xfffe
	s_cbranch_vccnz .LBB13_45
; %bb.28:                               ;   in Loop: Header=BB13_5 Depth=1
	v_cmp_gt_i32_e32 vcc_lo, s37, v39
	v_dual_mov_b32 v43, 0 :: v_dual_mov_b32 v42, 0
	v_or_b32_e32 v8, 1, v39
	v_dual_mov_b32 v41, 0 :: v_dual_mov_b32 v40, 0
	s_and_saveexec_b32 s52, vcc_lo
	s_cbranch_execz .LBB13_36
; %bb.29:                               ;   in Loop: Header=BB13_5 Depth=1
	v_mad_co_u64_u32 v[9:10], null, s20, v39, 0
	s_mul_u64 s[8:9], s[22:23], s[34:35]
	v_dual_mov_b32 v41, 0 :: v_dual_mov_b32 v42, 0
	s_wait_alu 0xfffe
	s_lshl_b64 s[8:9], s[8:9], 2
	v_mov_b32_e32 v43, 0
	s_wait_alu 0xfffe
	s_add_nc_u64 s[8:9], s[26:27], s[8:9]
	v_mad_co_u64_u32 v[10:11], null, s21, v39, v[10:11]
	s_mov_b32 s53, exec_lo
	v_lshlrev_b64_e32 v[9:10], 2, v[9:10]
	s_wait_alu 0xfffe
	s_delay_alu instid0(VALU_DEP_1) | instskip(SKIP_1) | instid1(VALU_DEP_2)
	v_add_co_u32 v9, s7, s8, v9
	s_wait_alu 0xf1ff
	v_add_co_ci_u32_e64 v10, null, s9, v10, s7
	global_load_b32 v40, v[9:10], off
	v_cmpx_gt_i32_e64 s37, v8
	s_cbranch_execz .LBB13_35
; %bb.30:                               ;   in Loop: Header=BB13_5 Depth=1
	v_mad_co_u64_u32 v[9:10], null, s20, v8, 0
	v_dual_mov_b32 v42, 0 :: v_dual_mov_b32 v43, 0
	s_mov_b32 s54, exec_lo
	s_delay_alu instid0(VALU_DEP_2) | instskip(NEXT) | instid1(VALU_DEP_1)
	v_mad_co_u64_u32 v[10:11], null, s21, v8, v[10:11]
	v_lshlrev_b64_e32 v[9:10], 2, v[9:10]
	s_delay_alu instid0(VALU_DEP_1) | instskip(SKIP_1) | instid1(VALU_DEP_2)
	v_add_co_u32 v9, s7, s8, v9
	s_wait_alu 0xf1ff
	v_add_co_ci_u32_e64 v10, null, s9, v10, s7
	global_load_b32 v41, v[9:10], off
	v_or_b32_e32 v9, 2, v39
	s_delay_alu instid0(VALU_DEP_1)
	v_cmpx_gt_i32_e64 s37, v9
	s_cbranch_execz .LBB13_34
; %bb.31:                               ;   in Loop: Header=BB13_5 Depth=1
	v_mad_co_u64_u32 v[10:11], null, s20, v9, 0
	v_mov_b32_e32 v43, 0
	s_mov_b32 s55, exec_lo
	s_delay_alu instid0(VALU_DEP_2) | instskip(NEXT) | instid1(VALU_DEP_1)
	v_mad_co_u64_u32 v[11:12], null, s21, v9, v[11:12]
	v_lshlrev_b64_e32 v[9:10], 2, v[10:11]
	s_delay_alu instid0(VALU_DEP_1) | instskip(SKIP_1) | instid1(VALU_DEP_2)
	v_add_co_u32 v9, s7, s8, v9
	s_wait_alu 0xf1ff
	v_add_co_ci_u32_e64 v10, null, s9, v10, s7
	global_load_b32 v42, v[9:10], off
	v_or_b32_e32 v9, 3, v39
	s_delay_alu instid0(VALU_DEP_1)
	v_cmpx_gt_i32_e64 s37, v9
	s_cbranch_execz .LBB13_33
; %bb.32:                               ;   in Loop: Header=BB13_5 Depth=1
	v_mad_co_u64_u32 v[10:11], null, s20, v9, 0
	s_delay_alu instid0(VALU_DEP_1) | instskip(NEXT) | instid1(VALU_DEP_1)
	v_mad_co_u64_u32 v[11:12], null, s21, v9, v[11:12]
	v_lshlrev_b64_e32 v[9:10], 2, v[10:11]
	s_delay_alu instid0(VALU_DEP_1) | instskip(SKIP_1) | instid1(VALU_DEP_2)
	v_add_co_u32 v9, s7, s8, v9
	s_wait_alu 0xf1ff
	v_add_co_ci_u32_e64 v10, null, s9, v10, s7
	global_load_b32 v43, v[9:10], off
.LBB13_33:                              ;   in Loop: Header=BB13_5 Depth=1
	s_wait_alu 0xfffe
	s_or_b32 exec_lo, exec_lo, s55
.LBB13_34:                              ;   in Loop: Header=BB13_5 Depth=1
	s_wait_alu 0xfffe
	s_or_b32 exec_lo, exec_lo, s54
.LBB13_35:                              ;   in Loop: Header=BB13_5 Depth=1
	s_delay_alu instid0(SALU_CYCLE_1)
	s_or_b32 exec_lo, exec_lo, s53
.LBB13_36:                              ;   in Loop: Header=BB13_5 Depth=1
	s_wait_alu 0xfffe
	s_or_b32 exec_lo, exec_lo, s52
	s_and_saveexec_b32 s9, s1
	s_cbranch_execz .LBB13_44
; %bb.37:                               ;   in Loop: Header=BB13_5 Depth=1
	v_mad_co_u64_u32 v[9:10], null, s12, v39, 0
	v_mad_co_u64_u32 v[11:12], null, s12, v8, 0
	v_or_b32_e32 v48, 2, v39
	v_or_b32_e32 v49, 3, v39
	s_mul_u64 s[52:53], s[14:15], s[34:35]
	s_wait_alu 0xfffe
	s_lshl_b64 s[52:53], s[52:53], 2
	v_cmp_gt_i32_e64 s7, s37, v48
	s_delay_alu instid0(VALU_DEP_4) | instskip(SKIP_4) | instid1(VALU_DEP_2)
	v_mad_co_u64_u32 v[13:14], null, s13, v39, v[10:11]
	v_mad_co_u64_u32 v[14:15], null, s12, v48, 0
	;; [unrolled: 1-line block ×3, first 2 shown]
	s_wait_alu 0xfffe
	s_add_nc_u64 s[52:53], s[18:19], s[52:53]
	v_dual_cndmask_b32 v10, 0, v13 :: v_dual_mov_b32 v13, v15
	s_delay_alu instid0(VALU_DEP_2) | instskip(NEXT) | instid1(VALU_DEP_2)
	v_mov_b32_e32 v15, v45
	v_mad_co_u64_u32 v[46:47], null, s13, v8, v[12:13]
	v_cndmask_b32_e32 v9, 0, v9, vcc_lo
	v_cmp_gt_i32_e32 vcc_lo, s37, v8
	s_wait_alu 0xfffd
	s_delay_alu instid0(VALU_DEP_3) | instskip(NEXT) | instid1(VALU_DEP_3)
	v_dual_cndmask_b32 v11, 0, v11 :: v_dual_cndmask_b32 v12, 0, v46
	v_lshlrev_b64_e32 v[9:10], 2, v[9:10]
	s_wait_alu 0xfffe
	s_delay_alu instid0(VALU_DEP_1) | instskip(SKIP_1) | instid1(VALU_DEP_2)
	v_add_co_u32 v8, s8, s52, v9
	s_wait_alu 0xf1ff
	v_add_co_ci_u32_e64 v9, null, s53, v10, s8
	v_lshlrev_b64_e32 v[10:11], 2, v[11:12]
	s_delay_alu instid0(VALU_DEP_3) | instskip(SKIP_1) | instid1(VALU_DEP_3)
	v_add_co_u32 v8, vcc_lo, v8, v4
	s_wait_alu 0xfffd
	v_add_co_ci_u32_e64 v9, null, v9, v5, vcc_lo
	v_cmp_gt_i32_e32 vcc_lo, s37, v49
	v_cndmask_b32_e64 v12, 0, v14, s7
	s_wait_alu 0xfffd
	v_cndmask_b32_e32 v44, 0, v44, vcc_lo
	v_mad_co_u64_u32 v[47:48], null, s13, v48, v[13:14]
	v_mad_co_u64_u32 v[14:15], null, s13, v49, v[15:16]
	s_delay_alu instid0(VALU_DEP_2) | instskip(SKIP_1) | instid1(VALU_DEP_3)
	v_cndmask_b32_e64 v13, 0, v47, s7
	v_add_co_u32 v10, s7, s52, v10
	v_cndmask_b32_e32 v45, 0, v14, vcc_lo
	s_wait_alu 0xf1ff
	v_add_co_ci_u32_e64 v11, null, s53, v11, s7
	v_lshlrev_b64_e32 v[12:13], 2, v[12:13]
	v_add_co_u32 v10, vcc_lo, v10, v4
	v_lshlrev_b64_e32 v[14:15], 2, v[44:45]
	s_wait_alu 0xfffd
	v_add_co_ci_u32_e64 v11, null, v11, v5, vcc_lo
	s_delay_alu instid0(VALU_DEP_4)
	v_add_co_u32 v12, vcc_lo, s52, v12
	s_wait_alu 0xfffd
	v_add_co_ci_u32_e64 v13, null, s53, v13, vcc_lo
	v_add_co_u32 v39, vcc_lo, s52, v14
	s_wait_alu 0xfffd
	v_add_co_ci_u32_e64 v44, null, s53, v15, vcc_lo
	;; [unrolled: 3-line block ×4, first 2 shown]
	s_clause 0x3
	global_load_b32 v46, v[8:9], off
	global_load_b32 v44, v[10:11], off
	global_load_b32 v39, v[14:15], off
	global_load_b32 v45, v[12:13], off
	s_and_saveexec_b32 s7, s2
	s_cbranch_execz .LBB13_43
; %bb.38:                               ;   in Loop: Header=BB13_5 Depth=1
	s_clause 0x3
	global_load_b32 v50, v[8:9], off offset:128
	global_load_b32 v49, v[10:11], off offset:128
	global_load_b32 v48, v[14:15], off offset:128
	global_load_b32 v47, v[12:13], off offset:128
	s_and_saveexec_b32 s8, s3
	s_cbranch_execz .LBB13_42
; %bb.39:                               ;   in Loop: Header=BB13_5 Depth=1
	s_clause 0x3
	global_load_b32 v54, v[8:9], off offset:256
	global_load_b32 v53, v[10:11], off offset:256
	global_load_b32 v52, v[14:15], off offset:256
	global_load_b32 v51, v[12:13], off offset:256
	;; [unrolled: 8-line block ×3, first 2 shown]
	s_wait_loadcnt 0x3
	v_fmac_f32_e32 v38, v40, v8
	s_wait_loadcnt 0x2
	s_delay_alu instid0(VALU_DEP_1) | instskip(SKIP_1) | instid1(VALU_DEP_1)
	v_fmac_f32_e32 v38, v41, v9
	s_wait_loadcnt 0x1
	v_fmac_f32_e32 v38, v42, v10
	s_wait_loadcnt 0x0
	s_delay_alu instid0(VALU_DEP_1)
	v_fmac_f32_e32 v38, v43, v11
.LBB13_41:                              ;   in Loop: Header=BB13_5 Depth=1
	s_wait_alu 0xfffe
	s_or_b32 exec_lo, exec_lo, s52
	s_wait_loadcnt 0x3
	v_fmac_f32_e32 v37, v40, v54
	s_wait_loadcnt 0x2
	s_delay_alu instid0(VALU_DEP_1) | instskip(SKIP_1) | instid1(VALU_DEP_1)
	v_fmac_f32_e32 v37, v41, v53
	s_wait_loadcnt 0x1
	v_fmac_f32_e32 v37, v42, v52
	s_wait_loadcnt 0x0
	s_delay_alu instid0(VALU_DEP_1)
	v_fmac_f32_e32 v37, v43, v51
.LBB13_42:                              ;   in Loop: Header=BB13_5 Depth=1
	s_wait_alu 0xfffe
	s_or_b32 exec_lo, exec_lo, s8
	s_wait_loadcnt 0x3
	v_fmac_f32_e32 v36, v40, v50
	s_wait_loadcnt 0x2
	s_delay_alu instid0(VALU_DEP_1) | instskip(SKIP_1) | instid1(VALU_DEP_1)
	v_fmac_f32_e32 v36, v41, v49
	s_wait_loadcnt 0x1
	v_fmac_f32_e32 v36, v42, v48
	s_wait_loadcnt 0x0
	s_delay_alu instid0(VALU_DEP_1)
	v_fmac_f32_e32 v36, v43, v47
.LBB13_43:                              ;   in Loop: Header=BB13_5 Depth=1
	s_wait_alu 0xfffe
	s_or_b32 exec_lo, exec_lo, s7
	s_wait_loadcnt 0x3
	v_fmac_f32_e32 v35, v40, v46
	s_wait_loadcnt 0x2
	s_delay_alu instid0(VALU_DEP_1) | instskip(SKIP_1) | instid1(VALU_DEP_1)
	v_fmac_f32_e32 v35, v41, v44
	s_wait_loadcnt 0x1
	v_fmac_f32_e32 v35, v42, v39
	s_wait_loadcnt 0x0
	s_delay_alu instid0(VALU_DEP_1)
	v_fmac_f32_e32 v35, v43, v45
.LBB13_44:                              ;   in Loop: Header=BB13_5 Depth=1
	s_wait_alu 0xfffe
	s_or_b32 exec_lo, exec_lo, s9
.LBB13_45:                              ;   in Loop: Header=BB13_5 Depth=1
	ds_store_2addr_b32 v17, v35, v36 offset1:32
	ds_store_2addr_b32 v17, v37, v38 offset0:64 offset1:96
	s_wait_loadcnt_dscnt 0x0
	s_barrier_signal -1
	s_barrier_wait -1
	global_inv scope:SCOPE_SE
                                        ; implicit-def: $vgpr10
	s_and_saveexec_b32 s7, s0
	s_cbranch_execz .LBB13_51
; %bb.46:                               ;   in Loop: Header=BB13_5 Depth=1
	ds_load_2addr_stride64_b32 v[8:9], v18 offset1:2
	ds_load_2addr_stride64_b32 v[10:11], v18 offset0:4 offset1:6
	ds_load_2addr_stride64_b32 v[12:13], v18 offset0:8 offset1:10
	s_mov_b32 s9, s51
	s_wait_dscnt 0x2
	v_add_f32_e32 v14, v8, v9
	ds_load_2addr_stride64_b32 v[8:9], v18 offset0:12 offset1:14
	s_wait_dscnt 0x2
	v_add_f32_e32 v10, v10, v14
	s_delay_alu instid0(VALU_DEP_1) | instskip(SKIP_3) | instid1(VALU_DEP_1)
	v_add_f32_e32 v14, v11, v10
	ds_load_2addr_stride64_b32 v[10:11], v18 offset0:16 offset1:18
	s_wait_dscnt 0x2
	v_add_f32_e32 v12, v12, v14
	v_add_f32_e32 v14, v13, v12
	ds_load_2addr_stride64_b32 v[12:13], v18 offset0:20 offset1:22
	s_wait_dscnt 0x2
	v_add_f32_e32 v8, v8, v14
	s_delay_alu instid0(VALU_DEP_1) | instskip(SKIP_1) | instid1(VALU_DEP_1)
	v_add_f32_e32 v8, v9, v8
	s_wait_dscnt 0x1
	v_add_f32_e32 v10, v10, v8
	ds_load_2addr_stride64_b32 v[8:9], v18 offset0:24 offset1:26
	v_add_f32_e32 v10, v11, v10
	s_wait_dscnt 0x1
	s_delay_alu instid0(VALU_DEP_1) | instskip(SKIP_3) | instid1(VALU_DEP_1)
	v_add_f32_e32 v12, v12, v10
	ds_load_2addr_stride64_b32 v[10:11], v18 offset0:28 offset1:30
	v_add_f32_e32 v12, v13, v12
	s_wait_dscnt 0x1
	v_add_f32_e32 v8, v8, v12
	s_delay_alu instid0(VALU_DEP_1) | instskip(SKIP_1) | instid1(VALU_DEP_1)
	v_add_f32_e32 v8, v9, v8
	s_wait_dscnt 0x0
	v_add_f32_e32 v8, v10, v8
                                        ; implicit-def: $vgpr10
	s_delay_alu instid0(VALU_DEP_1)
	v_add_f32_e32 v8, v11, v8
	ds_store_b32 v18, v8
	s_and_saveexec_b32 s8, s6
	s_cbranch_execz .LBB13_50
; %bb.47:                               ;   in Loop: Header=BB13_5 Depth=1
	v_mul_f32_e32 v10, s38, v8
	s_and_not1_b32 vcc_lo, exec_lo, s48
	s_wait_alu 0xfffe
	s_cbranch_vccnz .LBB13_49
; %bb.48:                               ;   in Loop: Header=BB13_5 Depth=1
	v_lshlrev_b64_e32 v[8:9], 2, v[2:3]
	s_delay_alu instid0(VALU_DEP_1) | instskip(SKIP_1) | instid1(VALU_DEP_2)
	v_add_co_u32 v8, vcc_lo, s44, v8
	s_wait_alu 0xfffd
	v_add_co_ci_u32_e64 v9, null, s45, v9, vcc_lo
	global_load_b32 v8, v[8:9], off
	s_wait_loadcnt 0x0
	v_fmac_f32_e32 v10, s39, v8
.LBB13_49:                              ;   in Loop: Header=BB13_5 Depth=1
	s_or_b32 s9, s51, exec_lo
.LBB13_50:                              ;   in Loop: Header=BB13_5 Depth=1
	s_wait_alu 0xfffe
	s_or_b32 exec_lo, exec_lo, s8
	s_delay_alu instid0(SALU_CYCLE_1)
	s_and_not1_b32 s8, s51, exec_lo
	s_and_b32 s9, s9, exec_lo
	s_wait_alu 0xfffe
	s_or_b32 s51, s8, s9
.LBB13_51:                              ;   in Loop: Header=BB13_5 Depth=1
	s_wait_alu 0xfffe
	s_or_b32 exec_lo, exec_lo, s7
	v_dual_mov_b32 v9, v3 :: v_dual_mov_b32 v8, v2
	s_and_saveexec_b32 s7, s51
	s_cbranch_execz .LBB13_3
.LBB13_52:                              ;   in Loop: Header=BB13_5 Depth=1
	s_delay_alu instid0(VALU_DEP_1) | instskip(SKIP_1) | instid1(VALU_DEP_1)
	v_lshlrev_b64_e32 v[8:9], 2, v[8:9]
	s_wait_alu 0xfffe
	v_add_co_u32 v8, vcc_lo, s44, v8
	s_wait_alu 0xfffd
	s_delay_alu instid0(VALU_DEP_2)
	v_add_co_ci_u32_e64 v9, null, s45, v9, vcc_lo
	global_store_b32 v[8:9], v10, off
	s_branch .LBB13_3
.LBB13_53:
	s_endpgm
	.section	.rodata,"a",@progbits
	.p2align	6, 0x0
	.amdhsa_kernel _ZL20rocblas_gemvn_kernelILi32ELi16ElfffEviiT3_lPKT2_lT1_lS3_lS4_lS0_lPT4_lS4_li
		.amdhsa_group_segment_fixed_size 8192
		.amdhsa_private_segment_fixed_size 0
		.amdhsa_kernarg_size 400
		.amdhsa_user_sgpr_count 2
		.amdhsa_user_sgpr_dispatch_ptr 0
		.amdhsa_user_sgpr_queue_ptr 0
		.amdhsa_user_sgpr_kernarg_segment_ptr 1
		.amdhsa_user_sgpr_dispatch_id 0
		.amdhsa_user_sgpr_private_segment_size 0
		.amdhsa_wavefront_size32 1
		.amdhsa_uses_dynamic_stack 0
		.amdhsa_enable_private_segment 0
		.amdhsa_system_sgpr_workgroup_id_x 1
		.amdhsa_system_sgpr_workgroup_id_y 0
		.amdhsa_system_sgpr_workgroup_id_z 1
		.amdhsa_system_sgpr_workgroup_info 0
		.amdhsa_system_vgpr_workitem_id 1
		.amdhsa_next_free_vgpr 72
		.amdhsa_next_free_sgpr 56
		.amdhsa_reserve_vcc 1
		.amdhsa_float_round_mode_32 0
		.amdhsa_float_round_mode_16_64 0
		.amdhsa_float_denorm_mode_32 3
		.amdhsa_float_denorm_mode_16_64 3
		.amdhsa_fp16_overflow 0
		.amdhsa_workgroup_processor_mode 1
		.amdhsa_memory_ordered 1
		.amdhsa_forward_progress 1
		.amdhsa_inst_pref_size 30
		.amdhsa_round_robin_scheduling 0
		.amdhsa_exception_fp_ieee_invalid_op 0
		.amdhsa_exception_fp_denorm_src 0
		.amdhsa_exception_fp_ieee_div_zero 0
		.amdhsa_exception_fp_ieee_overflow 0
		.amdhsa_exception_fp_ieee_underflow 0
		.amdhsa_exception_fp_ieee_inexact 0
		.amdhsa_exception_int_div_zero 0
	.end_amdhsa_kernel
	.section	.text._ZL20rocblas_gemvn_kernelILi32ELi16ElfffEviiT3_lPKT2_lT1_lS3_lS4_lS0_lPT4_lS4_li,"axG",@progbits,_ZL20rocblas_gemvn_kernelILi32ELi16ElfffEviiT3_lPKT2_lT1_lS3_lS4_lS0_lPT4_lS4_li,comdat
.Lfunc_end13:
	.size	_ZL20rocblas_gemvn_kernelILi32ELi16ElfffEviiT3_lPKT2_lT1_lS3_lS4_lS0_lPT4_lS4_li, .Lfunc_end13-_ZL20rocblas_gemvn_kernelILi32ELi16ElfffEviiT3_lPKT2_lT1_lS3_lS4_lS0_lPT4_lS4_li
                                        ; -- End function
	.set _ZL20rocblas_gemvn_kernelILi32ELi16ElfffEviiT3_lPKT2_lT1_lS3_lS4_lS0_lPT4_lS4_li.num_vgpr, 72
	.set _ZL20rocblas_gemvn_kernelILi32ELi16ElfffEviiT3_lPKT2_lT1_lS3_lS4_lS0_lPT4_lS4_li.num_agpr, 0
	.set _ZL20rocblas_gemvn_kernelILi32ELi16ElfffEviiT3_lPKT2_lT1_lS3_lS4_lS0_lPT4_lS4_li.numbered_sgpr, 56
	.set _ZL20rocblas_gemvn_kernelILi32ELi16ElfffEviiT3_lPKT2_lT1_lS3_lS4_lS0_lPT4_lS4_li.num_named_barrier, 0
	.set _ZL20rocblas_gemvn_kernelILi32ELi16ElfffEviiT3_lPKT2_lT1_lS3_lS4_lS0_lPT4_lS4_li.private_seg_size, 0
	.set _ZL20rocblas_gemvn_kernelILi32ELi16ElfffEviiT3_lPKT2_lT1_lS3_lS4_lS0_lPT4_lS4_li.uses_vcc, 1
	.set _ZL20rocblas_gemvn_kernelILi32ELi16ElfffEviiT3_lPKT2_lT1_lS3_lS4_lS0_lPT4_lS4_li.uses_flat_scratch, 0
	.set _ZL20rocblas_gemvn_kernelILi32ELi16ElfffEviiT3_lPKT2_lT1_lS3_lS4_lS0_lPT4_lS4_li.has_dyn_sized_stack, 0
	.set _ZL20rocblas_gemvn_kernelILi32ELi16ElfffEviiT3_lPKT2_lT1_lS3_lS4_lS0_lPT4_lS4_li.has_recursion, 0
	.set _ZL20rocblas_gemvn_kernelILi32ELi16ElfffEviiT3_lPKT2_lT1_lS3_lS4_lS0_lPT4_lS4_li.has_indirect_call, 0
	.section	.AMDGPU.csdata,"",@progbits
; Kernel info:
; codeLenInByte = 3808
; TotalNumSgprs: 58
; NumVgprs: 72
; ScratchSize: 0
; MemoryBound: 0
; FloatMode: 240
; IeeeMode: 1
; LDSByteSize: 8192 bytes/workgroup (compile time only)
; SGPRBlocks: 0
; VGPRBlocks: 8
; NumSGPRsForWavesPerEU: 58
; NumVGPRsForWavesPerEU: 72
; Occupancy: 16
; WaveLimiterHint : 1
; COMPUTE_PGM_RSRC2:SCRATCH_EN: 0
; COMPUTE_PGM_RSRC2:USER_SGPR: 2
; COMPUTE_PGM_RSRC2:TRAP_HANDLER: 0
; COMPUTE_PGM_RSRC2:TGID_X_EN: 1
; COMPUTE_PGM_RSRC2:TGID_Y_EN: 0
; COMPUTE_PGM_RSRC2:TGID_Z_EN: 1
; COMPUTE_PGM_RSRC2:TIDIG_COMP_CNT: 1
	.section	.text._ZL20rocblas_gemvn_kernelILi64ELi16EifPKffEviiT3_lPKT2_lT1_lS5_lS6_lS2_lPT4_lS6_li,"axG",@progbits,_ZL20rocblas_gemvn_kernelILi64ELi16EifPKffEviiT3_lPKT2_lT1_lS5_lS6_lS2_lPT4_lS6_li,comdat
	.globl	_ZL20rocblas_gemvn_kernelILi64ELi16EifPKffEviiT3_lPKT2_lT1_lS5_lS6_lS2_lPT4_lS6_li ; -- Begin function _ZL20rocblas_gemvn_kernelILi64ELi16EifPKffEviiT3_lPKT2_lT1_lS5_lS6_lS2_lPT4_lS6_li
	.p2align	8
	.type	_ZL20rocblas_gemvn_kernelILi64ELi16EifPKffEviiT3_lPKT2_lT1_lS5_lS6_lS2_lPT4_lS6_li,@function
_ZL20rocblas_gemvn_kernelILi64ELi16EifPKffEviiT3_lPKT2_lT1_lS5_lS6_lS2_lPT4_lS6_li: ; @_ZL20rocblas_gemvn_kernelILi64ELi16EifPKffEviiT3_lPKT2_lT1_lS5_lS6_lS2_lPT4_lS6_li
; %bb.0:
	s_load_b64 s[2:3], s[0:1], 0x9c
	s_wait_kmcnt 0x0
	s_lshr_b32 s4, s2, 16
	s_and_b32 s2, s2, 0xffff
	s_and_b32 s3, s3, 0xffff
	s_mul_i32 s2, s4, s2
	s_delay_alu instid0(SALU_CYCLE_1) | instskip(NEXT) | instid1(SALU_CYCLE_1)
	s_mul_i32 s2, s2, s3
	s_cmp_lg_u32 s2, 0x400
	s_cbranch_scc1 .LBB14_53
; %bb.1:
	s_load_b32 s31, s[0:1], 0x88
	s_lshr_b32 s34, ttmp7, 16
	s_wait_kmcnt 0x0
	s_cmp_ge_u32 s34, s31
	s_cbranch_scc1 .LBB14_53
; %bb.2:
	s_clause 0x3
	s_load_b96 s[4:6], s[0:1], 0x70
	s_load_b256 s[8:15], s[0:1], 0x8
	s_load_b96 s[28:30], s[0:1], 0x40
	s_load_b64 s[36:37], s[0:1], 0x0
	v_and_b32_e32 v9, 0x3ff, v0
	v_bfe_u32 v8, v0, 10, 10
	s_clause 0x2
	s_load_b32 s33, s[0:1], 0x28
	s_load_b128 s[24:27], s[0:1], 0x30
	s_load_b256 s[16:23], s[0:1], 0x50
	s_lshl_b32 s42, ttmp9, 8
	v_mov_b32_e32 v1, 0
	v_add_nc_u32_e32 v19, s42, v9
	v_lshl_add_u32 v5, v8, 6, v9
	v_lshlrev_b32_e32 v20, 2, v8
	s_load_b64 s[38:39], s[0:1], 0x80
	s_mov_b32 s35, 0
	v_add_nc_u32_e32 v7, 0x80, v19
	v_add_nc_u32_e32 v0, s42, v5
	v_or_b32_e32 v11, s42, v5
	v_add_nc_u32_e32 v6, 64, v19
	v_add_nc_u32_e32 v10, 0xc0, v19
	v_or_b32_e32 v12, 3, v20
	s_wait_kmcnt 0x0
	v_mad_co_u64_u32 v[2:3], null, s6, v0, 0
	s_lshl_b64 s[2:3], s[14:15], 2
	s_ashr_i32 s1, s6, 31
	s_ashr_i32 s7, s37, 31
	s_add_nc_u64 s[12:13], s[12:13], s[2:3]
	v_cmp_gt_i32_e64 s3, s36, v7
	v_mul_lo_u32 v7, s33, v20
	s_lshl_b64 s[4:5], s[4:5], 2
	s_wait_alu 0xfffe
	s_lshr_b32 s2, s7, 26
	v_mad_co_u64_u32 v[3:4], null, s1, v0, v[3:4]
	v_mul_lo_u32 v4, s6, v11
	v_cmp_gt_i32_e64 s6, s36, v11
	v_mul_lo_u32 v11, v8, s33
	s_add_co_i32 s43, s37, s2
	s_add_nc_u64 s[22:23], s[22:23], s[4:5]
	v_cmp_gt_i32_e64 s2, s36, v6
	v_cmp_gt_i32_e64 s4, s36, v10
	v_lshlrev_b32_e32 v6, 2, v9
	v_or_b32_e32 v10, 2, v20
	v_mul_lo_u32 v13, v8, s30
	s_lshl_b64 s[14:15], s[28:29], 2
	s_ashr_i32 s29, s36, 31
	s_mov_b32 s28, s36
	s_wait_alu 0xfffe
	s_and_not1_b32 s43, s43, 63
	s_add_nc_u64 s[14:15], s[26:27], s[14:15]
	v_cmp_gt_i64_e32 vcc_lo, s[28:29], v[0:1]
	v_lshl_add_u32 v0, v8, 10, v6
	v_lshl_add_u32 v21, v8, 8, v6
	v_add3_u32 v22, v7, s33, v9
	v_mad_co_u64_u32 v[6:7], null, s33, v10, v[9:10]
	s_mov_b32 s26, s30
	s_wait_alu 0xfffe
	s_sub_co_i32 s5, s37, s43
	v_mad_co_u64_u32 v[7:8], null, s33, v12, v[9:10]
	v_lshl_add_u32 v23, v11, 2, v9
	v_mad_co_u64_u32 v[8:9], null, s30, v20, s[26:27]
	v_mul_lo_u32 v24, s30, v10
	v_mul_lo_u32 v25, s30, v12
	s_cmp_gt_i32 s5, 0
	v_cmp_gt_u32_e64 s5, 0x100, v5
	v_lshlrev_b64_e32 v[9:10], 2, v[2:3]
	v_cmp_gt_i32_e64 s0, s36, v19
	v_cmp_gt_i32_e64 s1, s43, v20
	v_ashrrev_i32_e32 v5, 31, v4
	v_lshlrev_b32_e32 v26, 2, v13
	s_cselect_b32 s36, -1, 0
	s_and_b32 s44, s5, vcc_lo
	s_lshl_b32 s45, s33, 6
	s_lshl_b32 s46, s30, 6
	s_branch .LBB14_5
.LBB14_3:                               ;   in Loop: Header=BB14_5 Depth=1
	s_wait_alu 0xfffe
	s_or_b32 exec_lo, exec_lo, s7
.LBB14_4:                               ;   in Loop: Header=BB14_5 Depth=1
	s_add_co_i32 s34, s34, 0x10000
	s_delay_alu instid0(SALU_CYCLE_1)
	s_cmp_lt_u32 s34, s31
	s_cbranch_scc0 .LBB14_53
.LBB14_5:                               ; =>This Loop Header: Depth=1
                                        ;     Child Loop BB14_21 Depth 2
	s_mul_u64 s[26:27], s[10:11], s[34:35]
	s_mul_u64 s[28:29], s[20:21], s[34:35]
	s_wait_alu 0xfffe
	s_lshl_b64 s[26:27], s[26:27], 2
	s_lshl_b64 s[28:29], s[28:29], 2
	s_wait_alu 0xfffe
	s_add_nc_u64 s[26:27], s[8:9], s[26:27]
	s_add_nc_u64 s[28:29], s[18:19], s[28:29]
	s_clause 0x1
	global_load_b32 v27, v1, s[26:27]
	global_load_b32 v11, v1, s[28:29]
	s_wait_loadcnt 0x1
	v_cmp_eq_f32_e32 vcc_lo, 0, v27
	s_wait_loadcnt 0x0
	v_cmp_eq_f32_e64 s7, 1.0, v11
	v_readfirstlane_b32 s47, v11
	s_and_b32 s7, vcc_lo, s7
	s_wait_alu 0xfffe
	s_and_b32 vcc_lo, exec_lo, s7
	s_wait_alu 0xfffe
	s_cbranch_vccnz .LBB14_4
; %bb.6:                                ;   in Loop: Header=BB14_5 Depth=1
	v_cmp_neq_f32_e32 vcc_lo, 0, v27
	s_mul_u64 s[26:27], s[38:39], s[34:35]
	s_wait_alu 0xfffe
	s_lshl_b64 s[26:27], s[26:27], 2
	s_wait_alu 0xfffe
	s_add_nc_u64 s[26:27], s[22:23], s[26:27]
	s_cbranch_vccnz .LBB14_10
; %bb.7:                                ;   in Loop: Header=BB14_5 Depth=1
	s_mov_b32 s7, 0
	s_mov_b32 s48, 0
                                        ; implicit-def: $vgpr13
	s_and_saveexec_b32 s28, s44
	s_cbranch_execz .LBB14_11
; %bb.8:                                ;   in Loop: Header=BB14_5 Depth=1
	s_cmp_eq_f32 s47, 0
	s_cbranch_scc1 .LBB14_13
; %bb.9:                                ;   in Loop: Header=BB14_5 Depth=1
	s_wait_alu 0xfffe
	v_add_co_u32 v11, vcc_lo, s26, v9
	s_wait_alu 0xfffd
	v_add_co_ci_u32_e64 v12, null, s27, v10, vcc_lo
	global_load_b32 v11, v[11:12], off
	s_wait_loadcnt 0x0
	v_mul_f32_e32 v13, s47, v11
	s_branch .LBB14_14
.LBB14_10:                              ;   in Loop: Header=BB14_5 Depth=1
	s_mov_b32 s48, 0
                                        ; implicit-def: $vgpr13
	s_cbranch_execz .LBB14_12
	s_branch .LBB14_15
.LBB14_11:                              ;   in Loop: Header=BB14_5 Depth=1
	s_wait_alu 0xfffe
	s_or_b32 exec_lo, exec_lo, s28
	s_delay_alu instid0(SALU_CYCLE_1)
	s_and_b32 vcc_lo, exec_lo, s7
	s_wait_alu 0xfffe
	s_cbranch_vccnz .LBB14_15
.LBB14_12:                              ;   in Loop: Header=BB14_5 Depth=1
	v_dual_mov_b32 v12, v3 :: v_dual_mov_b32 v11, v2
	s_and_saveexec_b32 s7, s48
	s_cbranch_execz .LBB14_3
	s_branch .LBB14_52
.LBB14_13:                              ;   in Loop: Header=BB14_5 Depth=1
	v_mov_b32_e32 v13, 0
.LBB14_14:                              ;   in Loop: Header=BB14_5 Depth=1
	s_mov_b32 s48, exec_lo
	s_wait_alu 0xfffe
	s_or_b32 exec_lo, exec_lo, s28
	s_delay_alu instid0(SALU_CYCLE_1)
	s_and_b32 vcc_lo, exec_lo, s7
	s_wait_alu 0xfffe
	s_cbranch_vccz .LBB14_12
.LBB14_15:                              ;   in Loop: Header=BB14_5 Depth=1
	s_mul_u64 s[28:29], s[24:25], s[34:35]
	s_mul_u64 s[40:41], s[16:17], s[34:35]
	v_dual_mov_b32 v28, 0 :: v_dual_mov_b32 v29, 0
	v_dual_mov_b32 v32, v20 :: v_dual_mov_b32 v31, 0
	v_mov_b32_e32 v30, 0
	s_wait_alu 0xfffe
	s_lshl_b64 s[28:29], s[28:29], 2
	s_lshl_b64 s[40:41], s[40:41], 2
	s_wait_alu 0xfffe
	s_add_nc_u64 s[28:29], s[12:13], s[28:29]
	s_add_nc_u64 s[40:41], s[14:15], s[40:41]
	s_and_saveexec_b32 s7, s1
	s_cbranch_execz .LBB14_27
; %bb.16:                               ;   in Loop: Header=BB14_5 Depth=1
	v_dual_mov_b32 v28, 0 :: v_dual_mov_b32 v33, v23
	v_dual_mov_b32 v34, v7 :: v_dual_mov_b32 v35, v6
	;; [unrolled: 1-line block ×4, first 2 shown]
	v_mov_b32_e32 v30, 0
	s_mov_b32 s49, 0
	s_mov_b32 s50, 0
	s_branch .LBB14_21
.LBB14_17:                              ;   in Loop: Header=BB14_21 Depth=2
	s_or_b32 exec_lo, exec_lo, s54
	s_wait_loadcnt 0x3
	v_fmac_f32_e32 v30, v40, v52
	s_wait_loadcnt 0x2
	s_delay_alu instid0(VALU_DEP_1) | instskip(SKIP_1) | instid1(VALU_DEP_1)
	v_fmac_f32_e32 v30, v39, v51
	s_wait_loadcnt 0x1
	v_fmac_f32_e32 v30, v38, v50
	s_wait_loadcnt 0x0
	s_delay_alu instid0(VALU_DEP_1)
	v_fmac_f32_e32 v30, v37, v49
.LBB14_18:                              ;   in Loop: Header=BB14_21 Depth=2
	s_or_b32 exec_lo, exec_lo, s53
	s_wait_loadcnt 0x3
	v_fmac_f32_e32 v29, v40, v48
	s_wait_loadcnt 0x2
	s_delay_alu instid0(VALU_DEP_1) | instskip(SKIP_1) | instid1(VALU_DEP_1)
	v_fmac_f32_e32 v29, v39, v47
	s_wait_loadcnt 0x1
	v_fmac_f32_e32 v29, v38, v46
	s_wait_loadcnt 0x0
	s_delay_alu instid0(VALU_DEP_1)
	v_fmac_f32_e32 v29, v37, v45
.LBB14_19:                              ;   in Loop: Header=BB14_21 Depth=2
	s_or_b32 exec_lo, exec_lo, s52
	s_wait_loadcnt 0x3
	v_fmac_f32_e32 v28, v40, v44
	s_wait_loadcnt 0x2
	s_delay_alu instid0(VALU_DEP_1) | instskip(SKIP_1) | instid1(VALU_DEP_1)
	v_fmac_f32_e32 v28, v39, v42
	s_wait_loadcnt 0x1
	v_fmac_f32_e32 v28, v38, v41
	s_wait_loadcnt 0x0
	s_delay_alu instid0(VALU_DEP_1)
	v_fmac_f32_e32 v28, v37, v43
.LBB14_20:                              ;   in Loop: Header=BB14_21 Depth=2
	s_wait_alu 0xfffe
	s_or_b32 exec_lo, exec_lo, s51
	v_add_nc_u32_e32 v32, 64, v32
	v_add_nc_u32_e32 v36, s45, v36
	;; [unrolled: 1-line block ×5, first 2 shown]
	v_cmp_le_i32_e32 vcc_lo, s43, v32
	s_add_co_i32 s50, s50, s46
	s_or_b32 s49, vcc_lo, s49
	s_delay_alu instid0(SALU_CYCLE_1)
	s_and_not1_b32 exec_lo, exec_lo, s49
	s_cbranch_execz .LBB14_26
.LBB14_21:                              ;   Parent Loop BB14_5 Depth=1
                                        ; =>  This Inner Loop Header: Depth=2
	s_and_saveexec_b32 s51, s0
	s_cbranch_execz .LBB14_20
; %bb.22:                               ;   in Loop: Header=BB14_21 Depth=2
	s_wait_alu 0xfffe
	v_add_nc_u32_e32 v11, s50, v26
	v_add_nc_u32_e32 v13, s50, v8
	;; [unrolled: 1-line block ×5, first 2 shown]
	v_ashrrev_i32_e32 v12, 31, v11
	v_ashrrev_i32_e32 v14, 31, v13
	;; [unrolled: 1-line block ×5, first 2 shown]
	v_lshlrev_b64_e32 v[11:12], 2, v[11:12]
	v_lshlrev_b64_e32 v[13:14], 2, v[13:14]
	v_lshlrev_b64_e32 v[15:16], 2, v[15:16]
	s_delay_alu instid0(VALU_DEP_3) | instskip(SKIP_1) | instid1(VALU_DEP_4)
	v_add_co_u32 v39, vcc_lo, s40, v11
	s_wait_alu 0xfffd
	v_add_co_ci_u32_e64 v40, null, s41, v12, vcc_lo
	s_delay_alu instid0(VALU_DEP_4)
	v_add_co_u32 v41, vcc_lo, s40, v13
	v_add_nc_u32_e32 v13, s42, v36
	s_wait_alu 0xfffd
	v_add_co_ci_u32_e64 v42, null, s41, v14, vcc_lo
	v_lshlrev_b64_e32 v[11:12], 2, v[17:18]
	v_add_co_u32 v43, vcc_lo, s40, v15
	v_add_nc_u32_e32 v17, s42, v35
	s_wait_alu 0xfffd
	v_add_co_ci_u32_e64 v44, null, s41, v16, vcc_lo
	v_lshlrev_b64_e32 v[15:16], 2, v[37:38]
	v_add_nc_u32_e32 v37, s42, v34
	v_ashrrev_i32_e32 v14, 31, v13
	v_ashrrev_i32_e32 v18, 31, v17
	v_add_co_u32 v45, vcc_lo, s40, v11
	s_delay_alu instid0(VALU_DEP_4)
	v_ashrrev_i32_e32 v38, 31, v37
	s_wait_alu 0xfffd
	v_add_co_ci_u32_e64 v46, null, s41, v12, vcc_lo
	v_lshlrev_b64_e32 v[13:14], 2, v[13:14]
	v_add_co_u32 v11, vcc_lo, s28, v15
	s_wait_alu 0xfffd
	v_add_co_ci_u32_e64 v12, null, s29, v16, vcc_lo
	v_lshlrev_b64_e32 v[15:16], 2, v[17:18]
	v_lshlrev_b64_e32 v[37:38], 2, v[37:38]
	v_add_co_u32 v13, vcc_lo, s28, v13
	s_wait_alu 0xfffd
	v_add_co_ci_u32_e64 v14, null, s29, v14, vcc_lo
	s_delay_alu instid0(VALU_DEP_4)
	v_add_co_u32 v17, vcc_lo, s28, v15
	s_wait_alu 0xfffd
	v_add_co_ci_u32_e64 v18, null, s29, v16, vcc_lo
	v_add_co_u32 v15, vcc_lo, s28, v37
	s_wait_alu 0xfffd
	v_add_co_ci_u32_e64 v16, null, s29, v38, vcc_lo
	s_clause 0x3
	global_load_b32 v40, v[39:40], off
	global_load_b32 v39, v[41:42], off
	;; [unrolled: 1-line block ×4, first 2 shown]
	s_clause 0x3
	global_load_b32 v44, v[11:12], off
	global_load_b32 v42, v[13:14], off
	;; [unrolled: 1-line block ×4, first 2 shown]
	s_and_saveexec_b32 s52, s2
	s_cbranch_execz .LBB14_19
; %bb.23:                               ;   in Loop: Header=BB14_21 Depth=2
	s_clause 0x3
	global_load_b32 v48, v[11:12], off offset:256
	global_load_b32 v47, v[13:14], off offset:256
	global_load_b32 v46, v[17:18], off offset:256
	global_load_b32 v45, v[15:16], off offset:256
	s_and_saveexec_b32 s53, s3
	s_cbranch_execz .LBB14_18
; %bb.24:                               ;   in Loop: Header=BB14_21 Depth=2
	s_clause 0x3
	global_load_b32 v52, v[11:12], off offset:512
	global_load_b32 v51, v[13:14], off offset:512
	global_load_b32 v50, v[17:18], off offset:512
	global_load_b32 v49, v[15:16], off offset:512
	;; [unrolled: 8-line block ×3, first 2 shown]
	s_wait_loadcnt 0x3
	v_fmac_f32_e32 v31, v40, v11
	s_wait_loadcnt 0x2
	s_delay_alu instid0(VALU_DEP_1) | instskip(SKIP_1) | instid1(VALU_DEP_1)
	v_fmac_f32_e32 v31, v39, v12
	s_wait_loadcnt 0x1
	v_fmac_f32_e32 v31, v38, v13
	s_wait_loadcnt 0x0
	s_delay_alu instid0(VALU_DEP_1)
	v_fmac_f32_e32 v31, v37, v14
	s_branch .LBB14_17
.LBB14_26:                              ;   in Loop: Header=BB14_5 Depth=1
	s_or_b32 exec_lo, exec_lo, s49
.LBB14_27:                              ;   in Loop: Header=BB14_5 Depth=1
	s_wait_alu 0xfffe
	s_or_b32 exec_lo, exec_lo, s7
	s_delay_alu instid0(SALU_CYCLE_1)
	s_and_not1_b32 vcc_lo, exec_lo, s36
	s_wait_alu 0xfffe
	s_cbranch_vccnz .LBB14_45
; %bb.28:                               ;   in Loop: Header=BB14_5 Depth=1
	v_cmp_gt_i32_e32 vcc_lo, s37, v32
	v_dual_mov_b32 v36, 0 :: v_dual_mov_b32 v35, 0
	v_or_b32_e32 v11, 1, v32
	v_dual_mov_b32 v34, 0 :: v_dual_mov_b32 v33, 0
	s_and_saveexec_b32 s49, vcc_lo
	s_cbranch_execz .LBB14_36
; %bb.29:                               ;   in Loop: Header=BB14_5 Depth=1
	v_mul_lo_u32 v12, v32, s30
	v_dual_mov_b32 v34, 0 :: v_dual_mov_b32 v35, 0
	v_mov_b32_e32 v36, 0
	s_mov_b32 s50, exec_lo
	s_delay_alu instid0(VALU_DEP_3) | instskip(NEXT) | instid1(VALU_DEP_1)
	v_ashrrev_i32_e32 v13, 31, v12
	v_lshlrev_b64_e32 v[12:13], 2, v[12:13]
	s_delay_alu instid0(VALU_DEP_1) | instskip(SKIP_1) | instid1(VALU_DEP_2)
	v_add_co_u32 v12, s7, s40, v12
	s_wait_alu 0xf1ff
	v_add_co_ci_u32_e64 v13, null, s41, v13, s7
	global_load_b32 v33, v[12:13], off
	v_cmpx_gt_i32_e64 s37, v11
	s_cbranch_execz .LBB14_35
; %bb.30:                               ;   in Loop: Header=BB14_5 Depth=1
	v_mul_lo_u32 v12, v11, s30
	v_dual_mov_b32 v35, 0 :: v_dual_mov_b32 v36, 0
	s_mov_b32 s51, exec_lo
	s_delay_alu instid0(VALU_DEP_2) | instskip(NEXT) | instid1(VALU_DEP_1)
	v_ashrrev_i32_e32 v13, 31, v12
	v_lshlrev_b64_e32 v[12:13], 2, v[12:13]
	s_delay_alu instid0(VALU_DEP_1) | instskip(SKIP_1) | instid1(VALU_DEP_2)
	v_add_co_u32 v12, s7, s40, v12
	s_wait_alu 0xf1ff
	v_add_co_ci_u32_e64 v13, null, s41, v13, s7
	global_load_b32 v34, v[12:13], off
	v_or_b32_e32 v12, 2, v32
	s_delay_alu instid0(VALU_DEP_1)
	v_cmpx_gt_i32_e64 s37, v12
	s_cbranch_execz .LBB14_34
; %bb.31:                               ;   in Loop: Header=BB14_5 Depth=1
	v_mul_lo_u32 v12, v12, s30
	v_mov_b32_e32 v36, 0
	s_mov_b32 s52, exec_lo
	s_delay_alu instid0(VALU_DEP_2) | instskip(NEXT) | instid1(VALU_DEP_1)
	v_ashrrev_i32_e32 v13, 31, v12
	v_lshlrev_b64_e32 v[12:13], 2, v[12:13]
	s_delay_alu instid0(VALU_DEP_1) | instskip(SKIP_1) | instid1(VALU_DEP_2)
	v_add_co_u32 v12, s7, s40, v12
	s_wait_alu 0xf1ff
	v_add_co_ci_u32_e64 v13, null, s41, v13, s7
	global_load_b32 v35, v[12:13], off
	v_or_b32_e32 v12, 3, v32
	s_delay_alu instid0(VALU_DEP_1)
	v_cmpx_gt_i32_e64 s37, v12
	s_cbranch_execz .LBB14_33
; %bb.32:                               ;   in Loop: Header=BB14_5 Depth=1
	v_mul_lo_u32 v12, v12, s30
	s_delay_alu instid0(VALU_DEP_1) | instskip(NEXT) | instid1(VALU_DEP_1)
	v_ashrrev_i32_e32 v13, 31, v12
	v_lshlrev_b64_e32 v[12:13], 2, v[12:13]
	s_delay_alu instid0(VALU_DEP_1) | instskip(SKIP_1) | instid1(VALU_DEP_2)
	v_add_co_u32 v12, s7, s40, v12
	s_wait_alu 0xf1ff
	v_add_co_ci_u32_e64 v13, null, s41, v13, s7
	global_load_b32 v36, v[12:13], off
.LBB14_33:                              ;   in Loop: Header=BB14_5 Depth=1
	s_or_b32 exec_lo, exec_lo, s52
.LBB14_34:                              ;   in Loop: Header=BB14_5 Depth=1
	s_wait_alu 0xfffe
	s_or_b32 exec_lo, exec_lo, s51
.LBB14_35:                              ;   in Loop: Header=BB14_5 Depth=1
	s_wait_alu 0xfffe
	s_or_b32 exec_lo, exec_lo, s50
.LBB14_36:                              ;   in Loop: Header=BB14_5 Depth=1
	s_delay_alu instid0(SALU_CYCLE_1)
	s_or_b32 exec_lo, exec_lo, s49
	s_and_saveexec_b32 s7, s0
	s_cbranch_execz .LBB14_44
; %bb.37:                               ;   in Loop: Header=BB14_5 Depth=1
	v_mul_lo_u32 v13, v32, s33
	v_or_b32_e32 v12, 2, v32
	v_mul_lo_u32 v15, v11, s33
	v_or_b32_e32 v14, 3, v32
	s_delay_alu instid0(VALU_DEP_3) | instskip(NEXT) | instid1(VALU_DEP_2)
	v_mul_lo_u32 v16, v12, s33
	v_mul_lo_u32 v17, v14, s33
	v_cndmask_b32_e32 v13, 0, v13, vcc_lo
	v_cmp_gt_i32_e32 vcc_lo, s37, v11
	s_wait_alu 0xfffd
	v_cndmask_b32_e32 v15, 0, v15, vcc_lo
	v_cmp_gt_i32_e32 vcc_lo, s37, v12
	s_wait_alu 0xfffd
	;; [unrolled: 3-line block ×3, first 2 shown]
	v_dual_cndmask_b32 v14, 0, v17 :: v_dual_add_nc_u32 v11, v13, v19
	v_add_nc_u32_e32 v13, v15, v19
	v_add_nc_u32_e32 v15, v12, v19
	s_delay_alu instid0(VALU_DEP_3) | instskip(NEXT) | instid1(VALU_DEP_4)
	v_ashrrev_i32_e32 v12, 31, v11
	v_add_nc_u32_e32 v17, v14, v19
	s_delay_alu instid0(VALU_DEP_4) | instskip(NEXT) | instid1(VALU_DEP_4)
	v_ashrrev_i32_e32 v14, 31, v13
	v_ashrrev_i32_e32 v16, 31, v15
	s_delay_alu instid0(VALU_DEP_4) | instskip(NEXT) | instid1(VALU_DEP_4)
	v_lshlrev_b64_e32 v[11:12], 2, v[11:12]
	v_ashrrev_i32_e32 v18, 31, v17
	s_delay_alu instid0(VALU_DEP_4) | instskip(NEXT) | instid1(VALU_DEP_4)
	v_lshlrev_b64_e32 v[13:14], 2, v[13:14]
	v_lshlrev_b64_e32 v[37:38], 2, v[15:16]
	s_delay_alu instid0(VALU_DEP_3)
	v_lshlrev_b64_e32 v[39:40], 2, v[17:18]
	v_add_co_u32 v17, vcc_lo, s28, v11
	s_wait_alu 0xfffd
	v_add_co_ci_u32_e64 v18, null, s29, v12, vcc_lo
	v_add_co_u32 v15, vcc_lo, s28, v13
	s_wait_alu 0xfffd
	v_add_co_ci_u32_e64 v16, null, s29, v14, vcc_lo
	;; [unrolled: 3-line block ×4, first 2 shown]
	s_clause 0x3
	global_load_b32 v39, v[17:18], off
	global_load_b32 v37, v[15:16], off
	global_load_b32 v32, v[13:14], off
	global_load_b32 v38, v[11:12], off
	s_and_saveexec_b32 s28, s2
	s_cbranch_execz .LBB14_43
; %bb.38:                               ;   in Loop: Header=BB14_5 Depth=1
	s_clause 0x3
	global_load_b32 v43, v[17:18], off offset:256
	global_load_b32 v42, v[15:16], off offset:256
	global_load_b32 v41, v[13:14], off offset:256
	global_load_b32 v40, v[11:12], off offset:256
	s_and_saveexec_b32 s29, s3
	s_cbranch_execz .LBB14_42
; %bb.39:                               ;   in Loop: Header=BB14_5 Depth=1
	s_clause 0x3
	global_load_b32 v47, v[17:18], off offset:512
	global_load_b32 v46, v[15:16], off offset:512
	global_load_b32 v45, v[13:14], off offset:512
	global_load_b32 v44, v[11:12], off offset:512
	;; [unrolled: 8-line block ×3, first 2 shown]
	s_wait_loadcnt 0x3
	v_fmac_f32_e32 v31, v33, v17
	s_wait_loadcnt 0x2
	s_delay_alu instid0(VALU_DEP_1) | instskip(SKIP_1) | instid1(VALU_DEP_1)
	v_fmac_f32_e32 v31, v34, v15
	s_wait_loadcnt 0x1
	v_fmac_f32_e32 v31, v35, v13
	s_wait_loadcnt 0x0
	s_delay_alu instid0(VALU_DEP_1)
	v_fmac_f32_e32 v31, v36, v11
.LBB14_41:                              ;   in Loop: Header=BB14_5 Depth=1
	s_wait_alu 0xfffe
	s_or_b32 exec_lo, exec_lo, s40
	s_wait_loadcnt 0x3
	v_fmac_f32_e32 v30, v33, v47
	s_wait_loadcnt 0x2
	s_delay_alu instid0(VALU_DEP_1) | instskip(SKIP_1) | instid1(VALU_DEP_1)
	v_fmac_f32_e32 v30, v34, v46
	s_wait_loadcnt 0x1
	v_fmac_f32_e32 v30, v35, v45
	s_wait_loadcnt 0x0
	s_delay_alu instid0(VALU_DEP_1)
	v_fmac_f32_e32 v30, v36, v44
.LBB14_42:                              ;   in Loop: Header=BB14_5 Depth=1
	s_wait_alu 0xfffe
	s_or_b32 exec_lo, exec_lo, s29
	s_wait_loadcnt 0x3
	v_fmac_f32_e32 v29, v33, v43
	s_wait_loadcnt 0x2
	s_delay_alu instid0(VALU_DEP_1) | instskip(SKIP_1) | instid1(VALU_DEP_1)
	v_fmac_f32_e32 v29, v34, v42
	s_wait_loadcnt 0x1
	v_fmac_f32_e32 v29, v35, v41
	s_wait_loadcnt 0x0
	s_delay_alu instid0(VALU_DEP_1)
	v_fmac_f32_e32 v29, v36, v40
.LBB14_43:                              ;   in Loop: Header=BB14_5 Depth=1
	s_wait_alu 0xfffe
	s_or_b32 exec_lo, exec_lo, s28
	s_wait_loadcnt 0x3
	v_fmac_f32_e32 v28, v33, v39
	s_wait_loadcnt 0x2
	s_delay_alu instid0(VALU_DEP_1) | instskip(SKIP_1) | instid1(VALU_DEP_1)
	v_fmac_f32_e32 v28, v34, v37
	s_wait_loadcnt 0x1
	v_fmac_f32_e32 v28, v35, v32
	s_wait_loadcnt 0x0
	s_delay_alu instid0(VALU_DEP_1)
	v_fmac_f32_e32 v28, v36, v38
.LBB14_44:                              ;   in Loop: Header=BB14_5 Depth=1
	s_wait_alu 0xfffe
	s_or_b32 exec_lo, exec_lo, s7
.LBB14_45:                              ;   in Loop: Header=BB14_5 Depth=1
	ds_store_2addr_stride64_b32 v0, v28, v29 offset1:1
	ds_store_2addr_stride64_b32 v0, v30, v31 offset0:2 offset1:3
	s_wait_loadcnt_dscnt 0x0
	s_barrier_signal -1
	s_barrier_wait -1
	global_inv scope:SCOPE_SE
                                        ; implicit-def: $vgpr13
	s_and_saveexec_b32 s7, s5
	s_cbranch_execz .LBB14_51
; %bb.46:                               ;   in Loop: Header=BB14_5 Depth=1
	ds_load_2addr_stride64_b32 v[11:12], v21 offset1:4
	ds_load_2addr_stride64_b32 v[13:14], v21 offset0:8 offset1:12
	ds_load_2addr_stride64_b32 v[15:16], v21 offset0:16 offset1:20
	s_mov_b32 s29, s48
	s_wait_dscnt 0x2
	v_add_f32_e32 v17, v11, v12
	ds_load_2addr_stride64_b32 v[11:12], v21 offset0:24 offset1:28
	s_wait_dscnt 0x2
	v_add_f32_e32 v13, v13, v17
	s_delay_alu instid0(VALU_DEP_1) | instskip(SKIP_3) | instid1(VALU_DEP_1)
	v_add_f32_e32 v17, v14, v13
	ds_load_2addr_stride64_b32 v[13:14], v21 offset0:32 offset1:36
	s_wait_dscnt 0x2
	v_add_f32_e32 v15, v15, v17
	v_add_f32_e32 v17, v16, v15
	ds_load_2addr_stride64_b32 v[15:16], v21 offset0:40 offset1:44
	s_wait_dscnt 0x2
	v_add_f32_e32 v11, v11, v17
	s_delay_alu instid0(VALU_DEP_1) | instskip(SKIP_1) | instid1(VALU_DEP_1)
	v_add_f32_e32 v11, v12, v11
	s_wait_dscnt 0x1
	v_add_f32_e32 v13, v13, v11
	ds_load_2addr_stride64_b32 v[11:12], v21 offset0:48 offset1:52
	v_add_f32_e32 v13, v14, v13
	s_wait_dscnt 0x1
	s_delay_alu instid0(VALU_DEP_1) | instskip(SKIP_3) | instid1(VALU_DEP_1)
	v_add_f32_e32 v15, v15, v13
	ds_load_2addr_stride64_b32 v[13:14], v21 offset0:56 offset1:60
	v_add_f32_e32 v15, v16, v15
	s_wait_dscnt 0x1
	v_add_f32_e32 v11, v11, v15
	s_delay_alu instid0(VALU_DEP_1) | instskip(SKIP_1) | instid1(VALU_DEP_1)
	v_add_f32_e32 v11, v12, v11
	s_wait_dscnt 0x0
	v_add_f32_e32 v11, v13, v11
                                        ; implicit-def: $vgpr13
	s_delay_alu instid0(VALU_DEP_1)
	v_add_f32_e32 v11, v14, v11
	ds_store_b32 v21, v11
	s_and_saveexec_b32 s28, s6
	s_cbranch_execz .LBB14_50
; %bb.47:                               ;   in Loop: Header=BB14_5 Depth=1
	v_mul_f32_e32 v13, v27, v11
	s_cmp_eq_f32 s47, 0
	s_cbranch_scc1 .LBB14_49
; %bb.48:                               ;   in Loop: Header=BB14_5 Depth=1
	v_lshlrev_b64_e32 v[11:12], 2, v[4:5]
	s_delay_alu instid0(VALU_DEP_1) | instskip(SKIP_1) | instid1(VALU_DEP_2)
	v_add_co_u32 v11, vcc_lo, s26, v11
	s_wait_alu 0xfffd
	v_add_co_ci_u32_e64 v12, null, s27, v12, vcc_lo
	global_load_b32 v11, v[11:12], off
	s_wait_loadcnt 0x0
	v_fmac_f32_e32 v13, s47, v11
.LBB14_49:                              ;   in Loop: Header=BB14_5 Depth=1
	s_or_b32 s29, s48, exec_lo
.LBB14_50:                              ;   in Loop: Header=BB14_5 Depth=1
	s_wait_alu 0xfffe
	s_or_b32 exec_lo, exec_lo, s28
	s_delay_alu instid0(SALU_CYCLE_1)
	s_and_not1_b32 s28, s48, exec_lo
	s_and_b32 s29, s29, exec_lo
	s_wait_alu 0xfffe
	s_or_b32 s48, s28, s29
.LBB14_51:                              ;   in Loop: Header=BB14_5 Depth=1
	s_wait_alu 0xfffe
	s_or_b32 exec_lo, exec_lo, s7
	v_dual_mov_b32 v12, v5 :: v_dual_mov_b32 v11, v4
	s_and_saveexec_b32 s7, s48
	s_cbranch_execz .LBB14_3
.LBB14_52:                              ;   in Loop: Header=BB14_5 Depth=1
	s_delay_alu instid0(VALU_DEP_1) | instskip(SKIP_1) | instid1(VALU_DEP_1)
	v_lshlrev_b64_e32 v[11:12], 2, v[11:12]
	s_wait_alu 0xfffe
	v_add_co_u32 v11, vcc_lo, s26, v11
	s_wait_alu 0xfffd
	s_delay_alu instid0(VALU_DEP_2)
	v_add_co_ci_u32_e64 v12, null, s27, v12, vcc_lo
	global_store_b32 v[11:12], v13, off
	s_branch .LBB14_3
.LBB14_53:
	s_endpgm
	.section	.rodata,"a",@progbits
	.p2align	6, 0x0
	.amdhsa_kernel _ZL20rocblas_gemvn_kernelILi64ELi16EifPKffEviiT3_lPKT2_lT1_lS5_lS6_lS2_lPT4_lS6_li
		.amdhsa_group_segment_fixed_size 16384
		.amdhsa_private_segment_fixed_size 0
		.amdhsa_kernarg_size 400
		.amdhsa_user_sgpr_count 2
		.amdhsa_user_sgpr_dispatch_ptr 0
		.amdhsa_user_sgpr_queue_ptr 0
		.amdhsa_user_sgpr_kernarg_segment_ptr 1
		.amdhsa_user_sgpr_dispatch_id 0
		.amdhsa_user_sgpr_private_segment_size 0
		.amdhsa_wavefront_size32 1
		.amdhsa_uses_dynamic_stack 0
		.amdhsa_enable_private_segment 0
		.amdhsa_system_sgpr_workgroup_id_x 1
		.amdhsa_system_sgpr_workgroup_id_y 0
		.amdhsa_system_sgpr_workgroup_id_z 1
		.amdhsa_system_sgpr_workgroup_info 0
		.amdhsa_system_vgpr_workitem_id 1
		.amdhsa_next_free_vgpr 53
		.amdhsa_next_free_sgpr 55
		.amdhsa_reserve_vcc 1
		.amdhsa_float_round_mode_32 0
		.amdhsa_float_round_mode_16_64 0
		.amdhsa_float_denorm_mode_32 3
		.amdhsa_float_denorm_mode_16_64 3
		.amdhsa_fp16_overflow 0
		.amdhsa_workgroup_processor_mode 1
		.amdhsa_memory_ordered 1
		.amdhsa_forward_progress 1
		.amdhsa_inst_pref_size 26
		.amdhsa_round_robin_scheduling 0
		.amdhsa_exception_fp_ieee_invalid_op 0
		.amdhsa_exception_fp_denorm_src 0
		.amdhsa_exception_fp_ieee_div_zero 0
		.amdhsa_exception_fp_ieee_overflow 0
		.amdhsa_exception_fp_ieee_underflow 0
		.amdhsa_exception_fp_ieee_inexact 0
		.amdhsa_exception_int_div_zero 0
	.end_amdhsa_kernel
	.section	.text._ZL20rocblas_gemvn_kernelILi64ELi16EifPKffEviiT3_lPKT2_lT1_lS5_lS6_lS2_lPT4_lS6_li,"axG",@progbits,_ZL20rocblas_gemvn_kernelILi64ELi16EifPKffEviiT3_lPKT2_lT1_lS5_lS6_lS2_lPT4_lS6_li,comdat
.Lfunc_end14:
	.size	_ZL20rocblas_gemvn_kernelILi64ELi16EifPKffEviiT3_lPKT2_lT1_lS5_lS6_lS2_lPT4_lS6_li, .Lfunc_end14-_ZL20rocblas_gemvn_kernelILi64ELi16EifPKffEviiT3_lPKT2_lT1_lS5_lS6_lS2_lPT4_lS6_li
                                        ; -- End function
	.set _ZL20rocblas_gemvn_kernelILi64ELi16EifPKffEviiT3_lPKT2_lT1_lS5_lS6_lS2_lPT4_lS6_li.num_vgpr, 53
	.set _ZL20rocblas_gemvn_kernelILi64ELi16EifPKffEviiT3_lPKT2_lT1_lS5_lS6_lS2_lPT4_lS6_li.num_agpr, 0
	.set _ZL20rocblas_gemvn_kernelILi64ELi16EifPKffEviiT3_lPKT2_lT1_lS5_lS6_lS2_lPT4_lS6_li.numbered_sgpr, 55
	.set _ZL20rocblas_gemvn_kernelILi64ELi16EifPKffEviiT3_lPKT2_lT1_lS5_lS6_lS2_lPT4_lS6_li.num_named_barrier, 0
	.set _ZL20rocblas_gemvn_kernelILi64ELi16EifPKffEviiT3_lPKT2_lT1_lS5_lS6_lS2_lPT4_lS6_li.private_seg_size, 0
	.set _ZL20rocblas_gemvn_kernelILi64ELi16EifPKffEviiT3_lPKT2_lT1_lS5_lS6_lS2_lPT4_lS6_li.uses_vcc, 1
	.set _ZL20rocblas_gemvn_kernelILi64ELi16EifPKffEviiT3_lPKT2_lT1_lS5_lS6_lS2_lPT4_lS6_li.uses_flat_scratch, 0
	.set _ZL20rocblas_gemvn_kernelILi64ELi16EifPKffEviiT3_lPKT2_lT1_lS5_lS6_lS2_lPT4_lS6_li.has_dyn_sized_stack, 0
	.set _ZL20rocblas_gemvn_kernelILi64ELi16EifPKffEviiT3_lPKT2_lT1_lS5_lS6_lS2_lPT4_lS6_li.has_recursion, 0
	.set _ZL20rocblas_gemvn_kernelILi64ELi16EifPKffEviiT3_lPKT2_lT1_lS5_lS6_lS2_lPT4_lS6_li.has_indirect_call, 0
	.section	.AMDGPU.csdata,"",@progbits
; Kernel info:
; codeLenInByte = 3236
; TotalNumSgprs: 57
; NumVgprs: 53
; ScratchSize: 0
; MemoryBound: 0
; FloatMode: 240
; IeeeMode: 1
; LDSByteSize: 16384 bytes/workgroup (compile time only)
; SGPRBlocks: 0
; VGPRBlocks: 6
; NumSGPRsForWavesPerEU: 57
; NumVGPRsForWavesPerEU: 53
; Occupancy: 16
; WaveLimiterHint : 1
; COMPUTE_PGM_RSRC2:SCRATCH_EN: 0
; COMPUTE_PGM_RSRC2:USER_SGPR: 2
; COMPUTE_PGM_RSRC2:TRAP_HANDLER: 0
; COMPUTE_PGM_RSRC2:TGID_X_EN: 1
; COMPUTE_PGM_RSRC2:TGID_Y_EN: 0
; COMPUTE_PGM_RSRC2:TGID_Z_EN: 1
; COMPUTE_PGM_RSRC2:TIDIG_COMP_CNT: 1
	.section	.text._ZL20rocblas_gemvn_kernelILi64ELi16ElfPKffEviiT3_lPKT2_lT1_lS5_lS6_lS2_lPT4_lS6_li,"axG",@progbits,_ZL20rocblas_gemvn_kernelILi64ELi16ElfPKffEviiT3_lPKT2_lT1_lS5_lS6_lS2_lPT4_lS6_li,comdat
	.globl	_ZL20rocblas_gemvn_kernelILi64ELi16ElfPKffEviiT3_lPKT2_lT1_lS5_lS6_lS2_lPT4_lS6_li ; -- Begin function _ZL20rocblas_gemvn_kernelILi64ELi16ElfPKffEviiT3_lPKT2_lT1_lS5_lS6_lS2_lPT4_lS6_li
	.p2align	8
	.type	_ZL20rocblas_gemvn_kernelILi64ELi16ElfPKffEviiT3_lPKT2_lT1_lS5_lS6_lS2_lPT4_lS6_li,@function
_ZL20rocblas_gemvn_kernelILi64ELi16ElfPKffEviiT3_lPKT2_lT1_lS5_lS6_lS2_lPT4_lS6_li: ; @_ZL20rocblas_gemvn_kernelILi64ELi16ElfPKffEviiT3_lPKT2_lT1_lS5_lS6_lS2_lPT4_lS6_li
; %bb.0:
	s_load_b64 s[2:3], s[0:1], 0x9c
	s_wait_kmcnt 0x0
	s_lshr_b32 s4, s2, 16
	s_and_b32 s2, s2, 0xffff
	s_and_b32 s3, s3, 0xffff
	s_mul_i32 s2, s4, s2
	s_delay_alu instid0(SALU_CYCLE_1) | instskip(NEXT) | instid1(SALU_CYCLE_1)
	s_mul_i32 s2, s2, s3
	s_cmp_lg_u32 s2, 0x400
	s_cbranch_scc1 .LBB15_53
; %bb.1:
	s_load_b32 s33, s[0:1], 0x88
	s_lshr_b32 s10, ttmp7, 16
	s_wait_kmcnt 0x0
	s_cmp_ge_u32 s10, s33
	s_cbranch_scc1 .LBB15_53
; %bb.2:
	s_clause 0x2
	s_load_b512 s[12:27], s[0:1], 0x8
	s_load_b512 s[36:51], s[0:1], 0x48
	s_load_b64 s[8:9], s[0:1], 0x0
	v_and_b32_e32 v5, 0x3ff, v0
	v_bfe_u32 v17, v0, 10, 10
	s_lshl_b32 s34, ttmp9, 8
	s_mov_b32 s11, 0
	s_delay_alu instid0(VALU_DEP_2) | instskip(NEXT) | instid1(VALU_DEP_2)
	v_dual_mov_b32 v1, 0 :: v_dual_add_nc_u32 v6, s34, v5
	v_lshlrev_b32_e32 v18, 2, v17
	v_lshl_add_u32 v10, v17, 6, v5
	s_delay_alu instid0(VALU_DEP_3) | instskip(SKIP_1) | instid1(VALU_DEP_4)
	v_add_nc_u32_e32 v8, 0x80, v6
	v_add_nc_u32_e32 v9, 0xc0, v6
	v_or_b32_e32 v20, 3, v18
	s_delay_alu instid0(VALU_DEP_4)
	v_add_nc_u32_e32 v0, s34, v10
	v_or_b32_e32 v21, s34, v10
	v_ashrrev_i32_e32 v7, 31, v6
	s_wait_kmcnt 0x0
	s_lshl_b64 s[4:5], s[18:19], 2
	s_lshl_b64 s[18:19], s[26:27], 2
	s_ashr_i32 s28, s9, 31
	s_add_nc_u64 s[16:17], s[16:17], s[4:5]
	s_lshr_b32 s4, s28, 26
	s_lshl_b64 s[6:7], s[46:47], 2
	s_add_co_i32 s52, s9, s4
	s_ashr_i32 s31, s8, 31
	s_and_not1_b32 s52, s52, 63
	v_cmp_gt_i32_e64 s2, s8, v8
	s_sub_co_i32 s5, s9, s52
	v_cmp_gt_i32_e64 s3, s8, v9
	s_cmp_gt_i32 s5, 0
	v_mad_co_u64_u32 v[8:9], null, s36, v17, 0
	v_cmp_gt_u32_e64 s5, 0x100, v10
	v_mad_co_u64_u32 v[10:11], null, s20, v20, 0
	s_mov_b32 s30, s8
	s_add_nc_u64 s[28:29], s[44:45], s[6:7]
	s_cselect_b32 s53, -1, 0
	v_mul_lo_u32 v22, s49, v21
	s_ashr_i32 s6, s34, 31
	v_cmp_gt_i32_e64 s0, s8, v6
	v_mad_co_u64_u32 v[12:13], null, s37, v17, v[9:10]
	v_mov_b32_e32 v9, v11
	v_mad_co_u64_u32 v[13:14], null, s36, v20, 0
	v_or_b32_e32 v24, 2, v18
	s_mul_i32 s7, s48, s6
	s_delay_alu instid0(VALU_DEP_3)
	v_mad_co_u64_u32 v[15:16], null, s21, v20, v[9:10]
	v_mov_b32_e32 v9, v12
	v_mad_co_u64_u32 v[2:3], null, s48, v0, 0
	v_add_nc_u32_e32 v4, 64, v6
	v_mov_b32_e32 v12, v14
	v_cmp_gt_i64_e32 vcc_lo, s[30:31], v[0:1]
	v_lshlrev_b64_e32 v[8:9], 4, v[8:9]
	v_mov_b32_e32 v11, v15
	v_cmp_gt_i32_e64 s1, s8, v4
	v_mad_co_u64_u32 v[3:4], null, s49, v0, v[3:4]
	v_lshlrev_b32_e32 v4, 2, v5
	v_mad_co_u64_u32 v[14:15], null, s37, v20, v[12:13]
	v_mad_co_u64_u32 v[15:16], null, s20, v17, 0
	s_delay_alu instid0(VALU_DEP_3)
	v_lshl_add_u32 v0, v17, 10, v4
	v_lshl_add_u32 v19, v17, 8, v4
	v_mad_co_u64_u32 v[4:5], null, s48, v21, 0
	s_and_b32 s54, s5, vcc_lo
	v_add_co_u32 v20, vcc_lo, s24, v8
	v_cmp_gt_i32_e64 s6, s8, v21
	v_add_co_ci_u32_e64 v21, null, s25, v9, vcc_lo
	v_lshlrev_b64_e32 v[8:9], 2, v[10:11]
	v_mad_co_u64_u32 v[11:12], null, s20, v24, 0
	v_mov_b32_e32 v10, v16
	v_add3_u32 v5, v5, s7, v22
	v_mad_co_u64_u32 v[28:29], null, s36, v24, 0
	v_add_co_u32 v22, vcc_lo, s16, v8
	s_delay_alu instid0(VALU_DEP_4)
	v_mad_co_u64_u32 v[16:17], null, s21, v17, v[10:11]
	s_wait_alu 0xfffd
	v_add_co_ci_u32_e64 v23, null, s17, v9, vcc_lo
	v_lshlrev_b64_e32 v[9:10], 2, v[13:14]
	v_mov_b32_e32 v8, v12
	v_mov_b32_e32 v12, v29
	v_mad_co_u64_u32 v[30:31], null, s36, v18, s[36:37]
	v_mad_co_u64_u32 v[32:33], null, s20, v18, s[20:21]
	s_delay_alu instid0(VALU_DEP_4)
	v_mad_co_u64_u32 v[13:14], null, s21, v24, v[8:9]
	v_lshlrev_b64_e32 v[6:7], 2, v[6:7]
	v_cmp_gt_i32_e64 s4, s52, v18
	v_mov_b32_e32 v8, v31
	s_add_nc_u64 s[26:27], s[24:25], s[18:19]
	s_lshl_b64 s[30:31], s[38:39], 2
	s_lshl_b64 s[34:35], s[22:23], 2
	v_mad_co_u64_u32 v[26:27], null, s37, v24, v[12:13]
	v_add_co_u32 v24, vcc_lo, s24, v9
	s_wait_alu 0xfffd
	v_add_co_ci_u32_e64 v25, null, s25, v10, vcc_lo
	v_lshlrev_b64_e32 v[9:10], 4, v[15:16]
	s_delay_alu instid0(VALU_DEP_4) | instskip(SKIP_1) | instid1(VALU_DEP_2)
	v_dual_mov_b32 v12, v13 :: v_dual_mov_b32 v29, v26
	s_lshl_b64 s[44:45], s[20:21], 8
	v_add_co_u32 v26, vcc_lo, s16, v9
	v_mad_co_u64_u32 v[13:14], null, s37, v18, v[8:9]
	s_wait_alu 0xfffd
	v_add_co_ci_u32_e64 v27, null, s17, v10, vcc_lo
	v_lshlrev_b64_e32 v[9:10], 2, v[11:12]
	v_mov_b32_e32 v8, v33
	v_lshlrev_b64_e32 v[14:15], 2, v[28:29]
	v_mov_b32_e32 v31, v13
	s_delay_alu instid0(VALU_DEP_3) | instskip(SKIP_1) | instid1(VALU_DEP_3)
	v_mad_co_u64_u32 v[11:12], null, s21, v18, v[8:9]
	v_add_co_u32 v28, vcc_lo, s16, v9
	v_lshlrev_b64_e32 v[8:9], 2, v[30:31]
	s_wait_alu 0xfffd
	v_add_co_ci_u32_e64 v29, null, s17, v10, vcc_lo
	v_add_co_u32 v30, vcc_lo, s24, v14
	v_mov_b32_e32 v33, v11
	s_wait_alu 0xfffd
	v_add_co_ci_u32_e64 v31, null, s25, v15, vcc_lo
	s_delay_alu instid0(VALU_DEP_2) | instskip(SKIP_4) | instid1(VALU_DEP_4)
	v_lshlrev_b64_e32 v[10:11], 2, v[32:33]
	v_add_co_u32 v32, vcc_lo, s24, v8
	s_wait_alu 0xfffd
	v_add_co_ci_u32_e64 v33, null, s25, v9, vcc_lo
	v_lshlrev_b64_e32 v[8:9], 2, v[2:3]
	v_add_co_u32 v34, vcc_lo, s16, v10
	s_wait_alu 0xfffd
	v_add_co_ci_u32_e64 v35, null, s17, v11, vcc_lo
	s_lshl_b64 s[24:25], s[36:37], 8
	s_branch .LBB15_5
.LBB15_3:                               ;   in Loop: Header=BB15_5 Depth=1
	s_wait_alu 0xfffe
	s_or_b32 exec_lo, exec_lo, s7
.LBB15_4:                               ;   in Loop: Header=BB15_5 Depth=1
	s_add_co_i32 s10, s10, 0x10000
	s_delay_alu instid0(SALU_CYCLE_1)
	s_cmp_lt_u32 s10, s33
	s_cbranch_scc0 .LBB15_53
.LBB15_5:                               ; =>This Loop Header: Depth=1
                                        ;     Child Loop BB15_21 Depth 2
	s_mul_u64 s[46:47], s[14:15], s[10:11]
	s_mul_u64 s[48:49], s[42:43], s[10:11]
	s_wait_alu 0xfffe
	s_lshl_b64 s[46:47], s[46:47], 2
	s_lshl_b64 s[48:49], s[48:49], 2
	s_wait_alu 0xfffe
	s_add_nc_u64 s[46:47], s[12:13], s[46:47]
	s_add_nc_u64 s[48:49], s[40:41], s[48:49]
	s_clause 0x1
	global_load_b32 v36, v1, s[46:47]
	global_load_b32 v10, v1, s[48:49]
	s_wait_loadcnt 0x1
	v_cmp_eq_f32_e32 vcc_lo, 0, v36
	s_wait_loadcnt 0x0
	v_cmp_eq_f32_e64 s7, 1.0, v10
	v_readfirstlane_b32 s55, v10
	s_and_b32 s7, vcc_lo, s7
	s_wait_alu 0xfffe
	s_and_b32 vcc_lo, exec_lo, s7
	s_wait_alu 0xfffe
	s_cbranch_vccnz .LBB15_4
; %bb.6:                                ;   in Loop: Header=BB15_5 Depth=1
	v_cmp_neq_f32_e32 vcc_lo, 0, v36
	s_mul_u64 s[46:47], s[50:51], s[10:11]
	s_wait_alu 0xfffe
	s_lshl_b64 s[46:47], s[46:47], 2
	s_wait_alu 0xfffe
	s_add_nc_u64 s[46:47], s[28:29], s[46:47]
	s_cbranch_vccnz .LBB15_10
; %bb.7:                                ;   in Loop: Header=BB15_5 Depth=1
	s_mov_b32 s7, 0
	s_mov_b32 s56, 0
                                        ; implicit-def: $vgpr12
	s_and_saveexec_b32 s8, s54
	s_cbranch_execz .LBB15_11
; %bb.8:                                ;   in Loop: Header=BB15_5 Depth=1
	s_cmp_eq_f32 s55, 0
	s_cbranch_scc1 .LBB15_13
; %bb.9:                                ;   in Loop: Header=BB15_5 Depth=1
	s_wait_alu 0xfffe
	v_add_co_u32 v10, vcc_lo, s46, v8
	s_wait_alu 0xfffd
	v_add_co_ci_u32_e64 v11, null, s47, v9, vcc_lo
	global_load_b32 v10, v[10:11], off
	s_wait_loadcnt 0x0
	v_mul_f32_e32 v12, s55, v10
	s_branch .LBB15_14
.LBB15_10:                              ;   in Loop: Header=BB15_5 Depth=1
	s_mov_b32 s56, 0
                                        ; implicit-def: $vgpr12
	s_cbranch_execz .LBB15_12
	s_branch .LBB15_15
.LBB15_11:                              ;   in Loop: Header=BB15_5 Depth=1
	s_wait_alu 0xfffe
	s_or_b32 exec_lo, exec_lo, s8
	s_delay_alu instid0(SALU_CYCLE_1)
	s_and_b32 vcc_lo, exec_lo, s7
	s_wait_alu 0xfffe
	s_cbranch_vccnz .LBB15_15
.LBB15_12:                              ;   in Loop: Header=BB15_5 Depth=1
	v_dual_mov_b32 v11, v3 :: v_dual_mov_b32 v10, v2
	s_and_saveexec_b32 s7, s56
	s_cbranch_execz .LBB15_3
	s_branch .LBB15_52
.LBB15_13:                              ;   in Loop: Header=BB15_5 Depth=1
	v_mov_b32_e32 v12, 0
.LBB15_14:                              ;   in Loop: Header=BB15_5 Depth=1
	s_mov_b32 s56, exec_lo
	s_wait_alu 0xfffe
	s_or_b32 exec_lo, exec_lo, s8
	s_delay_alu instid0(SALU_CYCLE_1)
	s_and_b32 vcc_lo, exec_lo, s7
	s_wait_alu 0xfffe
	s_cbranch_vccz .LBB15_12
.LBB15_15:                              ;   in Loop: Header=BB15_5 Depth=1
	v_dual_mov_b32 v37, 0 :: v_dual_mov_b32 v38, 0
	v_dual_mov_b32 v41, v18 :: v_dual_mov_b32 v40, 0
	v_mov_b32_e32 v39, 0
	s_and_saveexec_b32 s8, s4
	s_cbranch_execz .LBB15_27
; %bb.16:                               ;   in Loop: Header=BB15_5 Depth=1
	s_mul_u64 s[48:49], s[30:31], s[10:11]
	s_mul_u64 s[58:59], s[34:35], s[10:11]
	s_wait_alu 0xfffe
	v_add_co_u32 v42, vcc_lo, v20, s48
	s_wait_alu 0xfffd
	v_add_co_ci_u32_e64 v43, null, s49, v21, vcc_lo
	v_add_co_u32 v44, vcc_lo, v22, s58
	s_wait_alu 0xfffd
	v_add_co_ci_u32_e64 v45, null, s59, v23, vcc_lo
	;; [unrolled: 3-line block ×8, first 2 shown]
	v_dual_mov_b32 v37, 0 :: v_dual_mov_b32 v38, 0
	v_dual_mov_b32 v41, v18 :: v_dual_mov_b32 v40, 0
	v_mov_b32_e32 v39, 0
	s_mov_b32 s48, 0
	s_branch .LBB15_21
.LBB15_17:                              ;   in Loop: Header=BB15_21 Depth=2
	s_wait_alu 0xfffe
	s_or_b32 exec_lo, exec_lo, s58
	s_wait_loadcnt 0x3
	v_fmac_f32_e32 v39, v59, v73
	s_wait_loadcnt 0x2
	s_delay_alu instid0(VALU_DEP_1) | instskip(SKIP_1) | instid1(VALU_DEP_1)
	v_fmac_f32_e32 v39, v58, v72
	s_wait_loadcnt 0x1
	v_fmac_f32_e32 v39, v60, v71
	s_wait_loadcnt 0x0
	s_delay_alu instid0(VALU_DEP_1)
	v_fmac_f32_e32 v39, v61, v70
.LBB15_18:                              ;   in Loop: Header=BB15_21 Depth=2
	s_or_b32 exec_lo, exec_lo, s57
	s_wait_loadcnt 0x3
	v_fmac_f32_e32 v38, v59, v69
	s_wait_loadcnt 0x2
	s_delay_alu instid0(VALU_DEP_1) | instskip(SKIP_1) | instid1(VALU_DEP_1)
	v_fmac_f32_e32 v38, v58, v68
	s_wait_loadcnt 0x1
	v_fmac_f32_e32 v38, v60, v67
	s_wait_loadcnt 0x0
	s_delay_alu instid0(VALU_DEP_1)
	v_fmac_f32_e32 v38, v61, v66
.LBB15_19:                              ;   in Loop: Header=BB15_21 Depth=2
	s_wait_alu 0xfffe
	s_or_b32 exec_lo, exec_lo, s49
	s_wait_loadcnt 0x3
	v_fmac_f32_e32 v37, v59, v65
	s_wait_loadcnt 0x2
	s_delay_alu instid0(VALU_DEP_1) | instskip(SKIP_1) | instid1(VALU_DEP_1)
	v_fmac_f32_e32 v37, v58, v63
	s_wait_loadcnt 0x1
	v_fmac_f32_e32 v37, v60, v62
	s_wait_loadcnt 0x0
	s_delay_alu instid0(VALU_DEP_1)
	v_fmac_f32_e32 v37, v61, v64
.LBB15_20:                              ;   in Loop: Header=BB15_21 Depth=2
	s_wait_alu 0xfffe
	s_or_b32 exec_lo, exec_lo, s7
	v_add_co_u32 v42, vcc_lo, v42, s24
	s_wait_alu 0xfffd
	v_add_co_ci_u32_e64 v43, null, s25, v43, vcc_lo
	v_add_co_u32 v44, vcc_lo, v44, s44
	s_wait_alu 0xfffd
	v_add_co_ci_u32_e64 v45, null, s45, v45, vcc_lo
	;; [unrolled: 3-line block ×4, first 2 shown]
	v_add_co_u32 v50, vcc_lo, v50, s44
	v_add_nc_u32_e32 v41, 64, v41
	s_wait_alu 0xfffd
	v_add_co_ci_u32_e64 v51, null, s45, v51, vcc_lo
	v_add_co_u32 v52, vcc_lo, v52, s24
	s_wait_alu 0xfffd
	v_add_co_ci_u32_e64 v53, null, s25, v53, vcc_lo
	v_add_co_u32 v54, vcc_lo, v54, s24
	s_wait_alu 0xfffd
	v_add_co_ci_u32_e64 v55, null, s25, v55, vcc_lo
	v_cmp_le_i32_e32 vcc_lo, s52, v41
	v_add_co_u32 v56, s7, v56, s44
	s_wait_alu 0xf1ff
	v_add_co_ci_u32_e64 v57, null, s45, v57, s7
	s_or_b32 s48, vcc_lo, s48
	s_wait_alu 0xfffe
	s_and_not1_b32 exec_lo, exec_lo, s48
	s_cbranch_execz .LBB15_26
.LBB15_21:                              ;   Parent Loop BB15_5 Depth=1
                                        ; =>  This Inner Loop Header: Depth=2
	s_and_saveexec_b32 s7, s0
	s_cbranch_execz .LBB15_20
; %bb.22:                               ;   in Loop: Header=BB15_21 Depth=2
	v_add_co_u32 v10, vcc_lo, v42, s18
	s_wait_alu 0xfffd
	v_add_co_ci_u32_e64 v11, null, s19, v43, vcc_lo
	v_add_co_u32 v12, vcc_lo, v54, s18
	s_wait_alu 0xfffd
	v_add_co_ci_u32_e64 v13, null, s19, v55, vcc_lo
	;; [unrolled: 3-line block ×3, first 2 shown]
	v_add_co_u32 v61, vcc_lo, v46, s18
	global_load_b32 v59, v[10:11], off
	global_load_b32 v58, v[12:13], off
	;; [unrolled: 1-line block ×3, first 2 shown]
	s_wait_alu 0xfffd
	v_add_co_ci_u32_e64 v62, null, s19, v47, vcc_lo
	v_add_co_u32 v10, vcc_lo, v48, v6
	s_wait_alu 0xfffd
	v_add_co_ci_u32_e64 v11, null, v49, v7, vcc_lo
	v_add_co_u32 v12, vcc_lo, v56, v6
	;; [unrolled: 3-line block ×4, first 2 shown]
	s_wait_alu 0xfffd
	v_add_co_ci_u32_e64 v17, null, v45, v7, vcc_lo
	global_load_b32 v61, v[61:62], off
	global_load_b32 v65, v[10:11], off
	;; [unrolled: 1-line block ×5, first 2 shown]
	s_and_saveexec_b32 s49, s1
	s_cbranch_execz .LBB15_19
; %bb.23:                               ;   in Loop: Header=BB15_21 Depth=2
	global_load_b32 v69, v[10:11], off offset:256
	global_load_b32 v68, v[12:13], off offset:256
	global_load_b32 v67, v[14:15], off offset:256
	global_load_b32 v66, v[16:17], off offset:256
	s_and_saveexec_b32 s57, s2
	s_cbranch_execz .LBB15_18
; %bb.24:                               ;   in Loop: Header=BB15_21 Depth=2
	global_load_b32 v73, v[10:11], off offset:512
	global_load_b32 v72, v[12:13], off offset:512
	global_load_b32 v71, v[14:15], off offset:512
	global_load_b32 v70, v[16:17], off offset:512
	;; [unrolled: 7-line block ×3, first 2 shown]
	s_wait_loadcnt 0x3
	v_fmac_f32_e32 v40, v59, v10
	s_wait_loadcnt 0x2
	s_delay_alu instid0(VALU_DEP_1) | instskip(SKIP_1) | instid1(VALU_DEP_1)
	v_fmac_f32_e32 v40, v58, v11
	s_wait_loadcnt 0x1
	v_fmac_f32_e32 v40, v60, v12
	s_wait_loadcnt 0x0
	s_delay_alu instid0(VALU_DEP_1)
	v_fmac_f32_e32 v40, v61, v13
	s_branch .LBB15_17
.LBB15_26:                              ;   in Loop: Header=BB15_5 Depth=1
	s_or_b32 exec_lo, exec_lo, s48
.LBB15_27:                              ;   in Loop: Header=BB15_5 Depth=1
	s_wait_alu 0xfffe
	s_or_b32 exec_lo, exec_lo, s8
	s_delay_alu instid0(SALU_CYCLE_1)
	s_and_not1_b32 vcc_lo, exec_lo, s53
	s_wait_alu 0xfffe
	s_cbranch_vccnz .LBB15_45
; %bb.28:                               ;   in Loop: Header=BB15_5 Depth=1
	v_cmp_gt_i32_e32 vcc_lo, s9, v41
	v_dual_mov_b32 v45, 0 :: v_dual_mov_b32 v44, 0
	v_or_b32_e32 v10, 1, v41
	v_dual_mov_b32 v43, 0 :: v_dual_mov_b32 v42, 0
	s_and_saveexec_b32 s8, vcc_lo
	s_cbranch_execz .LBB15_36
; %bb.29:                               ;   in Loop: Header=BB15_5 Depth=1
	v_mad_co_u64_u32 v[11:12], null, s36, v41, 0
	s_mul_u64 s[48:49], s[38:39], s[10:11]
	v_dual_mov_b32 v43, 0 :: v_dual_mov_b32 v44, 0
	s_wait_alu 0xfffe
	s_lshl_b64 s[48:49], s[48:49], 2
	v_mov_b32_e32 v45, 0
	s_wait_alu 0xfffe
	s_add_nc_u64 s[48:49], s[26:27], s[48:49]
	v_mad_co_u64_u32 v[12:13], null, s37, v41, v[12:13]
	s_mov_b32 s57, exec_lo
	v_lshlrev_b64_e32 v[11:12], 2, v[11:12]
	s_wait_alu 0xfffe
	s_delay_alu instid0(VALU_DEP_1) | instskip(SKIP_1) | instid1(VALU_DEP_2)
	v_add_co_u32 v11, s7, s48, v11
	s_wait_alu 0xf1ff
	v_add_co_ci_u32_e64 v12, null, s49, v12, s7
	global_load_b32 v42, v[11:12], off
	v_cmpx_gt_i32_e64 s9, v10
	s_cbranch_execz .LBB15_35
; %bb.30:                               ;   in Loop: Header=BB15_5 Depth=1
	v_mad_co_u64_u32 v[11:12], null, s36, v10, 0
	v_dual_mov_b32 v44, 0 :: v_dual_mov_b32 v45, 0
	s_mov_b32 s58, exec_lo
	s_delay_alu instid0(VALU_DEP_2) | instskip(NEXT) | instid1(VALU_DEP_1)
	v_mad_co_u64_u32 v[12:13], null, s37, v10, v[12:13]
	v_lshlrev_b64_e32 v[11:12], 2, v[11:12]
	s_delay_alu instid0(VALU_DEP_1) | instskip(SKIP_1) | instid1(VALU_DEP_2)
	v_add_co_u32 v11, s7, s48, v11
	s_wait_alu 0xf1ff
	v_add_co_ci_u32_e64 v12, null, s49, v12, s7
	global_load_b32 v43, v[11:12], off
	v_or_b32_e32 v11, 2, v41
	s_delay_alu instid0(VALU_DEP_1)
	v_cmpx_gt_i32_e64 s9, v11
	s_cbranch_execz .LBB15_34
; %bb.31:                               ;   in Loop: Header=BB15_5 Depth=1
	v_mad_co_u64_u32 v[12:13], null, s36, v11, 0
	v_mov_b32_e32 v45, 0
	s_mov_b32 s59, exec_lo
	s_delay_alu instid0(VALU_DEP_2) | instskip(NEXT) | instid1(VALU_DEP_1)
	v_mad_co_u64_u32 v[13:14], null, s37, v11, v[13:14]
	v_lshlrev_b64_e32 v[11:12], 2, v[12:13]
	s_delay_alu instid0(VALU_DEP_1) | instskip(SKIP_1) | instid1(VALU_DEP_2)
	v_add_co_u32 v11, s7, s48, v11
	s_wait_alu 0xf1ff
	v_add_co_ci_u32_e64 v12, null, s49, v12, s7
	global_load_b32 v44, v[11:12], off
	v_or_b32_e32 v11, 3, v41
	s_delay_alu instid0(VALU_DEP_1)
	v_cmpx_gt_i32_e64 s9, v11
	s_cbranch_execz .LBB15_33
; %bb.32:                               ;   in Loop: Header=BB15_5 Depth=1
	v_mad_co_u64_u32 v[12:13], null, s36, v11, 0
	s_delay_alu instid0(VALU_DEP_1) | instskip(NEXT) | instid1(VALU_DEP_1)
	v_mad_co_u64_u32 v[13:14], null, s37, v11, v[13:14]
	v_lshlrev_b64_e32 v[11:12], 2, v[12:13]
	s_delay_alu instid0(VALU_DEP_1) | instskip(SKIP_1) | instid1(VALU_DEP_2)
	v_add_co_u32 v11, s7, s48, v11
	s_wait_alu 0xf1ff
	v_add_co_ci_u32_e64 v12, null, s49, v12, s7
	global_load_b32 v45, v[11:12], off
.LBB15_33:                              ;   in Loop: Header=BB15_5 Depth=1
	s_wait_alu 0xfffe
	s_or_b32 exec_lo, exec_lo, s59
.LBB15_34:                              ;   in Loop: Header=BB15_5 Depth=1
	s_wait_alu 0xfffe
	s_or_b32 exec_lo, exec_lo, s58
.LBB15_35:                              ;   in Loop: Header=BB15_5 Depth=1
	s_delay_alu instid0(SALU_CYCLE_1)
	s_or_b32 exec_lo, exec_lo, s57
.LBB15_36:                              ;   in Loop: Header=BB15_5 Depth=1
	s_wait_alu 0xfffe
	s_or_b32 exec_lo, exec_lo, s8
	s_and_saveexec_b32 s48, s0
	s_cbranch_execz .LBB15_44
; %bb.37:                               ;   in Loop: Header=BB15_5 Depth=1
	v_mad_co_u64_u32 v[11:12], null, s20, v41, 0
	v_mad_co_u64_u32 v[13:14], null, s20, v10, 0
	v_or_b32_e32 v50, 2, v41
	v_or_b32_e32 v51, 3, v41
	s_mul_u64 s[58:59], s[22:23], s[10:11]
	s_wait_alu 0xfffe
	s_lshl_b64 s[58:59], s[58:59], 2
	v_cmp_gt_i32_e64 s7, s9, v50
	s_delay_alu instid0(VALU_DEP_4) | instskip(SKIP_4) | instid1(VALU_DEP_2)
	v_mad_co_u64_u32 v[15:16], null, s21, v41, v[12:13]
	v_mad_co_u64_u32 v[16:17], null, s20, v50, 0
	;; [unrolled: 1-line block ×3, first 2 shown]
	s_wait_alu 0xfffe
	s_add_nc_u64 s[58:59], s[16:17], s[58:59]
	v_dual_cndmask_b32 v12, 0, v15 :: v_dual_mov_b32 v15, v17
	s_delay_alu instid0(VALU_DEP_2) | instskip(NEXT) | instid1(VALU_DEP_2)
	v_mov_b32_e32 v17, v47
	v_mad_co_u64_u32 v[48:49], null, s21, v10, v[14:15]
	v_cndmask_b32_e32 v11, 0, v11, vcc_lo
	v_cmp_gt_i32_e32 vcc_lo, s9, v10
	s_wait_alu 0xfffd
	s_delay_alu instid0(VALU_DEP_3) | instskip(NEXT) | instid1(VALU_DEP_3)
	v_dual_cndmask_b32 v13, 0, v13 :: v_dual_cndmask_b32 v14, 0, v48
	v_lshlrev_b64_e32 v[11:12], 2, v[11:12]
	s_wait_alu 0xfffe
	s_delay_alu instid0(VALU_DEP_1) | instskip(SKIP_1) | instid1(VALU_DEP_2)
	v_add_co_u32 v10, s8, s58, v11
	s_wait_alu 0xf1ff
	v_add_co_ci_u32_e64 v11, null, s59, v12, s8
	v_lshlrev_b64_e32 v[12:13], 2, v[13:14]
	s_delay_alu instid0(VALU_DEP_3) | instskip(SKIP_1) | instid1(VALU_DEP_3)
	v_add_co_u32 v10, vcc_lo, v10, v6
	s_wait_alu 0xfffd
	v_add_co_ci_u32_e64 v11, null, v11, v7, vcc_lo
	v_cmp_gt_i32_e32 vcc_lo, s9, v51
	v_cndmask_b32_e64 v14, 0, v16, s7
	s_wait_alu 0xfffd
	v_cndmask_b32_e32 v46, 0, v46, vcc_lo
	v_mad_co_u64_u32 v[49:50], null, s21, v50, v[15:16]
	v_mad_co_u64_u32 v[16:17], null, s21, v51, v[17:18]
	s_delay_alu instid0(VALU_DEP_2) | instskip(SKIP_1) | instid1(VALU_DEP_3)
	v_cndmask_b32_e64 v15, 0, v49, s7
	v_add_co_u32 v12, s7, s58, v12
	v_cndmask_b32_e32 v47, 0, v16, vcc_lo
	s_wait_alu 0xf1ff
	v_add_co_ci_u32_e64 v13, null, s59, v13, s7
	v_lshlrev_b64_e32 v[14:15], 2, v[14:15]
	v_add_co_u32 v12, vcc_lo, v12, v6
	v_lshlrev_b64_e32 v[16:17], 2, v[46:47]
	s_wait_alu 0xfffd
	v_add_co_ci_u32_e64 v13, null, v13, v7, vcc_lo
	s_delay_alu instid0(VALU_DEP_4)
	v_add_co_u32 v14, vcc_lo, s58, v14
	s_wait_alu 0xfffd
	v_add_co_ci_u32_e64 v15, null, s59, v15, vcc_lo
	v_add_co_u32 v41, vcc_lo, s58, v16
	s_wait_alu 0xfffd
	v_add_co_ci_u32_e64 v46, null, s59, v17, vcc_lo
	;; [unrolled: 3-line block ×4, first 2 shown]
	s_clause 0x3
	global_load_b32 v48, v[10:11], off
	global_load_b32 v46, v[12:13], off
	;; [unrolled: 1-line block ×4, first 2 shown]
	s_and_saveexec_b32 s7, s1
	s_cbranch_execz .LBB15_43
; %bb.38:                               ;   in Loop: Header=BB15_5 Depth=1
	s_clause 0x3
	global_load_b32 v52, v[10:11], off offset:256
	global_load_b32 v51, v[12:13], off offset:256
	global_load_b32 v50, v[16:17], off offset:256
	global_load_b32 v49, v[14:15], off offset:256
	s_and_saveexec_b32 s8, s2
	s_cbranch_execz .LBB15_42
; %bb.39:                               ;   in Loop: Header=BB15_5 Depth=1
	s_clause 0x3
	global_load_b32 v56, v[10:11], off offset:512
	global_load_b32 v55, v[12:13], off offset:512
	global_load_b32 v54, v[16:17], off offset:512
	global_load_b32 v53, v[14:15], off offset:512
	;; [unrolled: 8-line block ×3, first 2 shown]
	s_wait_loadcnt 0x3
	v_fmac_f32_e32 v40, v42, v10
	s_wait_loadcnt 0x2
	s_delay_alu instid0(VALU_DEP_1) | instskip(SKIP_1) | instid1(VALU_DEP_1)
	v_fmac_f32_e32 v40, v43, v11
	s_wait_loadcnt 0x1
	v_fmac_f32_e32 v40, v44, v12
	s_wait_loadcnt 0x0
	s_delay_alu instid0(VALU_DEP_1)
	v_fmac_f32_e32 v40, v45, v13
.LBB15_41:                              ;   in Loop: Header=BB15_5 Depth=1
	s_wait_alu 0xfffe
	s_or_b32 exec_lo, exec_lo, s49
	s_wait_loadcnt 0x3
	v_fmac_f32_e32 v39, v42, v56
	s_wait_loadcnt 0x2
	s_delay_alu instid0(VALU_DEP_1) | instskip(SKIP_1) | instid1(VALU_DEP_1)
	v_fmac_f32_e32 v39, v43, v55
	s_wait_loadcnt 0x1
	v_fmac_f32_e32 v39, v44, v54
	s_wait_loadcnt 0x0
	s_delay_alu instid0(VALU_DEP_1)
	v_fmac_f32_e32 v39, v45, v53
.LBB15_42:                              ;   in Loop: Header=BB15_5 Depth=1
	s_wait_alu 0xfffe
	s_or_b32 exec_lo, exec_lo, s8
	s_wait_loadcnt 0x3
	v_fmac_f32_e32 v38, v42, v52
	s_wait_loadcnt 0x2
	s_delay_alu instid0(VALU_DEP_1) | instskip(SKIP_1) | instid1(VALU_DEP_1)
	v_fmac_f32_e32 v38, v43, v51
	s_wait_loadcnt 0x1
	v_fmac_f32_e32 v38, v44, v50
	s_wait_loadcnt 0x0
	s_delay_alu instid0(VALU_DEP_1)
	v_fmac_f32_e32 v38, v45, v49
.LBB15_43:                              ;   in Loop: Header=BB15_5 Depth=1
	s_wait_alu 0xfffe
	s_or_b32 exec_lo, exec_lo, s7
	s_wait_loadcnt 0x3
	v_fmac_f32_e32 v37, v42, v48
	s_wait_loadcnt 0x2
	s_delay_alu instid0(VALU_DEP_1) | instskip(SKIP_1) | instid1(VALU_DEP_1)
	v_fmac_f32_e32 v37, v43, v46
	s_wait_loadcnt 0x1
	v_fmac_f32_e32 v37, v44, v41
	s_wait_loadcnt 0x0
	s_delay_alu instid0(VALU_DEP_1)
	v_fmac_f32_e32 v37, v45, v47
.LBB15_44:                              ;   in Loop: Header=BB15_5 Depth=1
	s_wait_alu 0xfffe
	s_or_b32 exec_lo, exec_lo, s48
.LBB15_45:                              ;   in Loop: Header=BB15_5 Depth=1
	ds_store_2addr_stride64_b32 v0, v37, v38 offset1:1
	ds_store_2addr_stride64_b32 v0, v39, v40 offset0:2 offset1:3
	s_wait_loadcnt_dscnt 0x0
	s_barrier_signal -1
	s_barrier_wait -1
	global_inv scope:SCOPE_SE
                                        ; implicit-def: $vgpr12
	s_and_saveexec_b32 s7, s5
	s_cbranch_execz .LBB15_51
; %bb.46:                               ;   in Loop: Header=BB15_5 Depth=1
	ds_load_2addr_stride64_b32 v[10:11], v19 offset1:4
	ds_load_2addr_stride64_b32 v[12:13], v19 offset0:8 offset1:12
	ds_load_2addr_stride64_b32 v[14:15], v19 offset0:16 offset1:20
	s_mov_b32 s48, s56
	s_wait_dscnt 0x2
	v_add_f32_e32 v16, v10, v11
	ds_load_2addr_stride64_b32 v[10:11], v19 offset0:24 offset1:28
	s_wait_dscnt 0x2
	v_add_f32_e32 v12, v12, v16
	s_delay_alu instid0(VALU_DEP_1) | instskip(SKIP_3) | instid1(VALU_DEP_1)
	v_add_f32_e32 v16, v13, v12
	ds_load_2addr_stride64_b32 v[12:13], v19 offset0:32 offset1:36
	s_wait_dscnt 0x2
	v_add_f32_e32 v14, v14, v16
	v_add_f32_e32 v16, v15, v14
	ds_load_2addr_stride64_b32 v[14:15], v19 offset0:40 offset1:44
	s_wait_dscnt 0x2
	v_add_f32_e32 v10, v10, v16
	s_delay_alu instid0(VALU_DEP_1) | instskip(SKIP_1) | instid1(VALU_DEP_1)
	v_add_f32_e32 v10, v11, v10
	s_wait_dscnt 0x1
	v_add_f32_e32 v12, v12, v10
	ds_load_2addr_stride64_b32 v[10:11], v19 offset0:48 offset1:52
	v_add_f32_e32 v12, v13, v12
	s_wait_dscnt 0x1
	s_delay_alu instid0(VALU_DEP_1) | instskip(SKIP_3) | instid1(VALU_DEP_1)
	v_add_f32_e32 v14, v14, v12
	ds_load_2addr_stride64_b32 v[12:13], v19 offset0:56 offset1:60
	v_add_f32_e32 v14, v15, v14
	s_wait_dscnt 0x1
	v_add_f32_e32 v10, v10, v14
	s_delay_alu instid0(VALU_DEP_1) | instskip(SKIP_1) | instid1(VALU_DEP_1)
	v_add_f32_e32 v10, v11, v10
	s_wait_dscnt 0x0
	v_add_f32_e32 v10, v12, v10
                                        ; implicit-def: $vgpr12
	s_delay_alu instid0(VALU_DEP_1)
	v_add_f32_e32 v10, v13, v10
	ds_store_b32 v19, v10
	s_and_saveexec_b32 s8, s6
	s_cbranch_execz .LBB15_50
; %bb.47:                               ;   in Loop: Header=BB15_5 Depth=1
	v_mul_f32_e32 v12, v36, v10
	s_cmp_eq_f32 s55, 0
	s_cbranch_scc1 .LBB15_49
; %bb.48:                               ;   in Loop: Header=BB15_5 Depth=1
	v_lshlrev_b64_e32 v[10:11], 2, v[4:5]
	s_delay_alu instid0(VALU_DEP_1) | instskip(SKIP_1) | instid1(VALU_DEP_2)
	v_add_co_u32 v10, vcc_lo, s46, v10
	s_wait_alu 0xfffd
	v_add_co_ci_u32_e64 v11, null, s47, v11, vcc_lo
	global_load_b32 v10, v[10:11], off
	s_wait_loadcnt 0x0
	v_fmac_f32_e32 v12, s55, v10
.LBB15_49:                              ;   in Loop: Header=BB15_5 Depth=1
	s_or_b32 s48, s56, exec_lo
.LBB15_50:                              ;   in Loop: Header=BB15_5 Depth=1
	s_wait_alu 0xfffe
	s_or_b32 exec_lo, exec_lo, s8
	s_delay_alu instid0(SALU_CYCLE_1)
	s_and_not1_b32 s8, s56, exec_lo
	s_and_b32 s48, s48, exec_lo
	s_wait_alu 0xfffe
	s_or_b32 s56, s8, s48
.LBB15_51:                              ;   in Loop: Header=BB15_5 Depth=1
	s_wait_alu 0xfffe
	s_or_b32 exec_lo, exec_lo, s7
	v_dual_mov_b32 v11, v5 :: v_dual_mov_b32 v10, v4
	s_and_saveexec_b32 s7, s56
	s_cbranch_execz .LBB15_3
.LBB15_52:                              ;   in Loop: Header=BB15_5 Depth=1
	s_delay_alu instid0(VALU_DEP_1) | instskip(SKIP_1) | instid1(VALU_DEP_1)
	v_lshlrev_b64_e32 v[10:11], 2, v[10:11]
	s_wait_alu 0xfffe
	v_add_co_u32 v10, vcc_lo, s46, v10
	s_wait_alu 0xfffd
	s_delay_alu instid0(VALU_DEP_2)
	v_add_co_ci_u32_e64 v11, null, s47, v11, vcc_lo
	global_store_b32 v[10:11], v12, off
	s_branch .LBB15_3
.LBB15_53:
	s_endpgm
	.section	.rodata,"a",@progbits
	.p2align	6, 0x0
	.amdhsa_kernel _ZL20rocblas_gemvn_kernelILi64ELi16ElfPKffEviiT3_lPKT2_lT1_lS5_lS6_lS2_lPT4_lS6_li
		.amdhsa_group_segment_fixed_size 16384
		.amdhsa_private_segment_fixed_size 0
		.amdhsa_kernarg_size 400
		.amdhsa_user_sgpr_count 2
		.amdhsa_user_sgpr_dispatch_ptr 0
		.amdhsa_user_sgpr_queue_ptr 0
		.amdhsa_user_sgpr_kernarg_segment_ptr 1
		.amdhsa_user_sgpr_dispatch_id 0
		.amdhsa_user_sgpr_private_segment_size 0
		.amdhsa_wavefront_size32 1
		.amdhsa_uses_dynamic_stack 0
		.amdhsa_enable_private_segment 0
		.amdhsa_system_sgpr_workgroup_id_x 1
		.amdhsa_system_sgpr_workgroup_id_y 0
		.amdhsa_system_sgpr_workgroup_id_z 1
		.amdhsa_system_sgpr_workgroup_info 0
		.amdhsa_system_vgpr_workitem_id 1
		.amdhsa_next_free_vgpr 74
		.amdhsa_next_free_sgpr 60
		.amdhsa_reserve_vcc 1
		.amdhsa_float_round_mode_32 0
		.amdhsa_float_round_mode_16_64 0
		.amdhsa_float_denorm_mode_32 3
		.amdhsa_float_denorm_mode_16_64 3
		.amdhsa_fp16_overflow 0
		.amdhsa_workgroup_processor_mode 1
		.amdhsa_memory_ordered 1
		.amdhsa_forward_progress 1
		.amdhsa_inst_pref_size 31
		.amdhsa_round_robin_scheduling 0
		.amdhsa_exception_fp_ieee_invalid_op 0
		.amdhsa_exception_fp_denorm_src 0
		.amdhsa_exception_fp_ieee_div_zero 0
		.amdhsa_exception_fp_ieee_overflow 0
		.amdhsa_exception_fp_ieee_underflow 0
		.amdhsa_exception_fp_ieee_inexact 0
		.amdhsa_exception_int_div_zero 0
	.end_amdhsa_kernel
	.section	.text._ZL20rocblas_gemvn_kernelILi64ELi16ElfPKffEviiT3_lPKT2_lT1_lS5_lS6_lS2_lPT4_lS6_li,"axG",@progbits,_ZL20rocblas_gemvn_kernelILi64ELi16ElfPKffEviiT3_lPKT2_lT1_lS5_lS6_lS2_lPT4_lS6_li,comdat
.Lfunc_end15:
	.size	_ZL20rocblas_gemvn_kernelILi64ELi16ElfPKffEviiT3_lPKT2_lT1_lS5_lS6_lS2_lPT4_lS6_li, .Lfunc_end15-_ZL20rocblas_gemvn_kernelILi64ELi16ElfPKffEviiT3_lPKT2_lT1_lS5_lS6_lS2_lPT4_lS6_li
                                        ; -- End function
	.set _ZL20rocblas_gemvn_kernelILi64ELi16ElfPKffEviiT3_lPKT2_lT1_lS5_lS6_lS2_lPT4_lS6_li.num_vgpr, 74
	.set _ZL20rocblas_gemvn_kernelILi64ELi16ElfPKffEviiT3_lPKT2_lT1_lS5_lS6_lS2_lPT4_lS6_li.num_agpr, 0
	.set _ZL20rocblas_gemvn_kernelILi64ELi16ElfPKffEviiT3_lPKT2_lT1_lS5_lS6_lS2_lPT4_lS6_li.numbered_sgpr, 60
	.set _ZL20rocblas_gemvn_kernelILi64ELi16ElfPKffEviiT3_lPKT2_lT1_lS5_lS6_lS2_lPT4_lS6_li.num_named_barrier, 0
	.set _ZL20rocblas_gemvn_kernelILi64ELi16ElfPKffEviiT3_lPKT2_lT1_lS5_lS6_lS2_lPT4_lS6_li.private_seg_size, 0
	.set _ZL20rocblas_gemvn_kernelILi64ELi16ElfPKffEviiT3_lPKT2_lT1_lS5_lS6_lS2_lPT4_lS6_li.uses_vcc, 1
	.set _ZL20rocblas_gemvn_kernelILi64ELi16ElfPKffEviiT3_lPKT2_lT1_lS5_lS6_lS2_lPT4_lS6_li.uses_flat_scratch, 0
	.set _ZL20rocblas_gemvn_kernelILi64ELi16ElfPKffEviiT3_lPKT2_lT1_lS5_lS6_lS2_lPT4_lS6_li.has_dyn_sized_stack, 0
	.set _ZL20rocblas_gemvn_kernelILi64ELi16ElfPKffEviiT3_lPKT2_lT1_lS5_lS6_lS2_lPT4_lS6_li.has_recursion, 0
	.set _ZL20rocblas_gemvn_kernelILi64ELi16ElfPKffEviiT3_lPKT2_lT1_lS5_lS6_lS2_lPT4_lS6_li.has_indirect_call, 0
	.section	.AMDGPU.csdata,"",@progbits
; Kernel info:
; codeLenInByte = 3844
; TotalNumSgprs: 62
; NumVgprs: 74
; ScratchSize: 0
; MemoryBound: 0
; FloatMode: 240
; IeeeMode: 1
; LDSByteSize: 16384 bytes/workgroup (compile time only)
; SGPRBlocks: 0
; VGPRBlocks: 9
; NumSGPRsForWavesPerEU: 62
; NumVGPRsForWavesPerEU: 74
; Occupancy: 16
; WaveLimiterHint : 1
; COMPUTE_PGM_RSRC2:SCRATCH_EN: 0
; COMPUTE_PGM_RSRC2:USER_SGPR: 2
; COMPUTE_PGM_RSRC2:TRAP_HANDLER: 0
; COMPUTE_PGM_RSRC2:TGID_X_EN: 1
; COMPUTE_PGM_RSRC2:TGID_Y_EN: 0
; COMPUTE_PGM_RSRC2:TGID_Z_EN: 1
; COMPUTE_PGM_RSRC2:TIDIG_COMP_CNT: 1
	.section	.text._ZL20rocblas_gemvn_kernelILi64ELi16EifffEviiT3_lPKT2_lT1_lS3_lS4_lS0_lPT4_lS4_li,"axG",@progbits,_ZL20rocblas_gemvn_kernelILi64ELi16EifffEviiT3_lPKT2_lT1_lS3_lS4_lS0_lPT4_lS4_li,comdat
	.globl	_ZL20rocblas_gemvn_kernelILi64ELi16EifffEviiT3_lPKT2_lT1_lS3_lS4_lS0_lPT4_lS4_li ; -- Begin function _ZL20rocblas_gemvn_kernelILi64ELi16EifffEviiT3_lPKT2_lT1_lS3_lS4_lS0_lPT4_lS4_li
	.p2align	8
	.type	_ZL20rocblas_gemvn_kernelILi64ELi16EifffEviiT3_lPKT2_lT1_lS3_lS4_lS0_lPT4_lS4_li,@function
_ZL20rocblas_gemvn_kernelILi64ELi16EifffEviiT3_lPKT2_lT1_lS3_lS4_lS0_lPT4_lS4_li: ; @_ZL20rocblas_gemvn_kernelILi64ELi16EifffEviiT3_lPKT2_lT1_lS3_lS4_lS0_lPT4_lS4_li
; %bb.0:
	s_load_b64 s[2:3], s[0:1], 0x9c
	s_wait_kmcnt 0x0
	s_lshr_b32 s4, s2, 16
	s_and_b32 s2, s2, 0xffff
	s_and_b32 s3, s3, 0xffff
	s_mul_i32 s2, s4, s2
	s_delay_alu instid0(SALU_CYCLE_1) | instskip(NEXT) | instid1(SALU_CYCLE_1)
	s_mul_i32 s2, s2, s3
	s_cmp_lg_u32 s2, 0x400
	s_cbranch_scc1 .LBB16_53
; %bb.1:
	s_load_b32 s19, s[0:1], 0x88
	s_lshr_b32 s28, ttmp7, 16
	s_wait_kmcnt 0x0
	s_cmp_ge_u32 s28, s19
	s_cbranch_scc1 .LBB16_53
; %bb.2:
	s_clause 0x8
	s_load_b128 s[4:7], s[0:1], 0x18
	s_load_b96 s[16:18], s[0:1], 0x40
	s_load_b128 s[12:15], s[0:1], 0x68
	s_load_b32 s34, s[0:1], 0x78
	s_load_b96 s[20:22], s[0:1], 0x0
	s_load_b32 s23, s[0:1], 0x28
	s_load_b128 s[8:11], s[0:1], 0x30
	s_load_b96 s[24:26], s[0:1], 0x50
	s_load_b64 s[30:31], s[0:1], 0x80
	v_dual_mov_b32 v4, 0 :: v_dual_and_b32 v7, 0x3ff, v0
	v_bfe_u32 v6, v0, 10, 10
	s_mov_b32 s29, 0
	s_delay_alu instid0(VALU_DEP_2) | instskip(NEXT) | instid1(VALU_DEP_2)
	v_lshlrev_b32_e32 v5, 2, v7
	v_lshl_add_u32 v8, v6, 6, v7
	v_lshlrev_b32_e32 v17, 2, v6
	s_delay_alu instid0(VALU_DEP_3)
	v_lshl_add_u32 v18, v6, 10, v5
	s_wait_kmcnt 0x0
	s_lshl_b64 s[0:1], s[6:7], 2
	s_lshl_b64 s[2:3], s[16:17], 2
	;; [unrolled: 1-line block ×3, first 2 shown]
	s_ashr_i32 s35, s34, 31
	s_cmp_eq_f32 s22, 0
	s_add_nc_u64 s[14:15], s[4:5], s[0:1]
	v_mul_lo_u32 v9, s23, v17
	s_mov_b32 s16, s20
	s_cselect_b32 s27, -1, 0
	s_cmp_neq_f32 s22, 0
	s_add_nc_u64 s[12:13], s[12:13], s[6:7]
	v_lshl_add_u32 v20, v6, 8, v5
	s_add_nc_u64 s[10:11], s[10:11], s[2:3]
	s_cselect_b32 s36, -1, 0
	s_cmp_neq_f32 s26, 1.0
	v_add3_u32 v21, v9, s23, v7
	v_or_b32_e32 v9, 3, v17
	s_cselect_b32 s0, -1, 0
	s_lshl_b32 s33, ttmp9, 8
	s_ashr_i32 s17, s20, 31
	v_add_nc_u32_e32 v3, s33, v8
	v_or_b32_e32 v10, s33, v8
	s_or_b32 s38, s36, s0
	s_cmp_neq_f32 s26, 0
	v_add_nc_u32_e32 v19, s33, v7
	v_mad_co_u64_u32 v[0:1], null, s34, v3, 0
	v_mul_lo_u32 v2, s34, v10
	s_cselect_b32 s39, -1, 0
	s_ashr_i32 s1, s21, 31
	v_cmp_gt_i64_e32 vcc_lo, s[16:17], v[3:4]
	s_lshr_b32 s1, s1, 26
	v_add_nc_u32_e32 v11, 64, v19
	s_add_co_i32 s40, s21, s1
	v_cmp_gt_i32_e64 s6, s20, v10
	v_mad_co_u64_u32 v[3:4], null, s35, v3, v[1:2]
	s_and_not1_b32 s40, s40, 63
	v_mul_lo_u32 v10, v6, s23
	s_sub_co_i32 s5, s21, s40
	v_cmp_gt_i32_e64 s1, s20, v11
	s_cmp_gt_i32 s5, 0
	v_cmp_gt_u32_e64 s5, 0x100, v8
	v_or_b32_e32 v8, 2, v17
	v_mul_lo_u32 v11, v6, s18
	v_dual_mov_b32 v1, v3 :: v_dual_add_nc_u32 v12, 0x80, v19
	v_add_nc_u32_e32 v13, 0xc0, v19
	s_delay_alu instid0(VALU_DEP_4)
	v_mad_co_u64_u32 v[4:5], null, s23, v8, v[7:8]
	s_mov_b32 s16, s18
	v_mad_co_u64_u32 v[5:6], null, s23, v9, v[7:8]
	v_lshl_add_u32 v22, v10, 2, v7
	s_wait_alu 0xfffe
	v_mad_co_u64_u32 v[6:7], null, s18, v17, s[16:17]
	v_mul_lo_u32 v23, s18, v8
	v_mul_lo_u32 v24, s18, v9
	v_lshlrev_b64_e32 v[7:8], 2, v[0:1]
	v_cmp_gt_i32_e64 s0, s20, v19
	v_cmp_gt_i32_e64 s2, s20, v12
	;; [unrolled: 1-line block ×4, first 2 shown]
	v_ashrrev_i32_e32 v3, 31, v2
	v_lshlrev_b32_e32 v25, 2, v11
	s_cselect_b32 s20, -1, 0
	s_and_b32 s41, s5, vcc_lo
	s_lshl_b32 s42, s23, 6
	s_lshl_b32 s43, s18, 6
	s_branch .LBB16_5
.LBB16_3:                               ;   in Loop: Header=BB16_5 Depth=1
	s_wait_alu 0xfffe
	s_or_b32 exec_lo, exec_lo, s7
.LBB16_4:                               ;   in Loop: Header=BB16_5 Depth=1
	s_add_co_i32 s28, s28, 0x10000
	s_delay_alu instid0(SALU_CYCLE_1)
	s_cmp_lt_u32 s28, s19
	s_cbranch_scc0 .LBB16_53
.LBB16_5:                               ; =>This Loop Header: Depth=1
                                        ;     Child Loop BB16_21 Depth 2
	s_and_not1_b32 vcc_lo, exec_lo, s38
	s_wait_alu 0xfffe
	s_cbranch_vccnz .LBB16_4
; %bb.6:                                ;   in Loop: Header=BB16_5 Depth=1
	s_mul_u64 s[16:17], s[30:31], s[28:29]
	s_and_not1_b32 vcc_lo, exec_lo, s27
	s_wait_alu 0xfffe
	s_lshl_b64 s[16:17], s[16:17], 2
	s_wait_alu 0xfffe
	s_add_nc_u64 s[16:17], s[12:13], s[16:17]
	s_cbranch_vccnz .LBB16_10
; %bb.7:                                ;   in Loop: Header=BB16_5 Depth=1
	s_mov_b32 s7, 0
	s_mov_b32 s44, 0
                                        ; implicit-def: $vgpr11
	s_and_saveexec_b32 s34, s41
	s_cbranch_execz .LBB16_11
; %bb.8:                                ;   in Loop: Header=BB16_5 Depth=1
	s_and_not1_b32 vcc_lo, exec_lo, s39
	s_wait_alu 0xfffe
	s_cbranch_vccnz .LBB16_13
; %bb.9:                                ;   in Loop: Header=BB16_5 Depth=1
	v_add_co_u32 v9, vcc_lo, s16, v7
	s_wait_alu 0xfffd
	v_add_co_ci_u32_e64 v10, null, s17, v8, vcc_lo
	global_load_b32 v9, v[9:10], off
	s_wait_loadcnt 0x0
	v_mul_f32_e32 v11, s26, v9
	s_branch .LBB16_14
.LBB16_10:                              ;   in Loop: Header=BB16_5 Depth=1
	s_mov_b32 s44, 0
                                        ; implicit-def: $vgpr11
	s_cbranch_execz .LBB16_12
	s_branch .LBB16_15
.LBB16_11:                              ;   in Loop: Header=BB16_5 Depth=1
	s_wait_alu 0xfffe
	s_or_b32 exec_lo, exec_lo, s34
	s_delay_alu instid0(SALU_CYCLE_1)
	s_and_b32 vcc_lo, exec_lo, s7
	s_wait_alu 0xfffe
	s_cbranch_vccnz .LBB16_15
.LBB16_12:                              ;   in Loop: Header=BB16_5 Depth=1
	v_dual_mov_b32 v10, v1 :: v_dual_mov_b32 v9, v0
	s_and_saveexec_b32 s7, s44
	s_cbranch_execz .LBB16_3
	s_branch .LBB16_52
.LBB16_13:                              ;   in Loop: Header=BB16_5 Depth=1
	v_mov_b32_e32 v11, 0
.LBB16_14:                              ;   in Loop: Header=BB16_5 Depth=1
	s_mov_b32 s44, exec_lo
	s_wait_alu 0xfffe
	s_or_b32 exec_lo, exec_lo, s34
	s_delay_alu instid0(SALU_CYCLE_1)
	s_and_b32 vcc_lo, exec_lo, s7
	s_wait_alu 0xfffe
	s_cbranch_vccz .LBB16_12
.LBB16_15:                              ;   in Loop: Header=BB16_5 Depth=1
	s_mul_u64 s[34:35], s[8:9], s[28:29]
	s_mul_u64 s[36:37], s[24:25], s[28:29]
	v_dual_mov_b32 v26, 0 :: v_dual_mov_b32 v27, 0
	v_dual_mov_b32 v30, v17 :: v_dual_mov_b32 v29, 0
	v_mov_b32_e32 v28, 0
	s_wait_alu 0xfffe
	s_lshl_b64 s[34:35], s[34:35], 2
	s_lshl_b64 s[36:37], s[36:37], 2
	s_wait_alu 0xfffe
	s_add_nc_u64 s[34:35], s[14:15], s[34:35]
	s_add_nc_u64 s[36:37], s[10:11], s[36:37]
	s_and_saveexec_b32 s7, s4
	s_cbranch_execz .LBB16_27
; %bb.16:                               ;   in Loop: Header=BB16_5 Depth=1
	v_dual_mov_b32 v26, 0 :: v_dual_mov_b32 v31, v22
	v_dual_mov_b32 v32, v5 :: v_dual_mov_b32 v33, v4
	;; [unrolled: 1-line block ×4, first 2 shown]
	v_mov_b32_e32 v28, 0
	s_mov_b32 s45, 0
	s_mov_b32 s46, 0
	s_branch .LBB16_21
.LBB16_17:                              ;   in Loop: Header=BB16_21 Depth=2
	s_or_b32 exec_lo, exec_lo, s50
	s_wait_loadcnt 0x3
	v_fmac_f32_e32 v28, v38, v50
	s_wait_loadcnt 0x2
	s_delay_alu instid0(VALU_DEP_1) | instskip(SKIP_1) | instid1(VALU_DEP_1)
	v_fmac_f32_e32 v28, v37, v49
	s_wait_loadcnt 0x1
	v_fmac_f32_e32 v28, v36, v48
	s_wait_loadcnt 0x0
	s_delay_alu instid0(VALU_DEP_1)
	v_fmac_f32_e32 v28, v35, v47
.LBB16_18:                              ;   in Loop: Header=BB16_21 Depth=2
	s_or_b32 exec_lo, exec_lo, s49
	s_wait_loadcnt 0x3
	v_fmac_f32_e32 v27, v38, v46
	s_wait_loadcnt 0x2
	s_delay_alu instid0(VALU_DEP_1) | instskip(SKIP_1) | instid1(VALU_DEP_1)
	v_fmac_f32_e32 v27, v37, v45
	s_wait_loadcnt 0x1
	v_fmac_f32_e32 v27, v36, v44
	s_wait_loadcnt 0x0
	s_delay_alu instid0(VALU_DEP_1)
	v_fmac_f32_e32 v27, v35, v43
.LBB16_19:                              ;   in Loop: Header=BB16_21 Depth=2
	s_or_b32 exec_lo, exec_lo, s48
	s_wait_loadcnt 0x3
	v_fmac_f32_e32 v26, v38, v42
	s_wait_loadcnt 0x2
	s_delay_alu instid0(VALU_DEP_1) | instskip(SKIP_1) | instid1(VALU_DEP_1)
	v_fmac_f32_e32 v26, v37, v40
	s_wait_loadcnt 0x1
	v_fmac_f32_e32 v26, v36, v39
	s_wait_loadcnt 0x0
	s_delay_alu instid0(VALU_DEP_1)
	v_fmac_f32_e32 v26, v35, v41
.LBB16_20:                              ;   in Loop: Header=BB16_21 Depth=2
	s_wait_alu 0xfffe
	s_or_b32 exec_lo, exec_lo, s47
	v_add_nc_u32_e32 v30, 64, v30
	v_add_nc_u32_e32 v34, s42, v34
	;; [unrolled: 1-line block ×5, first 2 shown]
	v_cmp_le_i32_e32 vcc_lo, s40, v30
	s_add_co_i32 s46, s46, s43
	s_or_b32 s45, vcc_lo, s45
	s_delay_alu instid0(SALU_CYCLE_1)
	s_and_not1_b32 exec_lo, exec_lo, s45
	s_cbranch_execz .LBB16_26
.LBB16_21:                              ;   Parent Loop BB16_5 Depth=1
                                        ; =>  This Inner Loop Header: Depth=2
	s_and_saveexec_b32 s47, s0
	s_cbranch_execz .LBB16_20
; %bb.22:                               ;   in Loop: Header=BB16_21 Depth=2
	s_wait_alu 0xfffe
	v_add_nc_u32_e32 v9, s46, v25
	v_add_nc_u32_e32 v11, s46, v6
	;; [unrolled: 1-line block ×5, first 2 shown]
	v_ashrrev_i32_e32 v10, 31, v9
	v_ashrrev_i32_e32 v12, 31, v11
	;; [unrolled: 1-line block ×5, first 2 shown]
	v_lshlrev_b64_e32 v[9:10], 2, v[9:10]
	v_lshlrev_b64_e32 v[11:12], 2, v[11:12]
	;; [unrolled: 1-line block ×3, first 2 shown]
	s_delay_alu instid0(VALU_DEP_3) | instskip(SKIP_1) | instid1(VALU_DEP_4)
	v_add_co_u32 v37, vcc_lo, s36, v9
	s_wait_alu 0xfffd
	v_add_co_ci_u32_e64 v38, null, s37, v10, vcc_lo
	s_delay_alu instid0(VALU_DEP_4)
	v_add_co_u32 v39, vcc_lo, s36, v11
	v_add_nc_u32_e32 v11, s33, v34
	s_wait_alu 0xfffd
	v_add_co_ci_u32_e64 v40, null, s37, v12, vcc_lo
	v_lshlrev_b64_e32 v[9:10], 2, v[15:16]
	v_add_co_u32 v41, vcc_lo, s36, v13
	v_add_nc_u32_e32 v15, s33, v33
	s_wait_alu 0xfffd
	v_add_co_ci_u32_e64 v42, null, s37, v14, vcc_lo
	v_lshlrev_b64_e32 v[13:14], 2, v[35:36]
	v_add_nc_u32_e32 v35, s33, v32
	v_ashrrev_i32_e32 v12, 31, v11
	v_ashrrev_i32_e32 v16, 31, v15
	v_add_co_u32 v43, vcc_lo, s36, v9
	s_delay_alu instid0(VALU_DEP_4)
	v_ashrrev_i32_e32 v36, 31, v35
	s_wait_alu 0xfffd
	v_add_co_ci_u32_e64 v44, null, s37, v10, vcc_lo
	v_lshlrev_b64_e32 v[11:12], 2, v[11:12]
	v_add_co_u32 v9, vcc_lo, s34, v13
	s_wait_alu 0xfffd
	v_add_co_ci_u32_e64 v10, null, s35, v14, vcc_lo
	v_lshlrev_b64_e32 v[13:14], 2, v[15:16]
	v_lshlrev_b64_e32 v[35:36], 2, v[35:36]
	v_add_co_u32 v11, vcc_lo, s34, v11
	s_wait_alu 0xfffd
	v_add_co_ci_u32_e64 v12, null, s35, v12, vcc_lo
	s_delay_alu instid0(VALU_DEP_4)
	v_add_co_u32 v15, vcc_lo, s34, v13
	s_wait_alu 0xfffd
	v_add_co_ci_u32_e64 v16, null, s35, v14, vcc_lo
	v_add_co_u32 v13, vcc_lo, s34, v35
	s_wait_alu 0xfffd
	v_add_co_ci_u32_e64 v14, null, s35, v36, vcc_lo
	s_clause 0x3
	global_load_b32 v38, v[37:38], off
	global_load_b32 v37, v[39:40], off
	;; [unrolled: 1-line block ×4, first 2 shown]
	s_clause 0x3
	global_load_b32 v42, v[9:10], off
	global_load_b32 v40, v[11:12], off
	;; [unrolled: 1-line block ×4, first 2 shown]
	s_and_saveexec_b32 s48, s1
	s_cbranch_execz .LBB16_19
; %bb.23:                               ;   in Loop: Header=BB16_21 Depth=2
	s_clause 0x3
	global_load_b32 v46, v[9:10], off offset:256
	global_load_b32 v45, v[11:12], off offset:256
	global_load_b32 v44, v[15:16], off offset:256
	global_load_b32 v43, v[13:14], off offset:256
	s_and_saveexec_b32 s49, s2
	s_cbranch_execz .LBB16_18
; %bb.24:                               ;   in Loop: Header=BB16_21 Depth=2
	s_clause 0x3
	global_load_b32 v50, v[9:10], off offset:512
	global_load_b32 v49, v[11:12], off offset:512
	global_load_b32 v48, v[15:16], off offset:512
	global_load_b32 v47, v[13:14], off offset:512
	;; [unrolled: 8-line block ×3, first 2 shown]
	s_wait_loadcnt 0x3
	v_fmac_f32_e32 v29, v38, v9
	s_wait_loadcnt 0x2
	s_delay_alu instid0(VALU_DEP_1) | instskip(SKIP_1) | instid1(VALU_DEP_1)
	v_fmac_f32_e32 v29, v37, v10
	s_wait_loadcnt 0x1
	v_fmac_f32_e32 v29, v36, v11
	s_wait_loadcnt 0x0
	s_delay_alu instid0(VALU_DEP_1)
	v_fmac_f32_e32 v29, v35, v12
	s_branch .LBB16_17
.LBB16_26:                              ;   in Loop: Header=BB16_5 Depth=1
	s_or_b32 exec_lo, exec_lo, s45
.LBB16_27:                              ;   in Loop: Header=BB16_5 Depth=1
	s_wait_alu 0xfffe
	s_or_b32 exec_lo, exec_lo, s7
	s_delay_alu instid0(SALU_CYCLE_1)
	s_and_not1_b32 vcc_lo, exec_lo, s20
	s_wait_alu 0xfffe
	s_cbranch_vccnz .LBB16_45
; %bb.28:                               ;   in Loop: Header=BB16_5 Depth=1
	v_cmp_gt_i32_e32 vcc_lo, s21, v30
	v_dual_mov_b32 v34, 0 :: v_dual_mov_b32 v33, 0
	v_or_b32_e32 v9, 1, v30
	v_dual_mov_b32 v32, 0 :: v_dual_mov_b32 v31, 0
	s_and_saveexec_b32 s45, vcc_lo
	s_cbranch_execz .LBB16_36
; %bb.29:                               ;   in Loop: Header=BB16_5 Depth=1
	v_mul_lo_u32 v10, v30, s18
	v_dual_mov_b32 v32, 0 :: v_dual_mov_b32 v33, 0
	v_mov_b32_e32 v34, 0
	s_mov_b32 s46, exec_lo
	s_delay_alu instid0(VALU_DEP_3) | instskip(NEXT) | instid1(VALU_DEP_1)
	v_ashrrev_i32_e32 v11, 31, v10
	v_lshlrev_b64_e32 v[10:11], 2, v[10:11]
	s_delay_alu instid0(VALU_DEP_1) | instskip(SKIP_1) | instid1(VALU_DEP_2)
	v_add_co_u32 v10, s7, s36, v10
	s_wait_alu 0xf1ff
	v_add_co_ci_u32_e64 v11, null, s37, v11, s7
	global_load_b32 v31, v[10:11], off
	v_cmpx_gt_i32_e64 s21, v9
	s_cbranch_execz .LBB16_35
; %bb.30:                               ;   in Loop: Header=BB16_5 Depth=1
	v_mul_lo_u32 v10, v9, s18
	v_dual_mov_b32 v33, 0 :: v_dual_mov_b32 v34, 0
	s_mov_b32 s47, exec_lo
	s_delay_alu instid0(VALU_DEP_2) | instskip(NEXT) | instid1(VALU_DEP_1)
	v_ashrrev_i32_e32 v11, 31, v10
	v_lshlrev_b64_e32 v[10:11], 2, v[10:11]
	s_delay_alu instid0(VALU_DEP_1) | instskip(SKIP_1) | instid1(VALU_DEP_2)
	v_add_co_u32 v10, s7, s36, v10
	s_wait_alu 0xf1ff
	v_add_co_ci_u32_e64 v11, null, s37, v11, s7
	global_load_b32 v32, v[10:11], off
	v_or_b32_e32 v10, 2, v30
	s_delay_alu instid0(VALU_DEP_1)
	v_cmpx_gt_i32_e64 s21, v10
	s_cbranch_execz .LBB16_34
; %bb.31:                               ;   in Loop: Header=BB16_5 Depth=1
	v_mul_lo_u32 v10, v10, s18
	v_mov_b32_e32 v34, 0
	s_mov_b32 s48, exec_lo
	s_delay_alu instid0(VALU_DEP_2) | instskip(NEXT) | instid1(VALU_DEP_1)
	v_ashrrev_i32_e32 v11, 31, v10
	v_lshlrev_b64_e32 v[10:11], 2, v[10:11]
	s_delay_alu instid0(VALU_DEP_1) | instskip(SKIP_1) | instid1(VALU_DEP_2)
	v_add_co_u32 v10, s7, s36, v10
	s_wait_alu 0xf1ff
	v_add_co_ci_u32_e64 v11, null, s37, v11, s7
	global_load_b32 v33, v[10:11], off
	v_or_b32_e32 v10, 3, v30
	s_delay_alu instid0(VALU_DEP_1)
	v_cmpx_gt_i32_e64 s21, v10
	s_cbranch_execz .LBB16_33
; %bb.32:                               ;   in Loop: Header=BB16_5 Depth=1
	v_mul_lo_u32 v10, v10, s18
	s_delay_alu instid0(VALU_DEP_1) | instskip(NEXT) | instid1(VALU_DEP_1)
	v_ashrrev_i32_e32 v11, 31, v10
	v_lshlrev_b64_e32 v[10:11], 2, v[10:11]
	s_delay_alu instid0(VALU_DEP_1) | instskip(SKIP_1) | instid1(VALU_DEP_2)
	v_add_co_u32 v10, s7, s36, v10
	s_wait_alu 0xf1ff
	v_add_co_ci_u32_e64 v11, null, s37, v11, s7
	global_load_b32 v34, v[10:11], off
.LBB16_33:                              ;   in Loop: Header=BB16_5 Depth=1
	s_or_b32 exec_lo, exec_lo, s48
.LBB16_34:                              ;   in Loop: Header=BB16_5 Depth=1
	s_wait_alu 0xfffe
	s_or_b32 exec_lo, exec_lo, s47
.LBB16_35:                              ;   in Loop: Header=BB16_5 Depth=1
	s_wait_alu 0xfffe
	s_or_b32 exec_lo, exec_lo, s46
.LBB16_36:                              ;   in Loop: Header=BB16_5 Depth=1
	s_delay_alu instid0(SALU_CYCLE_1)
	s_or_b32 exec_lo, exec_lo, s45
	s_and_saveexec_b32 s7, s0
	s_cbranch_execz .LBB16_44
; %bb.37:                               ;   in Loop: Header=BB16_5 Depth=1
	v_mul_lo_u32 v11, v30, s23
	v_or_b32_e32 v10, 2, v30
	v_mul_lo_u32 v13, v9, s23
	v_or_b32_e32 v12, 3, v30
	s_delay_alu instid0(VALU_DEP_3) | instskip(NEXT) | instid1(VALU_DEP_2)
	v_mul_lo_u32 v14, v10, s23
	v_mul_lo_u32 v15, v12, s23
	v_cndmask_b32_e32 v11, 0, v11, vcc_lo
	v_cmp_gt_i32_e32 vcc_lo, s21, v9
	s_wait_alu 0xfffd
	v_cndmask_b32_e32 v13, 0, v13, vcc_lo
	v_cmp_gt_i32_e32 vcc_lo, s21, v10
	s_wait_alu 0xfffd
	v_cndmask_b32_e32 v10, 0, v14, vcc_lo
	v_cmp_gt_i32_e32 vcc_lo, s21, v12
	v_add_nc_u32_e32 v9, v11, v19
	s_wait_alu 0xfffd
	v_cndmask_b32_e32 v12, 0, v15, vcc_lo
	v_add_nc_u32_e32 v11, v13, v19
	v_add_nc_u32_e32 v13, v10, v19
	v_ashrrev_i32_e32 v10, 31, v9
	s_delay_alu instid0(VALU_DEP_4) | instskip(NEXT) | instid1(VALU_DEP_4)
	v_add_nc_u32_e32 v15, v12, v19
	v_ashrrev_i32_e32 v12, 31, v11
	s_delay_alu instid0(VALU_DEP_4) | instskip(NEXT) | instid1(VALU_DEP_4)
	v_ashrrev_i32_e32 v14, 31, v13
	v_lshlrev_b64_e32 v[9:10], 2, v[9:10]
	s_delay_alu instid0(VALU_DEP_4) | instskip(NEXT) | instid1(VALU_DEP_4)
	v_ashrrev_i32_e32 v16, 31, v15
	v_lshlrev_b64_e32 v[11:12], 2, v[11:12]
	s_delay_alu instid0(VALU_DEP_4) | instskip(NEXT) | instid1(VALU_DEP_3)
	v_lshlrev_b64_e32 v[35:36], 2, v[13:14]
	v_lshlrev_b64_e32 v[37:38], 2, v[15:16]
	v_add_co_u32 v15, vcc_lo, s34, v9
	s_wait_alu 0xfffd
	v_add_co_ci_u32_e64 v16, null, s35, v10, vcc_lo
	v_add_co_u32 v13, vcc_lo, s34, v11
	s_wait_alu 0xfffd
	v_add_co_ci_u32_e64 v14, null, s35, v12, vcc_lo
	v_add_co_u32 v11, vcc_lo, s34, v35
	s_wait_alu 0xfffd
	v_add_co_ci_u32_e64 v12, null, s35, v36, vcc_lo
	v_add_co_u32 v9, vcc_lo, s34, v37
	s_wait_alu 0xfffd
	v_add_co_ci_u32_e64 v10, null, s35, v38, vcc_lo
	s_clause 0x3
	global_load_b32 v37, v[15:16], off
	global_load_b32 v35, v[13:14], off
	;; [unrolled: 1-line block ×4, first 2 shown]
	s_and_saveexec_b32 s34, s1
	s_cbranch_execz .LBB16_43
; %bb.38:                               ;   in Loop: Header=BB16_5 Depth=1
	s_clause 0x3
	global_load_b32 v41, v[15:16], off offset:256
	global_load_b32 v40, v[13:14], off offset:256
	global_load_b32 v39, v[11:12], off offset:256
	global_load_b32 v38, v[9:10], off offset:256
	s_and_saveexec_b32 s35, s2
	s_cbranch_execz .LBB16_42
; %bb.39:                               ;   in Loop: Header=BB16_5 Depth=1
	s_clause 0x3
	global_load_b32 v45, v[15:16], off offset:512
	global_load_b32 v44, v[13:14], off offset:512
	global_load_b32 v43, v[11:12], off offset:512
	global_load_b32 v42, v[9:10], off offset:512
	;; [unrolled: 8-line block ×3, first 2 shown]
	s_wait_loadcnt 0x3
	v_fmac_f32_e32 v29, v31, v15
	s_wait_loadcnt 0x2
	s_delay_alu instid0(VALU_DEP_1) | instskip(SKIP_1) | instid1(VALU_DEP_1)
	v_fmac_f32_e32 v29, v32, v13
	s_wait_loadcnt 0x1
	v_fmac_f32_e32 v29, v33, v11
	s_wait_loadcnt 0x0
	s_delay_alu instid0(VALU_DEP_1)
	v_fmac_f32_e32 v29, v34, v9
.LBB16_41:                              ;   in Loop: Header=BB16_5 Depth=1
	s_wait_alu 0xfffe
	s_or_b32 exec_lo, exec_lo, s36
	s_wait_loadcnt 0x3
	v_fmac_f32_e32 v28, v31, v45
	s_wait_loadcnt 0x2
	s_delay_alu instid0(VALU_DEP_1) | instskip(SKIP_1) | instid1(VALU_DEP_1)
	v_fmac_f32_e32 v28, v32, v44
	s_wait_loadcnt 0x1
	v_fmac_f32_e32 v28, v33, v43
	s_wait_loadcnt 0x0
	s_delay_alu instid0(VALU_DEP_1)
	v_fmac_f32_e32 v28, v34, v42
.LBB16_42:                              ;   in Loop: Header=BB16_5 Depth=1
	s_wait_alu 0xfffe
	s_or_b32 exec_lo, exec_lo, s35
	s_wait_loadcnt 0x3
	v_fmac_f32_e32 v27, v31, v41
	s_wait_loadcnt 0x2
	s_delay_alu instid0(VALU_DEP_1) | instskip(SKIP_1) | instid1(VALU_DEP_1)
	v_fmac_f32_e32 v27, v32, v40
	s_wait_loadcnt 0x1
	v_fmac_f32_e32 v27, v33, v39
	s_wait_loadcnt 0x0
	s_delay_alu instid0(VALU_DEP_1)
	v_fmac_f32_e32 v27, v34, v38
.LBB16_43:                              ;   in Loop: Header=BB16_5 Depth=1
	s_wait_alu 0xfffe
	s_or_b32 exec_lo, exec_lo, s34
	s_wait_loadcnt 0x3
	v_fmac_f32_e32 v26, v31, v37
	s_wait_loadcnt 0x2
	s_delay_alu instid0(VALU_DEP_1) | instskip(SKIP_1) | instid1(VALU_DEP_1)
	v_fmac_f32_e32 v26, v32, v35
	s_wait_loadcnt 0x1
	v_fmac_f32_e32 v26, v33, v30
	s_wait_loadcnt 0x0
	s_delay_alu instid0(VALU_DEP_1)
	v_fmac_f32_e32 v26, v34, v36
.LBB16_44:                              ;   in Loop: Header=BB16_5 Depth=1
	s_wait_alu 0xfffe
	s_or_b32 exec_lo, exec_lo, s7
.LBB16_45:                              ;   in Loop: Header=BB16_5 Depth=1
	ds_store_2addr_stride64_b32 v18, v26, v27 offset1:1
	ds_store_2addr_stride64_b32 v18, v28, v29 offset0:2 offset1:3
	s_wait_loadcnt_dscnt 0x0
	s_barrier_signal -1
	s_barrier_wait -1
	global_inv scope:SCOPE_SE
                                        ; implicit-def: $vgpr11
	s_and_saveexec_b32 s7, s5
	s_cbranch_execz .LBB16_51
; %bb.46:                               ;   in Loop: Header=BB16_5 Depth=1
	ds_load_2addr_stride64_b32 v[9:10], v20 offset1:4
	ds_load_2addr_stride64_b32 v[11:12], v20 offset0:8 offset1:12
	ds_load_2addr_stride64_b32 v[13:14], v20 offset0:16 offset1:20
	s_mov_b32 s35, s44
	s_wait_dscnt 0x2
	v_add_f32_e32 v15, v9, v10
	ds_load_2addr_stride64_b32 v[9:10], v20 offset0:24 offset1:28
	s_wait_dscnt 0x2
	v_add_f32_e32 v11, v11, v15
	s_delay_alu instid0(VALU_DEP_1) | instskip(SKIP_3) | instid1(VALU_DEP_1)
	v_add_f32_e32 v15, v12, v11
	ds_load_2addr_stride64_b32 v[11:12], v20 offset0:32 offset1:36
	s_wait_dscnt 0x2
	v_add_f32_e32 v13, v13, v15
	v_add_f32_e32 v15, v14, v13
	ds_load_2addr_stride64_b32 v[13:14], v20 offset0:40 offset1:44
	s_wait_dscnt 0x2
	v_add_f32_e32 v9, v9, v15
	s_delay_alu instid0(VALU_DEP_1) | instskip(SKIP_1) | instid1(VALU_DEP_1)
	v_add_f32_e32 v9, v10, v9
	s_wait_dscnt 0x1
	v_add_f32_e32 v11, v11, v9
	ds_load_2addr_stride64_b32 v[9:10], v20 offset0:48 offset1:52
	v_add_f32_e32 v11, v12, v11
	s_wait_dscnt 0x1
	s_delay_alu instid0(VALU_DEP_1) | instskip(SKIP_3) | instid1(VALU_DEP_1)
	v_add_f32_e32 v13, v13, v11
	ds_load_2addr_stride64_b32 v[11:12], v20 offset0:56 offset1:60
	v_add_f32_e32 v13, v14, v13
	s_wait_dscnt 0x1
	v_add_f32_e32 v9, v9, v13
	s_delay_alu instid0(VALU_DEP_1) | instskip(SKIP_1) | instid1(VALU_DEP_1)
	v_add_f32_e32 v9, v10, v9
	s_wait_dscnt 0x0
	v_add_f32_e32 v9, v11, v9
                                        ; implicit-def: $vgpr11
	s_delay_alu instid0(VALU_DEP_1)
	v_add_f32_e32 v9, v12, v9
	ds_store_b32 v20, v9
	s_and_saveexec_b32 s34, s6
	s_cbranch_execz .LBB16_50
; %bb.47:                               ;   in Loop: Header=BB16_5 Depth=1
	v_mul_f32_e32 v11, s22, v9
	s_and_not1_b32 vcc_lo, exec_lo, s39
	s_wait_alu 0xfffe
	s_cbranch_vccnz .LBB16_49
; %bb.48:                               ;   in Loop: Header=BB16_5 Depth=1
	v_lshlrev_b64_e32 v[9:10], 2, v[2:3]
	s_delay_alu instid0(VALU_DEP_1) | instskip(SKIP_1) | instid1(VALU_DEP_2)
	v_add_co_u32 v9, vcc_lo, s16, v9
	s_wait_alu 0xfffd
	v_add_co_ci_u32_e64 v10, null, s17, v10, vcc_lo
	global_load_b32 v9, v[9:10], off
	s_wait_loadcnt 0x0
	v_fmac_f32_e32 v11, s26, v9
.LBB16_49:                              ;   in Loop: Header=BB16_5 Depth=1
	s_or_b32 s35, s44, exec_lo
.LBB16_50:                              ;   in Loop: Header=BB16_5 Depth=1
	s_wait_alu 0xfffe
	s_or_b32 exec_lo, exec_lo, s34
	s_delay_alu instid0(SALU_CYCLE_1)
	s_and_not1_b32 s34, s44, exec_lo
	s_and_b32 s35, s35, exec_lo
	s_wait_alu 0xfffe
	s_or_b32 s44, s34, s35
.LBB16_51:                              ;   in Loop: Header=BB16_5 Depth=1
	s_wait_alu 0xfffe
	s_or_b32 exec_lo, exec_lo, s7
	v_dual_mov_b32 v10, v3 :: v_dual_mov_b32 v9, v2
	s_and_saveexec_b32 s7, s44
	s_cbranch_execz .LBB16_3
.LBB16_52:                              ;   in Loop: Header=BB16_5 Depth=1
	s_delay_alu instid0(VALU_DEP_1) | instskip(SKIP_1) | instid1(VALU_DEP_1)
	v_lshlrev_b64_e32 v[9:10], 2, v[9:10]
	s_wait_alu 0xfffe
	v_add_co_u32 v9, vcc_lo, s16, v9
	s_wait_alu 0xfffd
	s_delay_alu instid0(VALU_DEP_2)
	v_add_co_ci_u32_e64 v10, null, s17, v10, vcc_lo
	global_store_b32 v[9:10], v11, off
	s_branch .LBB16_3
.LBB16_53:
	s_endpgm
	.section	.rodata,"a",@progbits
	.p2align	6, 0x0
	.amdhsa_kernel _ZL20rocblas_gemvn_kernelILi64ELi16EifffEviiT3_lPKT2_lT1_lS3_lS4_lS0_lPT4_lS4_li
		.amdhsa_group_segment_fixed_size 16384
		.amdhsa_private_segment_fixed_size 0
		.amdhsa_kernarg_size 400
		.amdhsa_user_sgpr_count 2
		.amdhsa_user_sgpr_dispatch_ptr 0
		.amdhsa_user_sgpr_queue_ptr 0
		.amdhsa_user_sgpr_kernarg_segment_ptr 1
		.amdhsa_user_sgpr_dispatch_id 0
		.amdhsa_user_sgpr_private_segment_size 0
		.amdhsa_wavefront_size32 1
		.amdhsa_uses_dynamic_stack 0
		.amdhsa_enable_private_segment 0
		.amdhsa_system_sgpr_workgroup_id_x 1
		.amdhsa_system_sgpr_workgroup_id_y 0
		.amdhsa_system_sgpr_workgroup_id_z 1
		.amdhsa_system_sgpr_workgroup_info 0
		.amdhsa_system_vgpr_workitem_id 1
		.amdhsa_next_free_vgpr 51
		.amdhsa_next_free_sgpr 51
		.amdhsa_reserve_vcc 1
		.amdhsa_float_round_mode_32 0
		.amdhsa_float_round_mode_16_64 0
		.amdhsa_float_denorm_mode_32 3
		.amdhsa_float_denorm_mode_16_64 3
		.amdhsa_fp16_overflow 0
		.amdhsa_workgroup_processor_mode 1
		.amdhsa_memory_ordered 1
		.amdhsa_forward_progress 1
		.amdhsa_inst_pref_size 25
		.amdhsa_round_robin_scheduling 0
		.amdhsa_exception_fp_ieee_invalid_op 0
		.amdhsa_exception_fp_denorm_src 0
		.amdhsa_exception_fp_ieee_div_zero 0
		.amdhsa_exception_fp_ieee_overflow 0
		.amdhsa_exception_fp_ieee_underflow 0
		.amdhsa_exception_fp_ieee_inexact 0
		.amdhsa_exception_int_div_zero 0
	.end_amdhsa_kernel
	.section	.text._ZL20rocblas_gemvn_kernelILi64ELi16EifffEviiT3_lPKT2_lT1_lS3_lS4_lS0_lPT4_lS4_li,"axG",@progbits,_ZL20rocblas_gemvn_kernelILi64ELi16EifffEviiT3_lPKT2_lT1_lS3_lS4_lS0_lPT4_lS4_li,comdat
.Lfunc_end16:
	.size	_ZL20rocblas_gemvn_kernelILi64ELi16EifffEviiT3_lPKT2_lT1_lS3_lS4_lS0_lPT4_lS4_li, .Lfunc_end16-_ZL20rocblas_gemvn_kernelILi64ELi16EifffEviiT3_lPKT2_lT1_lS3_lS4_lS0_lPT4_lS4_li
                                        ; -- End function
	.set _ZL20rocblas_gemvn_kernelILi64ELi16EifffEviiT3_lPKT2_lT1_lS3_lS4_lS0_lPT4_lS4_li.num_vgpr, 51
	.set _ZL20rocblas_gemvn_kernelILi64ELi16EifffEviiT3_lPKT2_lT1_lS3_lS4_lS0_lPT4_lS4_li.num_agpr, 0
	.set _ZL20rocblas_gemvn_kernelILi64ELi16EifffEviiT3_lPKT2_lT1_lS3_lS4_lS0_lPT4_lS4_li.numbered_sgpr, 51
	.set _ZL20rocblas_gemvn_kernelILi64ELi16EifffEviiT3_lPKT2_lT1_lS3_lS4_lS0_lPT4_lS4_li.num_named_barrier, 0
	.set _ZL20rocblas_gemvn_kernelILi64ELi16EifffEviiT3_lPKT2_lT1_lS3_lS4_lS0_lPT4_lS4_li.private_seg_size, 0
	.set _ZL20rocblas_gemvn_kernelILi64ELi16EifffEviiT3_lPKT2_lT1_lS3_lS4_lS0_lPT4_lS4_li.uses_vcc, 1
	.set _ZL20rocblas_gemvn_kernelILi64ELi16EifffEviiT3_lPKT2_lT1_lS3_lS4_lS0_lPT4_lS4_li.uses_flat_scratch, 0
	.set _ZL20rocblas_gemvn_kernelILi64ELi16EifffEviiT3_lPKT2_lT1_lS3_lS4_lS0_lPT4_lS4_li.has_dyn_sized_stack, 0
	.set _ZL20rocblas_gemvn_kernelILi64ELi16EifffEviiT3_lPKT2_lT1_lS3_lS4_lS0_lPT4_lS4_li.has_recursion, 0
	.set _ZL20rocblas_gemvn_kernelILi64ELi16EifffEviiT3_lPKT2_lT1_lS3_lS4_lS0_lPT4_lS4_li.has_indirect_call, 0
	.section	.AMDGPU.csdata,"",@progbits
; Kernel info:
; codeLenInByte = 3192
; TotalNumSgprs: 53
; NumVgprs: 51
; ScratchSize: 0
; MemoryBound: 0
; FloatMode: 240
; IeeeMode: 1
; LDSByteSize: 16384 bytes/workgroup (compile time only)
; SGPRBlocks: 0
; VGPRBlocks: 6
; NumSGPRsForWavesPerEU: 53
; NumVGPRsForWavesPerEU: 51
; Occupancy: 16
; WaveLimiterHint : 1
; COMPUTE_PGM_RSRC2:SCRATCH_EN: 0
; COMPUTE_PGM_RSRC2:USER_SGPR: 2
; COMPUTE_PGM_RSRC2:TRAP_HANDLER: 0
; COMPUTE_PGM_RSRC2:TGID_X_EN: 1
; COMPUTE_PGM_RSRC2:TGID_Y_EN: 0
; COMPUTE_PGM_RSRC2:TGID_Z_EN: 1
; COMPUTE_PGM_RSRC2:TIDIG_COMP_CNT: 1
	.section	.text._ZL20rocblas_gemvn_kernelILi64ELi16ElfffEviiT3_lPKT2_lT1_lS3_lS4_lS0_lPT4_lS4_li,"axG",@progbits,_ZL20rocblas_gemvn_kernelILi64ELi16ElfffEviiT3_lPKT2_lT1_lS3_lS4_lS0_lPT4_lS4_li,comdat
	.globl	_ZL20rocblas_gemvn_kernelILi64ELi16ElfffEviiT3_lPKT2_lT1_lS3_lS4_lS0_lPT4_lS4_li ; -- Begin function _ZL20rocblas_gemvn_kernelILi64ELi16ElfffEviiT3_lPKT2_lT1_lS3_lS4_lS0_lPT4_lS4_li
	.p2align	8
	.type	_ZL20rocblas_gemvn_kernelILi64ELi16ElfffEviiT3_lPKT2_lT1_lS3_lS4_lS0_lPT4_lS4_li,@function
_ZL20rocblas_gemvn_kernelILi64ELi16ElfffEviiT3_lPKT2_lT1_lS3_lS4_lS0_lPT4_lS4_li: ; @_ZL20rocblas_gemvn_kernelILi64ELi16ElfffEviiT3_lPKT2_lT1_lS3_lS4_lS0_lPT4_lS4_li
; %bb.0:
	s_load_b64 s[2:3], s[0:1], 0x9c
	s_wait_kmcnt 0x0
	s_lshr_b32 s4, s2, 16
	s_and_b32 s2, s2, 0xffff
	s_and_b32 s3, s3, 0xffff
	s_mul_i32 s2, s4, s2
	s_delay_alu instid0(SALU_CYCLE_1) | instskip(NEXT) | instid1(SALU_CYCLE_1)
	s_mul_i32 s2, s2, s3
	s_cmp_lg_u32 s2, 0x400
	s_cbranch_scc1 .LBB17_53
; %bb.1:
	s_load_b32 s33, s[0:1], 0x88
	s_lshr_b32 s34, ttmp7, 16
	s_wait_kmcnt 0x0
	s_cmp_ge_u32 s34, s33
	s_cbranch_scc1 .LBB17_53
; %bb.2:
	s_clause 0x3
	s_load_b512 s[8:23], s[0:1], 0x18
	s_load_b256 s[24:31], s[0:1], 0x68
	s_load_b96 s[36:38], s[0:1], 0x0
	s_load_b32 s39, s[0:1], 0x58
	v_bfe_u32 v15, v0, 10, 10
	v_and_b32_e32 v1, 0x3ff, v0
	s_mov_b32 s35, 0
	s_delay_alu instid0(VALU_DEP_2) | instskip(NEXT) | instid1(VALU_DEP_2)
	v_dual_mov_b32 v3, 0 :: v_dual_lshlrev_b32 v16, 2, v15
	v_lshlrev_b32_e32 v10, 2, v1
	s_delay_alu instid0(VALU_DEP_2) | instskip(NEXT) | instid1(VALU_DEP_2)
	v_or_b32_e32 v19, 3, v16
	v_lshl_add_u32 v17, v15, 10, v10
	v_lshl_add_u32 v18, v15, 8, v10
	s_wait_kmcnt 0x0
	s_lshl_b64 s[2:3], s[10:11], 2
	s_lshl_b64 s[10:11], s[18:19], 2
	;; [unrolled: 1-line block ×3, first 2 shown]
	s_cmp_eq_f32 s38, 0
	s_add_nc_u64 s[18:19], s[8:9], s[2:3]
	v_mad_co_u64_u32 v[4:5], null, s20, v15, 0
	s_cselect_b32 s46, -1, 0
	s_cmp_neq_f32 s38, 0
	v_mad_co_u64_u32 v[6:7], null, s12, v19, 0
	s_add_nc_u64 s[24:25], s[24:25], s[4:5]
	s_cselect_b32 s1, -1, 0
	s_cmp_neq_f32 s39, 1.0
	s_mov_b32 s6, s36
	s_add_nc_u64 s[26:27], s[16:17], s[10:11]
	s_cselect_b32 s2, -1, 0
	s_lshl_b32 s8, ttmp9, 8
	s_ashr_i32 s7, s36, 31
	v_add_nc_u32_e32 v8, s8, v1
	s_or_b32 s47, s1, s2
	s_cmp_neq_f32 s39, 0
	s_delay_alu instid0(VALU_DEP_1) | instskip(SKIP_2) | instid1(SALU_CYCLE_1)
	v_add_nc_u32_e32 v11, 0x80, v8
	s_cselect_b32 s48, -1, 0
	s_ashr_i32 s2, s37, 31
	s_lshr_b32 s2, s2, 26
	s_delay_alu instid0(VALU_DEP_1)
	v_cmp_gt_i32_e64 s3, s36, v11
	v_mad_co_u64_u32 v[10:11], null, s21, v15, v[5:6]
	v_mov_b32_e32 v5, v7
	s_add_co_i32 s49, s37, s2
	v_or_b32_e32 v23, 2, v16
	s_and_not1_b32 s49, s49, 63
	v_mad_co_u64_u32 v[29:30], null, s20, v16, s[20:21]
	v_mad_co_u64_u32 v[13:14], null, s13, v19, v[5:6]
	v_dual_mov_b32 v5, v10 :: v_dual_add_nc_u32 v12, 0xc0, v8
	s_sub_co_i32 s5, s37, s49
	v_ashrrev_i32_e32 v9, 31, v8
	s_cmp_gt_i32 s5, 0
	s_delay_alu instid0(VALU_DEP_2)
	v_lshlrev_b64_e32 v[4:5], 4, v[4:5]
	v_cmp_gt_i32_e64 s4, s36, v12
	v_mad_co_u64_u32 v[11:12], null, s20, v19, 0
	s_cselect_b32 s50, -1, 0
	v_cmp_gt_i32_e64 s1, s36, v8
	v_mov_b32_e32 v7, v13
	v_mad_co_u64_u32 v[27:28], null, s20, v23, 0
	v_mad_co_u64_u32 v[31:32], null, s12, v16, s[12:13]
	v_mov_b32_e32 v10, v12
	v_lshl_add_u32 v0, v15, 6, v1
	v_lshlrev_b64_e32 v[6:7], 2, v[6:7]
	v_cmp_gt_i32_e64 s5, s49, v16
	s_lshl_b64 s[40:41], s[14:15], 2
	v_mad_co_u64_u32 v[12:13], null, s21, v19, v[10:11]
	v_add_nc_u32_e32 v2, s8, v0
	v_cmp_gt_u32_e64 s0, 0x100, v0
	v_or_b32_e32 v20, s8, v0
	v_mad_co_u64_u32 v[13:14], null, s12, v15, 0
	s_delay_alu instid0(VALU_DEP_4)
	v_mad_co_u64_u32 v[0:1], null, s28, v2, 0
	v_cmp_gt_i64_e32 vcc_lo, s[6:7], v[2:3]
	v_add_nc_u32_e32 v3, 64, v8
	s_ashr_i32 s6, s8, 31
	v_mul_lo_u32 v21, s29, v20
	s_wait_alu 0xfffe
	s_mul_i32 s7, s28, s6
	v_cmp_gt_i32_e64 s6, s36, v20
	v_mad_co_u64_u32 v[1:2], null, s29, v2, v[1:2]
	v_cmp_gt_i32_e64 s2, s36, v3
	v_mad_co_u64_u32 v[2:3], null, s28, v20, 0
	s_and_b32 s36, s0, vcc_lo
	v_add_co_u32 v19, vcc_lo, s16, v4
	s_delay_alu instid0(VALU_DEP_1)
	v_add_co_ci_u32_e64 v20, null, s17, v5, vcc_lo
	v_lshlrev_b64_e32 v[4:5], 2, v[8:9]
	v_mad_co_u64_u32 v[9:10], null, s12, v23, 0
	v_mov_b32_e32 v8, v14
	s_wait_alu 0xfffe
	v_add3_u32 v3, v3, s7, v21
	v_add_co_u32 v21, vcc_lo, s18, v6
	s_wait_alu 0xfffd
	v_add_co_ci_u32_e64 v22, null, s19, v7, vcc_lo
	v_mad_co_u64_u32 v[14:15], null, s13, v15, v[8:9]
	v_lshlrev_b64_e32 v[7:8], 2, v[11:12]
	v_mov_b32_e32 v6, v10
	v_mov_b32_e32 v10, v28
	s_lshl_b64 s[28:29], s[22:23], 2
	s_lshl_b64 s[42:43], s[12:13], 8
	s_delay_alu instid0(VALU_DEP_2) | instskip(SKIP_1) | instid1(VALU_DEP_2)
	v_mad_co_u64_u32 v[11:12], null, s13, v23, v[6:7]
	v_mov_b32_e32 v6, v30
	v_mad_co_u64_u32 v[25:26], null, s21, v23, v[10:11]
	v_add_co_u32 v23, vcc_lo, s16, v7
	s_wait_alu 0xfffd
	v_add_co_ci_u32_e64 v24, null, s17, v8, vcc_lo
	v_lshlrev_b64_e32 v[7:8], 4, v[13:14]
	v_mov_b32_e32 v10, v11
	v_mov_b32_e32 v28, v25
	s_delay_alu instid0(VALU_DEP_3)
	v_add_co_u32 v25, vcc_lo, s18, v7
	v_mad_co_u64_u32 v[11:12], null, s21, v16, v[6:7]
	s_wait_alu 0xfffd
	v_add_co_ci_u32_e64 v26, null, s19, v8, vcc_lo
	v_lshlrev_b64_e32 v[7:8], 2, v[9:10]
	v_mov_b32_e32 v6, v32
	v_lshlrev_b64_e32 v[12:13], 2, v[27:28]
	v_mov_b32_e32 v30, v11
	s_delay_alu instid0(VALU_DEP_3) | instskip(SKIP_1) | instid1(VALU_DEP_3)
	v_mad_co_u64_u32 v[9:10], null, s13, v16, v[6:7]
	v_add_co_u32 v27, vcc_lo, s18, v7
	v_lshlrev_b64_e32 v[6:7], 2, v[29:30]
	s_wait_alu 0xfffd
	v_add_co_ci_u32_e64 v28, null, s19, v8, vcc_lo
	v_add_co_u32 v29, vcc_lo, s16, v12
	v_mov_b32_e32 v32, v9
	s_wait_alu 0xfffd
	v_add_co_ci_u32_e64 v30, null, s17, v13, vcc_lo
	s_delay_alu instid0(VALU_DEP_2) | instskip(SKIP_4) | instid1(VALU_DEP_4)
	v_lshlrev_b64_e32 v[8:9], 2, v[31:32]
	v_add_co_u32 v31, vcc_lo, s16, v6
	s_wait_alu 0xfffd
	v_add_co_ci_u32_e64 v32, null, s17, v7, vcc_lo
	v_lshlrev_b64_e32 v[6:7], 2, v[0:1]
	v_add_co_u32 v33, vcc_lo, s18, v8
	s_wait_alu 0xfffd
	v_add_co_ci_u32_e64 v34, null, s19, v9, vcc_lo
	s_lshl_b64 s[16:17], s[20:21], 8
	s_branch .LBB17_5
.LBB17_3:                               ;   in Loop: Header=BB17_5 Depth=1
	s_wait_alu 0xfffe
	s_or_b32 exec_lo, exec_lo, s7
.LBB17_4:                               ;   in Loop: Header=BB17_5 Depth=1
	s_add_co_i32 s34, s34, 0x10000
	s_delay_alu instid0(SALU_CYCLE_1)
	s_cmp_lt_u32 s34, s33
	s_cbranch_scc0 .LBB17_53
.LBB17_5:                               ; =>This Loop Header: Depth=1
                                        ;     Child Loop BB17_21 Depth 2
	s_and_not1_b32 vcc_lo, exec_lo, s47
	s_wait_alu 0xfffe
	s_cbranch_vccnz .LBB17_4
; %bb.6:                                ;   in Loop: Header=BB17_5 Depth=1
	s_mul_u64 s[8:9], s[30:31], s[34:35]
	s_and_not1_b32 vcc_lo, exec_lo, s46
	s_wait_alu 0xfffe
	s_lshl_b64 s[8:9], s[8:9], 2
	s_wait_alu 0xfffe
	s_add_nc_u64 s[44:45], s[24:25], s[8:9]
	s_cbranch_vccnz .LBB17_10
; %bb.7:                                ;   in Loop: Header=BB17_5 Depth=1
	s_mov_b32 s7, 0
	s_mov_b32 s51, 0
                                        ; implicit-def: $vgpr10
	s_and_saveexec_b32 s8, s36
	s_cbranch_execz .LBB17_11
; %bb.8:                                ;   in Loop: Header=BB17_5 Depth=1
	s_and_not1_b32 vcc_lo, exec_lo, s48
	s_wait_alu 0xfffe
	s_cbranch_vccnz .LBB17_13
; %bb.9:                                ;   in Loop: Header=BB17_5 Depth=1
	v_add_co_u32 v8, vcc_lo, s44, v6
	s_wait_alu 0xfffd
	v_add_co_ci_u32_e64 v9, null, s45, v7, vcc_lo
	global_load_b32 v8, v[8:9], off
	s_wait_loadcnt 0x0
	v_mul_f32_e32 v10, s39, v8
	s_branch .LBB17_14
.LBB17_10:                              ;   in Loop: Header=BB17_5 Depth=1
	s_mov_b32 s51, 0
                                        ; implicit-def: $vgpr10
	s_cbranch_execz .LBB17_12
	s_branch .LBB17_15
.LBB17_11:                              ;   in Loop: Header=BB17_5 Depth=1
	s_wait_alu 0xfffe
	s_or_b32 exec_lo, exec_lo, s8
	s_delay_alu instid0(SALU_CYCLE_1)
	s_and_b32 vcc_lo, exec_lo, s7
	s_wait_alu 0xfffe
	s_cbranch_vccnz .LBB17_15
.LBB17_12:                              ;   in Loop: Header=BB17_5 Depth=1
	v_dual_mov_b32 v9, v1 :: v_dual_mov_b32 v8, v0
	s_and_saveexec_b32 s7, s51
	s_cbranch_execz .LBB17_3
	s_branch .LBB17_52
.LBB17_13:                              ;   in Loop: Header=BB17_5 Depth=1
	v_mov_b32_e32 v10, 0
.LBB17_14:                              ;   in Loop: Header=BB17_5 Depth=1
	s_mov_b32 s51, exec_lo
	s_or_b32 exec_lo, exec_lo, s8
	s_delay_alu instid0(SALU_CYCLE_1)
	s_and_b32 vcc_lo, exec_lo, s7
	s_wait_alu 0xfffe
	s_cbranch_vccz .LBB17_12
.LBB17_15:                              ;   in Loop: Header=BB17_5 Depth=1
	v_dual_mov_b32 v35, 0 :: v_dual_mov_b32 v36, 0
	v_dual_mov_b32 v39, v16 :: v_dual_mov_b32 v38, 0
	v_mov_b32_e32 v37, 0
	s_and_saveexec_b32 s8, s5
	s_cbranch_execz .LBB17_27
; %bb.16:                               ;   in Loop: Header=BB17_5 Depth=1
	s_mul_u64 s[52:53], s[28:29], s[34:35]
	s_mul_u64 s[54:55], s[40:41], s[34:35]
	s_wait_alu 0xfffe
	v_add_co_u32 v40, vcc_lo, v19, s52
	s_wait_alu 0xfffd
	v_add_co_ci_u32_e64 v41, null, s53, v20, vcc_lo
	v_add_co_u32 v42, vcc_lo, v21, s54
	s_wait_alu 0xfffd
	v_add_co_ci_u32_e64 v43, null, s55, v22, vcc_lo
	;; [unrolled: 3-line block ×8, first 2 shown]
	v_dual_mov_b32 v35, 0 :: v_dual_mov_b32 v36, 0
	v_dual_mov_b32 v39, v16 :: v_dual_mov_b32 v38, 0
	v_mov_b32_e32 v37, 0
	s_mov_b32 s9, 0
	s_branch .LBB17_21
.LBB17_17:                              ;   in Loop: Header=BB17_21 Depth=2
	s_wait_alu 0xfffe
	s_or_b32 exec_lo, exec_lo, s54
	s_wait_loadcnt 0x3
	v_fmac_f32_e32 v37, v57, v71
	s_wait_loadcnt 0x2
	s_delay_alu instid0(VALU_DEP_1) | instskip(SKIP_1) | instid1(VALU_DEP_1)
	v_fmac_f32_e32 v37, v56, v70
	s_wait_loadcnt 0x1
	v_fmac_f32_e32 v37, v58, v69
	s_wait_loadcnt 0x0
	s_delay_alu instid0(VALU_DEP_1)
	v_fmac_f32_e32 v37, v59, v68
.LBB17_18:                              ;   in Loop: Header=BB17_21 Depth=2
	s_wait_alu 0xfffe
	s_or_b32 exec_lo, exec_lo, s53
	s_wait_loadcnt 0x3
	v_fmac_f32_e32 v36, v57, v67
	s_wait_loadcnt 0x2
	s_delay_alu instid0(VALU_DEP_1) | instskip(SKIP_1) | instid1(VALU_DEP_1)
	v_fmac_f32_e32 v36, v56, v66
	s_wait_loadcnt 0x1
	v_fmac_f32_e32 v36, v58, v65
	s_wait_loadcnt 0x0
	s_delay_alu instid0(VALU_DEP_1)
	v_fmac_f32_e32 v36, v59, v64
.LBB17_19:                              ;   in Loop: Header=BB17_21 Depth=2
	s_wait_alu 0xfffe
	s_or_b32 exec_lo, exec_lo, s52
	s_wait_loadcnt 0x3
	v_fmac_f32_e32 v35, v57, v63
	s_wait_loadcnt 0x2
	s_delay_alu instid0(VALU_DEP_1) | instskip(SKIP_1) | instid1(VALU_DEP_1)
	v_fmac_f32_e32 v35, v56, v61
	s_wait_loadcnt 0x1
	v_fmac_f32_e32 v35, v58, v60
	s_wait_loadcnt 0x0
	s_delay_alu instid0(VALU_DEP_1)
	v_fmac_f32_e32 v35, v59, v62
.LBB17_20:                              ;   in Loop: Header=BB17_21 Depth=2
	s_wait_alu 0xfffe
	s_or_b32 exec_lo, exec_lo, s7
	v_add_co_u32 v40, vcc_lo, v40, s16
	s_wait_alu 0xfffd
	v_add_co_ci_u32_e64 v41, null, s17, v41, vcc_lo
	v_add_co_u32 v42, vcc_lo, v42, s42
	s_wait_alu 0xfffd
	v_add_co_ci_u32_e64 v43, null, s43, v43, vcc_lo
	;; [unrolled: 3-line block ×4, first 2 shown]
	v_add_co_u32 v48, vcc_lo, v48, s42
	v_add_nc_u32_e32 v39, 64, v39
	s_wait_alu 0xfffd
	v_add_co_ci_u32_e64 v49, null, s43, v49, vcc_lo
	v_add_co_u32 v50, vcc_lo, v50, s16
	s_wait_alu 0xfffd
	v_add_co_ci_u32_e64 v51, null, s17, v51, vcc_lo
	v_add_co_u32 v52, vcc_lo, v52, s16
	s_wait_alu 0xfffd
	v_add_co_ci_u32_e64 v53, null, s17, v53, vcc_lo
	v_cmp_le_i32_e32 vcc_lo, s49, v39
	v_add_co_u32 v54, s7, v54, s42
	s_wait_alu 0xf1ff
	v_add_co_ci_u32_e64 v55, null, s43, v55, s7
	s_or_b32 s9, vcc_lo, s9
	s_wait_alu 0xfffe
	s_and_not1_b32 exec_lo, exec_lo, s9
	s_cbranch_execz .LBB17_26
.LBB17_21:                              ;   Parent Loop BB17_5 Depth=1
                                        ; =>  This Inner Loop Header: Depth=2
	s_and_saveexec_b32 s7, s1
	s_cbranch_execz .LBB17_20
; %bb.22:                               ;   in Loop: Header=BB17_21 Depth=2
	v_add_co_u32 v8, vcc_lo, v40, s10
	s_wait_alu 0xfffd
	v_add_co_ci_u32_e64 v9, null, s11, v41, vcc_lo
	v_add_co_u32 v10, vcc_lo, v52, s10
	s_wait_alu 0xfffd
	v_add_co_ci_u32_e64 v11, null, s11, v53, vcc_lo
	;; [unrolled: 3-line block ×3, first 2 shown]
	v_add_co_u32 v59, vcc_lo, v44, s10
	global_load_b32 v57, v[8:9], off
	global_load_b32 v56, v[10:11], off
	;; [unrolled: 1-line block ×3, first 2 shown]
	s_wait_alu 0xfffd
	v_add_co_ci_u32_e64 v60, null, s11, v45, vcc_lo
	v_add_co_u32 v8, vcc_lo, v46, v4
	s_wait_alu 0xfffd
	v_add_co_ci_u32_e64 v9, null, v47, v5, vcc_lo
	v_add_co_u32 v10, vcc_lo, v54, v4
	;; [unrolled: 3-line block ×4, first 2 shown]
	s_wait_alu 0xfffd
	v_add_co_ci_u32_e64 v15, null, v43, v5, vcc_lo
	global_load_b32 v59, v[59:60], off
	global_load_b32 v63, v[8:9], off
	;; [unrolled: 1-line block ×5, first 2 shown]
	s_and_saveexec_b32 s52, s2
	s_cbranch_execz .LBB17_19
; %bb.23:                               ;   in Loop: Header=BB17_21 Depth=2
	global_load_b32 v67, v[8:9], off offset:256
	global_load_b32 v66, v[10:11], off offset:256
	global_load_b32 v65, v[12:13], off offset:256
	global_load_b32 v64, v[14:15], off offset:256
	s_and_saveexec_b32 s53, s3
	s_cbranch_execz .LBB17_18
; %bb.24:                               ;   in Loop: Header=BB17_21 Depth=2
	global_load_b32 v71, v[8:9], off offset:512
	global_load_b32 v70, v[10:11], off offset:512
	global_load_b32 v69, v[12:13], off offset:512
	global_load_b32 v68, v[14:15], off offset:512
	;; [unrolled: 7-line block ×3, first 2 shown]
	s_wait_loadcnt 0x3
	v_fmac_f32_e32 v38, v57, v8
	s_wait_loadcnt 0x2
	s_delay_alu instid0(VALU_DEP_1) | instskip(SKIP_1) | instid1(VALU_DEP_1)
	v_fmac_f32_e32 v38, v56, v9
	s_wait_loadcnt 0x1
	v_fmac_f32_e32 v38, v58, v10
	s_wait_loadcnt 0x0
	s_delay_alu instid0(VALU_DEP_1)
	v_fmac_f32_e32 v38, v59, v11
	s_branch .LBB17_17
.LBB17_26:                              ;   in Loop: Header=BB17_5 Depth=1
	s_or_b32 exec_lo, exec_lo, s9
.LBB17_27:                              ;   in Loop: Header=BB17_5 Depth=1
	s_wait_alu 0xfffe
	s_or_b32 exec_lo, exec_lo, s8
	s_delay_alu instid0(SALU_CYCLE_1)
	s_and_not1_b32 vcc_lo, exec_lo, s50
	s_wait_alu 0xfffe
	s_cbranch_vccnz .LBB17_45
; %bb.28:                               ;   in Loop: Header=BB17_5 Depth=1
	v_cmp_gt_i32_e32 vcc_lo, s37, v39
	v_dual_mov_b32 v43, 0 :: v_dual_mov_b32 v42, 0
	v_or_b32_e32 v8, 1, v39
	v_dual_mov_b32 v41, 0 :: v_dual_mov_b32 v40, 0
	s_and_saveexec_b32 s52, vcc_lo
	s_cbranch_execz .LBB17_36
; %bb.29:                               ;   in Loop: Header=BB17_5 Depth=1
	v_mad_co_u64_u32 v[9:10], null, s20, v39, 0
	s_mul_u64 s[8:9], s[22:23], s[34:35]
	v_dual_mov_b32 v41, 0 :: v_dual_mov_b32 v42, 0
	s_wait_alu 0xfffe
	s_lshl_b64 s[8:9], s[8:9], 2
	v_mov_b32_e32 v43, 0
	s_wait_alu 0xfffe
	s_add_nc_u64 s[8:9], s[26:27], s[8:9]
	v_mad_co_u64_u32 v[10:11], null, s21, v39, v[10:11]
	s_mov_b32 s53, exec_lo
	v_lshlrev_b64_e32 v[9:10], 2, v[9:10]
	s_wait_alu 0xfffe
	s_delay_alu instid0(VALU_DEP_1) | instskip(SKIP_1) | instid1(VALU_DEP_2)
	v_add_co_u32 v9, s7, s8, v9
	s_wait_alu 0xf1ff
	v_add_co_ci_u32_e64 v10, null, s9, v10, s7
	global_load_b32 v40, v[9:10], off
	v_cmpx_gt_i32_e64 s37, v8
	s_cbranch_execz .LBB17_35
; %bb.30:                               ;   in Loop: Header=BB17_5 Depth=1
	v_mad_co_u64_u32 v[9:10], null, s20, v8, 0
	v_dual_mov_b32 v42, 0 :: v_dual_mov_b32 v43, 0
	s_mov_b32 s54, exec_lo
	s_delay_alu instid0(VALU_DEP_2) | instskip(NEXT) | instid1(VALU_DEP_1)
	v_mad_co_u64_u32 v[10:11], null, s21, v8, v[10:11]
	v_lshlrev_b64_e32 v[9:10], 2, v[9:10]
	s_delay_alu instid0(VALU_DEP_1) | instskip(SKIP_1) | instid1(VALU_DEP_2)
	v_add_co_u32 v9, s7, s8, v9
	s_wait_alu 0xf1ff
	v_add_co_ci_u32_e64 v10, null, s9, v10, s7
	global_load_b32 v41, v[9:10], off
	v_or_b32_e32 v9, 2, v39
	s_delay_alu instid0(VALU_DEP_1)
	v_cmpx_gt_i32_e64 s37, v9
	s_cbranch_execz .LBB17_34
; %bb.31:                               ;   in Loop: Header=BB17_5 Depth=1
	v_mad_co_u64_u32 v[10:11], null, s20, v9, 0
	v_mov_b32_e32 v43, 0
	s_mov_b32 s55, exec_lo
	s_delay_alu instid0(VALU_DEP_2) | instskip(NEXT) | instid1(VALU_DEP_1)
	v_mad_co_u64_u32 v[11:12], null, s21, v9, v[11:12]
	v_lshlrev_b64_e32 v[9:10], 2, v[10:11]
	s_delay_alu instid0(VALU_DEP_1) | instskip(SKIP_1) | instid1(VALU_DEP_2)
	v_add_co_u32 v9, s7, s8, v9
	s_wait_alu 0xf1ff
	v_add_co_ci_u32_e64 v10, null, s9, v10, s7
	global_load_b32 v42, v[9:10], off
	v_or_b32_e32 v9, 3, v39
	s_delay_alu instid0(VALU_DEP_1)
	v_cmpx_gt_i32_e64 s37, v9
	s_cbranch_execz .LBB17_33
; %bb.32:                               ;   in Loop: Header=BB17_5 Depth=1
	v_mad_co_u64_u32 v[10:11], null, s20, v9, 0
	s_delay_alu instid0(VALU_DEP_1) | instskip(NEXT) | instid1(VALU_DEP_1)
	v_mad_co_u64_u32 v[11:12], null, s21, v9, v[11:12]
	v_lshlrev_b64_e32 v[9:10], 2, v[10:11]
	s_delay_alu instid0(VALU_DEP_1) | instskip(SKIP_1) | instid1(VALU_DEP_2)
	v_add_co_u32 v9, s7, s8, v9
	s_wait_alu 0xf1ff
	v_add_co_ci_u32_e64 v10, null, s9, v10, s7
	global_load_b32 v43, v[9:10], off
.LBB17_33:                              ;   in Loop: Header=BB17_5 Depth=1
	s_wait_alu 0xfffe
	s_or_b32 exec_lo, exec_lo, s55
.LBB17_34:                              ;   in Loop: Header=BB17_5 Depth=1
	s_wait_alu 0xfffe
	s_or_b32 exec_lo, exec_lo, s54
.LBB17_35:                              ;   in Loop: Header=BB17_5 Depth=1
	s_delay_alu instid0(SALU_CYCLE_1)
	s_or_b32 exec_lo, exec_lo, s53
.LBB17_36:                              ;   in Loop: Header=BB17_5 Depth=1
	s_wait_alu 0xfffe
	s_or_b32 exec_lo, exec_lo, s52
	s_and_saveexec_b32 s9, s1
	s_cbranch_execz .LBB17_44
; %bb.37:                               ;   in Loop: Header=BB17_5 Depth=1
	v_mad_co_u64_u32 v[9:10], null, s12, v39, 0
	v_mad_co_u64_u32 v[11:12], null, s12, v8, 0
	v_or_b32_e32 v48, 2, v39
	v_or_b32_e32 v49, 3, v39
	s_mul_u64 s[52:53], s[14:15], s[34:35]
	s_wait_alu 0xfffe
	s_lshl_b64 s[52:53], s[52:53], 2
	v_cmp_gt_i32_e64 s7, s37, v48
	s_delay_alu instid0(VALU_DEP_4) | instskip(SKIP_4) | instid1(VALU_DEP_2)
	v_mad_co_u64_u32 v[13:14], null, s13, v39, v[10:11]
	v_mad_co_u64_u32 v[14:15], null, s12, v48, 0
	;; [unrolled: 1-line block ×3, first 2 shown]
	s_wait_alu 0xfffe
	s_add_nc_u64 s[52:53], s[18:19], s[52:53]
	v_dual_cndmask_b32 v10, 0, v13 :: v_dual_mov_b32 v13, v15
	s_delay_alu instid0(VALU_DEP_2) | instskip(NEXT) | instid1(VALU_DEP_2)
	v_mov_b32_e32 v15, v45
	v_mad_co_u64_u32 v[46:47], null, s13, v8, v[12:13]
	v_cndmask_b32_e32 v9, 0, v9, vcc_lo
	v_cmp_gt_i32_e32 vcc_lo, s37, v8
	s_wait_alu 0xfffd
	s_delay_alu instid0(VALU_DEP_3) | instskip(NEXT) | instid1(VALU_DEP_3)
	v_dual_cndmask_b32 v11, 0, v11 :: v_dual_cndmask_b32 v12, 0, v46
	v_lshlrev_b64_e32 v[9:10], 2, v[9:10]
	s_wait_alu 0xfffe
	s_delay_alu instid0(VALU_DEP_1) | instskip(SKIP_1) | instid1(VALU_DEP_2)
	v_add_co_u32 v8, s8, s52, v9
	s_wait_alu 0xf1ff
	v_add_co_ci_u32_e64 v9, null, s53, v10, s8
	v_lshlrev_b64_e32 v[10:11], 2, v[11:12]
	s_delay_alu instid0(VALU_DEP_3) | instskip(SKIP_1) | instid1(VALU_DEP_3)
	v_add_co_u32 v8, vcc_lo, v8, v4
	s_wait_alu 0xfffd
	v_add_co_ci_u32_e64 v9, null, v9, v5, vcc_lo
	v_cmp_gt_i32_e32 vcc_lo, s37, v49
	v_cndmask_b32_e64 v12, 0, v14, s7
	s_wait_alu 0xfffd
	v_cndmask_b32_e32 v44, 0, v44, vcc_lo
	v_mad_co_u64_u32 v[47:48], null, s13, v48, v[13:14]
	v_mad_co_u64_u32 v[14:15], null, s13, v49, v[15:16]
	s_delay_alu instid0(VALU_DEP_2) | instskip(SKIP_1) | instid1(VALU_DEP_3)
	v_cndmask_b32_e64 v13, 0, v47, s7
	v_add_co_u32 v10, s7, s52, v10
	v_cndmask_b32_e32 v45, 0, v14, vcc_lo
	s_wait_alu 0xf1ff
	v_add_co_ci_u32_e64 v11, null, s53, v11, s7
	v_lshlrev_b64_e32 v[12:13], 2, v[12:13]
	v_add_co_u32 v10, vcc_lo, v10, v4
	v_lshlrev_b64_e32 v[14:15], 2, v[44:45]
	s_wait_alu 0xfffd
	v_add_co_ci_u32_e64 v11, null, v11, v5, vcc_lo
	s_delay_alu instid0(VALU_DEP_4)
	v_add_co_u32 v12, vcc_lo, s52, v12
	s_wait_alu 0xfffd
	v_add_co_ci_u32_e64 v13, null, s53, v13, vcc_lo
	v_add_co_u32 v39, vcc_lo, s52, v14
	s_wait_alu 0xfffd
	v_add_co_ci_u32_e64 v44, null, s53, v15, vcc_lo
	;; [unrolled: 3-line block ×4, first 2 shown]
	s_clause 0x3
	global_load_b32 v46, v[8:9], off
	global_load_b32 v44, v[10:11], off
	;; [unrolled: 1-line block ×4, first 2 shown]
	s_and_saveexec_b32 s7, s2
	s_cbranch_execz .LBB17_43
; %bb.38:                               ;   in Loop: Header=BB17_5 Depth=1
	s_clause 0x3
	global_load_b32 v50, v[8:9], off offset:256
	global_load_b32 v49, v[10:11], off offset:256
	global_load_b32 v48, v[14:15], off offset:256
	global_load_b32 v47, v[12:13], off offset:256
	s_and_saveexec_b32 s8, s3
	s_cbranch_execz .LBB17_42
; %bb.39:                               ;   in Loop: Header=BB17_5 Depth=1
	s_clause 0x3
	global_load_b32 v54, v[8:9], off offset:512
	global_load_b32 v53, v[10:11], off offset:512
	global_load_b32 v52, v[14:15], off offset:512
	global_load_b32 v51, v[12:13], off offset:512
	;; [unrolled: 8-line block ×3, first 2 shown]
	s_wait_loadcnt 0x3
	v_fmac_f32_e32 v38, v40, v8
	s_wait_loadcnt 0x2
	s_delay_alu instid0(VALU_DEP_1) | instskip(SKIP_1) | instid1(VALU_DEP_1)
	v_fmac_f32_e32 v38, v41, v9
	s_wait_loadcnt 0x1
	v_fmac_f32_e32 v38, v42, v10
	s_wait_loadcnt 0x0
	s_delay_alu instid0(VALU_DEP_1)
	v_fmac_f32_e32 v38, v43, v11
.LBB17_41:                              ;   in Loop: Header=BB17_5 Depth=1
	s_wait_alu 0xfffe
	s_or_b32 exec_lo, exec_lo, s52
	s_wait_loadcnt 0x3
	v_fmac_f32_e32 v37, v40, v54
	s_wait_loadcnt 0x2
	s_delay_alu instid0(VALU_DEP_1) | instskip(SKIP_1) | instid1(VALU_DEP_1)
	v_fmac_f32_e32 v37, v41, v53
	s_wait_loadcnt 0x1
	v_fmac_f32_e32 v37, v42, v52
	s_wait_loadcnt 0x0
	s_delay_alu instid0(VALU_DEP_1)
	v_fmac_f32_e32 v37, v43, v51
.LBB17_42:                              ;   in Loop: Header=BB17_5 Depth=1
	s_wait_alu 0xfffe
	s_or_b32 exec_lo, exec_lo, s8
	s_wait_loadcnt 0x3
	v_fmac_f32_e32 v36, v40, v50
	s_wait_loadcnt 0x2
	s_delay_alu instid0(VALU_DEP_1) | instskip(SKIP_1) | instid1(VALU_DEP_1)
	v_fmac_f32_e32 v36, v41, v49
	s_wait_loadcnt 0x1
	v_fmac_f32_e32 v36, v42, v48
	s_wait_loadcnt 0x0
	s_delay_alu instid0(VALU_DEP_1)
	v_fmac_f32_e32 v36, v43, v47
.LBB17_43:                              ;   in Loop: Header=BB17_5 Depth=1
	s_wait_alu 0xfffe
	s_or_b32 exec_lo, exec_lo, s7
	s_wait_loadcnt 0x3
	v_fmac_f32_e32 v35, v40, v46
	s_wait_loadcnt 0x2
	s_delay_alu instid0(VALU_DEP_1) | instskip(SKIP_1) | instid1(VALU_DEP_1)
	v_fmac_f32_e32 v35, v41, v44
	s_wait_loadcnt 0x1
	v_fmac_f32_e32 v35, v42, v39
	s_wait_loadcnt 0x0
	s_delay_alu instid0(VALU_DEP_1)
	v_fmac_f32_e32 v35, v43, v45
.LBB17_44:                              ;   in Loop: Header=BB17_5 Depth=1
	s_wait_alu 0xfffe
	s_or_b32 exec_lo, exec_lo, s9
.LBB17_45:                              ;   in Loop: Header=BB17_5 Depth=1
	ds_store_2addr_stride64_b32 v17, v35, v36 offset1:1
	ds_store_2addr_stride64_b32 v17, v37, v38 offset0:2 offset1:3
	s_wait_loadcnt_dscnt 0x0
	s_barrier_signal -1
	s_barrier_wait -1
	global_inv scope:SCOPE_SE
                                        ; implicit-def: $vgpr10
	s_and_saveexec_b32 s7, s0
	s_cbranch_execz .LBB17_51
; %bb.46:                               ;   in Loop: Header=BB17_5 Depth=1
	ds_load_2addr_stride64_b32 v[8:9], v18 offset1:4
	ds_load_2addr_stride64_b32 v[10:11], v18 offset0:8 offset1:12
	ds_load_2addr_stride64_b32 v[12:13], v18 offset0:16 offset1:20
	s_mov_b32 s9, s51
	s_wait_dscnt 0x2
	v_add_f32_e32 v14, v8, v9
	ds_load_2addr_stride64_b32 v[8:9], v18 offset0:24 offset1:28
	s_wait_dscnt 0x2
	v_add_f32_e32 v10, v10, v14
	s_delay_alu instid0(VALU_DEP_1) | instskip(SKIP_3) | instid1(VALU_DEP_1)
	v_add_f32_e32 v14, v11, v10
	ds_load_2addr_stride64_b32 v[10:11], v18 offset0:32 offset1:36
	s_wait_dscnt 0x2
	v_add_f32_e32 v12, v12, v14
	v_add_f32_e32 v14, v13, v12
	ds_load_2addr_stride64_b32 v[12:13], v18 offset0:40 offset1:44
	s_wait_dscnt 0x2
	v_add_f32_e32 v8, v8, v14
	s_delay_alu instid0(VALU_DEP_1) | instskip(SKIP_1) | instid1(VALU_DEP_1)
	v_add_f32_e32 v8, v9, v8
	s_wait_dscnt 0x1
	v_add_f32_e32 v10, v10, v8
	ds_load_2addr_stride64_b32 v[8:9], v18 offset0:48 offset1:52
	v_add_f32_e32 v10, v11, v10
	s_wait_dscnt 0x1
	s_delay_alu instid0(VALU_DEP_1) | instskip(SKIP_3) | instid1(VALU_DEP_1)
	v_add_f32_e32 v12, v12, v10
	ds_load_2addr_stride64_b32 v[10:11], v18 offset0:56 offset1:60
	v_add_f32_e32 v12, v13, v12
	s_wait_dscnt 0x1
	v_add_f32_e32 v8, v8, v12
	s_delay_alu instid0(VALU_DEP_1) | instskip(SKIP_1) | instid1(VALU_DEP_1)
	v_add_f32_e32 v8, v9, v8
	s_wait_dscnt 0x0
	v_add_f32_e32 v8, v10, v8
                                        ; implicit-def: $vgpr10
	s_delay_alu instid0(VALU_DEP_1)
	v_add_f32_e32 v8, v11, v8
	ds_store_b32 v18, v8
	s_and_saveexec_b32 s8, s6
	s_cbranch_execz .LBB17_50
; %bb.47:                               ;   in Loop: Header=BB17_5 Depth=1
	v_mul_f32_e32 v10, s38, v8
	s_and_not1_b32 vcc_lo, exec_lo, s48
	s_wait_alu 0xfffe
	s_cbranch_vccnz .LBB17_49
; %bb.48:                               ;   in Loop: Header=BB17_5 Depth=1
	v_lshlrev_b64_e32 v[8:9], 2, v[2:3]
	s_delay_alu instid0(VALU_DEP_1) | instskip(SKIP_1) | instid1(VALU_DEP_2)
	v_add_co_u32 v8, vcc_lo, s44, v8
	s_wait_alu 0xfffd
	v_add_co_ci_u32_e64 v9, null, s45, v9, vcc_lo
	global_load_b32 v8, v[8:9], off
	s_wait_loadcnt 0x0
	v_fmac_f32_e32 v10, s39, v8
.LBB17_49:                              ;   in Loop: Header=BB17_5 Depth=1
	s_or_b32 s9, s51, exec_lo
.LBB17_50:                              ;   in Loop: Header=BB17_5 Depth=1
	s_wait_alu 0xfffe
	s_or_b32 exec_lo, exec_lo, s8
	s_delay_alu instid0(SALU_CYCLE_1)
	s_and_not1_b32 s8, s51, exec_lo
	s_and_b32 s9, s9, exec_lo
	s_wait_alu 0xfffe
	s_or_b32 s51, s8, s9
.LBB17_51:                              ;   in Loop: Header=BB17_5 Depth=1
	s_wait_alu 0xfffe
	s_or_b32 exec_lo, exec_lo, s7
	v_dual_mov_b32 v9, v3 :: v_dual_mov_b32 v8, v2
	s_and_saveexec_b32 s7, s51
	s_cbranch_execz .LBB17_3
.LBB17_52:                              ;   in Loop: Header=BB17_5 Depth=1
	s_delay_alu instid0(VALU_DEP_1) | instskip(SKIP_1) | instid1(VALU_DEP_1)
	v_lshlrev_b64_e32 v[8:9], 2, v[8:9]
	s_wait_alu 0xfffe
	v_add_co_u32 v8, vcc_lo, s44, v8
	s_wait_alu 0xfffd
	s_delay_alu instid0(VALU_DEP_2)
	v_add_co_ci_u32_e64 v9, null, s45, v9, vcc_lo
	global_store_b32 v[8:9], v10, off
	s_branch .LBB17_3
.LBB17_53:
	s_endpgm
	.section	.rodata,"a",@progbits
	.p2align	6, 0x0
	.amdhsa_kernel _ZL20rocblas_gemvn_kernelILi64ELi16ElfffEviiT3_lPKT2_lT1_lS3_lS4_lS0_lPT4_lS4_li
		.amdhsa_group_segment_fixed_size 16384
		.amdhsa_private_segment_fixed_size 0
		.amdhsa_kernarg_size 400
		.amdhsa_user_sgpr_count 2
		.amdhsa_user_sgpr_dispatch_ptr 0
		.amdhsa_user_sgpr_queue_ptr 0
		.amdhsa_user_sgpr_kernarg_segment_ptr 1
		.amdhsa_user_sgpr_dispatch_id 0
		.amdhsa_user_sgpr_private_segment_size 0
		.amdhsa_wavefront_size32 1
		.amdhsa_uses_dynamic_stack 0
		.amdhsa_enable_private_segment 0
		.amdhsa_system_sgpr_workgroup_id_x 1
		.amdhsa_system_sgpr_workgroup_id_y 0
		.amdhsa_system_sgpr_workgroup_id_z 1
		.amdhsa_system_sgpr_workgroup_info 0
		.amdhsa_system_vgpr_workitem_id 1
		.amdhsa_next_free_vgpr 72
		.amdhsa_next_free_sgpr 56
		.amdhsa_reserve_vcc 1
		.amdhsa_float_round_mode_32 0
		.amdhsa_float_round_mode_16_64 0
		.amdhsa_float_denorm_mode_32 3
		.amdhsa_float_denorm_mode_16_64 3
		.amdhsa_fp16_overflow 0
		.amdhsa_workgroup_processor_mode 1
		.amdhsa_memory_ordered 1
		.amdhsa_forward_progress 1
		.amdhsa_inst_pref_size 30
		.amdhsa_round_robin_scheduling 0
		.amdhsa_exception_fp_ieee_invalid_op 0
		.amdhsa_exception_fp_denorm_src 0
		.amdhsa_exception_fp_ieee_div_zero 0
		.amdhsa_exception_fp_ieee_overflow 0
		.amdhsa_exception_fp_ieee_underflow 0
		.amdhsa_exception_fp_ieee_inexact 0
		.amdhsa_exception_int_div_zero 0
	.end_amdhsa_kernel
	.section	.text._ZL20rocblas_gemvn_kernelILi64ELi16ElfffEviiT3_lPKT2_lT1_lS3_lS4_lS0_lPT4_lS4_li,"axG",@progbits,_ZL20rocblas_gemvn_kernelILi64ELi16ElfffEviiT3_lPKT2_lT1_lS3_lS4_lS0_lPT4_lS4_li,comdat
.Lfunc_end17:
	.size	_ZL20rocblas_gemvn_kernelILi64ELi16ElfffEviiT3_lPKT2_lT1_lS3_lS4_lS0_lPT4_lS4_li, .Lfunc_end17-_ZL20rocblas_gemvn_kernelILi64ELi16ElfffEviiT3_lPKT2_lT1_lS3_lS4_lS0_lPT4_lS4_li
                                        ; -- End function
	.set _ZL20rocblas_gemvn_kernelILi64ELi16ElfffEviiT3_lPKT2_lT1_lS3_lS4_lS0_lPT4_lS4_li.num_vgpr, 72
	.set _ZL20rocblas_gemvn_kernelILi64ELi16ElfffEviiT3_lPKT2_lT1_lS3_lS4_lS0_lPT4_lS4_li.num_agpr, 0
	.set _ZL20rocblas_gemvn_kernelILi64ELi16ElfffEviiT3_lPKT2_lT1_lS3_lS4_lS0_lPT4_lS4_li.numbered_sgpr, 56
	.set _ZL20rocblas_gemvn_kernelILi64ELi16ElfffEviiT3_lPKT2_lT1_lS3_lS4_lS0_lPT4_lS4_li.num_named_barrier, 0
	.set _ZL20rocblas_gemvn_kernelILi64ELi16ElfffEviiT3_lPKT2_lT1_lS3_lS4_lS0_lPT4_lS4_li.private_seg_size, 0
	.set _ZL20rocblas_gemvn_kernelILi64ELi16ElfffEviiT3_lPKT2_lT1_lS3_lS4_lS0_lPT4_lS4_li.uses_vcc, 1
	.set _ZL20rocblas_gemvn_kernelILi64ELi16ElfffEviiT3_lPKT2_lT1_lS3_lS4_lS0_lPT4_lS4_li.uses_flat_scratch, 0
	.set _ZL20rocblas_gemvn_kernelILi64ELi16ElfffEviiT3_lPKT2_lT1_lS3_lS4_lS0_lPT4_lS4_li.has_dyn_sized_stack, 0
	.set _ZL20rocblas_gemvn_kernelILi64ELi16ElfffEviiT3_lPKT2_lT1_lS3_lS4_lS0_lPT4_lS4_li.has_recursion, 0
	.set _ZL20rocblas_gemvn_kernelILi64ELi16ElfffEviiT3_lPKT2_lT1_lS3_lS4_lS0_lPT4_lS4_li.has_indirect_call, 0
	.section	.AMDGPU.csdata,"",@progbits
; Kernel info:
; codeLenInByte = 3812
; TotalNumSgprs: 58
; NumVgprs: 72
; ScratchSize: 0
; MemoryBound: 0
; FloatMode: 240
; IeeeMode: 1
; LDSByteSize: 16384 bytes/workgroup (compile time only)
; SGPRBlocks: 0
; VGPRBlocks: 8
; NumSGPRsForWavesPerEU: 58
; NumVGPRsForWavesPerEU: 72
; Occupancy: 16
; WaveLimiterHint : 1
; COMPUTE_PGM_RSRC2:SCRATCH_EN: 0
; COMPUTE_PGM_RSRC2:USER_SGPR: 2
; COMPUTE_PGM_RSRC2:TRAP_HANDLER: 0
; COMPUTE_PGM_RSRC2:TGID_X_EN: 1
; COMPUTE_PGM_RSRC2:TGID_Y_EN: 0
; COMPUTE_PGM_RSRC2:TGID_Z_EN: 1
; COMPUTE_PGM_RSRC2:TIDIG_COMP_CNT: 1
	.section	.text._ZL22rocblas_gemvtsm_kernelILb0ELi256EfPKffEviiT2_lPKT1_lilS5_lilS2_lPT3_lil,"axG",@progbits,_ZL22rocblas_gemvtsm_kernelILb0ELi256EfPKffEviiT2_lPKT1_lilS5_lilS2_lPT3_lil,comdat
	.globl	_ZL22rocblas_gemvtsm_kernelILb0ELi256EfPKffEviiT2_lPKT1_lilS5_lilS2_lPT3_lil ; -- Begin function _ZL22rocblas_gemvtsm_kernelILb0ELi256EfPKffEviiT2_lPKT1_lilS5_lilS2_lPT3_lil
	.p2align	8
	.type	_ZL22rocblas_gemvtsm_kernelILb0ELi256EfPKffEviiT2_lPKT1_lilS5_lilS2_lPT3_lil,@function
_ZL22rocblas_gemvtsm_kernelILb0ELi256EfPKffEviiT2_lPKT1_lilS5_lilS2_lPT3_lil: ; @_ZL22rocblas_gemvtsm_kernelILb0ELi256EfPKffEviiT2_lPKT1_lilS5_lilS2_lPT3_lil
; %bb.0:
	s_clause 0x1
	s_load_b256 s[4:11], s[0:1], 0x8
	s_load_b256 s[12:19], s[0:1], 0x50
	s_mov_b32 s24, ttmp9
	s_mov_b32 s25, 0
	s_wait_kmcnt 0x0
	s_mul_u64 s[2:3], s[6:7], s[24:25]
	s_delay_alu instid0(SALU_CYCLE_1) | instskip(NEXT) | instid1(SALU_CYCLE_1)
	s_lshl_b64 s[2:3], s[2:3], 2
	s_add_nc_u64 s[2:3], s[4:5], s[2:3]
	s_mul_u64 s[4:5], s[16:17], s[24:25]
	s_load_b32 s26, s[2:3], 0x0
	s_lshl_b64 s[2:3], s[4:5], 2
	s_delay_alu instid0(SALU_CYCLE_1)
	s_add_nc_u64 s[2:3], s[14:15], s[2:3]
	s_load_b32 s23, s[2:3], 0x0
	s_wait_kmcnt 0x0
	s_cmp_eq_f32 s26, 0
	s_cselect_b32 s2, -1, 0
	s_cmp_eq_f32 s23, 1.0
	s_cselect_b32 s3, -1, 0
	s_delay_alu instid0(SALU_CYCLE_1) | instskip(NEXT) | instid1(SALU_CYCLE_1)
	s_and_b32 s2, s2, s3
	s_and_b32 vcc_lo, exec_lo, s2
	s_cbranch_vccnz .LBB18_34
; %bb.1:
	s_clause 0x2
	s_load_b64 s[4:5], s[0:1], 0x80
	s_load_b96 s[20:22], s[0:1], 0x70
	s_load_b64 s[2:3], s[0:1], 0x0
	s_cmp_neq_f32 s26, 0
	s_wait_kmcnt 0x0
	s_mul_u64 s[14:15], s[4:5], s[24:25]
	s_cbranch_scc1 .LBB18_9
; %bb.2:
	s_cmp_gt_i32 s3, 0
	s_cselect_b32 s6, -1, 0
	s_cmp_neq_f32 s23, 0
	v_cndmask_b32_e64 v1, 0, 1, s6
	s_delay_alu instid0(VALU_DEP_1)
	v_cmp_ne_u32_e32 vcc_lo, 1, v1
	s_cbranch_scc1 .LBB18_10
; %bb.3:
	s_and_b32 vcc_lo, exec_lo, vcc_lo
	s_cbranch_vccnz .LBB18_8
; %bb.4:
	v_mad_co_i64_i32 v[1:2], null, s22, v0, 0
	s_lshl_b64 s[16:17], s[20:21], 2
	s_lshl_b64 s[28:29], s[14:15], 2
	s_add_nc_u64 s[16:17], s[18:19], s[16:17]
	v_mov_b32_e32 v3, 0
	s_add_nc_u64 s[16:17], s[16:17], s[28:29]
	s_ashr_i32 s5, s22, 31
	v_lshlrev_b64_e32 v[1:2], 2, v[1:2]
	s_mov_b32 s4, s22
	s_mov_b32 s7, 0
	s_lshl_b64 s[4:5], s[4:5], 10
	s_delay_alu instid0(VALU_DEP_1) | instskip(NEXT) | instid1(VALU_DEP_1)
	v_add_co_u32 v1, vcc_lo, s16, v1
	v_add_co_ci_u32_e64 v2, null, s17, v2, vcc_lo
	s_branch .LBB18_6
.LBB18_5:                               ;   in Loop: Header=BB18_6 Depth=1
	s_wait_alu 0xfffe
	s_or_b32 exec_lo, exec_lo, s16
	v_add_co_u32 v1, vcc_lo, v1, s4
	s_wait_alu 0xfffd
	v_add_co_ci_u32_e64 v2, null, s5, v2, vcc_lo
	s_addk_co_i32 s7, 0x100
	s_wait_alu 0xfffe
	s_cmp_ge_i32 s7, s3
	s_cbranch_scc1 .LBB18_8
.LBB18_6:                               ; =>This Inner Loop Header: Depth=1
	s_wait_alu 0xfffe
	v_add_nc_u32_e32 v4, s7, v0
	s_mov_b32 s16, exec_lo
	s_delay_alu instid0(VALU_DEP_1)
	v_cmpx_gt_i32_e64 s3, v4
	s_cbranch_execz .LBB18_5
; %bb.7:                                ;   in Loop: Header=BB18_6 Depth=1
	global_store_b32 v[1:2], v3, off
	s_branch .LBB18_5
.LBB18_8:
	s_cbranch_execz .LBB18_11
	s_branch .LBB18_16
.LBB18_9:
	s_branch .LBB18_17
.LBB18_10:
.LBB18_11:
	s_and_not1_b32 vcc_lo, exec_lo, s6
	s_wait_alu 0xfffe
	s_cbranch_vccnz .LBB18_16
; %bb.12:
	v_mad_co_i64_i32 v[1:2], null, s22, v0, 0
	s_lshl_b64 s[6:7], s[20:21], 2
	s_lshl_b64 s[16:17], s[14:15], 2
	s_wait_alu 0xfffe
	s_add_nc_u64 s[6:7], s[18:19], s[6:7]
	s_ashr_i32 s5, s22, 31
	s_wait_alu 0xfffe
	s_add_nc_u64 s[6:7], s[6:7], s[16:17]
	s_mov_b32 s4, s22
	v_lshlrev_b64_e32 v[1:2], 2, v[1:2]
	s_wait_alu 0xfffe
	s_lshl_b64 s[4:5], s[4:5], 10
	s_delay_alu instid0(VALU_DEP_1) | instskip(SKIP_1) | instid1(VALU_DEP_2)
	v_add_co_u32 v1, vcc_lo, s6, v1
	s_wait_alu 0xfffd
	v_add_co_ci_u32_e64 v2, null, s7, v2, vcc_lo
	s_mov_b32 s6, 0
	s_branch .LBB18_14
.LBB18_13:                              ;   in Loop: Header=BB18_14 Depth=1
	s_wait_alu 0xfffe
	s_or_b32 exec_lo, exec_lo, s7
	v_add_co_u32 v1, vcc_lo, v1, s4
	s_wait_alu 0xfffd
	v_add_co_ci_u32_e64 v2, null, s5, v2, vcc_lo
	s_addk_co_i32 s6, 0x100
	s_wait_alu 0xfffe
	s_cmp_ge_i32 s6, s3
	s_cbranch_scc1 .LBB18_16
.LBB18_14:                              ; =>This Inner Loop Header: Depth=1
	s_wait_alu 0xfffe
	v_add_nc_u32_e32 v3, s6, v0
	s_mov_b32 s7, exec_lo
	s_delay_alu instid0(VALU_DEP_1)
	v_cmpx_gt_i32_e64 s3, v3
	s_cbranch_execz .LBB18_13
; %bb.15:                               ;   in Loop: Header=BB18_14 Depth=1
	global_load_b32 v3, v[1:2], off
	s_wait_loadcnt 0x0
	v_mul_f32_e32 v3, s23, v3
	global_store_b32 v[1:2], v3, off
	s_branch .LBB18_13
.LBB18_16:
	s_cbranch_execnz .LBB18_34
.LBB18_17:
	s_clause 0x1
	s_load_b128 s[4:7], s[0:1], 0x30
	s_load_b64 s[16:17], s[0:1], 0x40
	s_mov_b32 s27, exec_lo
	v_cmpx_gt_i32_e64 s2, v0
	s_cbranch_execz .LBB18_19
; %bb.18:
	s_load_b32 s28, s[0:1], 0x48
	s_mul_u64 s[12:13], s[12:13], s[24:25]
	s_wait_kmcnt 0x0
	s_lshl_b64 s[16:17], s[16:17], 2
	s_lshl_b64 s[12:13], s[12:13], 2
	s_delay_alu instid0(SALU_CYCLE_1) | instskip(SKIP_3) | instid1(VALU_DEP_1)
	s_add_nc_u64 s[6:7], s[6:7], s[12:13]
	s_wait_alu 0xfffe
	s_add_nc_u64 s[6:7], s[6:7], s[16:17]
	v_mad_co_i64_i32 v[1:2], null, s28, v0, 0
	v_lshlrev_b64_e32 v[1:2], 2, v[1:2]
	s_wait_alu 0xfffe
	s_delay_alu instid0(VALU_DEP_1) | instskip(SKIP_1) | instid1(VALU_DEP_2)
	v_add_co_u32 v1, vcc_lo, s6, v1
	s_wait_alu 0xfffd
	v_add_co_ci_u32_e64 v2, null, s7, v2, vcc_lo
	global_load_b32 v1, v[1:2], off
	s_wait_loadcnt 0x0
	v_dual_mul_f32 v1, s26, v1 :: v_dual_lshlrev_b32 v2, 2, v0
	ds_store_b32 v2, v1
.LBB18_19:
	s_or_b32 exec_lo, exec_lo, s27
	s_cmp_lt_i32 s3, 1
	s_wait_storecnt_dscnt 0x0
	s_barrier_signal -1
	s_barrier_wait -1
	global_inv scope:SCOPE_SE
	s_cbranch_scc1 .LBB18_34
; %bb.20:
	s_wait_kmcnt 0x0
	s_load_b32 s6, s[0:1], 0x28
	s_lshl_b64 s[0:1], s[14:15], 2
	s_lshl_b64 s[14:15], s[20:21], 2
	s_ashr_i32 s12, s22, 31
	s_add_nc_u64 s[0:1], s[18:19], s[0:1]
	s_mul_u64 s[4:5], s[4:5], s[24:25]
	s_add_nc_u64 s[0:1], s[0:1], s[14:15]
	s_mov_b32 s13, s22
	s_wait_kmcnt 0x0
	s_ashr_i32 s7, s6, 31
	s_cmp_neq_f32 s23, 0
	v_mad_co_i64_i32 v[1:2], null, s6, v0, 0
	s_cselect_b32 s14, -1, 0
	s_cmp_gt_i32 s2, 0
	s_cselect_b32 s15, -1, 0
	s_and_b32 s16, s2, 7
	s_cmp_gt_u32 s2, 7
	v_lshlrev_b64_e32 v[1:2], 2, v[1:2]
	s_cselect_b32 s17, -1, 0
	s_and_b32 s2, s2, 0x7ffffff8
	s_wait_alu 0xfffe
	s_cmp_lg_u32 s16, 0
	s_cselect_b32 s18, -1, 0
	s_lshl_b64 s[10:11], s[10:11], 2
	s_lshl_b64 s[4:5], s[4:5], 2
	s_add_nc_u64 s[8:9], s[8:9], s[10:11]
	s_lshl_b64 s[6:7], s[6:7], 10
	s_wait_alu 0xfffe
	s_add_nc_u64 s[4:5], s[8:9], s[4:5]
	s_mov_b32 s8, 0
	s_wait_alu 0xfffe
	v_add_co_u32 v7, vcc_lo, s4, v1
	s_wait_alu 0xfffd
	v_add_co_ci_u32_e64 v8, null, s5, v2, vcc_lo
	s_mov_b32 s5, 0
	v_add_co_u32 v1, vcc_lo, v7, 28
	s_wait_alu 0xfffd
	v_add_co_ci_u32_e64 v2, null, 0, v8, vcc_lo
	s_branch .LBB18_23
.LBB18_21:                              ;   in Loop: Header=BB18_23 Depth=1
	v_add_co_u32 v3, vcc_lo, s0, v3
	s_wait_alu 0xfffd
	v_add_co_ci_u32_e64 v4, null, s1, v4, vcc_lo
	global_store_b32 v[3:4], v9, off
.LBB18_22:                              ;   in Loop: Header=BB18_23 Depth=1
	s_wait_alu 0xfffe
	s_or_b32 exec_lo, exec_lo, s9
	v_add_co_u32 v1, vcc_lo, v1, s6
	s_wait_alu 0xfffd
	v_add_co_ci_u32_e64 v2, null, s7, v2, vcc_lo
	v_add_co_u32 v7, vcc_lo, v7, s6
	s_wait_alu 0xfffd
	v_add_co_ci_u32_e64 v8, null, s7, v8, vcc_lo
	s_addk_co_i32 s8, 0x100
	s_wait_alu 0xfffe
	s_cmp_ge_i32 s8, s3
	s_cbranch_scc1 .LBB18_34
.LBB18_23:                              ; =>This Loop Header: Depth=1
                                        ;     Child Loop BB18_29 Depth 2
                                        ;     Child Loop BB18_33 Depth 2
	v_add_nc_u32_e32 v3, s8, v0
	s_mov_b32 s9, exec_lo
	s_delay_alu instid0(VALU_DEP_1)
	v_cmpx_gt_i32_e64 s3, v3
	s_cbranch_execz .LBB18_22
; %bb.24:                               ;   in Loop: Header=BB18_23 Depth=1
	v_mad_co_u64_u32 v[4:5], null, v3, s13, 0
	s_and_not1_b32 vcc_lo, exec_lo, s14
	v_mad_co_u64_u32 v[5:6], null, v3, s12, v[5:6]
	s_delay_alu instid0(VALU_DEP_1)
	v_lshlrev_b64_e32 v[3:4], 2, v[4:5]
	s_wait_alu 0xfffe
	s_cbranch_vccnz .LBB18_26
; %bb.25:                               ;   in Loop: Header=BB18_23 Depth=1
	s_delay_alu instid0(VALU_DEP_1) | instskip(SKIP_1) | instid1(VALU_DEP_2)
	v_add_co_u32 v5, vcc_lo, s0, v3
	s_wait_alu 0xfffd
	v_add_co_ci_u32_e64 v6, null, s1, v4, vcc_lo
	global_load_b32 v5, v[5:6], off
	s_wait_loadcnt 0x0
	v_mul_f32_e32 v9, s23, v5
	s_and_not1_b32 vcc_lo, exec_lo, s15
	s_wait_alu 0xfffe
	s_cbranch_vccz .LBB18_27
	s_branch .LBB18_21
.LBB18_26:                              ;   in Loop: Header=BB18_23 Depth=1
	v_mov_b32_e32 v9, 0
	s_and_not1_b32 vcc_lo, exec_lo, s15
	s_wait_alu 0xfffe
	s_cbranch_vccnz .LBB18_21
.LBB18_27:                              ;   in Loop: Header=BB18_23 Depth=1
	s_and_not1_b32 vcc_lo, exec_lo, s17
	s_mov_b32 s4, 0
	s_wait_alu 0xfffe
	s_cbranch_vccnz .LBB18_31
; %bb.28:                               ;   in Loop: Header=BB18_23 Depth=1
	v_dual_mov_b32 v6, v2 :: v_dual_mov_b32 v5, v1
	s_mov_b32 s10, 0
.LBB18_29:                              ;   Parent Loop BB18_23 Depth=1
                                        ; =>  This Inner Loop Header: Depth=2
	s_clause 0x1
	global_load_b128 v[10:13], v[5:6], off offset:-28
	global_load_b128 v[14:17], v[5:6], off offset:-12
	s_wait_alu 0xfffe
	v_mov_b32_e32 v22, s4
	v_add_co_u32 v5, vcc_lo, v5, 32
	s_wait_alu 0xfffd
	v_add_co_ci_u32_e64 v6, null, 0, v6, vcc_lo
	ds_load_b128 v[18:21], v22
	ds_load_b128 v[22:25], v22 offset:16
	s_add_co_i32 s10, s10, 8
	s_add_co_i32 s4, s4, 32
	s_wait_alu 0xfffe
	s_cmp_eq_u32 s2, s10
	s_wait_loadcnt_dscnt 0x101
	v_fmac_f32_e32 v9, v18, v10
	s_delay_alu instid0(VALU_DEP_1) | instskip(NEXT) | instid1(VALU_DEP_1)
	v_fmac_f32_e32 v9, v19, v11
	v_fmac_f32_e32 v9, v20, v12
	s_delay_alu instid0(VALU_DEP_1) | instskip(SKIP_1) | instid1(VALU_DEP_1)
	v_fmac_f32_e32 v9, v21, v13
	s_wait_loadcnt_dscnt 0x0
	v_fmac_f32_e32 v9, v22, v14
	s_delay_alu instid0(VALU_DEP_1) | instskip(NEXT) | instid1(VALU_DEP_1)
	v_fmac_f32_e32 v9, v23, v15
	v_fmac_f32_e32 v9, v24, v16
	s_delay_alu instid0(VALU_DEP_1)
	v_fmac_f32_e32 v9, v25, v17
	s_cbranch_scc0 .LBB18_29
; %bb.30:                               ;   in Loop: Header=BB18_23 Depth=1
	s_mov_b32 s4, s2
.LBB18_31:                              ;   in Loop: Header=BB18_23 Depth=1
	s_and_not1_b32 vcc_lo, exec_lo, s18
	s_wait_alu 0xfffe
	s_cbranch_vccnz .LBB18_21
; %bb.32:                               ;   in Loop: Header=BB18_23 Depth=1
	s_lshl_b64 s[10:11], s[4:5], 2
	s_lshl_b32 s4, s4, 2
	s_wait_alu 0xfffe
	v_add_co_u32 v5, vcc_lo, v7, s10
	s_wait_alu 0xfffd
	v_add_co_ci_u32_e64 v6, null, s11, v8, vcc_lo
	s_mov_b32 s10, s16
.LBB18_33:                              ;   Parent Loop BB18_23 Depth=1
                                        ; =>  This Inner Loop Header: Depth=2
	global_load_b32 v10, v[5:6], off
	s_wait_alu 0xfffe
	v_mov_b32_e32 v11, s4
	v_add_co_u32 v5, vcc_lo, v5, 4
	s_wait_alu 0xfffd
	v_add_co_ci_u32_e64 v6, null, 0, v6, vcc_lo
	ds_load_b32 v11, v11
	s_add_co_i32 s10, s10, -1
	s_add_co_i32 s4, s4, 4
	s_wait_alu 0xfffe
	s_cmp_lg_u32 s10, 0
	s_wait_loadcnt_dscnt 0x0
	v_fmac_f32_e32 v9, v11, v10
	s_cbranch_scc1 .LBB18_33
	s_branch .LBB18_21
.LBB18_34:
	s_endpgm
	.section	.rodata,"a",@progbits
	.p2align	6, 0x0
	.amdhsa_kernel _ZL22rocblas_gemvtsm_kernelILb0ELi256EfPKffEviiT2_lPKT1_lilS5_lilS2_lPT3_lil
		.amdhsa_group_segment_fixed_size 256
		.amdhsa_private_segment_fixed_size 0
		.amdhsa_kernarg_size 136
		.amdhsa_user_sgpr_count 2
		.amdhsa_user_sgpr_dispatch_ptr 0
		.amdhsa_user_sgpr_queue_ptr 0
		.amdhsa_user_sgpr_kernarg_segment_ptr 1
		.amdhsa_user_sgpr_dispatch_id 0
		.amdhsa_user_sgpr_private_segment_size 0
		.amdhsa_wavefront_size32 1
		.amdhsa_uses_dynamic_stack 0
		.amdhsa_enable_private_segment 0
		.amdhsa_system_sgpr_workgroup_id_x 1
		.amdhsa_system_sgpr_workgroup_id_y 0
		.amdhsa_system_sgpr_workgroup_id_z 0
		.amdhsa_system_sgpr_workgroup_info 0
		.amdhsa_system_vgpr_workitem_id 0
		.amdhsa_next_free_vgpr 26
		.amdhsa_next_free_sgpr 30
		.amdhsa_reserve_vcc 1
		.amdhsa_float_round_mode_32 0
		.amdhsa_float_round_mode_16_64 0
		.amdhsa_float_denorm_mode_32 3
		.amdhsa_float_denorm_mode_16_64 3
		.amdhsa_fp16_overflow 0
		.amdhsa_workgroup_processor_mode 1
		.amdhsa_memory_ordered 1
		.amdhsa_forward_progress 1
		.amdhsa_inst_pref_size 12
		.amdhsa_round_robin_scheduling 0
		.amdhsa_exception_fp_ieee_invalid_op 0
		.amdhsa_exception_fp_denorm_src 0
		.amdhsa_exception_fp_ieee_div_zero 0
		.amdhsa_exception_fp_ieee_overflow 0
		.amdhsa_exception_fp_ieee_underflow 0
		.amdhsa_exception_fp_ieee_inexact 0
		.amdhsa_exception_int_div_zero 0
	.end_amdhsa_kernel
	.section	.text._ZL22rocblas_gemvtsm_kernelILb0ELi256EfPKffEviiT2_lPKT1_lilS5_lilS2_lPT3_lil,"axG",@progbits,_ZL22rocblas_gemvtsm_kernelILb0ELi256EfPKffEviiT2_lPKT1_lilS5_lilS2_lPT3_lil,comdat
.Lfunc_end18:
	.size	_ZL22rocblas_gemvtsm_kernelILb0ELi256EfPKffEviiT2_lPKT1_lilS5_lilS2_lPT3_lil, .Lfunc_end18-_ZL22rocblas_gemvtsm_kernelILb0ELi256EfPKffEviiT2_lPKT1_lilS5_lilS2_lPT3_lil
                                        ; -- End function
	.set _ZL22rocblas_gemvtsm_kernelILb0ELi256EfPKffEviiT2_lPKT1_lilS5_lilS2_lPT3_lil.num_vgpr, 26
	.set _ZL22rocblas_gemvtsm_kernelILb0ELi256EfPKffEviiT2_lPKT1_lilS5_lilS2_lPT3_lil.num_agpr, 0
	.set _ZL22rocblas_gemvtsm_kernelILb0ELi256EfPKffEviiT2_lPKT1_lilS5_lilS2_lPT3_lil.numbered_sgpr, 30
	.set _ZL22rocblas_gemvtsm_kernelILb0ELi256EfPKffEviiT2_lPKT1_lilS5_lilS2_lPT3_lil.num_named_barrier, 0
	.set _ZL22rocblas_gemvtsm_kernelILb0ELi256EfPKffEviiT2_lPKT1_lilS5_lilS2_lPT3_lil.private_seg_size, 0
	.set _ZL22rocblas_gemvtsm_kernelILb0ELi256EfPKffEviiT2_lPKT1_lilS5_lilS2_lPT3_lil.uses_vcc, 1
	.set _ZL22rocblas_gemvtsm_kernelILb0ELi256EfPKffEviiT2_lPKT1_lilS5_lilS2_lPT3_lil.uses_flat_scratch, 0
	.set _ZL22rocblas_gemvtsm_kernelILb0ELi256EfPKffEviiT2_lPKT1_lilS5_lilS2_lPT3_lil.has_dyn_sized_stack, 0
	.set _ZL22rocblas_gemvtsm_kernelILb0ELi256EfPKffEviiT2_lPKT1_lilS5_lilS2_lPT3_lil.has_recursion, 0
	.set _ZL22rocblas_gemvtsm_kernelILb0ELi256EfPKffEviiT2_lPKT1_lilS5_lilS2_lPT3_lil.has_indirect_call, 0
	.section	.AMDGPU.csdata,"",@progbits
; Kernel info:
; codeLenInByte = 1496
; TotalNumSgprs: 32
; NumVgprs: 26
; ScratchSize: 0
; MemoryBound: 0
; FloatMode: 240
; IeeeMode: 1
; LDSByteSize: 256 bytes/workgroup (compile time only)
; SGPRBlocks: 0
; VGPRBlocks: 3
; NumSGPRsForWavesPerEU: 32
; NumVGPRsForWavesPerEU: 26
; Occupancy: 16
; WaveLimiterHint : 1
; COMPUTE_PGM_RSRC2:SCRATCH_EN: 0
; COMPUTE_PGM_RSRC2:USER_SGPR: 2
; COMPUTE_PGM_RSRC2:TRAP_HANDLER: 0
; COMPUTE_PGM_RSRC2:TGID_X_EN: 1
; COMPUTE_PGM_RSRC2:TGID_Y_EN: 0
; COMPUTE_PGM_RSRC2:TGID_Z_EN: 0
; COMPUTE_PGM_RSRC2:TIDIG_COMP_CNT: 0
	.section	.text._ZL22rocblas_gemvtsm_kernelILb0ELi256EfffEviiT2_lPKT1_lilS3_lilS0_lPT3_lil,"axG",@progbits,_ZL22rocblas_gemvtsm_kernelILb0ELi256EfffEviiT2_lPKT1_lilS3_lilS0_lPT3_lil,comdat
	.globl	_ZL22rocblas_gemvtsm_kernelILb0ELi256EfffEviiT2_lPKT1_lilS3_lilS0_lPT3_lil ; -- Begin function _ZL22rocblas_gemvtsm_kernelILb0ELi256EfffEviiT2_lPKT1_lilS3_lilS0_lPT3_lil
	.p2align	8
	.type	_ZL22rocblas_gemvtsm_kernelILb0ELi256EfffEviiT2_lPKT1_lilS3_lilS0_lPT3_lil,@function
_ZL22rocblas_gemvtsm_kernelILb0ELi256EfffEviiT2_lPKT1_lilS3_lilS0_lPT3_lil: ; @_ZL22rocblas_gemvtsm_kernelILb0ELi256EfffEviiT2_lPKT1_lilS3_lilS0_lPT3_lil
; %bb.0:
	s_clause 0x1
	s_load_b96 s[12:14], s[0:1], 0x0
	s_load_b32 s15, s[0:1], 0x58
	s_mov_b32 s19, 0
	s_wait_kmcnt 0x0
	s_cmp_eq_f32 s14, 0
	s_cselect_b32 s2, -1, 0
	s_cmp_eq_f32 s15, 1.0
	s_cselect_b32 s3, -1, 0
	s_delay_alu instid0(SALU_CYCLE_1) | instskip(NEXT) | instid1(SALU_CYCLE_1)
	s_and_b32 s2, s2, s3
	s_and_b32 vcc_lo, exec_lo, s2
	s_cbranch_vccnz .LBB19_34
; %bb.1:
	s_clause 0x2
	s_load_b64 s[2:3], s[0:1], 0x80
	s_load_b128 s[4:7], s[0:1], 0x68
	s_load_b32 s16, s[0:1], 0x78
	s_mov_b32 s18, ttmp9
	s_cmp_neq_f32 s14, 0
	s_wait_kmcnt 0x0
	s_mul_u64 s[20:21], s[2:3], s[18:19]
	s_cbranch_scc1 .LBB19_9
; %bb.2:
	s_cmp_gt_i32 s13, 0
	s_cselect_b32 s8, -1, 0
	s_cmp_neq_f32 s15, 0
	v_cndmask_b32_e64 v1, 0, 1, s8
	s_delay_alu instid0(VALU_DEP_1)
	v_cmp_ne_u32_e32 vcc_lo, 1, v1
	s_cbranch_scc1 .LBB19_10
; %bb.3:
	s_and_b32 vcc_lo, exec_lo, vcc_lo
	s_cbranch_vccnz .LBB19_8
; %bb.4:
	v_mad_co_i64_i32 v[1:2], null, s16, v0, 0
	s_lshl_b64 s[2:3], s[6:7], 2
	s_lshl_b64 s[10:11], s[20:21], 2
	s_add_nc_u64 s[2:3], s[4:5], s[2:3]
	v_mov_b32_e32 v3, 0
	s_add_nc_u64 s[2:3], s[2:3], s[10:11]
	s_ashr_i32 s17, s16, 31
	v_lshlrev_b64_e32 v[1:2], 2, v[1:2]
	s_mov_b32 s9, 0
	s_delay_alu instid0(VALU_DEP_1) | instskip(NEXT) | instid1(VALU_DEP_1)
	v_add_co_u32 v1, vcc_lo, s2, v1
	v_add_co_ci_u32_e64 v2, null, s3, v2, vcc_lo
	s_wait_alu 0xfffe
	s_lshl_b64 s[2:3], s[16:17], 10
	s_branch .LBB19_6
.LBB19_5:                               ;   in Loop: Header=BB19_6 Depth=1
	s_or_b32 exec_lo, exec_lo, s10
	s_wait_alu 0xfffe
	v_add_co_u32 v1, vcc_lo, v1, s2
	s_wait_alu 0xfffd
	v_add_co_ci_u32_e64 v2, null, s3, v2, vcc_lo
	s_addk_co_i32 s9, 0x100
	s_wait_alu 0xfffe
	s_cmp_ge_i32 s9, s13
	s_cbranch_scc1 .LBB19_8
.LBB19_6:                               ; =>This Inner Loop Header: Depth=1
	v_add_nc_u32_e32 v4, s9, v0
	s_mov_b32 s10, exec_lo
	s_delay_alu instid0(VALU_DEP_1)
	v_cmpx_gt_i32_e64 s13, v4
	s_cbranch_execz .LBB19_5
; %bb.7:                                ;   in Loop: Header=BB19_6 Depth=1
	global_store_b32 v[1:2], v3, off
	s_branch .LBB19_5
.LBB19_8:
	s_cbranch_execz .LBB19_11
	s_branch .LBB19_16
.LBB19_9:
	s_branch .LBB19_17
.LBB19_10:
.LBB19_11:
	s_and_not1_b32 vcc_lo, exec_lo, s8
	s_wait_alu 0xfffe
	s_cbranch_vccnz .LBB19_16
; %bb.12:
	v_mad_co_i64_i32 v[1:2], null, s16, v0, 0
	s_lshl_b64 s[2:3], s[6:7], 2
	s_lshl_b64 s[8:9], s[20:21], 2
	s_wait_alu 0xfffe
	s_add_nc_u64 s[2:3], s[4:5], s[2:3]
	s_ashr_i32 s17, s16, 31
	s_wait_alu 0xfffe
	s_add_nc_u64 s[2:3], s[2:3], s[8:9]
	s_mov_b32 s8, 0
	v_lshlrev_b64_e32 v[1:2], 2, v[1:2]
	s_wait_alu 0xfffe
	s_delay_alu instid0(VALU_DEP_1) | instskip(SKIP_1) | instid1(VALU_DEP_2)
	v_add_co_u32 v1, vcc_lo, s2, v1
	s_wait_alu 0xfffd
	v_add_co_ci_u32_e64 v2, null, s3, v2, vcc_lo
	s_lshl_b64 s[2:3], s[16:17], 10
	s_branch .LBB19_14
.LBB19_13:                              ;   in Loop: Header=BB19_14 Depth=1
	s_wait_alu 0xfffe
	s_or_b32 exec_lo, exec_lo, s9
	v_add_co_u32 v1, vcc_lo, v1, s2
	s_wait_alu 0xfffd
	v_add_co_ci_u32_e64 v2, null, s3, v2, vcc_lo
	s_addk_co_i32 s8, 0x100
	s_wait_alu 0xfffe
	s_cmp_ge_i32 s8, s13
	s_cbranch_scc1 .LBB19_16
.LBB19_14:                              ; =>This Inner Loop Header: Depth=1
	v_add_nc_u32_e32 v3, s8, v0
	s_mov_b32 s9, exec_lo
	s_delay_alu instid0(VALU_DEP_1)
	v_cmpx_gt_i32_e64 s13, v3
	s_cbranch_execz .LBB19_13
; %bb.15:                               ;   in Loop: Header=BB19_14 Depth=1
	global_load_b32 v3, v[1:2], off
	s_wait_loadcnt 0x0
	v_mul_f32_e32 v3, s15, v3
	global_store_b32 v[1:2], v3, off
	s_branch .LBB19_13
.LBB19_16:
	s_cbranch_execnz .LBB19_34
.LBB19_17:
	s_clause 0x1
	s_load_b128 s[8:11], s[0:1], 0x30
	s_load_b64 s[2:3], s[0:1], 0x40
	s_mov_b32 s17, exec_lo
	v_cmpx_gt_i32_e64 s12, v0
	s_cbranch_execz .LBB19_19
; %bb.18:
	s_clause 0x1
	s_load_b32 s24, s[0:1], 0x48
	s_load_b64 s[22:23], s[0:1], 0x50
	s_wait_kmcnt 0x0
	s_lshl_b64 s[2:3], s[2:3], 2
	v_mad_co_i64_i32 v[1:2], null, s24, v0, 0
	s_mul_u64 s[22:23], s[22:23], s[18:19]
	s_delay_alu instid0(SALU_CYCLE_1) | instskip(NEXT) | instid1(SALU_CYCLE_1)
	s_lshl_b64 s[22:23], s[22:23], 2
	s_add_nc_u64 s[10:11], s[10:11], s[22:23]
	s_wait_alu 0xfffe
	s_add_nc_u64 s[2:3], s[10:11], s[2:3]
	v_lshlrev_b64_e32 v[1:2], 2, v[1:2]
	s_wait_alu 0xfffe
	s_delay_alu instid0(VALU_DEP_1) | instskip(SKIP_1) | instid1(VALU_DEP_2)
	v_add_co_u32 v1, vcc_lo, s2, v1
	s_wait_alu 0xfffd
	v_add_co_ci_u32_e64 v2, null, s3, v2, vcc_lo
	global_load_b32 v1, v[1:2], off
	s_wait_loadcnt 0x0
	v_dual_mul_f32 v1, s14, v1 :: v_dual_lshlrev_b32 v2, 2, v0
	ds_store_b32 v2, v1
.LBB19_19:
	s_wait_alu 0xfffe
	s_or_b32 exec_lo, exec_lo, s17
	s_cmp_lt_i32 s13, 1
	s_wait_storecnt_dscnt 0x0
	s_barrier_signal -1
	s_barrier_wait -1
	global_inv scope:SCOPE_SE
	s_cbranch_scc1 .LBB19_34
; %bb.20:
	s_load_b32 s22, s[0:1], 0x28
	s_wait_kmcnt 0x0
	s_load_b128 s[0:3], s[0:1], 0x18
	s_lshl_b64 s[10:11], s[20:21], 2
	s_lshl_b64 s[20:21], s[6:7], 2
	s_ashr_i32 s6, s16, 31
	s_mul_u64 s[18:19], s[8:9], s[18:19]
	s_add_nc_u64 s[4:5], s[4:5], s[10:11]
	s_mov_b32 s14, 0
	s_add_nc_u64 s[4:5], s[4:5], s[20:21]
	s_ashr_i32 s23, s22, 31
	s_cmp_neq_f32 s15, 0
	v_mad_co_i64_i32 v[1:2], null, s22, v0, 0
	s_cselect_b32 s7, -1, 0
	s_cmp_gt_i32 s12, 0
	s_cselect_b32 s8, -1, 0
	s_and_b32 s9, s12, 7
	s_cmp_gt_u32 s12, 7
	v_lshlrev_b64_e32 v[1:2], 2, v[1:2]
	s_cselect_b32 s10, -1, 0
	s_and_b32 s11, s12, 0x7ffffff8
	s_wait_alu 0xfffe
	s_cmp_lg_u32 s9, 0
	s_cselect_b32 s12, -1, 0
	s_wait_kmcnt 0x0
	s_lshl_b64 s[2:3], s[2:3], 2
	s_lshl_b64 s[18:19], s[18:19], 2
	s_wait_alu 0xfffe
	s_add_nc_u64 s[0:1], s[0:1], s[2:3]
	s_lshl_b64 s[2:3], s[22:23], 10
	s_add_nc_u64 s[0:1], s[0:1], s[18:19]
	s_delay_alu instid0(SALU_CYCLE_1)
	v_add_co_u32 v7, vcc_lo, s0, v1
	s_wait_alu 0xfffd
	v_add_co_ci_u32_e64 v8, null, s1, v2, vcc_lo
	s_mov_b32 s1, 0
	v_add_co_u32 v1, vcc_lo, v7, 28
	s_wait_alu 0xfffd
	v_add_co_ci_u32_e64 v2, null, 0, v8, vcc_lo
	s_branch .LBB19_23
.LBB19_21:                              ;   in Loop: Header=BB19_23 Depth=1
	v_add_co_u32 v3, vcc_lo, s4, v3
	s_wait_alu 0xfffd
	v_add_co_ci_u32_e64 v4, null, s5, v4, vcc_lo
	global_store_b32 v[3:4], v9, off
.LBB19_22:                              ;   in Loop: Header=BB19_23 Depth=1
	s_wait_alu 0xfffe
	s_or_b32 exec_lo, exec_lo, s17
	v_add_co_u32 v1, vcc_lo, v1, s2
	s_wait_alu 0xfffd
	v_add_co_ci_u32_e64 v2, null, s3, v2, vcc_lo
	v_add_co_u32 v7, vcc_lo, v7, s2
	s_wait_alu 0xfffd
	v_add_co_ci_u32_e64 v8, null, s3, v8, vcc_lo
	s_addk_co_i32 s14, 0x100
	s_wait_alu 0xfffe
	s_cmp_ge_i32 s14, s13
	s_cbranch_scc1 .LBB19_34
.LBB19_23:                              ; =>This Loop Header: Depth=1
                                        ;     Child Loop BB19_29 Depth 2
                                        ;     Child Loop BB19_33 Depth 2
	v_add_nc_u32_e32 v3, s14, v0
	s_mov_b32 s17, exec_lo
	s_delay_alu instid0(VALU_DEP_1)
	v_cmpx_gt_i32_e64 s13, v3
	s_cbranch_execz .LBB19_22
; %bb.24:                               ;   in Loop: Header=BB19_23 Depth=1
	v_mad_co_u64_u32 v[4:5], null, v3, s16, 0
	s_and_not1_b32 vcc_lo, exec_lo, s7
	v_mad_co_u64_u32 v[5:6], null, v3, s6, v[5:6]
	s_delay_alu instid0(VALU_DEP_1)
	v_lshlrev_b64_e32 v[3:4], 2, v[4:5]
	s_wait_alu 0xfffe
	s_cbranch_vccnz .LBB19_26
; %bb.25:                               ;   in Loop: Header=BB19_23 Depth=1
	s_delay_alu instid0(VALU_DEP_1) | instskip(SKIP_1) | instid1(VALU_DEP_2)
	v_add_co_u32 v5, vcc_lo, s4, v3
	s_wait_alu 0xfffd
	v_add_co_ci_u32_e64 v6, null, s5, v4, vcc_lo
	global_load_b32 v5, v[5:6], off
	s_wait_loadcnt 0x0
	v_mul_f32_e32 v9, s15, v5
	s_and_not1_b32 vcc_lo, exec_lo, s8
	s_wait_alu 0xfffe
	s_cbranch_vccz .LBB19_27
	s_branch .LBB19_21
.LBB19_26:                              ;   in Loop: Header=BB19_23 Depth=1
	v_mov_b32_e32 v9, 0
	s_and_not1_b32 vcc_lo, exec_lo, s8
	s_wait_alu 0xfffe
	s_cbranch_vccnz .LBB19_21
.LBB19_27:                              ;   in Loop: Header=BB19_23 Depth=1
	s_and_not1_b32 vcc_lo, exec_lo, s10
	s_mov_b32 s0, 0
	s_wait_alu 0xfffe
	s_cbranch_vccnz .LBB19_31
; %bb.28:                               ;   in Loop: Header=BB19_23 Depth=1
	v_dual_mov_b32 v6, v2 :: v_dual_mov_b32 v5, v1
	s_mov_b32 s18, 0
.LBB19_29:                              ;   Parent Loop BB19_23 Depth=1
                                        ; =>  This Inner Loop Header: Depth=2
	s_clause 0x1
	global_load_b128 v[10:13], v[5:6], off offset:-28
	global_load_b128 v[14:17], v[5:6], off offset:-12
	s_wait_alu 0xfffe
	v_mov_b32_e32 v22, s0
	v_add_co_u32 v5, vcc_lo, v5, 32
	s_wait_alu 0xfffd
	v_add_co_ci_u32_e64 v6, null, 0, v6, vcc_lo
	ds_load_b128 v[18:21], v22
	ds_load_b128 v[22:25], v22 offset:16
	s_add_co_i32 s18, s18, 8
	s_add_co_i32 s0, s0, 32
	s_wait_alu 0xfffe
	s_cmp_eq_u32 s11, s18
	s_wait_loadcnt_dscnt 0x101
	v_fmac_f32_e32 v9, v18, v10
	s_delay_alu instid0(VALU_DEP_1) | instskip(NEXT) | instid1(VALU_DEP_1)
	v_fmac_f32_e32 v9, v19, v11
	v_fmac_f32_e32 v9, v20, v12
	s_delay_alu instid0(VALU_DEP_1) | instskip(SKIP_1) | instid1(VALU_DEP_1)
	v_fmac_f32_e32 v9, v21, v13
	s_wait_loadcnt_dscnt 0x0
	v_fmac_f32_e32 v9, v22, v14
	s_delay_alu instid0(VALU_DEP_1) | instskip(NEXT) | instid1(VALU_DEP_1)
	v_fmac_f32_e32 v9, v23, v15
	v_fmac_f32_e32 v9, v24, v16
	s_delay_alu instid0(VALU_DEP_1)
	v_fmac_f32_e32 v9, v25, v17
	s_cbranch_scc0 .LBB19_29
; %bb.30:                               ;   in Loop: Header=BB19_23 Depth=1
	s_mov_b32 s0, s11
.LBB19_31:                              ;   in Loop: Header=BB19_23 Depth=1
	s_and_not1_b32 vcc_lo, exec_lo, s12
	s_wait_alu 0xfffe
	s_cbranch_vccnz .LBB19_21
; %bb.32:                               ;   in Loop: Header=BB19_23 Depth=1
	s_lshl_b64 s[18:19], s[0:1], 2
	s_lshl_b32 s0, s0, 2
	s_wait_alu 0xfffe
	v_add_co_u32 v5, vcc_lo, v7, s18
	s_wait_alu 0xfffd
	v_add_co_ci_u32_e64 v6, null, s19, v8, vcc_lo
	s_mov_b32 s18, s9
.LBB19_33:                              ;   Parent Loop BB19_23 Depth=1
                                        ; =>  This Inner Loop Header: Depth=2
	global_load_b32 v10, v[5:6], off
	s_wait_alu 0xfffe
	v_mov_b32_e32 v11, s0
	v_add_co_u32 v5, vcc_lo, v5, 4
	s_wait_alu 0xfffd
	v_add_co_ci_u32_e64 v6, null, 0, v6, vcc_lo
	ds_load_b32 v11, v11
	s_add_co_i32 s18, s18, -1
	s_add_co_i32 s0, s0, 4
	s_wait_alu 0xfffe
	s_cmp_lg_u32 s18, 0
	s_wait_loadcnt_dscnt 0x0
	v_fmac_f32_e32 v9, v11, v10
	s_cbranch_scc1 .LBB19_33
	s_branch .LBB19_21
.LBB19_34:
	s_endpgm
	.section	.rodata,"a",@progbits
	.p2align	6, 0x0
	.amdhsa_kernel _ZL22rocblas_gemvtsm_kernelILb0ELi256EfffEviiT2_lPKT1_lilS3_lilS0_lPT3_lil
		.amdhsa_group_segment_fixed_size 256
		.amdhsa_private_segment_fixed_size 0
		.amdhsa_kernarg_size 136
		.amdhsa_user_sgpr_count 2
		.amdhsa_user_sgpr_dispatch_ptr 0
		.amdhsa_user_sgpr_queue_ptr 0
		.amdhsa_user_sgpr_kernarg_segment_ptr 1
		.amdhsa_user_sgpr_dispatch_id 0
		.amdhsa_user_sgpr_private_segment_size 0
		.amdhsa_wavefront_size32 1
		.amdhsa_uses_dynamic_stack 0
		.amdhsa_enable_private_segment 0
		.amdhsa_system_sgpr_workgroup_id_x 1
		.amdhsa_system_sgpr_workgroup_id_y 0
		.amdhsa_system_sgpr_workgroup_id_z 0
		.amdhsa_system_sgpr_workgroup_info 0
		.amdhsa_system_vgpr_workitem_id 0
		.amdhsa_next_free_vgpr 26
		.amdhsa_next_free_sgpr 25
		.amdhsa_reserve_vcc 1
		.amdhsa_float_round_mode_32 0
		.amdhsa_float_round_mode_16_64 0
		.amdhsa_float_denorm_mode_32 3
		.amdhsa_float_denorm_mode_16_64 3
		.amdhsa_fp16_overflow 0
		.amdhsa_workgroup_processor_mode 1
		.amdhsa_memory_ordered 1
		.amdhsa_forward_progress 1
		.amdhsa_inst_pref_size 12
		.amdhsa_round_robin_scheduling 0
		.amdhsa_exception_fp_ieee_invalid_op 0
		.amdhsa_exception_fp_denorm_src 0
		.amdhsa_exception_fp_ieee_div_zero 0
		.amdhsa_exception_fp_ieee_overflow 0
		.amdhsa_exception_fp_ieee_underflow 0
		.amdhsa_exception_fp_ieee_inexact 0
		.amdhsa_exception_int_div_zero 0
	.end_amdhsa_kernel
	.section	.text._ZL22rocblas_gemvtsm_kernelILb0ELi256EfffEviiT2_lPKT1_lilS3_lilS0_lPT3_lil,"axG",@progbits,_ZL22rocblas_gemvtsm_kernelILb0ELi256EfffEviiT2_lPKT1_lilS3_lilS0_lPT3_lil,comdat
.Lfunc_end19:
	.size	_ZL22rocblas_gemvtsm_kernelILb0ELi256EfffEviiT2_lPKT1_lilS3_lilS0_lPT3_lil, .Lfunc_end19-_ZL22rocblas_gemvtsm_kernelILb0ELi256EfffEviiT2_lPKT1_lilS3_lilS0_lPT3_lil
                                        ; -- End function
	.set _ZL22rocblas_gemvtsm_kernelILb0ELi256EfffEviiT2_lPKT1_lilS3_lilS0_lPT3_lil.num_vgpr, 26
	.set _ZL22rocblas_gemvtsm_kernelILb0ELi256EfffEviiT2_lPKT1_lilS3_lilS0_lPT3_lil.num_agpr, 0
	.set _ZL22rocblas_gemvtsm_kernelILb0ELi256EfffEviiT2_lPKT1_lilS3_lilS0_lPT3_lil.numbered_sgpr, 25
	.set _ZL22rocblas_gemvtsm_kernelILb0ELi256EfffEviiT2_lPKT1_lilS3_lilS0_lPT3_lil.num_named_barrier, 0
	.set _ZL22rocblas_gemvtsm_kernelILb0ELi256EfffEviiT2_lPKT1_lilS3_lilS0_lPT3_lil.private_seg_size, 0
	.set _ZL22rocblas_gemvtsm_kernelILb0ELi256EfffEviiT2_lPKT1_lilS3_lilS0_lPT3_lil.uses_vcc, 1
	.set _ZL22rocblas_gemvtsm_kernelILb0ELi256EfffEviiT2_lPKT1_lilS3_lilS0_lPT3_lil.uses_flat_scratch, 0
	.set _ZL22rocblas_gemvtsm_kernelILb0ELi256EfffEviiT2_lPKT1_lilS3_lilS0_lPT3_lil.has_dyn_sized_stack, 0
	.set _ZL22rocblas_gemvtsm_kernelILb0ELi256EfffEviiT2_lPKT1_lilS3_lilS0_lPT3_lil.has_recursion, 0
	.set _ZL22rocblas_gemvtsm_kernelILb0ELi256EfffEviiT2_lPKT1_lilS3_lilS0_lPT3_lil.has_indirect_call, 0
	.section	.AMDGPU.csdata,"",@progbits
; Kernel info:
; codeLenInByte = 1452
; TotalNumSgprs: 27
; NumVgprs: 26
; ScratchSize: 0
; MemoryBound: 0
; FloatMode: 240
; IeeeMode: 1
; LDSByteSize: 256 bytes/workgroup (compile time only)
; SGPRBlocks: 0
; VGPRBlocks: 3
; NumSGPRsForWavesPerEU: 27
; NumVGPRsForWavesPerEU: 26
; Occupancy: 16
; WaveLimiterHint : 1
; COMPUTE_PGM_RSRC2:SCRATCH_EN: 0
; COMPUTE_PGM_RSRC2:USER_SGPR: 2
; COMPUTE_PGM_RSRC2:TRAP_HANDLER: 0
; COMPUTE_PGM_RSRC2:TGID_X_EN: 1
; COMPUTE_PGM_RSRC2:TGID_Y_EN: 0
; COMPUTE_PGM_RSRC2:TGID_Z_EN: 0
; COMPUTE_PGM_RSRC2:TIDIG_COMP_CNT: 0
	.section	.text._ZL23rocblas_gemvt_sn_kernelILb0ELi256ELi4EifPKffEviiT4_lPKT3_lilS5_lilPT5_i,"axG",@progbits,_ZL23rocblas_gemvt_sn_kernelILb0ELi256ELi4EifPKffEviiT4_lPKT3_lilS5_lilPT5_i,comdat
	.globl	_ZL23rocblas_gemvt_sn_kernelILb0ELi256ELi4EifPKffEviiT4_lPKT3_lilS5_lilPT5_i ; -- Begin function _ZL23rocblas_gemvt_sn_kernelILb0ELi256ELi4EifPKffEviiT4_lPKT3_lilS5_lilPT5_i
	.p2align	8
	.type	_ZL23rocblas_gemvt_sn_kernelILb0ELi256ELi4EifPKffEviiT4_lPKT3_lilS5_lilPT5_i,@function
_ZL23rocblas_gemvt_sn_kernelILb0ELi256ELi4EifPKffEviiT4_lPKT3_lilS5_lilPT5_i: ; @_ZL23rocblas_gemvt_sn_kernelILb0ELi256ELi4EifPKffEviiT4_lPKT3_lilS5_lilPT5_i
; %bb.0:
	s_load_b32 s11, s[0:1], 0x60
	s_lshr_b32 s28, ttmp7, 16
	s_wait_kmcnt 0x0
	s_cmp_ge_u32 s28, s11
	s_cbranch_scc1 .LBB20_83
; %bb.1:
	s_clause 0x6
	s_load_b96 s[8:10], s[0:1], 0x40
	s_load_b256 s[12:19], s[0:1], 0x8
	s_load_b64 s[34:35], s[0:1], 0x0
	s_load_b128 s[20:23], s[0:1], 0x30
	s_load_b32 s36, s[0:1], 0x68
	s_load_b32 s38, s[0:1], 0x28
	s_load_b128 s[24:27], s[0:1], 0x50
	v_cmp_eq_u32_e64 s0, 0, v0
	v_mbcnt_lo_u32_b32 v28, -1, 0
	s_mov_b32 s41, 0
	s_mov_b32 s30, ttmp9
	s_mov_b32 s37, s41
	s_mov_b32 s31, s41
	v_lshl_or_b32 v29, v28, 2, 64
	s_mov_b32 s39, s41
	s_mov_b32 s49, s41
	s_wait_kmcnt 0x0
	s_lshl_b64 s[2:3], s[8:9], 2
	s_lshl_b64 s[4:5], s[18:19], 2
	s_ashr_i32 s7, s35, 31
	s_cmp_gt_i32 s35, 0
	s_add_nc_u64 s[18:19], s[22:23], s[2:3]
	s_add_nc_u64 s[2:3], s[16:17], s[4:5]
	s_cselect_b32 s1, -1, 0
	s_lshl_b32 s4, ttmp9, 10
	s_lshr_b32 s5, s7, 30
	v_lshl_or_b32 v1, v0, 2, s4
	s_ashr_i32 s4, s34, 31
	s_and_b32 s33, s0, s1
	s_wait_alu 0xfffe
	s_lshr_b32 s4, s4, 30
	s_add_co_i32 s1, s35, s5
	v_ashrrev_i32_e32 v2, 31, v1
	s_wait_alu 0xfffe
	s_add_co_i32 s4, s34, s4
	s_and_b32 s72, s1, -4
	s_wait_alu 0xfffe
	s_and_b32 s1, s4, -4
	v_mul_lo_u32 v5, s10, v1
	v_lshlrev_b64_e32 v[2:3], 2, v[1:2]
	s_sub_co_i32 s73, s34, s1
	v_add_nc_u32_e32 v4, 4, v1
	v_add_nc_u32_e32 v1, s73, v1
	v_cmp_gt_u32_e64 s5, 8, v0
	s_cmp_gt_i32 s72, 0
	v_add_co_u32 v24, vcc_lo, s2, v2
	s_delay_alu instid0(VALU_DEP_1)
	v_add_co_ci_u32_e64 v25, null, s3, v3, vcc_lo
	v_cmp_ge_i32_e64 s1, s34, v4
	v_and_b32_e32 v2, 31, v0
	v_cmp_gt_u32_e64 s3, 32, v0
	v_lshrrev_b32_e32 v4, 3, v0
	v_mov_b32_e32 v0, 0
	v_cmp_ge_i32_e64 s2, s34, v1
	v_add_nc_u32_e32 v1, s10, v5
	v_cmp_eq_u32_e64 s4, 0, v2
	v_lshlrev_b32_e32 v26, 2, v2
	v_and_b32_e32 v27, 28, v4
	v_ashrrev_i32_e32 v6, 31, v5
	v_add_nc_u32_e32 v3, s10, v1
	v_ashrrev_i32_e32 v2, 31, v1
	s_cselect_b32 s74, -1, 0
	s_cmp_gt_i32 s73, 0
	s_mov_b32 s6, s35
	v_add_nc_u32_e32 v12, s10, v3
	v_ashrrev_i32_e32 v4, 31, v3
	s_cselect_b32 s34, -1, 0
	s_lshl_b32 s40, s38, 1
	v_lshlrev_b64_e32 v[6:7], 2, v[5:6]
	v_ashrrev_i32_e32 v13, 31, v12
	v_lshlrev_b64_e32 v[8:9], 2, v[1:2]
	v_lshlrev_b64_e32 v[10:11], 2, v[3:4]
	s_mul_u64 s[16:17], s[6:7], s[36:37]
	s_lshl_b64 s[22:23], s[30:31], 2
	v_lshlrev_b64_e32 v[12:13], 2, v[12:13]
	s_mov_b64 s[50:51], s[40:41]
	s_mul_i32 s40, s38, 3
	s_add_nc_u64 s[42:43], s[26:27], s[22:23]
	s_lshl_b64 s[44:45], s[16:17], 2
	s_lshl_b64 s[46:47], s[36:37], 2
	s_lshl_b32 s48, s38, 2
	s_mov_b64 s[52:53], s[40:41]
	s_lshl_b64 s[54:55], s[20:21], 2
	s_branch .LBB20_3
.LBB20_2:                               ;   in Loop: Header=BB20_3 Depth=1
	s_add_co_i32 s28, s28, 0x10000
	s_delay_alu instid0(SALU_CYCLE_1)
	s_cmp_lt_u32 s28, s11
	s_cbranch_scc0 .LBB20_83
.LBB20_3:                               ; =>This Loop Header: Depth=1
                                        ;     Child Loop BB20_6 Depth 2
                                        ;     Child Loop BB20_12 Depth 2
                                        ;       Child Loop BB20_43 Depth 3
                                        ;       Child Loop BB20_46 Depth 3
                                        ;     Child Loop BB20_62 Depth 2
                                        ;       Child Loop BB20_75 Depth 3
                                        ;       Child Loop BB20_78 Depth 3
	s_mov_b32 s29, s41
	s_delay_alu instid0(SALU_CYCLE_1)
	s_mul_u64 s[6:7], s[14:15], s[28:29]
	s_wait_alu 0xfffe
	s_lshl_b64 s[6:7], s[6:7], 2
	s_wait_alu 0xfffe
	s_add_nc_u64 s[6:7], s[12:13], s[6:7]
	global_load_b32 v30, v0, s[6:7]
	s_mov_b32 s6, -1
	s_wait_loadcnt 0x0
	v_cmp_neq_f32_e32 vcc_lo, 0, v30
	s_cbranch_vccnz .LBB20_8
; %bb.4:                                ;   in Loop: Header=BB20_3 Depth=1
	s_and_saveexec_b32 s8, s33
	s_cbranch_execz .LBB20_7
; %bb.5:                                ;   in Loop: Header=BB20_3 Depth=1
	s_mul_u64 s[6:7], s[44:45], s[28:29]
	s_mov_b32 s9, s35
	s_wait_alu 0xfffe
	s_add_nc_u64 s[6:7], s[42:43], s[6:7]
.LBB20_6:                               ;   Parent Loop BB20_3 Depth=1
                                        ; =>  This Inner Loop Header: Depth=2
	s_add_co_i32 s9, s9, -1
	global_store_b32 v0, v0, s[6:7]
	s_wait_alu 0xfffe
	s_cmp_eq_u32 s9, 0
	s_add_nc_u64 s[6:7], s[6:7], s[46:47]
	s_cbranch_scc0 .LBB20_6
.LBB20_7:                               ;   in Loop: Header=BB20_3 Depth=1
	s_wait_alu 0xfffe
	s_or_b32 exec_lo, exec_lo, s8
	s_mov_b32 s6, 0
.LBB20_8:                               ;   in Loop: Header=BB20_3 Depth=1
	s_wait_alu 0xfffe
	s_and_not1_b32 vcc_lo, exec_lo, s6
	s_wait_alu 0xfffe
	s_cbranch_vccnz .LBB20_2
; %bb.9:                                ;   in Loop: Header=BB20_3 Depth=1
	s_mul_u64 s[6:7], s[24:25], s[28:29]
	s_mul_u64 s[8:9], s[20:21], s[28:29]
	s_wait_alu 0xfffe
	s_lshl_b64 s[6:7], s[6:7], 2
	s_mul_u64 s[60:61], s[16:17], s[28:29]
	s_wait_alu 0xfffe
	s_add_nc_u64 s[56:57], s[18:19], s[6:7]
	s_lshl_b64 s[6:7], s[8:9], 2
	v_cmp_gt_u32_e64 s9, 24, v28
	s_wait_alu 0xfffe
	v_add_co_u32 v31, vcc_lo, v24, s6
	s_wait_alu 0xfffd
	v_add_co_ci_u32_e64 v32, null, s7, v25, vcc_lo
	v_cmp_gt_u32_e64 s8, 28, v28
	v_cmp_gt_u32_e64 s7, 30, v28
	v_cmp_ne_u32_e64 s6, 31, v28
	s_lshl_b64 s[60:61], s[60:61], 2
	s_mul_u64 s[58:59], s[54:55], s[28:29]
	s_and_not1_b32 vcc_lo, exec_lo, s74
	s_add_nc_u64 s[60:61], s[26:27], s[60:61]
	s_wait_alu 0xfffe
	s_cbranch_vccnz .LBB20_58
; %bb.10:                               ;   in Loop: Header=BB20_3 Depth=1
	s_wait_alu 0xf1ff
	v_cndmask_b32_e64 v2, 0, 4, s8
	v_cndmask_b32_e64 v3, 0, 2, s7
	v_add_co_u32 v14, vcc_lo, s56, v6
	s_wait_alu 0xfffd
	v_add_co_ci_u32_e64 v15, null, s57, v7, vcc_lo
	v_add_co_u32 v16, vcc_lo, s56, v8
	v_cndmask_b32_e64 v1, 0, 8, s9
	v_add_co_ci_u32_e64 v4, null, 0, v28, s6
	v_add_lshl_u32 v34, v2, v28, 2
	v_add_lshl_u32 v35, v3, v28, 2
	s_wait_alu 0xfffd
	v_add_co_ci_u32_e64 v17, null, s57, v9, vcc_lo
	v_add_co_u32 v18, vcc_lo, s56, v10
	v_dual_mov_b32 v2, v0 :: v_dual_mov_b32 v3, v0
	s_wait_alu 0xfffd
	v_add_co_ci_u32_e64 v19, null, s57, v11, vcc_lo
	v_add_co_u32 v20, vcc_lo, s56, v12
	v_add_lshl_u32 v33, v1, v28, 2
	v_dual_mov_b32 v1, v0 :: v_dual_lshlrev_b32 v36, 2, v4
	s_wait_alu 0xfffd
	v_add_co_ci_u32_e64 v21, null, s57, v13, vcc_lo
	v_add_co_u32 v37, vcc_lo, v24, s58
	v_mov_b32_e32 v4, v3
	s_wait_alu 0xfffd
	v_add_co_ci_u32_e64 v38, null, s59, v25, vcc_lo
	v_mov_b32_e32 v3, v2
	v_mov_b32_e32 v2, v1
	;; [unrolled: 1-line block ×3, first 2 shown]
	s_mov_b32 s62, 0
	s_mov_b64 s[64:65], s[52:53]
	s_mov_b64 s[66:67], s[50:51]
	;; [unrolled: 1-line block ×3, first 2 shown]
	s_mov_b32 s29, 0
	s_branch .LBB20_12
.LBB20_11:                              ;   in Loop: Header=BB20_12 Depth=2
	s_wait_alu 0xfffe
	s_or_b32 exec_lo, exec_lo, s6
	s_add_co_i32 s29, s29, 4
	s_add_co_i32 s62, s62, s48
	s_add_nc_u64 s[68:69], s[68:69], s[48:49]
	s_add_nc_u64 s[66:67], s[66:67], s[48:49]
	s_cmp_ge_i32 s29, s72
	s_add_nc_u64 s[64:65], s[64:65], s[48:49]
	s_cbranch_scc1 .LBB20_59
.LBB20_12:                              ;   Parent Loop BB20_3 Depth=1
                                        ; =>  This Loop Header: Depth=2
                                        ;       Child Loop BB20_43 Depth 3
                                        ;       Child Loop BB20_46 Depth 3
                                        ; implicit-def: $vgpr39
                                        ; implicit-def: $vgpr40
                                        ; implicit-def: $vgpr41
                                        ; implicit-def: $vgpr42
	s_and_saveexec_b32 s6, s1
	s_wait_alu 0xfffe
	s_xor_b32 s6, exec_lo, s6
	s_cbranch_execnz .LBB20_39
; %bb.13:                               ;   in Loop: Header=BB20_12 Depth=2
	s_wait_alu 0xfffe
	s_and_not1_saveexec_b32 s31, s6
	s_cbranch_execnz .LBB20_40
.LBB20_14:                              ;   in Loop: Header=BB20_12 Depth=2
	s_or_b32 exec_lo, exec_lo, s31
	s_and_saveexec_b32 s6, s3
.LBB20_15:                              ;   in Loop: Header=BB20_12 Depth=2
	ds_store_b32 v26, v0
.LBB20_16:                              ;   in Loop: Header=BB20_12 Depth=2
	s_wait_alu 0xfffe
	s_or_b32 exec_lo, exec_lo, s6
	s_wait_dscnt 0x0
	ds_bpermute_b32 v22, v29, v42
	s_wait_storecnt_dscnt 0x0
	s_barrier_signal -1
	s_barrier_wait -1
	global_inv scope:SCOPE_SE
	v_add_f32_e32 v22, v42, v22
	ds_bpermute_b32 v23, v33, v22
	s_wait_dscnt 0x0
	v_add_f32_e32 v22, v22, v23
	ds_bpermute_b32 v23, v34, v22
	s_wait_dscnt 0x0
	v_add_f32_e32 v22, v22, v23
	ds_bpermute_b32 v23, v35, v22
	s_wait_dscnt 0x0
	v_add_f32_e32 v22, v22, v23
	ds_bpermute_b32 v23, v36, v22
	s_and_saveexec_b32 s6, s4
	s_cbranch_execz .LBB20_18
; %bb.17:                               ;   in Loop: Header=BB20_12 Depth=2
	s_wait_dscnt 0x0
	v_add_f32_e32 v22, v22, v23
	ds_store_b32 v27, v22
.LBB20_18:                              ;   in Loop: Header=BB20_12 Depth=2
	s_wait_alu 0xfffe
	s_or_b32 exec_lo, exec_lo, s6
	v_mov_b32_e32 v22, 0
	s_wait_loadcnt_dscnt 0x0
	s_barrier_signal -1
	s_barrier_wait -1
	global_inv scope:SCOPE_SE
	s_and_saveexec_b32 s6, s5
	s_cbranch_execnz .LBB20_47
; %bb.19:                               ;   in Loop: Header=BB20_12 Depth=2
	s_wait_alu 0xfffe
	s_or_b32 exec_lo, exec_lo, s6
	s_and_saveexec_b32 s6, s3
	s_cbranch_execnz .LBB20_48
.LBB20_20:                              ;   in Loop: Header=BB20_12 Depth=2
	s_wait_alu 0xfffe
	s_or_b32 exec_lo, exec_lo, s6
	s_and_saveexec_b32 s6, s3
.LBB20_21:                              ;   in Loop: Header=BB20_12 Depth=2
	ds_store_b32 v26, v0
.LBB20_22:                              ;   in Loop: Header=BB20_12 Depth=2
	s_wait_alu 0xfffe
	s_or_b32 exec_lo, exec_lo, s6
	ds_bpermute_b32 v23, v29, v41
	s_wait_loadcnt_dscnt 0x0
	s_barrier_signal -1
	s_barrier_wait -1
	global_inv scope:SCOPE_SE
	v_add_f32_e32 v23, v41, v23
	ds_bpermute_b32 v41, v33, v23
	s_wait_dscnt 0x0
	v_add_f32_e32 v23, v23, v41
	ds_bpermute_b32 v41, v34, v23
	s_wait_dscnt 0x0
	v_add_f32_e32 v23, v23, v41
	ds_bpermute_b32 v41, v35, v23
	s_wait_dscnt 0x0
	v_add_f32_e32 v23, v23, v41
	ds_bpermute_b32 v41, v36, v23
	s_and_saveexec_b32 s6, s4
	s_cbranch_execz .LBB20_24
; %bb.23:                               ;   in Loop: Header=BB20_12 Depth=2
	s_wait_dscnt 0x0
	v_add_f32_e32 v23, v23, v41
	ds_store_b32 v27, v23
.LBB20_24:                              ;   in Loop: Header=BB20_12 Depth=2
	s_wait_alu 0xfffe
	s_or_b32 exec_lo, exec_lo, s6
	v_mov_b32_e32 v23, 0
	s_wait_loadcnt_dscnt 0x0
	s_barrier_signal -1
	s_barrier_wait -1
	global_inv scope:SCOPE_SE
	s_and_saveexec_b32 s6, s5
	s_cbranch_execnz .LBB20_49
; %bb.25:                               ;   in Loop: Header=BB20_12 Depth=2
	s_wait_alu 0xfffe
	s_or_b32 exec_lo, exec_lo, s6
	s_and_saveexec_b32 s6, s3
	s_cbranch_execnz .LBB20_50
.LBB20_26:                              ;   in Loop: Header=BB20_12 Depth=2
	s_wait_alu 0xfffe
	s_or_b32 exec_lo, exec_lo, s6
	s_and_saveexec_b32 s6, s3
.LBB20_27:                              ;   in Loop: Header=BB20_12 Depth=2
	ds_store_b32 v26, v0
.LBB20_28:                              ;   in Loop: Header=BB20_12 Depth=2
	s_wait_alu 0xfffe
	s_or_b32 exec_lo, exec_lo, s6
	ds_bpermute_b32 v41, v29, v40
	s_wait_loadcnt_dscnt 0x0
	s_barrier_signal -1
	s_barrier_wait -1
	global_inv scope:SCOPE_SE
	v_add_f32_e32 v40, v40, v41
	ds_bpermute_b32 v41, v33, v40
	s_wait_dscnt 0x0
	v_add_f32_e32 v40, v40, v41
	ds_bpermute_b32 v41, v34, v40
	s_wait_dscnt 0x0
	;; [unrolled: 3-line block ×3, first 2 shown]
	v_add_f32_e32 v40, v40, v41
	ds_bpermute_b32 v41, v36, v40
	s_and_saveexec_b32 s6, s4
	s_cbranch_execz .LBB20_30
; %bb.29:                               ;   in Loop: Header=BB20_12 Depth=2
	s_wait_dscnt 0x0
	v_add_f32_e32 v40, v40, v41
	ds_store_b32 v27, v40
.LBB20_30:                              ;   in Loop: Header=BB20_12 Depth=2
	s_wait_alu 0xfffe
	s_or_b32 exec_lo, exec_lo, s6
	v_mov_b32_e32 v40, 0
	s_wait_loadcnt_dscnt 0x0
	s_barrier_signal -1
	s_barrier_wait -1
	global_inv scope:SCOPE_SE
	s_and_saveexec_b32 s6, s5
	s_cbranch_execnz .LBB20_51
; %bb.31:                               ;   in Loop: Header=BB20_12 Depth=2
	s_wait_alu 0xfffe
	s_or_b32 exec_lo, exec_lo, s6
	s_and_saveexec_b32 s6, s3
	s_cbranch_execnz .LBB20_52
.LBB20_32:                              ;   in Loop: Header=BB20_12 Depth=2
	s_wait_alu 0xfffe
	s_or_b32 exec_lo, exec_lo, s6
	s_and_saveexec_b32 s6, s3
.LBB20_33:                              ;   in Loop: Header=BB20_12 Depth=2
	ds_store_b32 v26, v0
.LBB20_34:                              ;   in Loop: Header=BB20_12 Depth=2
	s_wait_alu 0xfffe
	s_or_b32 exec_lo, exec_lo, s6
	ds_bpermute_b32 v41, v29, v39
	s_wait_loadcnt_dscnt 0x0
	s_barrier_signal -1
	s_barrier_wait -1
	global_inv scope:SCOPE_SE
	v_add_f32_e32 v39, v39, v41
	ds_bpermute_b32 v41, v33, v39
	s_wait_dscnt 0x0
	v_add_f32_e32 v39, v39, v41
	ds_bpermute_b32 v41, v34, v39
	s_wait_dscnt 0x0
	;; [unrolled: 3-line block ×3, first 2 shown]
	v_add_f32_e32 v39, v39, v41
	ds_bpermute_b32 v41, v36, v39
	s_and_saveexec_b32 s6, s4
	s_cbranch_execz .LBB20_36
; %bb.35:                               ;   in Loop: Header=BB20_12 Depth=2
	s_wait_dscnt 0x0
	v_add_f32_e32 v39, v39, v41
	ds_store_b32 v27, v39
.LBB20_36:                              ;   in Loop: Header=BB20_12 Depth=2
	s_wait_alu 0xfffe
	s_or_b32 exec_lo, exec_lo, s6
	v_mov_b32_e32 v39, 0
	s_wait_loadcnt_dscnt 0x0
	s_barrier_signal -1
	s_barrier_wait -1
	global_inv scope:SCOPE_SE
	s_and_saveexec_b32 s6, s5
	s_cbranch_execnz .LBB20_53
; %bb.37:                               ;   in Loop: Header=BB20_12 Depth=2
	s_wait_alu 0xfffe
	s_or_b32 exec_lo, exec_lo, s6
	s_and_saveexec_b32 s6, s3
	s_cbranch_execnz .LBB20_54
.LBB20_38:                              ;   in Loop: Header=BB20_12 Depth=2
	s_wait_alu 0xfffe
	s_or_b32 exec_lo, exec_lo, s6
	s_and_saveexec_b32 s6, s0
	s_cbranch_execz .LBB20_11
	s_branch .LBB20_55
.LBB20_39:                              ;   in Loop: Header=BB20_12 Depth=2
	s_mul_i32 s8, s29, s38
	s_wait_alu 0xfffe
	s_ashr_i32 s9, s8, 31
	s_add_co_i32 s70, s8, s38
	s_wait_alu 0xfffe
	s_lshl_b64 s[8:9], s[8:9], 2
	s_ashr_i32 s71, s70, 31
	s_wait_alu 0xfffe
	v_add_co_u32 v2, vcc_lo, v31, s8
	s_wait_alu 0xfffd
	v_add_co_ci_u32_e64 v3, null, s9, v32, vcc_lo
	s_lshl_b64 s[8:9], s[70:71], 2
	s_add_co_i32 s70, s70, s38
	s_wait_dscnt 0x0
	s_wait_alu 0xfffe
	v_add_co_u32 v22, vcc_lo, v31, s8
	s_ashr_i32 s71, s70, 31
	s_add_co_i32 s8, s70, s38
	s_wait_alu 0xfffd
	v_add_co_ci_u32_e64 v23, null, s9, v32, vcc_lo
	s_wait_alu 0xfffe
	s_lshl_b64 s[70:71], s[70:71], 2
	s_ashr_i32 s9, s8, 31
	s_wait_alu 0xfffe
	v_add_co_u32 v39, vcc_lo, v31, s70
	s_lshl_b64 s[8:9], s[8:9], 2
	s_wait_alu 0xfffd
	v_add_co_ci_u32_e64 v40, null, s71, v32, vcc_lo
	s_wait_alu 0xfffe
	v_add_co_u32 v54, vcc_lo, v31, s8
	s_wait_alu 0xfffd
	v_add_co_ci_u32_e64 v55, null, s9, v32, vcc_lo
	global_load_b32 v1, v[14:15], off
	s_clause 0x3
	global_load_b128 v[42:45], v[2:3], off
	global_load_b128 v[46:49], v[22:23], off
	;; [unrolled: 1-line block ×4, first 2 shown]
	s_clause 0x2
	global_load_b32 v2, v[16:17], off
	global_load_b32 v3, v[18:19], off
	;; [unrolled: 1-line block ×3, first 2 shown]
	s_wait_loadcnt 0x6
	v_fma_f32 v42, v1, v42, 0
	s_wait_loadcnt 0x5
	v_fma_f32 v41, v1, v46, 0
	;; [unrolled: 2-line block ×4, first 2 shown]
	s_wait_loadcnt 0x2
	v_fmac_f32_e32 v41, v2, v47
	v_fmac_f32_e32 v42, v2, v43
	s_delay_alu instid0(VALU_DEP_3) | instskip(SKIP_1) | instid1(VALU_DEP_3)
	v_fmac_f32_e32 v39, v2, v55
	s_wait_loadcnt 0x1
	v_dual_fmac_f32 v40, v2, v51 :: v_dual_fmac_f32 v41, v3, v48
	s_delay_alu instid0(VALU_DEP_3) | instskip(NEXT) | instid1(VALU_DEP_3)
	v_fmac_f32_e32 v42, v3, v44
	v_fmac_f32_e32 v39, v3, v56
	s_wait_loadcnt 0x0
	s_delay_alu instid0(VALU_DEP_3) | instskip(NEXT) | instid1(VALU_DEP_3)
	v_dual_fmac_f32 v40, v3, v52 :: v_dual_fmac_f32 v41, v4, v49
	v_fmac_f32_e32 v42, v4, v45
	s_delay_alu instid0(VALU_DEP_3) | instskip(NEXT) | instid1(VALU_DEP_3)
	v_fmac_f32_e32 v39, v4, v57
	v_fmac_f32_e32 v40, v4, v53
	s_and_not1_saveexec_b32 s31, s6
	s_cbranch_execz .LBB20_14
.LBB20_40:                              ;   in Loop: Header=BB20_12 Depth=2
	s_wait_dscnt 0x0
	v_dual_mov_b32 v39, 0 :: v_dual_mov_b32 v40, 0
	v_dual_mov_b32 v41, 0 :: v_dual_mov_b32 v42, 0
	s_and_saveexec_b32 s40, s2
	s_cbranch_execz .LBB20_57
; %bb.41:                               ;   in Loop: Header=BB20_12 Depth=2
	s_and_not1_b32 vcc_lo, exec_lo, s34
	s_wait_alu 0xfffe
	s_cbranch_vccnz .LBB20_44
; %bb.42:                               ;   in Loop: Header=BB20_12 Depth=2
	v_mov_b32_e32 v22, v5
	s_mov_b64 s[70:71], 0
.LBB20_43:                              ;   Parent Loop BB20_3 Depth=1
                                        ;     Parent Loop BB20_12 Depth=2
                                        ; =>    This Inner Loop Header: Depth=3
	s_delay_alu instid0(VALU_DEP_1) | instskip(SKIP_2) | instid1(VALU_DEP_1)
	v_ashrrev_i32_e32 v23, 31, v22
	s_wait_alu 0xfffe
	s_cmp_eq_u32 s70, 3
	v_lshlrev_b64_e32 v[39:40], 2, v[22:23]
	v_add_nc_u32_e32 v22, s10, v22
	s_delay_alu instid0(VALU_DEP_2) | instskip(SKIP_1) | instid1(VALU_DEP_3)
	v_add_co_u32 v39, vcc_lo, s56, v39
	s_wait_alu 0xfffd
	v_add_co_ci_u32_e64 v40, null, s57, v40, vcc_lo
	s_cselect_b32 vcc_lo, -1, 0
	s_cmp_eq_u32 s70, 2
	s_cselect_b32 s6, -1, 0
	global_load_b32 v23, v[39:40], off
	s_cmp_eq_u32 s70, 1
	s_cselect_b32 s7, -1, 0
	s_cmp_eq_u32 s70, 0
	s_add_nc_u64 s[70:71], s[70:71], 1
	s_cselect_b32 s8, -1, 0
	s_wait_alu 0xfffe
	s_cmp_eq_u32 s73, s70
	s_wait_loadcnt 0x0
	v_cndmask_b32_e32 v4, v4, v23, vcc_lo
	v_cndmask_b32_e64 v3, v3, v23, s6
	v_cndmask_b32_e64 v2, v2, v23, s7
	;; [unrolled: 1-line block ×3, first 2 shown]
	s_cbranch_scc0 .LBB20_43
.LBB20_44:                              ;   in Loop: Header=BB20_12 Depth=2
	s_and_not1_b32 vcc_lo, exec_lo, s34
	s_wait_alu 0xfffe
	s_cbranch_vccnz .LBB20_56
; %bb.45:                               ;   in Loop: Header=BB20_12 Depth=2
	s_ashr_i32 s63, s62, 31
	v_dual_mov_b32 v42, 0 :: v_dual_mov_b32 v41, 0
	s_lshl_b64 s[6:7], s[62:63], 2
	v_dual_mov_b32 v40, 0 :: v_dual_mov_b32 v39, 0
	s_wait_alu 0xfffe
	v_add_co_u32 v22, vcc_lo, v37, s6
	s_wait_alu 0xfffd
	v_add_co_ci_u32_e64 v23, null, s7, v38, vcc_lo
	s_mov_b64 s[8:9], 0
.LBB20_46:                              ;   Parent Loop BB20_3 Depth=1
                                        ;     Parent Loop BB20_12 Depth=2
                                        ; =>    This Inner Loop Header: Depth=3
	s_wait_alu 0xfffe
	s_cmp_eq_u32 s8, 1
	s_cselect_b32 vcc_lo, -1, 0
	s_cmp_eq_u32 s8, 2
	s_wait_alu 0xfffe
	v_cndmask_b32_e32 v43, v1, v2, vcc_lo
	s_cselect_b32 vcc_lo, -1, 0
	s_cmp_eq_u32 s8, 3
	s_wait_alu 0xfffe
	s_delay_alu instid0(VALU_DEP_1)
	v_cndmask_b32_e32 v49, v43, v3, vcc_lo
	s_cselect_b32 vcc_lo, -1, 0
	s_add_co_i32 s6, s68, s8
	s_add_co_i32 s70, s66, s8
	s_wait_alu 0xfffe
	s_ashr_i32 s7, s6, 31
	s_add_co_i32 s76, s64, s8
	s_ashr_i32 s71, s70, 31
	s_wait_alu 0xfffe
	s_lshl_b64 s[6:7], s[6:7], 2
	s_ashr_i32 s77, s76, 31
	s_lshl_b64 s[70:71], s[70:71], 2
	s_wait_alu 0xfffe
	v_add_co_u32 v43, s6, v31, s6
	s_lshl_b64 s[76:77], s[76:77], 2
	v_add_co_ci_u32_e64 v44, null, s7, v32, s6
	v_add_co_u32 v45, s6, v31, s70
	s_wait_alu 0xf1ff
	v_add_co_ci_u32_e64 v46, null, s71, v32, s6
	s_wait_alu 0xfffe
	v_add_co_u32 v47, s6, v31, s76
	s_wait_alu 0xf1ff
	v_add_co_ci_u32_e64 v48, null, s77, v32, s6
	global_load_b32 v50, v[22:23], off
	s_clause 0x2
	global_load_b32 v43, v[43:44], off
	global_load_b32 v44, v[45:46], off
	;; [unrolled: 1-line block ×3, first 2 shown]
	v_cndmask_b32_e32 v46, v49, v4, vcc_lo
	v_add_co_u32 v22, s6, v22, 4
	s_wait_alu 0xf1ff
	v_add_co_ci_u32_e64 v23, null, 0, v23, s6
	s_add_nc_u64 s[8:9], s[8:9], 1
	s_wait_alu 0xfffe
	s_cmp_lg_u32 s73, s8
	s_wait_loadcnt 0x3
	v_fmac_f32_e32 v42, v46, v50
	s_wait_loadcnt 0x2
	v_fmac_f32_e32 v41, v46, v43
	s_wait_loadcnt 0x1
	v_fmac_f32_e32 v40, v46, v44
	s_wait_loadcnt 0x0
	v_fmac_f32_e32 v39, v46, v45
	s_cbranch_scc1 .LBB20_46
	s_branch .LBB20_57
.LBB20_47:                              ;   in Loop: Header=BB20_12 Depth=2
	ds_load_b32 v22, v26
	s_wait_alu 0xfffe
	s_or_b32 exec_lo, exec_lo, s6
	s_and_saveexec_b32 s6, s3
	s_cbranch_execz .LBB20_20
.LBB20_48:                              ;   in Loop: Header=BB20_12 Depth=2
	s_wait_dscnt 0x0
	ds_bpermute_b32 v23, v34, v22
	s_wait_dscnt 0x0
	v_add_f32_e32 v22, v22, v23
	ds_bpermute_b32 v23, v35, v22
	s_wait_dscnt 0x0
	v_add_f32_e32 v22, v22, v23
	;; [unrolled: 3-line block ×3, first 2 shown]
	s_wait_alu 0xfffe
	s_or_b32 exec_lo, exec_lo, s6
	s_and_saveexec_b32 s6, s3
	s_cbranch_execnz .LBB20_21
	s_branch .LBB20_22
.LBB20_49:                              ;   in Loop: Header=BB20_12 Depth=2
	ds_load_b32 v23, v26
	s_wait_alu 0xfffe
	s_or_b32 exec_lo, exec_lo, s6
	s_and_saveexec_b32 s6, s3
	s_cbranch_execz .LBB20_26
.LBB20_50:                              ;   in Loop: Header=BB20_12 Depth=2
	s_wait_dscnt 0x0
	ds_bpermute_b32 v41, v34, v23
	s_wait_dscnt 0x0
	v_add_f32_e32 v23, v23, v41
	ds_bpermute_b32 v41, v35, v23
	s_wait_dscnt 0x0
	v_add_f32_e32 v23, v23, v41
	ds_bpermute_b32 v41, v36, v23
	s_wait_dscnt 0x0
	v_add_f32_e32 v23, v23, v41
	s_wait_alu 0xfffe
	s_or_b32 exec_lo, exec_lo, s6
	s_and_saveexec_b32 s6, s3
	s_cbranch_execnz .LBB20_27
	s_branch .LBB20_28
.LBB20_51:                              ;   in Loop: Header=BB20_12 Depth=2
	ds_load_b32 v40, v26
	s_wait_alu 0xfffe
	s_or_b32 exec_lo, exec_lo, s6
	s_and_saveexec_b32 s6, s3
	s_cbranch_execz .LBB20_32
.LBB20_52:                              ;   in Loop: Header=BB20_12 Depth=2
	s_wait_dscnt 0x0
	ds_bpermute_b32 v41, v34, v40
	s_wait_dscnt 0x0
	v_add_f32_e32 v40, v40, v41
	ds_bpermute_b32 v41, v35, v40
	s_wait_dscnt 0x0
	v_add_f32_e32 v40, v40, v41
	ds_bpermute_b32 v41, v36, v40
	s_wait_dscnt 0x0
	v_add_f32_e32 v40, v40, v41
	s_wait_alu 0xfffe
	s_or_b32 exec_lo, exec_lo, s6
	s_and_saveexec_b32 s6, s3
	s_cbranch_execnz .LBB20_33
	s_branch .LBB20_34
.LBB20_53:                              ;   in Loop: Header=BB20_12 Depth=2
	ds_load_b32 v39, v26
	s_wait_alu 0xfffe
	s_or_b32 exec_lo, exec_lo, s6
	s_and_saveexec_b32 s6, s3
	s_cbranch_execz .LBB20_38
.LBB20_54:                              ;   in Loop: Header=BB20_12 Depth=2
	s_wait_dscnt 0x0
	ds_bpermute_b32 v41, v34, v39
	s_wait_dscnt 0x0
	v_add_f32_e32 v39, v39, v41
	ds_bpermute_b32 v41, v35, v39
	s_wait_dscnt 0x0
	v_add_f32_e32 v39, v39, v41
	;; [unrolled: 3-line block ×3, first 2 shown]
	s_wait_alu 0xfffe
	s_or_b32 exec_lo, exec_lo, s6
	s_and_saveexec_b32 s6, s0
	s_cbranch_execz .LBB20_11
.LBB20_55:                              ;   in Loop: Header=BB20_12 Depth=2
	s_mul_i32 s7, s29, s36
	v_mul_f32_e32 v22, v30, v22
	s_wait_alu 0xfffe
	s_add_co_i32 s40, s7, s30
	v_mul_f32_e32 v23, v30, v23
	s_wait_alu 0xfffe
	s_lshl_b64 s[8:9], s[40:41], 2
	s_add_co_i32 s40, s40, s36
	s_wait_alu 0xfffe
	s_add_nc_u64 s[8:9], s[60:61], s[8:9]
	s_lshl_b64 s[70:71], s[40:41], 2
	s_add_co_i32 s40, s40, s36
	s_wait_alu 0xfffe
	s_add_nc_u64 s[70:71], s[60:61], s[70:71]
	s_clause 0x1
	global_store_b32 v0, v22, s[8:9]
	global_store_b32 v0, v23, s[70:71]
	v_mul_f32_e32 v22, v30, v40
	s_lshl_b64 s[8:9], s[40:41], 2
	s_add_co_i32 s40, s40, s36
	s_wait_dscnt 0x0
	v_mul_f32_e32 v23, v30, v39
	s_wait_alu 0xfffe
	s_lshl_b64 s[70:71], s[40:41], 2
	s_add_nc_u64 s[8:9], s[60:61], s[8:9]
	s_wait_alu 0xfffe
	s_add_nc_u64 s[70:71], s[60:61], s[70:71]
	s_clause 0x1
	global_store_b32 v0, v22, s[8:9]
	global_store_b32 v0, v23, s[70:71]
	s_branch .LBB20_11
.LBB20_56:                              ;   in Loop: Header=BB20_12 Depth=2
	v_dual_mov_b32 v39, 0 :: v_dual_mov_b32 v40, 0
	v_dual_mov_b32 v41, 0 :: v_dual_mov_b32 v42, 0
.LBB20_57:                              ;   in Loop: Header=BB20_12 Depth=2
	s_wait_alu 0xfffe
	s_or_b32 exec_lo, exec_lo, s40
	s_delay_alu instid0(SALU_CYCLE_1)
	s_or_b32 exec_lo, exec_lo, s31
	s_and_saveexec_b32 s6, s3
	s_cbranch_execnz .LBB20_15
	s_branch .LBB20_16
.LBB20_58:                              ;   in Loop: Header=BB20_3 Depth=1
	v_mov_b32_e32 v3, v0
	v_dual_mov_b32 v1, v0 :: v_dual_mov_b32 v2, v0
	s_mov_b32 s29, 0
	s_delay_alu instid0(VALU_DEP_2) | instskip(NEXT) | instid1(VALU_DEP_2)
	v_mov_b32_e32 v4, v3
	v_mov_b32_e32 v3, v2
	s_delay_alu instid0(VALU_DEP_3)
	v_mov_b32_e32 v2, v1
	v_mov_b32_e32 v1, v0
.LBB20_59:                              ;   in Loop: Header=BB20_3 Depth=1
	s_cmp_ge_i32 s29, s35
	s_cbranch_scc1 .LBB20_2
; %bb.60:                               ;   in Loop: Header=BB20_3 Depth=1
	v_cmp_gt_u32_e32 vcc_lo, 24, v28
	s_mov_b32 s40, s29
	s_wait_alu 0xfffd
	v_cndmask_b32_e64 v14, 0, 8, vcc_lo
	v_cmp_gt_u32_e32 vcc_lo, 28, v28
	s_delay_alu instid0(VALU_DEP_2) | instskip(SKIP_3) | instid1(VALU_DEP_2)
	v_add_lshl_u32 v33, v14, v28, 2
	s_wait_alu 0xfffd
	v_cndmask_b32_e64 v15, 0, 4, vcc_lo
	v_cmp_gt_u32_e32 vcc_lo, 30, v28
	v_add_lshl_u32 v34, v15, v28, 2
	s_wait_alu 0xfffd
	v_cndmask_b32_e64 v16, 0, 2, vcc_lo
	v_cmp_ne_u32_e32 vcc_lo, 31, v28
	s_delay_alu instid0(VALU_DEP_2)
	v_add_lshl_u32 v35, v16, v28, 2
	s_wait_alu 0xfffd
	v_add_co_ci_u32_e64 v17, null, 0, v28, vcc_lo
	v_add_co_u32 v14, vcc_lo, s56, v6
	s_wait_alu 0xfffd
	v_add_co_ci_u32_e64 v15, null, s57, v7, vcc_lo
	v_add_co_u32 v16, vcc_lo, s56, v8
	v_lshlrev_b32_e32 v36, 2, v17
	s_wait_alu 0xfffd
	v_add_co_ci_u32_e64 v17, null, s57, v9, vcc_lo
	v_add_co_u32 v18, vcc_lo, s56, v10
	s_wait_alu 0xfffd
	v_add_co_ci_u32_e64 v19, null, s57, v11, vcc_lo
	v_add_co_u32 v20, vcc_lo, s56, v12
	;; [unrolled: 3-line block ×3, first 2 shown]
	s_wait_alu 0xfffd
	v_add_co_ci_u32_e64 v38, null, s59, v25, vcc_lo
	s_add_nc_u64 s[58:59], s[60:61], s[22:23]
	s_mul_i32 s60, s38, s29
	s_branch .LBB20_62
.LBB20_61:                              ;   in Loop: Header=BB20_62 Depth=2
	s_wait_alu 0xfffe
	s_or_b32 exec_lo, exec_lo, s6
	s_add_co_i32 s40, s40, 1
	s_add_co_i32 s60, s60, s38
	s_wait_alu 0xfffe
	s_cmp_ge_i32 s40, s35
	s_cbranch_scc1 .LBB20_2
.LBB20_62:                              ;   Parent Loop BB20_3 Depth=1
                                        ; =>  This Loop Header: Depth=2
                                        ;       Child Loop BB20_75 Depth 3
                                        ;       Child Loop BB20_78 Depth 3
	s_wait_dscnt 0x0
	v_mov_b32_e32 v39, s41
	s_and_saveexec_b32 s6, s1
	s_wait_alu 0xfffe
	s_xor_b32 s6, exec_lo, s6
	s_cbranch_execnz .LBB20_71
; %bb.63:                               ;   in Loop: Header=BB20_62 Depth=2
	s_wait_alu 0xfffe
	s_and_not1_saveexec_b32 s9, s6
	s_cbranch_execnz .LBB20_72
.LBB20_64:                              ;   in Loop: Header=BB20_62 Depth=2
	s_wait_alu 0xfffe
	s_or_b32 exec_lo, exec_lo, s9
	s_and_saveexec_b32 s6, s3
.LBB20_65:                              ;   in Loop: Header=BB20_62 Depth=2
	ds_store_b32 v26, v0
.LBB20_66:                              ;   in Loop: Header=BB20_62 Depth=2
	s_wait_alu 0xfffe
	s_or_b32 exec_lo, exec_lo, s6
	ds_bpermute_b32 v22, v29, v39
	s_wait_storecnt 0x0
	s_wait_loadcnt_dscnt 0x0
	s_barrier_signal -1
	s_barrier_wait -1
	global_inv scope:SCOPE_SE
	v_add_f32_e32 v22, v39, v22
	ds_bpermute_b32 v23, v33, v22
	s_wait_dscnt 0x0
	v_add_f32_e32 v22, v22, v23
	ds_bpermute_b32 v23, v34, v22
	s_wait_dscnt 0x0
	;; [unrolled: 3-line block ×3, first 2 shown]
	v_add_f32_e32 v22, v22, v23
	ds_bpermute_b32 v23, v36, v22
	s_and_saveexec_b32 s6, s4
	s_cbranch_execz .LBB20_68
; %bb.67:                               ;   in Loop: Header=BB20_62 Depth=2
	s_wait_dscnt 0x0
	v_add_f32_e32 v22, v22, v23
	ds_store_b32 v27, v22
.LBB20_68:                              ;   in Loop: Header=BB20_62 Depth=2
	s_wait_alu 0xfffe
	s_or_b32 exec_lo, exec_lo, s6
	v_mov_b32_e32 v22, 0
	s_wait_loadcnt_dscnt 0x0
	s_barrier_signal -1
	s_barrier_wait -1
	global_inv scope:SCOPE_SE
	s_and_saveexec_b32 s6, s5
	s_cbranch_execnz .LBB20_80
; %bb.69:                               ;   in Loop: Header=BB20_62 Depth=2
	s_wait_alu 0xfffe
	s_or_b32 exec_lo, exec_lo, s6
	s_and_saveexec_b32 s6, s3
	s_cbranch_execnz .LBB20_81
.LBB20_70:                              ;   in Loop: Header=BB20_62 Depth=2
	s_wait_alu 0xfffe
	s_or_b32 exec_lo, exec_lo, s6
	s_and_saveexec_b32 s6, s0
	s_cbranch_execz .LBB20_61
	s_branch .LBB20_82
.LBB20_71:                              ;   in Loop: Header=BB20_62 Depth=2
	s_mul_i32 s8, s40, s38
	s_wait_alu 0xfffe
	s_ashr_i32 s9, s8, 31
	s_wait_alu 0xfffe
	s_lshl_b64 s[8:9], s[8:9], 2
	s_wait_alu 0xfffe
	v_add_co_u32 v1, vcc_lo, v31, s8
	s_wait_alu 0xfffd
	v_add_co_ci_u32_e64 v2, null, s9, v32, vcc_lo
	global_load_b128 v[39:42], v[1:2], off
	s_clause 0x3
	global_load_b32 v1, v[14:15], off
	global_load_b32 v2, v[16:17], off
	;; [unrolled: 1-line block ×4, first 2 shown]
	s_wait_loadcnt 0x3
	v_fma_f32 v39, v1, v39, 0
	s_wait_loadcnt 0x2
	s_delay_alu instid0(VALU_DEP_1) | instskip(SKIP_1) | instid1(VALU_DEP_1)
	v_fmac_f32_e32 v39, v2, v40
	s_wait_loadcnt 0x1
	v_fmac_f32_e32 v39, v3, v41
	s_wait_loadcnt 0x0
	s_delay_alu instid0(VALU_DEP_1)
	v_fmac_f32_e32 v39, v4, v42
	s_and_not1_saveexec_b32 s9, s6
	s_cbranch_execz .LBB20_64
.LBB20_72:                              ;   in Loop: Header=BB20_62 Depth=2
	s_and_saveexec_b32 s29, s2
	s_cbranch_execz .LBB20_79
; %bb.73:                               ;   in Loop: Header=BB20_62 Depth=2
	s_and_not1_b32 vcc_lo, exec_lo, s34
	s_wait_alu 0xfffe
	s_cbranch_vccnz .LBB20_76
; %bb.74:                               ;   in Loop: Header=BB20_62 Depth=2
	v_mov_b32_e32 v22, v5
	s_mov_b64 s[62:63], 0
.LBB20_75:                              ;   Parent Loop BB20_3 Depth=1
                                        ;     Parent Loop BB20_62 Depth=2
                                        ; =>    This Inner Loop Header: Depth=3
	s_delay_alu instid0(VALU_DEP_1) | instskip(SKIP_1) | instid1(VALU_DEP_1)
	v_ashrrev_i32_e32 v23, 31, v22
	s_cmp_eq_u32 s62, 3
	v_lshlrev_b64_e32 v[40:41], 2, v[22:23]
	v_add_nc_u32_e32 v22, s10, v22
	s_delay_alu instid0(VALU_DEP_2) | instskip(SKIP_1) | instid1(VALU_DEP_3)
	v_add_co_u32 v40, vcc_lo, s56, v40
	s_wait_alu 0xfffd
	v_add_co_ci_u32_e64 v41, null, s57, v41, vcc_lo
	s_cselect_b32 vcc_lo, -1, 0
	s_cmp_eq_u32 s62, 2
	s_cselect_b32 s6, -1, 0
	global_load_b32 v23, v[40:41], off
	s_cmp_eq_u32 s62, 1
	s_cselect_b32 s7, -1, 0
	s_cmp_eq_u32 s62, 0
	s_add_nc_u64 s[62:63], s[62:63], 1
	s_cselect_b32 s8, -1, 0
	s_cmp_eq_u32 s73, s62
	s_wait_loadcnt 0x0
	s_wait_alu 0xfffe
	v_cndmask_b32_e32 v4, v4, v23, vcc_lo
	v_cndmask_b32_e64 v3, v3, v23, s6
	v_cndmask_b32_e64 v2, v2, v23, s7
	;; [unrolled: 1-line block ×3, first 2 shown]
	s_cbranch_scc0 .LBB20_75
.LBB20_76:                              ;   in Loop: Header=BB20_62 Depth=2
	s_and_not1_b32 vcc_lo, exec_lo, s34
	s_wait_alu 0xfffe
	s_cbranch_vccnz .LBB20_79
; %bb.77:                               ;   in Loop: Header=BB20_62 Depth=2
	s_ashr_i32 s61, s60, 31
	s_delay_alu instid0(SALU_CYCLE_1)
	s_lshl_b64 s[6:7], s[60:61], 2
	s_wait_alu 0xfffe
	v_add_co_u32 v22, vcc_lo, v37, s6
	s_wait_alu 0xfffd
	v_add_co_ci_u32_e64 v23, null, s7, v38, vcc_lo
	s_mov_b64 s[6:7], 0
.LBB20_78:                              ;   Parent Loop BB20_3 Depth=1
                                        ;     Parent Loop BB20_62 Depth=2
                                        ; =>    This Inner Loop Header: Depth=3
	global_load_b32 v40, v[22:23], off
	s_wait_alu 0xfffe
	s_cmp_eq_u32 s6, 1
	s_cselect_b32 vcc_lo, -1, 0
	s_cmp_eq_u32 s6, 2
	s_wait_alu 0xfffe
	v_cndmask_b32_e32 v41, v1, v2, vcc_lo
	s_cselect_b32 vcc_lo, -1, 0
	s_cmp_eq_u32 s6, 3
	s_add_nc_u64 s[6:7], s[6:7], 1
	s_wait_alu 0xfffe
	v_cndmask_b32_e32 v41, v41, v3, vcc_lo
	s_cselect_b32 vcc_lo, -1, 0
	s_cmp_lg_u32 s73, s6
	s_wait_alu 0xfffe
	s_delay_alu instid0(VALU_DEP_1)
	v_cndmask_b32_e32 v41, v41, v4, vcc_lo
	v_add_co_u32 v22, vcc_lo, v22, 4
	s_wait_alu 0xfffd
	v_add_co_ci_u32_e64 v23, null, 0, v23, vcc_lo
	s_wait_loadcnt 0x0
	v_fmac_f32_e32 v39, v41, v40
	s_cbranch_scc1 .LBB20_78
.LBB20_79:                              ;   in Loop: Header=BB20_62 Depth=2
	s_or_b32 exec_lo, exec_lo, s29
	s_wait_alu 0xfffe
	s_or_b32 exec_lo, exec_lo, s9
	s_and_saveexec_b32 s6, s3
	s_cbranch_execnz .LBB20_65
	s_branch .LBB20_66
.LBB20_80:                              ;   in Loop: Header=BB20_62 Depth=2
	ds_load_b32 v22, v26
	s_wait_alu 0xfffe
	s_or_b32 exec_lo, exec_lo, s6
	s_and_saveexec_b32 s6, s3
	s_cbranch_execz .LBB20_70
.LBB20_81:                              ;   in Loop: Header=BB20_62 Depth=2
	s_wait_dscnt 0x0
	ds_bpermute_b32 v23, v34, v22
	s_wait_dscnt 0x0
	v_add_f32_e32 v22, v22, v23
	ds_bpermute_b32 v23, v35, v22
	s_wait_dscnt 0x0
	v_add_f32_e32 v22, v22, v23
	;; [unrolled: 3-line block ×3, first 2 shown]
	s_wait_alu 0xfffe
	s_or_b32 exec_lo, exec_lo, s6
	s_and_saveexec_b32 s6, s0
	s_cbranch_execz .LBB20_61
.LBB20_82:                              ;   in Loop: Header=BB20_62 Depth=2
	s_mul_u64 s[8:9], s[40:41], s[36:37]
	s_wait_dscnt 0x0
	v_mul_f32_e32 v22, v30, v22
	s_wait_alu 0xfffe
	s_lshl_b64 s[8:9], s[8:9], 2
	s_wait_alu 0xfffe
	s_add_nc_u64 s[8:9], s[58:59], s[8:9]
	global_store_b32 v0, v22, s[8:9]
	s_branch .LBB20_61
.LBB20_83:
	s_endpgm
	.section	.rodata,"a",@progbits
	.p2align	6, 0x0
	.amdhsa_kernel _ZL23rocblas_gemvt_sn_kernelILb0ELi256ELi4EifPKffEviiT4_lPKT3_lilS5_lilPT5_i
		.amdhsa_group_segment_fixed_size 128
		.amdhsa_private_segment_fixed_size 0
		.amdhsa_kernarg_size 360
		.amdhsa_user_sgpr_count 2
		.amdhsa_user_sgpr_dispatch_ptr 0
		.amdhsa_user_sgpr_queue_ptr 0
		.amdhsa_user_sgpr_kernarg_segment_ptr 1
		.amdhsa_user_sgpr_dispatch_id 0
		.amdhsa_user_sgpr_private_segment_size 0
		.amdhsa_wavefront_size32 1
		.amdhsa_uses_dynamic_stack 0
		.amdhsa_enable_private_segment 0
		.amdhsa_system_sgpr_workgroup_id_x 1
		.amdhsa_system_sgpr_workgroup_id_y 0
		.amdhsa_system_sgpr_workgroup_id_z 1
		.amdhsa_system_sgpr_workgroup_info 0
		.amdhsa_system_vgpr_workitem_id 0
		.amdhsa_next_free_vgpr 58
		.amdhsa_next_free_sgpr 78
		.amdhsa_reserve_vcc 1
		.amdhsa_float_round_mode_32 0
		.amdhsa_float_round_mode_16_64 0
		.amdhsa_float_denorm_mode_32 3
		.amdhsa_float_denorm_mode_16_64 3
		.amdhsa_fp16_overflow 0
		.amdhsa_workgroup_processor_mode 1
		.amdhsa_memory_ordered 1
		.amdhsa_forward_progress 1
		.amdhsa_inst_pref_size 36
		.amdhsa_round_robin_scheduling 0
		.amdhsa_exception_fp_ieee_invalid_op 0
		.amdhsa_exception_fp_denorm_src 0
		.amdhsa_exception_fp_ieee_div_zero 0
		.amdhsa_exception_fp_ieee_overflow 0
		.amdhsa_exception_fp_ieee_underflow 0
		.amdhsa_exception_fp_ieee_inexact 0
		.amdhsa_exception_int_div_zero 0
	.end_amdhsa_kernel
	.section	.text._ZL23rocblas_gemvt_sn_kernelILb0ELi256ELi4EifPKffEviiT4_lPKT3_lilS5_lilPT5_i,"axG",@progbits,_ZL23rocblas_gemvt_sn_kernelILb0ELi256ELi4EifPKffEviiT4_lPKT3_lilS5_lilPT5_i,comdat
.Lfunc_end20:
	.size	_ZL23rocblas_gemvt_sn_kernelILb0ELi256ELi4EifPKffEviiT4_lPKT3_lilS5_lilPT5_i, .Lfunc_end20-_ZL23rocblas_gemvt_sn_kernelILb0ELi256ELi4EifPKffEviiT4_lPKT3_lilS5_lilPT5_i
                                        ; -- End function
	.set _ZL23rocblas_gemvt_sn_kernelILb0ELi256ELi4EifPKffEviiT4_lPKT3_lilS5_lilPT5_i.num_vgpr, 58
	.set _ZL23rocblas_gemvt_sn_kernelILb0ELi256ELi4EifPKffEviiT4_lPKT3_lilS5_lilPT5_i.num_agpr, 0
	.set _ZL23rocblas_gemvt_sn_kernelILb0ELi256ELi4EifPKffEviiT4_lPKT3_lilS5_lilPT5_i.numbered_sgpr, 78
	.set _ZL23rocblas_gemvt_sn_kernelILb0ELi256ELi4EifPKffEviiT4_lPKT3_lilS5_lilPT5_i.num_named_barrier, 0
	.set _ZL23rocblas_gemvt_sn_kernelILb0ELi256ELi4EifPKffEviiT4_lPKT3_lilS5_lilPT5_i.private_seg_size, 0
	.set _ZL23rocblas_gemvt_sn_kernelILb0ELi256ELi4EifPKffEviiT4_lPKT3_lilS5_lilPT5_i.uses_vcc, 1
	.set _ZL23rocblas_gemvt_sn_kernelILb0ELi256ELi4EifPKffEviiT4_lPKT3_lilS5_lilPT5_i.uses_flat_scratch, 0
	.set _ZL23rocblas_gemvt_sn_kernelILb0ELi256ELi4EifPKffEviiT4_lPKT3_lilS5_lilPT5_i.has_dyn_sized_stack, 0
	.set _ZL23rocblas_gemvt_sn_kernelILb0ELi256ELi4EifPKffEviiT4_lPKT3_lilS5_lilPT5_i.has_recursion, 0
	.set _ZL23rocblas_gemvt_sn_kernelILb0ELi256ELi4EifPKffEviiT4_lPKT3_lilS5_lilPT5_i.has_indirect_call, 0
	.section	.AMDGPU.csdata,"",@progbits
; Kernel info:
; codeLenInByte = 4536
; TotalNumSgprs: 80
; NumVgprs: 58
; ScratchSize: 0
; MemoryBound: 0
; FloatMode: 240
; IeeeMode: 1
; LDSByteSize: 128 bytes/workgroup (compile time only)
; SGPRBlocks: 0
; VGPRBlocks: 7
; NumSGPRsForWavesPerEU: 80
; NumVGPRsForWavesPerEU: 58
; Occupancy: 16
; WaveLimiterHint : 0
; COMPUTE_PGM_RSRC2:SCRATCH_EN: 0
; COMPUTE_PGM_RSRC2:USER_SGPR: 2
; COMPUTE_PGM_RSRC2:TRAP_HANDLER: 0
; COMPUTE_PGM_RSRC2:TGID_X_EN: 1
; COMPUTE_PGM_RSRC2:TGID_Y_EN: 0
; COMPUTE_PGM_RSRC2:TGID_Z_EN: 1
; COMPUTE_PGM_RSRC2:TIDIG_COMP_CNT: 0
	.section	.text._ZL23rocblas_gemvt_sn_kernelILb0ELi256ELi4ElfPKffEviiT4_lPKT3_lilS5_lilPT5_i,"axG",@progbits,_ZL23rocblas_gemvt_sn_kernelILb0ELi256ELi4ElfPKffEviiT4_lPKT3_lilS5_lilPT5_i,comdat
	.globl	_ZL23rocblas_gemvt_sn_kernelILb0ELi256ELi4ElfPKffEviiT4_lPKT3_lilS5_lilPT5_i ; -- Begin function _ZL23rocblas_gemvt_sn_kernelILb0ELi256ELi4ElfPKffEviiT4_lPKT3_lilS5_lilPT5_i
	.p2align	8
	.type	_ZL23rocblas_gemvt_sn_kernelILb0ELi256ELi4ElfPKffEviiT4_lPKT3_lilS5_lilPT5_i,@function
_ZL23rocblas_gemvt_sn_kernelILb0ELi256ELi4ElfPKffEviiT4_lPKT3_lilS5_lilPT5_i: ; @_ZL23rocblas_gemvt_sn_kernelILb0ELi256ELi4ElfPKffEviiT4_lPKT3_lilS5_lilPT5_i
; %bb.0:
	s_load_b32 s33, s[0:1], 0x60
	s_lshr_b32 s10, ttmp7, 16
	s_wait_kmcnt 0x0
	s_cmp_ge_u32 s10, s33
	s_cbranch_scc1 .LBB21_83
; %bb.1:
	s_clause 0x6
	s_load_b32 s30, s[0:1], 0x28
	s_load_b96 s[4:6], s[0:1], 0x40
	s_load_b256 s[12:19], s[0:1], 0x8
	s_load_b64 s[34:35], s[0:1], 0x0
	s_load_b128 s[20:23], s[0:1], 0x30
	s_load_b32 s36, s[0:1], 0x68
	s_load_b128 s[24:27], s[0:1], 0x50
	v_cmp_eq_u32_e64 s0, 0, v0
	v_mbcnt_lo_u32_b32 v33, -1, 0
	s_mov_b32 s29, 0
	s_mov_b32 s28, ttmp9
	s_mov_b32 s37, s29
	s_delay_alu instid0(VALU_DEP_1)
	v_lshl_or_b32 v34, v33, 2, 64
	s_wait_kmcnt 0x0
	s_ashr_i32 s31, s30, 31
	s_ashr_i32 s9, s6, 31
	s_lshl_b64 s[2:3], s[4:5], 2
	s_lshl_b64 s[4:5], s[18:19], 2
	s_ashr_i32 s39, s35, 31
	s_cmp_gt_i32 s35, 0
	s_add_nc_u64 s[18:19], s[22:23], s[2:3]
	s_cselect_b32 s1, -1, 0
	s_lshl_b32 s7, ttmp9, 10
	s_add_nc_u64 s[2:3], s[16:17], s[4:5]
	v_lshl_or_b32 v1, v0, 2, s7
	s_lshr_b32 s4, s39, 30
	s_ashr_i32 s5, s34, 31
	s_and_b32 s66, s0, s1
	s_add_co_i32 s1, s35, s4
	v_ashrrev_i32_e32 v2, 31, v1
	s_lshr_b32 s4, s5, 30
	s_and_b32 s67, s1, -4
	s_add_co_i32 s1, s34, s4
	v_add_nc_u32_e32 v4, 4, v1
	v_lshlrev_b64_e32 v[2:3], 2, v[1:2]
	s_and_b32 s1, s1, -4
	v_cmp_gt_u32_e64 s5, 8, v0
	s_sub_co_i32 s68, s34, s1
	v_cmp_ge_i32_e64 s1, s34, v4
	v_or_b32_e32 v4, 2, v1
	v_add_co_u32 v29, vcc_lo, s2, v2
	v_add_nc_u32_e32 v2, s68, v1
	v_add_co_ci_u32_e64 v30, null, s3, v3, vcc_lo
	v_and_b32_e32 v3, 31, v0
	v_cmp_gt_u32_e64 s3, 32, v0
	s_delay_alu instid0(VALU_DEP_4)
	v_cmp_ge_i32_e64 s2, s34, v2
	v_lshrrev_b32_e32 v2, 3, v0
	v_or_b32_e32 v0, 1, v1
	v_cmp_eq_u32_e64 s4, 0, v3
	v_lshlrev_b32_e32 v31, 2, v3
	v_mad_co_i64_i32 v[11:12], null, s6, v4, 0
	v_and_b32_e32 v32, 28, v2
	v_mad_co_i64_i32 v[2:3], null, s6, v1, 0
	v_mad_co_i64_i32 v[9:10], null, s6, v0, 0
	v_or_b32_e32 v0, 3, v1
	s_cmp_gt_i32 s67, 0
	s_mov_b32 s38, s35
	s_cselect_b32 s69, -1, 0
	s_delay_alu instid0(VALU_DEP_3)
	v_lshlrev_b64_e32 v[5:6], 2, v[2:3]
	v_mad_co_i64_i32 v[1:2], null, s6, v0, 0
	s_cmp_gt_i32 s68, 0
	v_lshlrev_b64_e32 v[9:10], 2, v[9:10]
	v_lshlrev_b64_e32 v[11:12], 2, v[11:12]
	v_add_co_u32 v7, vcc_lo, s18, v5
	s_wait_alu 0xfffd
	v_add_co_ci_u32_e64 v8, null, s19, v6, vcc_lo
	v_lshlrev_b64_e32 v[13:14], 2, v[1:2]
	v_mov_b32_e32 v0, 0
	s_mov_b32 s8, s6
	s_mul_u64 s[16:17], s[38:39], s[36:37]
	s_cselect_b32 s34, -1, 0
	s_lshl_b64 s[22:23], s[28:29], 2
	s_lshl_b64 s[40:41], s[16:17], 2
	s_add_nc_u64 s[38:39], s[26:27], s[22:23]
	s_lshl_b64 s[42:43], s[36:37], 2
	s_lshl_b64 s[44:45], s[24:25], 2
	;; [unrolled: 1-line block ×4, first 2 shown]
	s_mul_u64 s[50:51], s[30:31], 12
	s_lshl_b64 s[52:53], s[30:31], 4
	s_lshl_b64 s[54:55], s[30:31], 2
	;; [unrolled: 1-line block ×3, first 2 shown]
	s_branch .LBB21_3
.LBB21_2:                               ;   in Loop: Header=BB21_3 Depth=1
	s_add_co_i32 s10, s10, 0x10000
	s_wait_alu 0xfffe
	s_cmp_lt_u32 s10, s33
	s_cbranch_scc0 .LBB21_83
.LBB21_3:                               ; =>This Loop Header: Depth=1
                                        ;     Child Loop BB21_6 Depth 2
                                        ;     Child Loop BB21_12 Depth 2
                                        ;       Child Loop BB21_43 Depth 3
                                        ;       Child Loop BB21_46 Depth 3
                                        ;     Child Loop BB21_62 Depth 2
                                        ;       Child Loop BB21_75 Depth 3
                                        ;       Child Loop BB21_78 Depth 3
	s_mov_b32 s11, s29
	s_wait_alu 0xfffe
	s_mul_u64 s[6:7], s[14:15], s[10:11]
	s_wait_alu 0xfffe
	s_lshl_b64 s[6:7], s[6:7], 2
	s_wait_alu 0xfffe
	s_add_nc_u64 s[6:7], s[12:13], s[6:7]
	global_load_b32 v35, v0, s[6:7]
	s_mov_b32 s6, -1
	s_wait_loadcnt 0x0
	v_cmp_neq_f32_e32 vcc_lo, 0, v35
	s_cbranch_vccnz .LBB21_8
; %bb.4:                                ;   in Loop: Header=BB21_3 Depth=1
	s_and_saveexec_b32 s8, s66
	s_cbranch_execz .LBB21_7
; %bb.5:                                ;   in Loop: Header=BB21_3 Depth=1
	s_mul_u64 s[6:7], s[40:41], s[10:11]
	s_mov_b32 s9, s35
	s_wait_alu 0xfffe
	s_add_nc_u64 s[6:7], s[38:39], s[6:7]
.LBB21_6:                               ;   Parent Loop BB21_3 Depth=1
                                        ; =>  This Inner Loop Header: Depth=2
	s_add_co_i32 s9, s9, -1
	global_store_b32 v0, v0, s[6:7]
	s_wait_alu 0xfffe
	s_cmp_eq_u32 s9, 0
	s_add_nc_u64 s[6:7], s[6:7], s[42:43]
	s_cbranch_scc0 .LBB21_6
.LBB21_7:                               ;   in Loop: Header=BB21_3 Depth=1
	s_wait_alu 0xfffe
	s_or_b32 exec_lo, exec_lo, s8
	s_mov_b32 s6, 0
.LBB21_8:                               ;   in Loop: Header=BB21_3 Depth=1
	s_wait_alu 0xfffe
	s_and_not1_b32 vcc_lo, exec_lo, s6
	s_wait_alu 0xfffe
	s_cbranch_vccnz .LBB21_2
; %bb.9:                                ;   in Loop: Header=BB21_3 Depth=1
	v_mad_co_u64_u32 v[15:16], null, s44, s10, v[7:8]
	s_mul_u64 s[64:65], s[20:21], s[10:11]
	s_mul_u64 s[58:59], s[24:25], s[10:11]
	s_wait_alu 0xfffe
	s_lshl_b64 s[64:65], s[64:65], 2
	s_mul_u64 s[62:63], s[16:17], s[10:11]
	s_wait_alu 0xfffe
	v_add_co_u32 v36, vcc_lo, v29, s64
	v_mov_b32_e32 v1, v16
	s_lshl_b64 s[58:59], s[58:59], 2
	s_lshl_b64 s[70:71], s[62:63], 2
	v_cmp_gt_u32_e64 s7, 24, v33
	v_cmp_gt_u32_e64 s8, 28, v33
	v_mad_co_u64_u32 v[1:2], null, s45, s10, v[1:2]
	v_cmp_gt_u32_e64 s6, 30, v33
	s_wait_alu 0xfffd
	v_add_co_ci_u32_e64 v37, null, s65, v30, vcc_lo
	v_cmp_ne_u32_e64 s9, 31, v33
	s_add_nc_u64 s[62:63], s[18:19], s[58:59]
	s_add_nc_u64 s[58:59], s[26:27], s[70:71]
	v_mov_b32_e32 v16, v1
	s_mul_u64 s[60:61], s[48:49], s[10:11]
	s_and_not1_b32 vcc_lo, exec_lo, s69
	s_add_nc_u64 s[58:59], s[58:59], s[22:23]
	s_wait_alu 0xfffe
	s_cbranch_vccnz .LBB21_58
; %bb.10:                               ;   in Loop: Header=BB21_3 Depth=1
	v_cndmask_b32_e64 v3, 0, 2, s6
	v_add_co_u32 v17, vcc_lo, v29, s60
	s_wait_alu 0xfffd
	v_add_co_ci_u32_e64 v18, null, s61, v30, vcc_lo
	v_add_co_u32 v19, vcc_lo, s62, v5
	v_cndmask_b32_e64 v1, 0, 8, s7
	v_cndmask_b32_e64 v2, 0, 4, s8
	v_add_co_ci_u32_e64 v4, null, 0, v33, s9
	v_add_lshl_u32 v40, v3, v33, 2
	s_wait_alu 0xfffd
	v_add_co_ci_u32_e64 v20, null, s63, v6, vcc_lo
	v_add_co_u32 v21, vcc_lo, s62, v9
	v_mov_b32_e32 v3, v0
	s_wait_alu 0xfffd
	v_add_co_ci_u32_e64 v22, null, s63, v10, vcc_lo
	v_add_co_u32 v23, vcc_lo, s62, v11
	v_add_lshl_u32 v38, v1, v33, 2
	v_add_lshl_u32 v39, v2, v33, 2
	v_dual_mov_b32 v2, v0 :: v_dual_lshlrev_b32 v41, 2, v4
	s_wait_alu 0xfffd
	v_add_co_ci_u32_e64 v24, null, s63, v12, vcc_lo
	v_mov_b32_e32 v1, v0
	v_add_co_u32 v25, vcc_lo, s62, v13
	v_mov_b32_e32 v4, v3
	s_wait_alu 0xfffd
	v_add_co_ci_u32_e64 v26, null, s63, v14, vcc_lo
	v_mov_b32_e32 v3, v2
	v_mov_b32_e32 v2, v1
	;; [unrolled: 1-line block ×3, first 2 shown]
	s_mov_b32 s28, 0
	s_branch .LBB21_12
.LBB21_11:                              ;   in Loop: Header=BB21_12 Depth=2
	s_wait_alu 0xfffe
	s_or_b32 exec_lo, exec_lo, s6
	v_add_co_u32 v17, vcc_lo, v17, s52
	s_wait_alu 0xfffd
	v_add_co_ci_u32_e64 v18, null, s53, v18, vcc_lo
	s_add_co_i32 s28, s28, 4
	s_wait_alu 0xfffe
	s_cmp_ge_i32 s28, s67
	s_cbranch_scc1 .LBB21_59
.LBB21_12:                              ;   Parent Loop BB21_3 Depth=1
                                        ; =>  This Loop Header: Depth=2
                                        ;       Child Loop BB21_43 Depth 3
                                        ;       Child Loop BB21_46 Depth 3
                                        ; implicit-def: $vgpr42
                                        ; implicit-def: $vgpr43
                                        ; implicit-def: $vgpr44
                                        ; implicit-def: $vgpr45
	s_and_saveexec_b32 s6, s1
	s_wait_alu 0xfffe
	s_xor_b32 s6, exec_lo, s6
	s_cbranch_execnz .LBB21_39
; %bb.13:                               ;   in Loop: Header=BB21_12 Depth=2
	s_wait_alu 0xfffe
	s_and_not1_saveexec_b32 s11, s6
	s_cbranch_execnz .LBB21_40
.LBB21_14:                              ;   in Loop: Header=BB21_12 Depth=2
	s_wait_alu 0xfffe
	s_or_b32 exec_lo, exec_lo, s11
	s_and_saveexec_b32 s6, s3
.LBB21_15:                              ;   in Loop: Header=BB21_12 Depth=2
	ds_store_b32 v31, v0
.LBB21_16:                              ;   in Loop: Header=BB21_12 Depth=2
	s_wait_alu 0xfffe
	s_or_b32 exec_lo, exec_lo, s6
	s_wait_dscnt 0x0
	ds_bpermute_b32 v27, v34, v45
	s_wait_storecnt_dscnt 0x0
	s_barrier_signal -1
	s_barrier_wait -1
	global_inv scope:SCOPE_SE
	v_add_f32_e32 v27, v45, v27
	ds_bpermute_b32 v28, v38, v27
	s_wait_dscnt 0x0
	v_add_f32_e32 v27, v27, v28
	ds_bpermute_b32 v28, v39, v27
	s_wait_dscnt 0x0
	;; [unrolled: 3-line block ×3, first 2 shown]
	v_add_f32_e32 v27, v27, v28
	ds_bpermute_b32 v28, v41, v27
	s_and_saveexec_b32 s6, s4
	s_cbranch_execz .LBB21_18
; %bb.17:                               ;   in Loop: Header=BB21_12 Depth=2
	s_wait_dscnt 0x0
	v_add_f32_e32 v27, v27, v28
	ds_store_b32 v32, v27
.LBB21_18:                              ;   in Loop: Header=BB21_12 Depth=2
	s_wait_alu 0xfffe
	s_or_b32 exec_lo, exec_lo, s6
	v_mov_b32_e32 v27, 0
	s_wait_loadcnt_dscnt 0x0
	s_barrier_signal -1
	s_barrier_wait -1
	global_inv scope:SCOPE_SE
	s_and_saveexec_b32 s6, s5
	s_cbranch_execnz .LBB21_47
; %bb.19:                               ;   in Loop: Header=BB21_12 Depth=2
	s_wait_alu 0xfffe
	s_or_b32 exec_lo, exec_lo, s6
	s_and_saveexec_b32 s6, s3
	s_cbranch_execnz .LBB21_48
.LBB21_20:                              ;   in Loop: Header=BB21_12 Depth=2
	s_wait_alu 0xfffe
	s_or_b32 exec_lo, exec_lo, s6
	s_and_saveexec_b32 s6, s3
.LBB21_21:                              ;   in Loop: Header=BB21_12 Depth=2
	ds_store_b32 v31, v0
.LBB21_22:                              ;   in Loop: Header=BB21_12 Depth=2
	s_wait_alu 0xfffe
	s_or_b32 exec_lo, exec_lo, s6
	ds_bpermute_b32 v28, v34, v44
	s_wait_loadcnt_dscnt 0x0
	s_barrier_signal -1
	s_barrier_wait -1
	global_inv scope:SCOPE_SE
	v_add_f32_e32 v28, v44, v28
	ds_bpermute_b32 v44, v38, v28
	s_wait_dscnt 0x0
	v_add_f32_e32 v28, v28, v44
	ds_bpermute_b32 v44, v39, v28
	s_wait_dscnt 0x0
	;; [unrolled: 3-line block ×3, first 2 shown]
	v_add_f32_e32 v28, v28, v44
	ds_bpermute_b32 v44, v41, v28
	s_and_saveexec_b32 s6, s4
	s_cbranch_execz .LBB21_24
; %bb.23:                               ;   in Loop: Header=BB21_12 Depth=2
	s_wait_dscnt 0x0
	v_add_f32_e32 v28, v28, v44
	ds_store_b32 v32, v28
.LBB21_24:                              ;   in Loop: Header=BB21_12 Depth=2
	s_wait_alu 0xfffe
	s_or_b32 exec_lo, exec_lo, s6
	v_mov_b32_e32 v28, 0
	s_wait_loadcnt_dscnt 0x0
	s_barrier_signal -1
	s_barrier_wait -1
	global_inv scope:SCOPE_SE
	s_and_saveexec_b32 s6, s5
	s_cbranch_execnz .LBB21_49
; %bb.25:                               ;   in Loop: Header=BB21_12 Depth=2
	s_wait_alu 0xfffe
	s_or_b32 exec_lo, exec_lo, s6
	s_and_saveexec_b32 s6, s3
	s_cbranch_execnz .LBB21_50
.LBB21_26:                              ;   in Loop: Header=BB21_12 Depth=2
	s_wait_alu 0xfffe
	s_or_b32 exec_lo, exec_lo, s6
	s_and_saveexec_b32 s6, s3
.LBB21_27:                              ;   in Loop: Header=BB21_12 Depth=2
	ds_store_b32 v31, v0
.LBB21_28:                              ;   in Loop: Header=BB21_12 Depth=2
	s_wait_alu 0xfffe
	s_or_b32 exec_lo, exec_lo, s6
	ds_bpermute_b32 v44, v34, v43
	s_wait_loadcnt_dscnt 0x0
	s_barrier_signal -1
	s_barrier_wait -1
	global_inv scope:SCOPE_SE
	v_add_f32_e32 v43, v43, v44
	ds_bpermute_b32 v44, v38, v43
	s_wait_dscnt 0x0
	v_add_f32_e32 v43, v43, v44
	ds_bpermute_b32 v44, v39, v43
	s_wait_dscnt 0x0
	;; [unrolled: 3-line block ×3, first 2 shown]
	v_add_f32_e32 v43, v43, v44
	ds_bpermute_b32 v44, v41, v43
	s_and_saveexec_b32 s6, s4
	s_cbranch_execz .LBB21_30
; %bb.29:                               ;   in Loop: Header=BB21_12 Depth=2
	s_wait_dscnt 0x0
	v_add_f32_e32 v43, v43, v44
	ds_store_b32 v32, v43
.LBB21_30:                              ;   in Loop: Header=BB21_12 Depth=2
	s_wait_alu 0xfffe
	s_or_b32 exec_lo, exec_lo, s6
	v_mov_b32_e32 v43, 0
	s_wait_loadcnt_dscnt 0x0
	s_barrier_signal -1
	s_barrier_wait -1
	global_inv scope:SCOPE_SE
	s_and_saveexec_b32 s6, s5
	s_cbranch_execnz .LBB21_51
; %bb.31:                               ;   in Loop: Header=BB21_12 Depth=2
	s_wait_alu 0xfffe
	s_or_b32 exec_lo, exec_lo, s6
	s_and_saveexec_b32 s6, s3
	s_cbranch_execnz .LBB21_52
.LBB21_32:                              ;   in Loop: Header=BB21_12 Depth=2
	s_wait_alu 0xfffe
	s_or_b32 exec_lo, exec_lo, s6
	s_and_saveexec_b32 s6, s3
.LBB21_33:                              ;   in Loop: Header=BB21_12 Depth=2
	ds_store_b32 v31, v0
.LBB21_34:                              ;   in Loop: Header=BB21_12 Depth=2
	s_wait_alu 0xfffe
	s_or_b32 exec_lo, exec_lo, s6
	ds_bpermute_b32 v44, v34, v42
	s_wait_loadcnt_dscnt 0x0
	s_barrier_signal -1
	s_barrier_wait -1
	global_inv scope:SCOPE_SE
	v_add_f32_e32 v42, v42, v44
	ds_bpermute_b32 v44, v38, v42
	s_wait_dscnt 0x0
	v_add_f32_e32 v42, v42, v44
	ds_bpermute_b32 v44, v39, v42
	s_wait_dscnt 0x0
	;; [unrolled: 3-line block ×3, first 2 shown]
	v_add_f32_e32 v42, v42, v44
	ds_bpermute_b32 v44, v41, v42
	s_and_saveexec_b32 s6, s4
	s_cbranch_execz .LBB21_36
; %bb.35:                               ;   in Loop: Header=BB21_12 Depth=2
	s_wait_dscnt 0x0
	v_add_f32_e32 v42, v42, v44
	ds_store_b32 v32, v42
.LBB21_36:                              ;   in Loop: Header=BB21_12 Depth=2
	s_wait_alu 0xfffe
	s_or_b32 exec_lo, exec_lo, s6
	v_mov_b32_e32 v42, 0
	s_wait_loadcnt_dscnt 0x0
	s_barrier_signal -1
	s_barrier_wait -1
	global_inv scope:SCOPE_SE
	s_and_saveexec_b32 s6, s5
	s_cbranch_execnz .LBB21_53
; %bb.37:                               ;   in Loop: Header=BB21_12 Depth=2
	s_wait_alu 0xfffe
	s_or_b32 exec_lo, exec_lo, s6
	s_and_saveexec_b32 s6, s3
	s_cbranch_execnz .LBB21_54
.LBB21_38:                              ;   in Loop: Header=BB21_12 Depth=2
	s_wait_alu 0xfffe
	s_or_b32 exec_lo, exec_lo, s6
	s_and_saveexec_b32 s6, s0
	s_cbranch_execz .LBB21_11
	s_branch .LBB21_55
.LBB21_39:                              ;   in Loop: Header=BB21_12 Depth=2
	s_mul_u64 s[8:9], s[28:29], s[30:31]
	s_or_b32 s64, s28, 1
	s_mov_b32 s65, s29
	s_wait_alu 0xfffe
	s_lshl_b64 s[8:9], s[8:9], 2
	s_mul_u64 s[64:65], s[64:65], s[30:31]
	s_wait_alu 0xfffe
	v_add_co_u32 v2, vcc_lo, v36, s8
	s_wait_alu 0xfffd
	v_add_co_ci_u32_e64 v3, null, s9, v37, vcc_lo
	s_lshl_b64 s[8:9], s[64:65], 2
	s_or_b32 s64, s28, 2
	s_mov_b32 s65, s29
	s_wait_dscnt 0x0
	s_wait_alu 0xfffe
	v_add_co_u32 v27, vcc_lo, v36, s8
	s_wait_alu 0xfffd
	v_add_co_ci_u32_e64 v28, null, s9, v37, vcc_lo
	s_mul_u64 s[8:9], s[64:65], s[30:31]
	s_or_b32 s64, s28, 3
	s_wait_alu 0xfffe
	s_lshl_b64 s[8:9], s[8:9], 2
	s_mul_u64 s[64:65], s[64:65], s[30:31]
	s_wait_alu 0xfffe
	v_add_co_u32 v42, vcc_lo, v36, s8
	s_wait_alu 0xfffd
	v_add_co_ci_u32_e64 v43, null, s9, v37, vcc_lo
	s_lshl_b64 s[8:9], s[64:65], 2
	s_wait_alu 0xfffe
	v_add_co_u32 v57, vcc_lo, v36, s8
	s_wait_alu 0xfffd
	v_add_co_ci_u32_e64 v58, null, s9, v37, vcc_lo
	global_load_b32 v1, v[19:20], off
	s_clause 0x3
	global_load_b128 v[45:48], v[2:3], off
	global_load_b128 v[49:52], v[27:28], off
	;; [unrolled: 1-line block ×4, first 2 shown]
	s_clause 0x2
	global_load_b32 v2, v[21:22], off
	global_load_b32 v3, v[23:24], off
	;; [unrolled: 1-line block ×3, first 2 shown]
	s_wait_loadcnt 0x6
	v_fma_f32 v45, v1, v45, 0
	s_wait_loadcnt 0x5
	v_fma_f32 v44, v1, v49, 0
	;; [unrolled: 2-line block ×4, first 2 shown]
	s_wait_loadcnt 0x2
	v_fmac_f32_e32 v44, v2, v50
	v_fmac_f32_e32 v45, v2, v46
	s_delay_alu instid0(VALU_DEP_3) | instskip(SKIP_1) | instid1(VALU_DEP_3)
	v_fmac_f32_e32 v42, v2, v58
	s_wait_loadcnt 0x1
	v_dual_fmac_f32 v43, v2, v54 :: v_dual_fmac_f32 v44, v3, v51
	s_delay_alu instid0(VALU_DEP_3) | instskip(NEXT) | instid1(VALU_DEP_3)
	v_fmac_f32_e32 v45, v3, v47
	v_fmac_f32_e32 v42, v3, v59
	s_wait_loadcnt 0x0
	s_delay_alu instid0(VALU_DEP_3) | instskip(NEXT) | instid1(VALU_DEP_3)
	v_dual_fmac_f32 v43, v3, v55 :: v_dual_fmac_f32 v44, v4, v52
	v_fmac_f32_e32 v45, v4, v48
	s_delay_alu instid0(VALU_DEP_3) | instskip(NEXT) | instid1(VALU_DEP_3)
	v_fmac_f32_e32 v42, v4, v60
	v_fmac_f32_e32 v43, v4, v56
	s_and_not1_saveexec_b32 s11, s6
	s_cbranch_execz .LBB21_14
.LBB21_40:                              ;   in Loop: Header=BB21_12 Depth=2
	s_wait_dscnt 0x0
	v_dual_mov_b32 v42, 0 :: v_dual_mov_b32 v43, 0
	v_dual_mov_b32 v44, 0 :: v_dual_mov_b32 v45, 0
	s_and_saveexec_b32 s70, s2
	s_cbranch_execz .LBB21_57
; %bb.41:                               ;   in Loop: Header=BB21_12 Depth=2
	s_and_not1_b32 vcc_lo, exec_lo, s34
	s_wait_alu 0xfffe
	s_cbranch_vccnz .LBB21_44
; %bb.42:                               ;   in Loop: Header=BB21_12 Depth=2
	v_dual_mov_b32 v28, v16 :: v_dual_mov_b32 v27, v15
	s_mov_b64 s[64:65], 0
.LBB21_43:                              ;   Parent Loop BB21_3 Depth=1
                                        ;     Parent Loop BB21_12 Depth=2
                                        ; =>    This Inner Loop Header: Depth=3
	global_load_b32 v42, v[27:28], off
	s_wait_alu 0xfffe
	s_cmp_eq_u32 s64, 3
	v_add_co_u32 v27, vcc_lo, v27, s46
	s_wait_alu 0xfffd
	v_add_co_ci_u32_e64 v28, null, s47, v28, vcc_lo
	s_cselect_b32 vcc_lo, -1, 0
	s_cmp_eq_u32 s64, 2
	s_cselect_b32 s6, -1, 0
	s_cmp_eq_u32 s64, 1
	s_cselect_b32 s7, -1, 0
	s_cmp_eq_u32 s64, 0
	s_add_nc_u64 s[64:65], s[64:65], 1
	s_cselect_b32 s8, -1, 0
	s_wait_alu 0xfffe
	s_cmp_eq_u32 s68, s64
	s_wait_loadcnt 0x0
	v_cndmask_b32_e32 v4, v4, v42, vcc_lo
	v_cndmask_b32_e64 v3, v3, v42, s6
	v_cndmask_b32_e64 v2, v2, v42, s7
	;; [unrolled: 1-line block ×3, first 2 shown]
	s_cbranch_scc0 .LBB21_43
.LBB21_44:                              ;   in Loop: Header=BB21_12 Depth=2
	s_and_not1_b32 vcc_lo, exec_lo, s34
	s_wait_alu 0xfffe
	s_cbranch_vccnz .LBB21_56
; %bb.45:                               ;   in Loop: Header=BB21_12 Depth=2
	v_dual_mov_b32 v45, 0 :: v_dual_mov_b32 v28, v18
	v_dual_mov_b32 v27, v17 :: v_dual_mov_b32 v44, 0
	v_dual_mov_b32 v43, 0 :: v_dual_mov_b32 v42, 0
	s_mov_b64 s[8:9], 0
.LBB21_46:                              ;   Parent Loop BB21_3 Depth=1
                                        ;     Parent Loop BB21_12 Depth=2
                                        ; =>    This Inner Loop Header: Depth=3
	s_delay_alu instid0(VALU_DEP_2)
	v_add_co_u32 v46, vcc_lo, v27, s54
	s_wait_alu 0xfffd
	v_add_co_ci_u32_e64 v47, null, s55, v28, vcc_lo
	v_add_co_u32 v48, vcc_lo, v27, s56
	s_wait_alu 0xfffd
	v_add_co_ci_u32_e64 v49, null, s57, v28, vcc_lo
	;; [unrolled: 3-line block ×3, first 2 shown]
	s_clause 0x3
	global_load_b32 v52, v[27:28], off
	global_load_b32 v46, v[46:47], off
	;; [unrolled: 1-line block ×4, first 2 shown]
	s_wait_alu 0xfffe
	s_cmp_eq_u32 s8, 1
	v_add_co_u32 v27, s6, v27, 4
	s_cselect_b32 vcc_lo, -1, 0
	s_cmp_eq_u32 s8, 2
	s_wait_alu 0xfffe
	v_cndmask_b32_e32 v49, v1, v2, vcc_lo
	s_cselect_b32 vcc_lo, -1, 0
	s_cmp_eq_u32 s8, 3
	v_add_co_ci_u32_e64 v28, null, 0, v28, s6
	s_wait_alu 0xfffe
	v_cndmask_b32_e32 v49, v49, v3, vcc_lo
	s_cselect_b32 vcc_lo, -1, 0
	s_add_nc_u64 s[8:9], s[8:9], 1
	s_wait_alu 0xfffe
	s_cmp_lg_u32 s68, s8
	v_cndmask_b32_e32 v49, v49, v4, vcc_lo
	s_wait_loadcnt 0x3
	s_delay_alu instid0(VALU_DEP_1)
	v_fmac_f32_e32 v45, v49, v52
	s_wait_loadcnt 0x2
	v_fmac_f32_e32 v44, v49, v46
	s_wait_loadcnt 0x1
	;; [unrolled: 2-line block ×3, first 2 shown]
	v_fmac_f32_e32 v42, v49, v48
	s_cbranch_scc1 .LBB21_46
	s_branch .LBB21_57
.LBB21_47:                              ;   in Loop: Header=BB21_12 Depth=2
	ds_load_b32 v27, v31
	s_wait_alu 0xfffe
	s_or_b32 exec_lo, exec_lo, s6
	s_and_saveexec_b32 s6, s3
	s_cbranch_execz .LBB21_20
.LBB21_48:                              ;   in Loop: Header=BB21_12 Depth=2
	s_wait_dscnt 0x0
	ds_bpermute_b32 v28, v39, v27
	s_wait_dscnt 0x0
	v_add_f32_e32 v27, v27, v28
	ds_bpermute_b32 v28, v40, v27
	s_wait_dscnt 0x0
	v_add_f32_e32 v27, v27, v28
	;; [unrolled: 3-line block ×3, first 2 shown]
	s_wait_alu 0xfffe
	s_or_b32 exec_lo, exec_lo, s6
	s_and_saveexec_b32 s6, s3
	s_cbranch_execnz .LBB21_21
	s_branch .LBB21_22
.LBB21_49:                              ;   in Loop: Header=BB21_12 Depth=2
	ds_load_b32 v28, v31
	s_wait_alu 0xfffe
	s_or_b32 exec_lo, exec_lo, s6
	s_and_saveexec_b32 s6, s3
	s_cbranch_execz .LBB21_26
.LBB21_50:                              ;   in Loop: Header=BB21_12 Depth=2
	s_wait_dscnt 0x0
	ds_bpermute_b32 v44, v39, v28
	s_wait_dscnt 0x0
	v_add_f32_e32 v28, v28, v44
	ds_bpermute_b32 v44, v40, v28
	s_wait_dscnt 0x0
	v_add_f32_e32 v28, v28, v44
	;; [unrolled: 3-line block ×3, first 2 shown]
	s_wait_alu 0xfffe
	s_or_b32 exec_lo, exec_lo, s6
	s_and_saveexec_b32 s6, s3
	s_cbranch_execnz .LBB21_27
	s_branch .LBB21_28
.LBB21_51:                              ;   in Loop: Header=BB21_12 Depth=2
	ds_load_b32 v43, v31
	s_wait_alu 0xfffe
	s_or_b32 exec_lo, exec_lo, s6
	s_and_saveexec_b32 s6, s3
	s_cbranch_execz .LBB21_32
.LBB21_52:                              ;   in Loop: Header=BB21_12 Depth=2
	s_wait_dscnt 0x0
	ds_bpermute_b32 v44, v39, v43
	s_wait_dscnt 0x0
	v_add_f32_e32 v43, v43, v44
	ds_bpermute_b32 v44, v40, v43
	s_wait_dscnt 0x0
	v_add_f32_e32 v43, v43, v44
	;; [unrolled: 3-line block ×3, first 2 shown]
	s_wait_alu 0xfffe
	s_or_b32 exec_lo, exec_lo, s6
	s_and_saveexec_b32 s6, s3
	s_cbranch_execnz .LBB21_33
	s_branch .LBB21_34
.LBB21_53:                              ;   in Loop: Header=BB21_12 Depth=2
	ds_load_b32 v42, v31
	s_wait_alu 0xfffe
	s_or_b32 exec_lo, exec_lo, s6
	s_and_saveexec_b32 s6, s3
	s_cbranch_execz .LBB21_38
.LBB21_54:                              ;   in Loop: Header=BB21_12 Depth=2
	s_wait_dscnt 0x0
	ds_bpermute_b32 v44, v39, v42
	s_wait_dscnt 0x0
	v_add_f32_e32 v42, v42, v44
	ds_bpermute_b32 v44, v40, v42
	s_wait_dscnt 0x0
	v_add_f32_e32 v42, v42, v44
	;; [unrolled: 3-line block ×3, first 2 shown]
	s_wait_alu 0xfffe
	s_or_b32 exec_lo, exec_lo, s6
	s_and_saveexec_b32 s6, s0
	s_cbranch_execz .LBB21_11
.LBB21_55:                              ;   in Loop: Header=BB21_12 Depth=2
	s_mul_u64 s[8:9], s[28:29], s[36:37]
	v_mul_f32_e32 v27, v35, v27
	s_or_b32 s64, s28, 1
	s_mov_b32 s65, s29
	s_wait_alu 0xfffe
	s_lshl_b64 s[8:9], s[8:9], 2
	s_mul_u64 s[64:65], s[64:65], s[36:37]
	s_wait_alu 0xfffe
	s_add_nc_u64 s[8:9], s[58:59], s[8:9]
	v_mul_f32_e32 v28, v35, v28
	s_or_b32 s70, s28, 2
	s_mov_b32 s71, s29
	global_store_b32 v0, v27, s[8:9]
	s_lshl_b64 s[8:9], s[64:65], 2
	s_mul_u64 s[64:65], s[70:71], s[36:37]
	s_or_b32 s70, s28, 3
	s_wait_alu 0xfffe
	s_add_nc_u64 s[8:9], s[58:59], s[8:9]
	s_mul_u64 s[70:71], s[70:71], s[36:37]
	v_mul_f32_e32 v27, v35, v43
	global_store_b32 v0, v28, s[8:9]
	s_lshl_b64 s[8:9], s[64:65], 2
	s_wait_dscnt 0x0
	v_mul_f32_e32 v28, v35, v42
	s_lshl_b64 s[64:65], s[70:71], 2
	s_wait_alu 0xfffe
	s_add_nc_u64 s[8:9], s[58:59], s[8:9]
	s_add_nc_u64 s[64:65], s[58:59], s[64:65]
	s_clause 0x1
	global_store_b32 v0, v27, s[8:9]
	global_store_b32 v0, v28, s[64:65]
	s_branch .LBB21_11
.LBB21_56:                              ;   in Loop: Header=BB21_12 Depth=2
	v_dual_mov_b32 v42, 0 :: v_dual_mov_b32 v43, 0
	v_dual_mov_b32 v44, 0 :: v_dual_mov_b32 v45, 0
.LBB21_57:                              ;   in Loop: Header=BB21_12 Depth=2
	s_or_b32 exec_lo, exec_lo, s70
	s_wait_alu 0xfffe
	s_or_b32 exec_lo, exec_lo, s11
	s_and_saveexec_b32 s6, s3
	s_cbranch_execnz .LBB21_15
	s_branch .LBB21_16
.LBB21_58:                              ;   in Loop: Header=BB21_3 Depth=1
	v_mov_b32_e32 v3, v0
	v_dual_mov_b32 v1, v0 :: v_dual_mov_b32 v2, v0
	s_mov_b32 s28, 0
	s_delay_alu instid0(VALU_DEP_2) | instskip(NEXT) | instid1(VALU_DEP_2)
	v_mov_b32_e32 v4, v3
	v_mov_b32_e32 v3, v2
	s_delay_alu instid0(VALU_DEP_3)
	v_mov_b32_e32 v2, v1
	v_mov_b32_e32 v1, v0
.LBB21_59:                              ;   in Loop: Header=BB21_3 Depth=1
	s_wait_alu 0xfffe
	s_cmp_ge_i32 s28, s35
	s_cbranch_scc1 .LBB21_2
; %bb.60:                               ;   in Loop: Header=BB21_3 Depth=1
	v_cmp_gt_u32_e32 vcc_lo, 24, v33
	s_mul_u64 s[6:7], s[54:55], s[28:29]
	s_wait_alu 0xfffe
	s_add_nc_u64 s[6:7], s[6:7], s[60:61]
	s_wait_alu 0xfffd
	v_cndmask_b32_e64 v17, 0, 8, vcc_lo
	v_cmp_gt_u32_e32 vcc_lo, 28, v33
	s_delay_alu instid0(VALU_DEP_2) | instskip(SKIP_3) | instid1(VALU_DEP_2)
	v_add_lshl_u32 v38, v17, v33, 2
	s_wait_alu 0xfffd
	v_cndmask_b32_e64 v18, 0, 4, vcc_lo
	v_cmp_gt_u32_e32 vcc_lo, 30, v33
	v_add_lshl_u32 v39, v18, v33, 2
	s_wait_alu 0xfffd
	v_cndmask_b32_e64 v19, 0, 2, vcc_lo
	v_cmp_ne_u32_e32 vcc_lo, 31, v33
	s_delay_alu instid0(VALU_DEP_2)
	v_add_lshl_u32 v40, v19, v33, 2
	s_wait_alu 0xfffd
	v_add_co_ci_u32_e64 v20, null, 0, v33, vcc_lo
	v_add_co_u32 v17, vcc_lo, s62, v5
	s_wait_alu 0xfffd
	v_add_co_ci_u32_e64 v18, null, s63, v6, vcc_lo
	v_add_co_u32 v19, vcc_lo, s62, v9
	v_lshlrev_b32_e32 v41, 2, v20
	s_wait_alu 0xfffd
	v_add_co_ci_u32_e64 v20, null, s63, v10, vcc_lo
	v_add_co_u32 v21, vcc_lo, s62, v11
	s_wait_alu 0xfffd
	v_add_co_ci_u32_e64 v22, null, s63, v12, vcc_lo
	v_add_co_u32 v23, vcc_lo, s62, v13
	s_wait_alu 0xfffd
	v_add_co_ci_u32_e64 v24, null, s63, v14, vcc_lo
	s_wait_alu 0xfffe
	v_add_co_u32 v25, vcc_lo, v29, s6
	s_wait_alu 0xfffd
	v_add_co_ci_u32_e64 v26, null, s7, v30, vcc_lo
	s_branch .LBB21_62
.LBB21_61:                              ;   in Loop: Header=BB21_62 Depth=2
	s_wait_alu 0xfffe
	s_or_b32 exec_lo, exec_lo, s6
	v_add_co_u32 v25, vcc_lo, v25, s54
	s_wait_alu 0xfffd
	v_add_co_ci_u32_e64 v26, null, s55, v26, vcc_lo
	s_add_co_i32 s28, s28, 1
	s_wait_alu 0xfffe
	s_cmp_ge_i32 s28, s35
	s_cbranch_scc1 .LBB21_2
.LBB21_62:                              ;   Parent Loop BB21_3 Depth=1
                                        ; =>  This Loop Header: Depth=2
                                        ;       Child Loop BB21_75 Depth 3
                                        ;       Child Loop BB21_78 Depth 3
	s_wait_dscnt 0x0
	v_mov_b32_e32 v42, s29
	s_and_saveexec_b32 s6, s1
	s_wait_alu 0xfffe
	s_xor_b32 s6, exec_lo, s6
	s_cbranch_execnz .LBB21_71
; %bb.63:                               ;   in Loop: Header=BB21_62 Depth=2
	s_wait_alu 0xfffe
	s_and_not1_saveexec_b32 s9, s6
	s_cbranch_execnz .LBB21_72
.LBB21_64:                              ;   in Loop: Header=BB21_62 Depth=2
	s_wait_alu 0xfffe
	s_or_b32 exec_lo, exec_lo, s9
	s_and_saveexec_b32 s6, s3
.LBB21_65:                              ;   in Loop: Header=BB21_62 Depth=2
	ds_store_b32 v31, v0
.LBB21_66:                              ;   in Loop: Header=BB21_62 Depth=2
	s_wait_alu 0xfffe
	s_or_b32 exec_lo, exec_lo, s6
	ds_bpermute_b32 v27, v34, v42
	s_wait_storecnt 0x0
	s_wait_loadcnt_dscnt 0x0
	s_barrier_signal -1
	s_barrier_wait -1
	global_inv scope:SCOPE_SE
	v_add_f32_e32 v27, v42, v27
	ds_bpermute_b32 v28, v38, v27
	s_wait_dscnt 0x0
	v_add_f32_e32 v27, v27, v28
	ds_bpermute_b32 v28, v39, v27
	s_wait_dscnt 0x0
	;; [unrolled: 3-line block ×3, first 2 shown]
	v_add_f32_e32 v27, v27, v28
	ds_bpermute_b32 v28, v41, v27
	s_and_saveexec_b32 s6, s4
	s_cbranch_execz .LBB21_68
; %bb.67:                               ;   in Loop: Header=BB21_62 Depth=2
	s_wait_dscnt 0x0
	v_add_f32_e32 v27, v27, v28
	ds_store_b32 v32, v27
.LBB21_68:                              ;   in Loop: Header=BB21_62 Depth=2
	s_wait_alu 0xfffe
	s_or_b32 exec_lo, exec_lo, s6
	v_mov_b32_e32 v27, 0
	s_wait_loadcnt_dscnt 0x0
	s_barrier_signal -1
	s_barrier_wait -1
	global_inv scope:SCOPE_SE
	s_and_saveexec_b32 s6, s5
	s_cbranch_execnz .LBB21_80
; %bb.69:                               ;   in Loop: Header=BB21_62 Depth=2
	s_wait_alu 0xfffe
	s_or_b32 exec_lo, exec_lo, s6
	s_and_saveexec_b32 s6, s3
	s_cbranch_execnz .LBB21_81
.LBB21_70:                              ;   in Loop: Header=BB21_62 Depth=2
	s_wait_alu 0xfffe
	s_or_b32 exec_lo, exec_lo, s6
	s_and_saveexec_b32 s6, s0
	s_cbranch_execz .LBB21_61
	s_branch .LBB21_82
.LBB21_71:                              ;   in Loop: Header=BB21_62 Depth=2
	s_mul_u64 s[8:9], s[28:29], s[30:31]
	s_wait_alu 0xfffe
	s_lshl_b64 s[8:9], s[8:9], 2
	s_wait_alu 0xfffe
	v_add_co_u32 v1, vcc_lo, v36, s8
	s_wait_alu 0xfffd
	v_add_co_ci_u32_e64 v2, null, s9, v37, vcc_lo
	global_load_b128 v[42:45], v[1:2], off
	s_clause 0x3
	global_load_b32 v1, v[17:18], off
	global_load_b32 v2, v[19:20], off
	;; [unrolled: 1-line block ×4, first 2 shown]
	s_wait_loadcnt 0x3
	v_fma_f32 v42, v1, v42, 0
	s_wait_loadcnt 0x2
	s_delay_alu instid0(VALU_DEP_1) | instskip(SKIP_1) | instid1(VALU_DEP_1)
	v_fmac_f32_e32 v42, v2, v43
	s_wait_loadcnt 0x1
	v_fmac_f32_e32 v42, v3, v44
	s_wait_loadcnt 0x0
	s_delay_alu instid0(VALU_DEP_1)
	v_fmac_f32_e32 v42, v4, v45
	s_and_not1_saveexec_b32 s9, s6
	s_cbranch_execz .LBB21_64
.LBB21_72:                              ;   in Loop: Header=BB21_62 Depth=2
	s_and_saveexec_b32 s11, s2
	s_cbranch_execz .LBB21_79
; %bb.73:                               ;   in Loop: Header=BB21_62 Depth=2
	s_and_not1_b32 vcc_lo, exec_lo, s34
	s_wait_alu 0xfffe
	s_cbranch_vccnz .LBB21_76
; %bb.74:                               ;   in Loop: Header=BB21_62 Depth=2
	v_dual_mov_b32 v28, v16 :: v_dual_mov_b32 v27, v15
	s_mov_b64 s[60:61], 0
.LBB21_75:                              ;   Parent Loop BB21_3 Depth=1
                                        ;     Parent Loop BB21_62 Depth=2
                                        ; =>    This Inner Loop Header: Depth=3
	global_load_b32 v43, v[27:28], off
	s_wait_alu 0xfffe
	s_cmp_eq_u32 s60, 3
	v_add_co_u32 v27, vcc_lo, v27, s46
	s_wait_alu 0xfffd
	v_add_co_ci_u32_e64 v28, null, s47, v28, vcc_lo
	s_cselect_b32 vcc_lo, -1, 0
	s_cmp_eq_u32 s60, 2
	s_cselect_b32 s6, -1, 0
	s_cmp_eq_u32 s60, 1
	s_cselect_b32 s7, -1, 0
	s_cmp_eq_u32 s60, 0
	s_add_nc_u64 s[60:61], s[60:61], 1
	s_cselect_b32 s8, -1, 0
	s_wait_alu 0xfffe
	s_cmp_eq_u32 s68, s60
	s_wait_loadcnt 0x0
	v_cndmask_b32_e32 v4, v4, v43, vcc_lo
	v_cndmask_b32_e64 v3, v3, v43, s6
	v_cndmask_b32_e64 v2, v2, v43, s7
	;; [unrolled: 1-line block ×3, first 2 shown]
	s_cbranch_scc0 .LBB21_75
.LBB21_76:                              ;   in Loop: Header=BB21_62 Depth=2
	s_and_not1_b32 vcc_lo, exec_lo, s34
	s_wait_alu 0xfffe
	s_cbranch_vccnz .LBB21_79
; %bb.77:                               ;   in Loop: Header=BB21_62 Depth=2
	v_dual_mov_b32 v28, v26 :: v_dual_mov_b32 v27, v25
	s_mov_b64 s[6:7], 0
.LBB21_78:                              ;   Parent Loop BB21_3 Depth=1
                                        ;     Parent Loop BB21_62 Depth=2
                                        ; =>    This Inner Loop Header: Depth=3
	global_load_b32 v43, v[27:28], off
	s_wait_alu 0xfffe
	s_cmp_eq_u32 s6, 1
	s_cselect_b32 vcc_lo, -1, 0
	s_cmp_eq_u32 s6, 2
	s_wait_alu 0xfffe
	v_cndmask_b32_e32 v44, v1, v2, vcc_lo
	s_cselect_b32 vcc_lo, -1, 0
	s_cmp_eq_u32 s6, 3
	s_add_nc_u64 s[6:7], s[6:7], 1
	s_wait_alu 0xfffe
	v_cndmask_b32_e32 v44, v44, v3, vcc_lo
	s_cselect_b32 vcc_lo, -1, 0
	s_cmp_lg_u32 s68, s6
	s_wait_alu 0xfffe
	s_delay_alu instid0(VALU_DEP_1)
	v_cndmask_b32_e32 v44, v44, v4, vcc_lo
	v_add_co_u32 v27, vcc_lo, v27, 4
	s_wait_alu 0xfffd
	v_add_co_ci_u32_e64 v28, null, 0, v28, vcc_lo
	s_wait_loadcnt 0x0
	v_fmac_f32_e32 v42, v44, v43
	s_cbranch_scc1 .LBB21_78
.LBB21_79:                              ;   in Loop: Header=BB21_62 Depth=2
	s_wait_alu 0xfffe
	s_or_b32 exec_lo, exec_lo, s11
	s_delay_alu instid0(SALU_CYCLE_1)
	s_or_b32 exec_lo, exec_lo, s9
	s_and_saveexec_b32 s6, s3
	s_cbranch_execnz .LBB21_65
	s_branch .LBB21_66
.LBB21_80:                              ;   in Loop: Header=BB21_62 Depth=2
	ds_load_b32 v27, v31
	s_wait_alu 0xfffe
	s_or_b32 exec_lo, exec_lo, s6
	s_and_saveexec_b32 s6, s3
	s_cbranch_execz .LBB21_70
.LBB21_81:                              ;   in Loop: Header=BB21_62 Depth=2
	s_wait_dscnt 0x0
	ds_bpermute_b32 v28, v39, v27
	s_wait_dscnt 0x0
	v_add_f32_e32 v27, v27, v28
	ds_bpermute_b32 v28, v40, v27
	s_wait_dscnt 0x0
	v_add_f32_e32 v27, v27, v28
	;; [unrolled: 3-line block ×3, first 2 shown]
	s_wait_alu 0xfffe
	s_or_b32 exec_lo, exec_lo, s6
	s_and_saveexec_b32 s6, s0
	s_cbranch_execz .LBB21_61
.LBB21_82:                              ;   in Loop: Header=BB21_62 Depth=2
	s_mul_u64 s[8:9], s[28:29], s[36:37]
	s_wait_dscnt 0x0
	v_mul_f32_e32 v27, v35, v27
	s_wait_alu 0xfffe
	s_lshl_b64 s[8:9], s[8:9], 2
	s_wait_alu 0xfffe
	s_add_nc_u64 s[8:9], s[58:59], s[8:9]
	global_store_b32 v0, v27, s[8:9]
	s_branch .LBB21_61
.LBB21_83:
	s_endpgm
	.section	.rodata,"a",@progbits
	.p2align	6, 0x0
	.amdhsa_kernel _ZL23rocblas_gemvt_sn_kernelILb0ELi256ELi4ElfPKffEviiT4_lPKT3_lilS5_lilPT5_i
		.amdhsa_group_segment_fixed_size 128
		.amdhsa_private_segment_fixed_size 0
		.amdhsa_kernarg_size 360
		.amdhsa_user_sgpr_count 2
		.amdhsa_user_sgpr_dispatch_ptr 0
		.amdhsa_user_sgpr_queue_ptr 0
		.amdhsa_user_sgpr_kernarg_segment_ptr 1
		.amdhsa_user_sgpr_dispatch_id 0
		.amdhsa_user_sgpr_private_segment_size 0
		.amdhsa_wavefront_size32 1
		.amdhsa_uses_dynamic_stack 0
		.amdhsa_enable_private_segment 0
		.amdhsa_system_sgpr_workgroup_id_x 1
		.amdhsa_system_sgpr_workgroup_id_y 0
		.amdhsa_system_sgpr_workgroup_id_z 1
		.amdhsa_system_sgpr_workgroup_info 0
		.amdhsa_system_vgpr_workitem_id 0
		.amdhsa_next_free_vgpr 61
		.amdhsa_next_free_sgpr 72
		.amdhsa_reserve_vcc 1
		.amdhsa_float_round_mode_32 0
		.amdhsa_float_round_mode_16_64 0
		.amdhsa_float_denorm_mode_32 3
		.amdhsa_float_denorm_mode_16_64 3
		.amdhsa_fp16_overflow 0
		.amdhsa_workgroup_processor_mode 1
		.amdhsa_memory_ordered 1
		.amdhsa_forward_progress 1
		.amdhsa_inst_pref_size 35
		.amdhsa_round_robin_scheduling 0
		.amdhsa_exception_fp_ieee_invalid_op 0
		.amdhsa_exception_fp_denorm_src 0
		.amdhsa_exception_fp_ieee_div_zero 0
		.amdhsa_exception_fp_ieee_overflow 0
		.amdhsa_exception_fp_ieee_underflow 0
		.amdhsa_exception_fp_ieee_inexact 0
		.amdhsa_exception_int_div_zero 0
	.end_amdhsa_kernel
	.section	.text._ZL23rocblas_gemvt_sn_kernelILb0ELi256ELi4ElfPKffEviiT4_lPKT3_lilS5_lilPT5_i,"axG",@progbits,_ZL23rocblas_gemvt_sn_kernelILb0ELi256ELi4ElfPKffEviiT4_lPKT3_lilS5_lilPT5_i,comdat
.Lfunc_end21:
	.size	_ZL23rocblas_gemvt_sn_kernelILb0ELi256ELi4ElfPKffEviiT4_lPKT3_lilS5_lilPT5_i, .Lfunc_end21-_ZL23rocblas_gemvt_sn_kernelILb0ELi256ELi4ElfPKffEviiT4_lPKT3_lilS5_lilPT5_i
                                        ; -- End function
	.set _ZL23rocblas_gemvt_sn_kernelILb0ELi256ELi4ElfPKffEviiT4_lPKT3_lilS5_lilPT5_i.num_vgpr, 61
	.set _ZL23rocblas_gemvt_sn_kernelILb0ELi256ELi4ElfPKffEviiT4_lPKT3_lilS5_lilPT5_i.num_agpr, 0
	.set _ZL23rocblas_gemvt_sn_kernelILb0ELi256ELi4ElfPKffEviiT4_lPKT3_lilS5_lilPT5_i.numbered_sgpr, 72
	.set _ZL23rocblas_gemvt_sn_kernelILb0ELi256ELi4ElfPKffEviiT4_lPKT3_lilS5_lilPT5_i.num_named_barrier, 0
	.set _ZL23rocblas_gemvt_sn_kernelILb0ELi256ELi4ElfPKffEviiT4_lPKT3_lilS5_lilPT5_i.private_seg_size, 0
	.set _ZL23rocblas_gemvt_sn_kernelILb0ELi256ELi4ElfPKffEviiT4_lPKT3_lilS5_lilPT5_i.uses_vcc, 1
	.set _ZL23rocblas_gemvt_sn_kernelILb0ELi256ELi4ElfPKffEviiT4_lPKT3_lilS5_lilPT5_i.uses_flat_scratch, 0
	.set _ZL23rocblas_gemvt_sn_kernelILb0ELi256ELi4ElfPKffEviiT4_lPKT3_lilS5_lilPT5_i.has_dyn_sized_stack, 0
	.set _ZL23rocblas_gemvt_sn_kernelILb0ELi256ELi4ElfPKffEviiT4_lPKT3_lilS5_lilPT5_i.has_recursion, 0
	.set _ZL23rocblas_gemvt_sn_kernelILb0ELi256ELi4ElfPKffEviiT4_lPKT3_lilS5_lilPT5_i.has_indirect_call, 0
	.section	.AMDGPU.csdata,"",@progbits
; Kernel info:
; codeLenInByte = 4472
; TotalNumSgprs: 74
; NumVgprs: 61
; ScratchSize: 0
; MemoryBound: 0
; FloatMode: 240
; IeeeMode: 1
; LDSByteSize: 128 bytes/workgroup (compile time only)
; SGPRBlocks: 0
; VGPRBlocks: 7
; NumSGPRsForWavesPerEU: 74
; NumVGPRsForWavesPerEU: 61
; Occupancy: 16
; WaveLimiterHint : 0
; COMPUTE_PGM_RSRC2:SCRATCH_EN: 0
; COMPUTE_PGM_RSRC2:USER_SGPR: 2
; COMPUTE_PGM_RSRC2:TRAP_HANDLER: 0
; COMPUTE_PGM_RSRC2:TGID_X_EN: 1
; COMPUTE_PGM_RSRC2:TGID_Y_EN: 0
; COMPUTE_PGM_RSRC2:TGID_Z_EN: 1
; COMPUTE_PGM_RSRC2:TIDIG_COMP_CNT: 0
	.section	.text._ZL23rocblas_gemvt_sn_kernelILb0ELi256ELi4EifffEviiT4_lPKT3_lilS3_lilPT5_i,"axG",@progbits,_ZL23rocblas_gemvt_sn_kernelILb0ELi256ELi4EifffEviiT4_lPKT3_lilS3_lilPT5_i,comdat
	.globl	_ZL23rocblas_gemvt_sn_kernelILb0ELi256ELi4EifffEviiT4_lPKT3_lilS3_lilPT5_i ; -- Begin function _ZL23rocblas_gemvt_sn_kernelILb0ELi256ELi4EifffEviiT4_lPKT3_lilS3_lilPT5_i
	.p2align	8
	.type	_ZL23rocblas_gemvt_sn_kernelILb0ELi256ELi4EifffEviiT4_lPKT3_lilS3_lilPT5_i,@function
_ZL23rocblas_gemvt_sn_kernelILb0ELi256ELi4EifffEviiT4_lPKT3_lilS3_lilPT5_i: ; @_ZL23rocblas_gemvt_sn_kernelILb0ELi256ELi4EifffEviiT4_lPKT3_lilS3_lilPT5_i
; %bb.0:
	s_load_b32 s11, s[0:1], 0x60
	s_lshr_b32 s24, ttmp7, 16
	s_wait_kmcnt 0x0
	s_cmp_ge_u32 s24, s11
	s_cbranch_scc1 .LBB22_83
; %bb.1:
	s_clause 0x6
	s_load_b96 s[8:10], s[0:1], 0x40
	s_load_b128 s[4:7], s[0:1], 0x18
	s_load_b96 s[20:22], s[0:1], 0x0
	s_load_b128 s[12:15], s[0:1], 0x30
	s_load_b32 s28, s[0:1], 0x68
	s_load_b32 s30, s[0:1], 0x28
	s_load_b128 s[16:19], s[0:1], 0x50
	v_cmp_eq_u32_e64 s0, 0, v0
	v_mbcnt_lo_u32_b32 v28, -1, 0
	s_mov_b32 s35, 0
	s_mov_b32 s26, ttmp9
	s_mov_b32 s29, s35
	s_mov_b32 s27, s35
	v_lshl_or_b32 v29, v28, 2, 64
	s_mov_b32 s31, s35
	s_mov_b32 s47, s35
	s_wait_kmcnt 0x0
	s_lshl_b64 s[2:3], s[8:9], 2
	s_lshl_b64 s[6:7], s[6:7], 2
	s_ashr_i32 s9, s21, 31
	s_cmp_eq_f32 s22, 0
	s_add_nc_u64 s[14:15], s[14:15], s[2:3]
	s_add_nc_u64 s[2:3], s[4:5], s[6:7]
	s_mov_b32 s8, s21
	s_cselect_b32 s23, -1, 0
	s_cmp_gt_i32 s21, 0
	s_mul_u64 s[36:37], s[8:9], s[28:29]
	s_cselect_b32 s1, -1, 0
	s_lshl_b32 s4, ttmp9, 10
	s_lshr_b32 s5, s9, 30
	v_lshl_or_b32 v1, v0, 2, s4
	s_ashr_i32 s6, s20, 31
	s_and_b32 s33, s0, s1
	s_add_co_i32 s1, s21, s5
	s_lshr_b32 s4, s6, 30
	v_ashrrev_i32_e32 v2, 31, v1
	s_and_b32 s70, s1, -4
	s_wait_alu 0xfffe
	s_add_co_i32 s1, s20, s4
	v_mul_lo_u32 v5, s10, v1
	s_and_b32 s1, s1, -4
	v_lshlrev_b64_e32 v[2:3], 2, v[1:2]
	s_sub_co_i32 s71, s20, s1
	v_add_nc_u32_e32 v4, 4, v1
	v_add_nc_u32_e32 v1, s71, v1
	v_cmp_gt_u32_e64 s5, 8, v0
	s_cmp_gt_i32 s70, 0
	v_add_co_u32 v24, vcc_lo, s2, v2
	v_cmp_ge_i32_e64 s1, s20, v4
	v_add_co_ci_u32_e64 v25, null, s3, v3, vcc_lo
	v_and_b32_e32 v2, 31, v0
	v_cmp_gt_u32_e64 s3, 32, v0
	v_lshrrev_b32_e32 v4, 3, v0
	v_mov_b32_e32 v0, 0
	v_cmp_ge_i32_e64 s2, s20, v1
	v_add_nc_u32_e32 v1, s10, v5
	v_cmp_eq_u32_e64 s4, 0, v2
	v_lshlrev_b32_e32 v26, 2, v2
	v_and_b32_e32 v27, 28, v4
	v_ashrrev_i32_e32 v6, 31, v5
	v_add_nc_u32_e32 v3, s10, v1
	v_ashrrev_i32_e32 v2, 31, v1
	s_cselect_b32 s72, -1, 0
	s_cmp_gt_i32 s71, 0
	v_lshlrev_b64_e32 v[6:7], 2, v[5:6]
	v_add_nc_u32_e32 v12, s10, v3
	v_ashrrev_i32_e32 v4, 31, v3
	s_cselect_b32 s20, -1, 0
	s_lshl_b32 s34, s30, 1
	v_lshlrev_b64_e32 v[8:9], 2, v[1:2]
	v_ashrrev_i32_e32 v13, 31, v12
	v_lshlrev_b64_e32 v[10:11], 2, v[3:4]
	s_lshl_b64 s[38:39], s[26:27], 2
	s_mov_b64 s[48:49], s[34:35]
	s_mul_i32 s34, s30, 3
	v_lshlrev_b64_e32 v[12:13], 2, v[12:13]
	s_add_nc_u64 s[40:41], s[18:19], s[38:39]
	s_lshl_b64 s[42:43], s[36:37], 2
	s_lshl_b64 s[44:45], s[28:29], 2
	s_lshl_b32 s46, s30, 2
	s_mov_b64 s[50:51], s[34:35]
	s_lshl_b64 s[52:53], s[12:13], 2
	s_branch .LBB22_3
.LBB22_2:                               ;   in Loop: Header=BB22_3 Depth=1
	s_add_co_i32 s24, s24, 0x10000
	s_delay_alu instid0(SALU_CYCLE_1)
	s_cmp_lt_u32 s24, s11
	s_cbranch_scc0 .LBB22_83
.LBB22_3:                               ; =>This Loop Header: Depth=1
                                        ;     Child Loop BB22_6 Depth 2
                                        ;     Child Loop BB22_12 Depth 2
                                        ;       Child Loop BB22_43 Depth 3
                                        ;       Child Loop BB22_46 Depth 3
                                        ;     Child Loop BB22_62 Depth 2
                                        ;       Child Loop BB22_75 Depth 3
                                        ;       Child Loop BB22_78 Depth 3
	s_mov_b32 s25, s35
	s_and_not1_b32 vcc_lo, exec_lo, s23
	s_mov_b32 s6, -1
	s_wait_alu 0xfffe
	s_cbranch_vccnz .LBB22_8
; %bb.4:                                ;   in Loop: Header=BB22_3 Depth=1
	s_and_saveexec_b32 s8, s33
	s_cbranch_execz .LBB22_7
; %bb.5:                                ;   in Loop: Header=BB22_3 Depth=1
	s_mul_u64 s[6:7], s[42:43], s[24:25]
	s_mov_b32 s9, s21
	s_wait_alu 0xfffe
	s_add_nc_u64 s[6:7], s[40:41], s[6:7]
.LBB22_6:                               ;   Parent Loop BB22_3 Depth=1
                                        ; =>  This Inner Loop Header: Depth=2
	s_add_co_i32 s9, s9, -1
	global_store_b32 v0, v0, s[6:7]
	s_wait_alu 0xfffe
	s_cmp_eq_u32 s9, 0
	s_add_nc_u64 s[6:7], s[6:7], s[44:45]
	s_cbranch_scc0 .LBB22_6
.LBB22_7:                               ;   in Loop: Header=BB22_3 Depth=1
	s_wait_alu 0xfffe
	s_or_b32 exec_lo, exec_lo, s8
	s_mov_b32 s6, 0
.LBB22_8:                               ;   in Loop: Header=BB22_3 Depth=1
	s_wait_alu 0xfffe
	s_and_not1_b32 vcc_lo, exec_lo, s6
	s_wait_alu 0xfffe
	s_cbranch_vccnz .LBB22_2
; %bb.9:                                ;   in Loop: Header=BB22_3 Depth=1
	s_mul_u64 s[6:7], s[16:17], s[24:25]
	s_mul_u64 s[8:9], s[12:13], s[24:25]
	s_wait_alu 0xfffe
	s_lshl_b64 s[6:7], s[6:7], 2
	s_mul_u64 s[58:59], s[36:37], s[24:25]
	s_wait_alu 0xfffe
	s_add_nc_u64 s[54:55], s[14:15], s[6:7]
	s_lshl_b64 s[6:7], s[8:9], 2
	v_cmp_gt_u32_e64 s9, 24, v28
	s_wait_alu 0xfffe
	v_add_co_u32 v30, vcc_lo, v24, s6
	s_wait_alu 0xfffd
	v_add_co_ci_u32_e64 v31, null, s7, v25, vcc_lo
	v_cmp_gt_u32_e64 s8, 28, v28
	v_cmp_gt_u32_e64 s7, 30, v28
	v_cmp_ne_u32_e64 s6, 31, v28
	s_lshl_b64 s[58:59], s[58:59], 2
	s_mul_u64 s[56:57], s[52:53], s[24:25]
	s_and_not1_b32 vcc_lo, exec_lo, s72
	s_add_nc_u64 s[58:59], s[18:19], s[58:59]
	s_wait_alu 0xfffe
	s_cbranch_vccnz .LBB22_58
; %bb.10:                               ;   in Loop: Header=BB22_3 Depth=1
	s_wait_alu 0xf1ff
	v_cndmask_b32_e64 v3, 0, 2, s7
	v_add_co_u32 v14, vcc_lo, s54, v6
	s_wait_alu 0xfffd
	v_add_co_ci_u32_e64 v15, null, s55, v7, vcc_lo
	v_add_co_u32 v16, vcc_lo, s54, v8
	v_cndmask_b32_e64 v1, 0, 8, s9
	v_cndmask_b32_e64 v2, 0, 4, s8
	v_add_co_ci_u32_e64 v4, null, 0, v28, s6
	v_add_lshl_u32 v34, v3, v28, 2
	s_wait_alu 0xfffd
	v_add_co_ci_u32_e64 v17, null, s55, v9, vcc_lo
	v_add_co_u32 v18, vcc_lo, s54, v10
	v_mov_b32_e32 v3, v0
	s_wait_alu 0xfffd
	v_add_co_ci_u32_e64 v19, null, s55, v11, vcc_lo
	v_add_co_u32 v20, vcc_lo, s54, v12
	v_add_lshl_u32 v32, v1, v28, 2
	v_add_lshl_u32 v33, v2, v28, 2
	v_dual_mov_b32 v2, v0 :: v_dual_lshlrev_b32 v35, 2, v4
	s_wait_alu 0xfffd
	v_add_co_ci_u32_e64 v21, null, s55, v13, vcc_lo
	v_mov_b32_e32 v1, v0
	v_add_co_u32 v36, vcc_lo, v24, s56
	v_mov_b32_e32 v4, v3
	s_wait_alu 0xfffd
	v_add_co_ci_u32_e64 v37, null, s57, v25, vcc_lo
	v_mov_b32_e32 v3, v2
	v_mov_b32_e32 v2, v1
	;; [unrolled: 1-line block ×3, first 2 shown]
	s_mov_b32 s60, 0
	s_mov_b64 s[62:63], s[50:51]
	s_mov_b64 s[64:65], s[48:49]
	;; [unrolled: 1-line block ×3, first 2 shown]
	s_mov_b32 s25, 0
	s_branch .LBB22_12
.LBB22_11:                              ;   in Loop: Header=BB22_12 Depth=2
	s_wait_alu 0xfffe
	s_or_b32 exec_lo, exec_lo, s6
	s_add_co_i32 s25, s25, 4
	s_add_co_i32 s60, s60, s46
	s_add_nc_u64 s[66:67], s[66:67], s[46:47]
	s_add_nc_u64 s[64:65], s[64:65], s[46:47]
	s_cmp_ge_i32 s25, s70
	s_add_nc_u64 s[62:63], s[62:63], s[46:47]
	s_cbranch_scc1 .LBB22_59
.LBB22_12:                              ;   Parent Loop BB22_3 Depth=1
                                        ; =>  This Loop Header: Depth=2
                                        ;       Child Loop BB22_43 Depth 3
                                        ;       Child Loop BB22_46 Depth 3
                                        ; implicit-def: $vgpr38
                                        ; implicit-def: $vgpr39
                                        ; implicit-def: $vgpr40
                                        ; implicit-def: $vgpr41
	s_and_saveexec_b32 s6, s1
	s_wait_alu 0xfffe
	s_xor_b32 s6, exec_lo, s6
	s_cbranch_execnz .LBB22_39
; %bb.13:                               ;   in Loop: Header=BB22_12 Depth=2
	s_wait_alu 0xfffe
	s_and_not1_saveexec_b32 s27, s6
	s_cbranch_execnz .LBB22_40
.LBB22_14:                              ;   in Loop: Header=BB22_12 Depth=2
	s_or_b32 exec_lo, exec_lo, s27
	s_and_saveexec_b32 s6, s3
.LBB22_15:                              ;   in Loop: Header=BB22_12 Depth=2
	ds_store_b32 v26, v0
.LBB22_16:                              ;   in Loop: Header=BB22_12 Depth=2
	s_wait_alu 0xfffe
	s_or_b32 exec_lo, exec_lo, s6
	s_wait_dscnt 0x0
	ds_bpermute_b32 v22, v29, v41
	s_wait_storecnt_dscnt 0x0
	s_barrier_signal -1
	s_barrier_wait -1
	global_inv scope:SCOPE_SE
	v_add_f32_e32 v22, v41, v22
	ds_bpermute_b32 v23, v32, v22
	s_wait_dscnt 0x0
	v_add_f32_e32 v22, v22, v23
	ds_bpermute_b32 v23, v33, v22
	s_wait_dscnt 0x0
	;; [unrolled: 3-line block ×3, first 2 shown]
	v_add_f32_e32 v22, v22, v23
	ds_bpermute_b32 v23, v35, v22
	s_and_saveexec_b32 s6, s4
	s_cbranch_execz .LBB22_18
; %bb.17:                               ;   in Loop: Header=BB22_12 Depth=2
	s_wait_dscnt 0x0
	v_add_f32_e32 v22, v22, v23
	ds_store_b32 v27, v22
.LBB22_18:                              ;   in Loop: Header=BB22_12 Depth=2
	s_wait_alu 0xfffe
	s_or_b32 exec_lo, exec_lo, s6
	v_mov_b32_e32 v22, 0
	s_wait_loadcnt_dscnt 0x0
	s_barrier_signal -1
	s_barrier_wait -1
	global_inv scope:SCOPE_SE
	s_and_saveexec_b32 s6, s5
	s_cbranch_execnz .LBB22_47
; %bb.19:                               ;   in Loop: Header=BB22_12 Depth=2
	s_wait_alu 0xfffe
	s_or_b32 exec_lo, exec_lo, s6
	s_and_saveexec_b32 s6, s3
	s_cbranch_execnz .LBB22_48
.LBB22_20:                              ;   in Loop: Header=BB22_12 Depth=2
	s_wait_alu 0xfffe
	s_or_b32 exec_lo, exec_lo, s6
	s_and_saveexec_b32 s6, s3
.LBB22_21:                              ;   in Loop: Header=BB22_12 Depth=2
	ds_store_b32 v26, v0
.LBB22_22:                              ;   in Loop: Header=BB22_12 Depth=2
	s_wait_alu 0xfffe
	s_or_b32 exec_lo, exec_lo, s6
	ds_bpermute_b32 v23, v29, v40
	s_wait_loadcnt_dscnt 0x0
	s_barrier_signal -1
	s_barrier_wait -1
	global_inv scope:SCOPE_SE
	v_add_f32_e32 v23, v40, v23
	ds_bpermute_b32 v40, v32, v23
	s_wait_dscnt 0x0
	v_add_f32_e32 v23, v23, v40
	ds_bpermute_b32 v40, v33, v23
	s_wait_dscnt 0x0
	;; [unrolled: 3-line block ×3, first 2 shown]
	v_add_f32_e32 v23, v23, v40
	ds_bpermute_b32 v40, v35, v23
	s_and_saveexec_b32 s6, s4
	s_cbranch_execz .LBB22_24
; %bb.23:                               ;   in Loop: Header=BB22_12 Depth=2
	s_wait_dscnt 0x0
	v_add_f32_e32 v23, v23, v40
	ds_store_b32 v27, v23
.LBB22_24:                              ;   in Loop: Header=BB22_12 Depth=2
	s_wait_alu 0xfffe
	s_or_b32 exec_lo, exec_lo, s6
	v_mov_b32_e32 v23, 0
	s_wait_loadcnt_dscnt 0x0
	s_barrier_signal -1
	s_barrier_wait -1
	global_inv scope:SCOPE_SE
	s_and_saveexec_b32 s6, s5
	s_cbranch_execnz .LBB22_49
; %bb.25:                               ;   in Loop: Header=BB22_12 Depth=2
	s_wait_alu 0xfffe
	s_or_b32 exec_lo, exec_lo, s6
	s_and_saveexec_b32 s6, s3
	s_cbranch_execnz .LBB22_50
.LBB22_26:                              ;   in Loop: Header=BB22_12 Depth=2
	s_wait_alu 0xfffe
	s_or_b32 exec_lo, exec_lo, s6
	s_and_saveexec_b32 s6, s3
.LBB22_27:                              ;   in Loop: Header=BB22_12 Depth=2
	ds_store_b32 v26, v0
.LBB22_28:                              ;   in Loop: Header=BB22_12 Depth=2
	s_wait_alu 0xfffe
	s_or_b32 exec_lo, exec_lo, s6
	ds_bpermute_b32 v40, v29, v39
	s_wait_loadcnt_dscnt 0x0
	s_barrier_signal -1
	s_barrier_wait -1
	global_inv scope:SCOPE_SE
	v_add_f32_e32 v39, v39, v40
	ds_bpermute_b32 v40, v32, v39
	s_wait_dscnt 0x0
	v_add_f32_e32 v39, v39, v40
	ds_bpermute_b32 v40, v33, v39
	s_wait_dscnt 0x0
	v_add_f32_e32 v39, v39, v40
	ds_bpermute_b32 v40, v34, v39
	s_wait_dscnt 0x0
	v_add_f32_e32 v39, v39, v40
	ds_bpermute_b32 v40, v35, v39
	s_and_saveexec_b32 s6, s4
	s_cbranch_execz .LBB22_30
; %bb.29:                               ;   in Loop: Header=BB22_12 Depth=2
	s_wait_dscnt 0x0
	v_add_f32_e32 v39, v39, v40
	ds_store_b32 v27, v39
.LBB22_30:                              ;   in Loop: Header=BB22_12 Depth=2
	s_wait_alu 0xfffe
	s_or_b32 exec_lo, exec_lo, s6
	v_mov_b32_e32 v39, 0
	s_wait_loadcnt_dscnt 0x0
	s_barrier_signal -1
	s_barrier_wait -1
	global_inv scope:SCOPE_SE
	s_and_saveexec_b32 s6, s5
	s_cbranch_execnz .LBB22_51
; %bb.31:                               ;   in Loop: Header=BB22_12 Depth=2
	s_wait_alu 0xfffe
	s_or_b32 exec_lo, exec_lo, s6
	s_and_saveexec_b32 s6, s3
	s_cbranch_execnz .LBB22_52
.LBB22_32:                              ;   in Loop: Header=BB22_12 Depth=2
	s_wait_alu 0xfffe
	s_or_b32 exec_lo, exec_lo, s6
	s_and_saveexec_b32 s6, s3
.LBB22_33:                              ;   in Loop: Header=BB22_12 Depth=2
	ds_store_b32 v26, v0
.LBB22_34:                              ;   in Loop: Header=BB22_12 Depth=2
	s_wait_alu 0xfffe
	s_or_b32 exec_lo, exec_lo, s6
	ds_bpermute_b32 v40, v29, v38
	s_wait_loadcnt_dscnt 0x0
	s_barrier_signal -1
	s_barrier_wait -1
	global_inv scope:SCOPE_SE
	v_add_f32_e32 v38, v38, v40
	ds_bpermute_b32 v40, v32, v38
	s_wait_dscnt 0x0
	v_add_f32_e32 v38, v38, v40
	ds_bpermute_b32 v40, v33, v38
	s_wait_dscnt 0x0
	;; [unrolled: 3-line block ×3, first 2 shown]
	v_add_f32_e32 v38, v38, v40
	ds_bpermute_b32 v40, v35, v38
	s_and_saveexec_b32 s6, s4
	s_cbranch_execz .LBB22_36
; %bb.35:                               ;   in Loop: Header=BB22_12 Depth=2
	s_wait_dscnt 0x0
	v_add_f32_e32 v38, v38, v40
	ds_store_b32 v27, v38
.LBB22_36:                              ;   in Loop: Header=BB22_12 Depth=2
	s_wait_alu 0xfffe
	s_or_b32 exec_lo, exec_lo, s6
	v_mov_b32_e32 v38, 0
	s_wait_loadcnt_dscnt 0x0
	s_barrier_signal -1
	s_barrier_wait -1
	global_inv scope:SCOPE_SE
	s_and_saveexec_b32 s6, s5
	s_cbranch_execnz .LBB22_53
; %bb.37:                               ;   in Loop: Header=BB22_12 Depth=2
	s_wait_alu 0xfffe
	s_or_b32 exec_lo, exec_lo, s6
	s_and_saveexec_b32 s6, s3
	s_cbranch_execnz .LBB22_54
.LBB22_38:                              ;   in Loop: Header=BB22_12 Depth=2
	s_wait_alu 0xfffe
	s_or_b32 exec_lo, exec_lo, s6
	s_and_saveexec_b32 s6, s0
	s_cbranch_execz .LBB22_11
	s_branch .LBB22_55
.LBB22_39:                              ;   in Loop: Header=BB22_12 Depth=2
	s_mul_i32 s8, s25, s30
	s_wait_alu 0xfffe
	s_ashr_i32 s9, s8, 31
	s_add_co_i32 s68, s8, s30
	s_wait_alu 0xfffe
	s_lshl_b64 s[8:9], s[8:9], 2
	s_ashr_i32 s69, s68, 31
	s_wait_alu 0xfffe
	v_add_co_u32 v2, vcc_lo, v30, s8
	s_wait_alu 0xfffd
	v_add_co_ci_u32_e64 v3, null, s9, v31, vcc_lo
	s_lshl_b64 s[8:9], s[68:69], 2
	s_add_co_i32 s68, s68, s30
	s_wait_dscnt 0x0
	s_wait_alu 0xfffe
	v_add_co_u32 v22, vcc_lo, v30, s8
	s_ashr_i32 s69, s68, 31
	s_add_co_i32 s8, s68, s30
	s_wait_alu 0xfffd
	v_add_co_ci_u32_e64 v23, null, s9, v31, vcc_lo
	s_wait_alu 0xfffe
	s_lshl_b64 s[68:69], s[68:69], 2
	s_ashr_i32 s9, s8, 31
	s_wait_alu 0xfffe
	v_add_co_u32 v38, vcc_lo, v30, s68
	s_lshl_b64 s[8:9], s[8:9], 2
	s_wait_alu 0xfffd
	v_add_co_ci_u32_e64 v39, null, s69, v31, vcc_lo
	s_wait_alu 0xfffe
	v_add_co_u32 v53, vcc_lo, v30, s8
	s_wait_alu 0xfffd
	v_add_co_ci_u32_e64 v54, null, s9, v31, vcc_lo
	global_load_b32 v1, v[14:15], off
	s_clause 0x3
	global_load_b128 v[41:44], v[2:3], off
	global_load_b128 v[45:48], v[22:23], off
	;; [unrolled: 1-line block ×4, first 2 shown]
	s_clause 0x2
	global_load_b32 v2, v[16:17], off
	global_load_b32 v3, v[18:19], off
	;; [unrolled: 1-line block ×3, first 2 shown]
	s_wait_loadcnt 0x6
	v_fma_f32 v41, v1, v41, 0
	s_wait_loadcnt 0x5
	v_fma_f32 v40, v1, v45, 0
	s_wait_loadcnt 0x4
	v_fma_f32 v39, v1, v49, 0
	s_wait_loadcnt 0x3
	v_fma_f32 v38, v1, v53, 0
	s_wait_loadcnt 0x2
	v_fmac_f32_e32 v40, v2, v46
	v_fmac_f32_e32 v41, v2, v42
	s_delay_alu instid0(VALU_DEP_3) | instskip(SKIP_1) | instid1(VALU_DEP_3)
	v_fmac_f32_e32 v38, v2, v54
	s_wait_loadcnt 0x1
	v_dual_fmac_f32 v39, v2, v50 :: v_dual_fmac_f32 v40, v3, v47
	s_delay_alu instid0(VALU_DEP_3) | instskip(NEXT) | instid1(VALU_DEP_3)
	v_fmac_f32_e32 v41, v3, v43
	v_fmac_f32_e32 v38, v3, v55
	s_wait_loadcnt 0x0
	s_delay_alu instid0(VALU_DEP_3) | instskip(NEXT) | instid1(VALU_DEP_3)
	v_dual_fmac_f32 v39, v3, v51 :: v_dual_fmac_f32 v40, v4, v48
	v_fmac_f32_e32 v41, v4, v44
	s_delay_alu instid0(VALU_DEP_3) | instskip(NEXT) | instid1(VALU_DEP_3)
	v_fmac_f32_e32 v38, v4, v56
	v_fmac_f32_e32 v39, v4, v52
	s_and_not1_saveexec_b32 s27, s6
	s_cbranch_execz .LBB22_14
.LBB22_40:                              ;   in Loop: Header=BB22_12 Depth=2
	s_wait_dscnt 0x0
	v_dual_mov_b32 v38, 0 :: v_dual_mov_b32 v39, 0
	v_dual_mov_b32 v40, 0 :: v_dual_mov_b32 v41, 0
	s_and_saveexec_b32 s34, s2
	s_cbranch_execz .LBB22_57
; %bb.41:                               ;   in Loop: Header=BB22_12 Depth=2
	s_and_not1_b32 vcc_lo, exec_lo, s20
	s_wait_alu 0xfffe
	s_cbranch_vccnz .LBB22_44
; %bb.42:                               ;   in Loop: Header=BB22_12 Depth=2
	v_mov_b32_e32 v22, v5
	s_mov_b64 s[68:69], 0
.LBB22_43:                              ;   Parent Loop BB22_3 Depth=1
                                        ;     Parent Loop BB22_12 Depth=2
                                        ; =>    This Inner Loop Header: Depth=3
	s_delay_alu instid0(VALU_DEP_1) | instskip(SKIP_2) | instid1(VALU_DEP_1)
	v_ashrrev_i32_e32 v23, 31, v22
	s_wait_alu 0xfffe
	s_cmp_eq_u32 s68, 3
	v_lshlrev_b64_e32 v[38:39], 2, v[22:23]
	v_add_nc_u32_e32 v22, s10, v22
	s_delay_alu instid0(VALU_DEP_2) | instskip(SKIP_1) | instid1(VALU_DEP_3)
	v_add_co_u32 v38, vcc_lo, s54, v38
	s_wait_alu 0xfffd
	v_add_co_ci_u32_e64 v39, null, s55, v39, vcc_lo
	s_cselect_b32 vcc_lo, -1, 0
	s_cmp_eq_u32 s68, 2
	s_cselect_b32 s6, -1, 0
	global_load_b32 v23, v[38:39], off
	s_cmp_eq_u32 s68, 1
	s_cselect_b32 s7, -1, 0
	s_cmp_eq_u32 s68, 0
	s_add_nc_u64 s[68:69], s[68:69], 1
	s_cselect_b32 s8, -1, 0
	s_wait_alu 0xfffe
	s_cmp_eq_u32 s71, s68
	s_wait_loadcnt 0x0
	v_cndmask_b32_e32 v4, v4, v23, vcc_lo
	v_cndmask_b32_e64 v3, v3, v23, s6
	v_cndmask_b32_e64 v2, v2, v23, s7
	;; [unrolled: 1-line block ×3, first 2 shown]
	s_cbranch_scc0 .LBB22_43
.LBB22_44:                              ;   in Loop: Header=BB22_12 Depth=2
	s_and_not1_b32 vcc_lo, exec_lo, s20
	s_wait_alu 0xfffe
	s_cbranch_vccnz .LBB22_56
; %bb.45:                               ;   in Loop: Header=BB22_12 Depth=2
	s_ashr_i32 s61, s60, 31
	v_dual_mov_b32 v41, 0 :: v_dual_mov_b32 v40, 0
	s_lshl_b64 s[6:7], s[60:61], 2
	v_dual_mov_b32 v39, 0 :: v_dual_mov_b32 v38, 0
	s_wait_alu 0xfffe
	v_add_co_u32 v22, vcc_lo, v36, s6
	s_wait_alu 0xfffd
	v_add_co_ci_u32_e64 v23, null, s7, v37, vcc_lo
	s_mov_b64 s[8:9], 0
.LBB22_46:                              ;   Parent Loop BB22_3 Depth=1
                                        ;     Parent Loop BB22_12 Depth=2
                                        ; =>    This Inner Loop Header: Depth=3
	s_wait_alu 0xfffe
	s_cmp_eq_u32 s8, 1
	s_cselect_b32 vcc_lo, -1, 0
	s_cmp_eq_u32 s8, 2
	s_wait_alu 0xfffe
	v_cndmask_b32_e32 v42, v1, v2, vcc_lo
	s_cselect_b32 vcc_lo, -1, 0
	s_cmp_eq_u32 s8, 3
	s_wait_alu 0xfffe
	s_delay_alu instid0(VALU_DEP_1)
	v_cndmask_b32_e32 v48, v42, v3, vcc_lo
	s_cselect_b32 vcc_lo, -1, 0
	s_add_co_i32 s6, s66, s8
	s_add_co_i32 s68, s64, s8
	s_wait_alu 0xfffe
	s_ashr_i32 s7, s6, 31
	s_add_co_i32 s74, s62, s8
	s_ashr_i32 s69, s68, 31
	s_wait_alu 0xfffe
	s_lshl_b64 s[6:7], s[6:7], 2
	s_ashr_i32 s75, s74, 31
	s_lshl_b64 s[68:69], s[68:69], 2
	s_wait_alu 0xfffe
	v_add_co_u32 v42, s6, v30, s6
	s_lshl_b64 s[74:75], s[74:75], 2
	v_add_co_ci_u32_e64 v43, null, s7, v31, s6
	v_add_co_u32 v44, s6, v30, s68
	s_wait_alu 0xf1ff
	v_add_co_ci_u32_e64 v45, null, s69, v31, s6
	s_wait_alu 0xfffe
	v_add_co_u32 v46, s6, v30, s74
	s_wait_alu 0xf1ff
	v_add_co_ci_u32_e64 v47, null, s75, v31, s6
	global_load_b32 v49, v[22:23], off
	s_clause 0x2
	global_load_b32 v42, v[42:43], off
	global_load_b32 v43, v[44:45], off
	;; [unrolled: 1-line block ×3, first 2 shown]
	v_cndmask_b32_e32 v45, v48, v4, vcc_lo
	v_add_co_u32 v22, s6, v22, 4
	s_wait_alu 0xf1ff
	v_add_co_ci_u32_e64 v23, null, 0, v23, s6
	s_add_nc_u64 s[8:9], s[8:9], 1
	s_wait_alu 0xfffe
	s_cmp_lg_u32 s71, s8
	s_wait_loadcnt 0x3
	v_fmac_f32_e32 v41, v45, v49
	s_wait_loadcnt 0x2
	v_fmac_f32_e32 v40, v45, v42
	;; [unrolled: 2-line block ×4, first 2 shown]
	s_cbranch_scc1 .LBB22_46
	s_branch .LBB22_57
.LBB22_47:                              ;   in Loop: Header=BB22_12 Depth=2
	ds_load_b32 v22, v26
	s_wait_alu 0xfffe
	s_or_b32 exec_lo, exec_lo, s6
	s_and_saveexec_b32 s6, s3
	s_cbranch_execz .LBB22_20
.LBB22_48:                              ;   in Loop: Header=BB22_12 Depth=2
	s_wait_dscnt 0x0
	ds_bpermute_b32 v23, v33, v22
	s_wait_dscnt 0x0
	v_add_f32_e32 v22, v22, v23
	ds_bpermute_b32 v23, v34, v22
	s_wait_dscnt 0x0
	v_add_f32_e32 v22, v22, v23
	ds_bpermute_b32 v23, v35, v22
	s_wait_dscnt 0x0
	v_add_f32_e32 v22, v22, v23
	s_wait_alu 0xfffe
	s_or_b32 exec_lo, exec_lo, s6
	s_and_saveexec_b32 s6, s3
	s_cbranch_execnz .LBB22_21
	s_branch .LBB22_22
.LBB22_49:                              ;   in Loop: Header=BB22_12 Depth=2
	ds_load_b32 v23, v26
	s_wait_alu 0xfffe
	s_or_b32 exec_lo, exec_lo, s6
	s_and_saveexec_b32 s6, s3
	s_cbranch_execz .LBB22_26
.LBB22_50:                              ;   in Loop: Header=BB22_12 Depth=2
	s_wait_dscnt 0x0
	ds_bpermute_b32 v40, v33, v23
	s_wait_dscnt 0x0
	v_add_f32_e32 v23, v23, v40
	ds_bpermute_b32 v40, v34, v23
	s_wait_dscnt 0x0
	v_add_f32_e32 v23, v23, v40
	;; [unrolled: 3-line block ×3, first 2 shown]
	s_wait_alu 0xfffe
	s_or_b32 exec_lo, exec_lo, s6
	s_and_saveexec_b32 s6, s3
	s_cbranch_execnz .LBB22_27
	s_branch .LBB22_28
.LBB22_51:                              ;   in Loop: Header=BB22_12 Depth=2
	ds_load_b32 v39, v26
	s_wait_alu 0xfffe
	s_or_b32 exec_lo, exec_lo, s6
	s_and_saveexec_b32 s6, s3
	s_cbranch_execz .LBB22_32
.LBB22_52:                              ;   in Loop: Header=BB22_12 Depth=2
	s_wait_dscnt 0x0
	ds_bpermute_b32 v40, v33, v39
	s_wait_dscnt 0x0
	v_add_f32_e32 v39, v39, v40
	ds_bpermute_b32 v40, v34, v39
	s_wait_dscnt 0x0
	v_add_f32_e32 v39, v39, v40
	;; [unrolled: 3-line block ×3, first 2 shown]
	s_wait_alu 0xfffe
	s_or_b32 exec_lo, exec_lo, s6
	s_and_saveexec_b32 s6, s3
	s_cbranch_execnz .LBB22_33
	s_branch .LBB22_34
.LBB22_53:                              ;   in Loop: Header=BB22_12 Depth=2
	ds_load_b32 v38, v26
	s_wait_alu 0xfffe
	s_or_b32 exec_lo, exec_lo, s6
	s_and_saveexec_b32 s6, s3
	s_cbranch_execz .LBB22_38
.LBB22_54:                              ;   in Loop: Header=BB22_12 Depth=2
	s_wait_dscnt 0x0
	ds_bpermute_b32 v40, v33, v38
	s_wait_dscnt 0x0
	v_add_f32_e32 v38, v38, v40
	ds_bpermute_b32 v40, v34, v38
	s_wait_dscnt 0x0
	v_add_f32_e32 v38, v38, v40
	;; [unrolled: 3-line block ×3, first 2 shown]
	s_wait_alu 0xfffe
	s_or_b32 exec_lo, exec_lo, s6
	s_and_saveexec_b32 s6, s0
	s_cbranch_execz .LBB22_11
.LBB22_55:                              ;   in Loop: Header=BB22_12 Depth=2
	s_mul_i32 s7, s25, s28
	v_dual_mul_f32 v22, s22, v22 :: v_dual_mul_f32 v23, s22, v23
	s_wait_alu 0xfffe
	s_add_co_i32 s34, s7, s26
	s_wait_alu 0xfffe
	s_lshl_b64 s[8:9], s[34:35], 2
	s_add_co_i32 s34, s34, s28
	s_wait_alu 0xfffe
	s_add_nc_u64 s[8:9], s[58:59], s[8:9]
	s_lshl_b64 s[68:69], s[34:35], 2
	s_add_co_i32 s34, s34, s28
	s_wait_alu 0xfffe
	s_add_nc_u64 s[68:69], s[58:59], s[68:69]
	s_clause 0x1
	global_store_b32 v0, v22, s[8:9]
	global_store_b32 v0, v23, s[68:69]
	s_wait_dscnt 0x0
	v_dual_mul_f32 v22, s22, v39 :: v_dual_mul_f32 v23, s22, v38
	s_lshl_b64 s[8:9], s[34:35], 2
	s_add_co_i32 s34, s34, s28
	s_wait_alu 0xfffe
	s_add_nc_u64 s[8:9], s[58:59], s[8:9]
	s_lshl_b64 s[68:69], s[34:35], 2
	s_wait_alu 0xfffe
	s_add_nc_u64 s[68:69], s[58:59], s[68:69]
	s_clause 0x1
	global_store_b32 v0, v22, s[8:9]
	global_store_b32 v0, v23, s[68:69]
	s_branch .LBB22_11
.LBB22_56:                              ;   in Loop: Header=BB22_12 Depth=2
	v_dual_mov_b32 v38, 0 :: v_dual_mov_b32 v39, 0
	v_dual_mov_b32 v40, 0 :: v_dual_mov_b32 v41, 0
.LBB22_57:                              ;   in Loop: Header=BB22_12 Depth=2
	s_wait_alu 0xfffe
	s_or_b32 exec_lo, exec_lo, s34
	s_delay_alu instid0(SALU_CYCLE_1)
	s_or_b32 exec_lo, exec_lo, s27
	s_and_saveexec_b32 s6, s3
	s_cbranch_execnz .LBB22_15
	s_branch .LBB22_16
.LBB22_58:                              ;   in Loop: Header=BB22_3 Depth=1
	v_mov_b32_e32 v3, v0
	v_dual_mov_b32 v1, v0 :: v_dual_mov_b32 v2, v0
	s_mov_b32 s25, 0
	s_delay_alu instid0(VALU_DEP_2) | instskip(NEXT) | instid1(VALU_DEP_2)
	v_mov_b32_e32 v4, v3
	v_mov_b32_e32 v3, v2
	s_delay_alu instid0(VALU_DEP_3)
	v_mov_b32_e32 v2, v1
	v_mov_b32_e32 v1, v0
.LBB22_59:                              ;   in Loop: Header=BB22_3 Depth=1
	s_cmp_ge_i32 s25, s21
	s_cbranch_scc1 .LBB22_2
; %bb.60:                               ;   in Loop: Header=BB22_3 Depth=1
	v_cmp_gt_u32_e32 vcc_lo, 24, v28
	s_mov_b32 s34, s25
	s_wait_alu 0xfffd
	v_cndmask_b32_e64 v14, 0, 8, vcc_lo
	v_cmp_gt_u32_e32 vcc_lo, 28, v28
	s_delay_alu instid0(VALU_DEP_2) | instskip(SKIP_3) | instid1(VALU_DEP_2)
	v_add_lshl_u32 v32, v14, v28, 2
	s_wait_alu 0xfffd
	v_cndmask_b32_e64 v15, 0, 4, vcc_lo
	v_cmp_gt_u32_e32 vcc_lo, 30, v28
	v_add_lshl_u32 v33, v15, v28, 2
	s_wait_alu 0xfffd
	v_cndmask_b32_e64 v16, 0, 2, vcc_lo
	v_cmp_ne_u32_e32 vcc_lo, 31, v28
	s_delay_alu instid0(VALU_DEP_2)
	v_add_lshl_u32 v34, v16, v28, 2
	s_wait_alu 0xfffd
	v_add_co_ci_u32_e64 v17, null, 0, v28, vcc_lo
	v_add_co_u32 v14, vcc_lo, s54, v6
	s_wait_alu 0xfffd
	v_add_co_ci_u32_e64 v15, null, s55, v7, vcc_lo
	v_add_co_u32 v16, vcc_lo, s54, v8
	v_lshlrev_b32_e32 v35, 2, v17
	s_wait_alu 0xfffd
	v_add_co_ci_u32_e64 v17, null, s55, v9, vcc_lo
	v_add_co_u32 v18, vcc_lo, s54, v10
	s_wait_alu 0xfffd
	v_add_co_ci_u32_e64 v19, null, s55, v11, vcc_lo
	v_add_co_u32 v20, vcc_lo, s54, v12
	;; [unrolled: 3-line block ×3, first 2 shown]
	s_wait_alu 0xfffd
	v_add_co_ci_u32_e64 v37, null, s57, v25, vcc_lo
	s_add_nc_u64 s[56:57], s[58:59], s[38:39]
	s_mul_i32 s58, s30, s25
	s_branch .LBB22_62
.LBB22_61:                              ;   in Loop: Header=BB22_62 Depth=2
	s_wait_alu 0xfffe
	s_or_b32 exec_lo, exec_lo, s6
	s_add_co_i32 s34, s34, 1
	s_add_co_i32 s58, s58, s30
	s_wait_alu 0xfffe
	s_cmp_ge_i32 s34, s21
	s_cbranch_scc1 .LBB22_2
.LBB22_62:                              ;   Parent Loop BB22_3 Depth=1
                                        ; =>  This Loop Header: Depth=2
                                        ;       Child Loop BB22_75 Depth 3
                                        ;       Child Loop BB22_78 Depth 3
	s_wait_dscnt 0x0
	v_mov_b32_e32 v38, s35
	s_and_saveexec_b32 s6, s1
	s_wait_alu 0xfffe
	s_xor_b32 s6, exec_lo, s6
	s_cbranch_execnz .LBB22_71
; %bb.63:                               ;   in Loop: Header=BB22_62 Depth=2
	s_wait_alu 0xfffe
	s_and_not1_saveexec_b32 s9, s6
	s_cbranch_execnz .LBB22_72
.LBB22_64:                              ;   in Loop: Header=BB22_62 Depth=2
	s_wait_alu 0xfffe
	s_or_b32 exec_lo, exec_lo, s9
	s_and_saveexec_b32 s6, s3
.LBB22_65:                              ;   in Loop: Header=BB22_62 Depth=2
	ds_store_b32 v26, v0
.LBB22_66:                              ;   in Loop: Header=BB22_62 Depth=2
	s_wait_alu 0xfffe
	s_or_b32 exec_lo, exec_lo, s6
	ds_bpermute_b32 v22, v29, v38
	s_wait_storecnt 0x0
	s_wait_loadcnt_dscnt 0x0
	s_barrier_signal -1
	s_barrier_wait -1
	global_inv scope:SCOPE_SE
	v_add_f32_e32 v22, v38, v22
	ds_bpermute_b32 v23, v32, v22
	s_wait_dscnt 0x0
	v_add_f32_e32 v22, v22, v23
	ds_bpermute_b32 v23, v33, v22
	s_wait_dscnt 0x0
	;; [unrolled: 3-line block ×3, first 2 shown]
	v_add_f32_e32 v22, v22, v23
	ds_bpermute_b32 v23, v35, v22
	s_and_saveexec_b32 s6, s4
	s_cbranch_execz .LBB22_68
; %bb.67:                               ;   in Loop: Header=BB22_62 Depth=2
	s_wait_dscnt 0x0
	v_add_f32_e32 v22, v22, v23
	ds_store_b32 v27, v22
.LBB22_68:                              ;   in Loop: Header=BB22_62 Depth=2
	s_wait_alu 0xfffe
	s_or_b32 exec_lo, exec_lo, s6
	v_mov_b32_e32 v22, 0
	s_wait_loadcnt_dscnt 0x0
	s_barrier_signal -1
	s_barrier_wait -1
	global_inv scope:SCOPE_SE
	s_and_saveexec_b32 s6, s5
	s_cbranch_execnz .LBB22_80
; %bb.69:                               ;   in Loop: Header=BB22_62 Depth=2
	s_wait_alu 0xfffe
	s_or_b32 exec_lo, exec_lo, s6
	s_and_saveexec_b32 s6, s3
	s_cbranch_execnz .LBB22_81
.LBB22_70:                              ;   in Loop: Header=BB22_62 Depth=2
	s_wait_alu 0xfffe
	s_or_b32 exec_lo, exec_lo, s6
	s_and_saveexec_b32 s6, s0
	s_cbranch_execz .LBB22_61
	s_branch .LBB22_82
.LBB22_71:                              ;   in Loop: Header=BB22_62 Depth=2
	s_mul_i32 s8, s34, s30
	s_wait_alu 0xfffe
	s_ashr_i32 s9, s8, 31
	s_wait_alu 0xfffe
	s_lshl_b64 s[8:9], s[8:9], 2
	s_wait_alu 0xfffe
	v_add_co_u32 v1, vcc_lo, v30, s8
	s_wait_alu 0xfffd
	v_add_co_ci_u32_e64 v2, null, s9, v31, vcc_lo
	global_load_b128 v[38:41], v[1:2], off
	s_clause 0x3
	global_load_b32 v1, v[14:15], off
	global_load_b32 v2, v[16:17], off
	;; [unrolled: 1-line block ×4, first 2 shown]
	s_wait_loadcnt 0x3
	v_fma_f32 v38, v1, v38, 0
	s_wait_loadcnt 0x2
	s_delay_alu instid0(VALU_DEP_1) | instskip(SKIP_1) | instid1(VALU_DEP_1)
	v_fmac_f32_e32 v38, v2, v39
	s_wait_loadcnt 0x1
	v_fmac_f32_e32 v38, v3, v40
	s_wait_loadcnt 0x0
	s_delay_alu instid0(VALU_DEP_1)
	v_fmac_f32_e32 v38, v4, v41
	s_and_not1_saveexec_b32 s9, s6
	s_cbranch_execz .LBB22_64
.LBB22_72:                              ;   in Loop: Header=BB22_62 Depth=2
	s_and_saveexec_b32 s25, s2
	s_cbranch_execz .LBB22_79
; %bb.73:                               ;   in Loop: Header=BB22_62 Depth=2
	s_and_not1_b32 vcc_lo, exec_lo, s20
	s_wait_alu 0xfffe
	s_cbranch_vccnz .LBB22_76
; %bb.74:                               ;   in Loop: Header=BB22_62 Depth=2
	v_mov_b32_e32 v22, v5
	s_mov_b64 s[60:61], 0
.LBB22_75:                              ;   Parent Loop BB22_3 Depth=1
                                        ;     Parent Loop BB22_62 Depth=2
                                        ; =>    This Inner Loop Header: Depth=3
	s_delay_alu instid0(VALU_DEP_1) | instskip(SKIP_1) | instid1(VALU_DEP_1)
	v_ashrrev_i32_e32 v23, 31, v22
	s_cmp_eq_u32 s60, 3
	v_lshlrev_b64_e32 v[39:40], 2, v[22:23]
	v_add_nc_u32_e32 v22, s10, v22
	s_delay_alu instid0(VALU_DEP_2) | instskip(SKIP_1) | instid1(VALU_DEP_3)
	v_add_co_u32 v39, vcc_lo, s54, v39
	s_wait_alu 0xfffd
	v_add_co_ci_u32_e64 v40, null, s55, v40, vcc_lo
	s_cselect_b32 vcc_lo, -1, 0
	s_cmp_eq_u32 s60, 2
	s_cselect_b32 s6, -1, 0
	global_load_b32 v23, v[39:40], off
	s_cmp_eq_u32 s60, 1
	s_cselect_b32 s7, -1, 0
	s_cmp_eq_u32 s60, 0
	s_add_nc_u64 s[60:61], s[60:61], 1
	s_cselect_b32 s8, -1, 0
	s_cmp_eq_u32 s71, s60
	s_wait_loadcnt 0x0
	s_wait_alu 0xfffe
	v_cndmask_b32_e32 v4, v4, v23, vcc_lo
	v_cndmask_b32_e64 v3, v3, v23, s6
	v_cndmask_b32_e64 v2, v2, v23, s7
	;; [unrolled: 1-line block ×3, first 2 shown]
	s_cbranch_scc0 .LBB22_75
.LBB22_76:                              ;   in Loop: Header=BB22_62 Depth=2
	s_and_not1_b32 vcc_lo, exec_lo, s20
	s_wait_alu 0xfffe
	s_cbranch_vccnz .LBB22_79
; %bb.77:                               ;   in Loop: Header=BB22_62 Depth=2
	s_ashr_i32 s59, s58, 31
	s_delay_alu instid0(SALU_CYCLE_1)
	s_lshl_b64 s[6:7], s[58:59], 2
	s_wait_alu 0xfffe
	v_add_co_u32 v22, vcc_lo, v36, s6
	s_wait_alu 0xfffd
	v_add_co_ci_u32_e64 v23, null, s7, v37, vcc_lo
	s_mov_b64 s[6:7], 0
.LBB22_78:                              ;   Parent Loop BB22_3 Depth=1
                                        ;     Parent Loop BB22_62 Depth=2
                                        ; =>    This Inner Loop Header: Depth=3
	global_load_b32 v39, v[22:23], off
	s_wait_alu 0xfffe
	s_cmp_eq_u32 s6, 1
	s_cselect_b32 vcc_lo, -1, 0
	s_cmp_eq_u32 s6, 2
	s_wait_alu 0xfffe
	v_cndmask_b32_e32 v40, v1, v2, vcc_lo
	s_cselect_b32 vcc_lo, -1, 0
	s_cmp_eq_u32 s6, 3
	s_add_nc_u64 s[6:7], s[6:7], 1
	s_wait_alu 0xfffe
	v_cndmask_b32_e32 v40, v40, v3, vcc_lo
	s_cselect_b32 vcc_lo, -1, 0
	s_cmp_lg_u32 s71, s6
	s_wait_alu 0xfffe
	s_delay_alu instid0(VALU_DEP_1)
	v_cndmask_b32_e32 v40, v40, v4, vcc_lo
	v_add_co_u32 v22, vcc_lo, v22, 4
	s_wait_alu 0xfffd
	v_add_co_ci_u32_e64 v23, null, 0, v23, vcc_lo
	s_wait_loadcnt 0x0
	v_fmac_f32_e32 v38, v40, v39
	s_cbranch_scc1 .LBB22_78
.LBB22_79:                              ;   in Loop: Header=BB22_62 Depth=2
	s_or_b32 exec_lo, exec_lo, s25
	s_wait_alu 0xfffe
	s_or_b32 exec_lo, exec_lo, s9
	s_and_saveexec_b32 s6, s3
	s_cbranch_execnz .LBB22_65
	s_branch .LBB22_66
.LBB22_80:                              ;   in Loop: Header=BB22_62 Depth=2
	ds_load_b32 v22, v26
	s_wait_alu 0xfffe
	s_or_b32 exec_lo, exec_lo, s6
	s_and_saveexec_b32 s6, s3
	s_cbranch_execz .LBB22_70
.LBB22_81:                              ;   in Loop: Header=BB22_62 Depth=2
	s_wait_dscnt 0x0
	ds_bpermute_b32 v23, v33, v22
	s_wait_dscnt 0x0
	v_add_f32_e32 v22, v22, v23
	ds_bpermute_b32 v23, v34, v22
	s_wait_dscnt 0x0
	v_add_f32_e32 v22, v22, v23
	;; [unrolled: 3-line block ×3, first 2 shown]
	s_wait_alu 0xfffe
	s_or_b32 exec_lo, exec_lo, s6
	s_and_saveexec_b32 s6, s0
	s_cbranch_execz .LBB22_61
.LBB22_82:                              ;   in Loop: Header=BB22_62 Depth=2
	s_mul_u64 s[8:9], s[34:35], s[28:29]
	s_wait_dscnt 0x0
	v_mul_f32_e32 v22, s22, v22
	s_wait_alu 0xfffe
	s_lshl_b64 s[8:9], s[8:9], 2
	s_wait_alu 0xfffe
	s_add_nc_u64 s[8:9], s[56:57], s[8:9]
	global_store_b32 v0, v22, s[8:9]
	s_branch .LBB22_61
.LBB22_83:
	s_endpgm
	.section	.rodata,"a",@progbits
	.p2align	6, 0x0
	.amdhsa_kernel _ZL23rocblas_gemvt_sn_kernelILb0ELi256ELi4EifffEviiT4_lPKT3_lilS3_lilPT5_i
		.amdhsa_group_segment_fixed_size 128
		.amdhsa_private_segment_fixed_size 0
		.amdhsa_kernarg_size 360
		.amdhsa_user_sgpr_count 2
		.amdhsa_user_sgpr_dispatch_ptr 0
		.amdhsa_user_sgpr_queue_ptr 0
		.amdhsa_user_sgpr_kernarg_segment_ptr 1
		.amdhsa_user_sgpr_dispatch_id 0
		.amdhsa_user_sgpr_private_segment_size 0
		.amdhsa_wavefront_size32 1
		.amdhsa_uses_dynamic_stack 0
		.amdhsa_enable_private_segment 0
		.amdhsa_system_sgpr_workgroup_id_x 1
		.amdhsa_system_sgpr_workgroup_id_y 0
		.amdhsa_system_sgpr_workgroup_id_z 1
		.amdhsa_system_sgpr_workgroup_info 0
		.amdhsa_system_vgpr_workitem_id 0
		.amdhsa_next_free_vgpr 57
		.amdhsa_next_free_sgpr 76
		.amdhsa_reserve_vcc 1
		.amdhsa_float_round_mode_32 0
		.amdhsa_float_round_mode_16_64 0
		.amdhsa_float_denorm_mode_32 3
		.amdhsa_float_denorm_mode_16_64 3
		.amdhsa_fp16_overflow 0
		.amdhsa_workgroup_processor_mode 1
		.amdhsa_memory_ordered 1
		.amdhsa_forward_progress 1
		.amdhsa_inst_pref_size 36
		.amdhsa_round_robin_scheduling 0
		.amdhsa_exception_fp_ieee_invalid_op 0
		.amdhsa_exception_fp_denorm_src 0
		.amdhsa_exception_fp_ieee_div_zero 0
		.amdhsa_exception_fp_ieee_overflow 0
		.amdhsa_exception_fp_ieee_underflow 0
		.amdhsa_exception_fp_ieee_inexact 0
		.amdhsa_exception_int_div_zero 0
	.end_amdhsa_kernel
	.section	.text._ZL23rocblas_gemvt_sn_kernelILb0ELi256ELi4EifffEviiT4_lPKT3_lilS3_lilPT5_i,"axG",@progbits,_ZL23rocblas_gemvt_sn_kernelILb0ELi256ELi4EifffEviiT4_lPKT3_lilS3_lilPT5_i,comdat
.Lfunc_end22:
	.size	_ZL23rocblas_gemvt_sn_kernelILb0ELi256ELi4EifffEviiT4_lPKT3_lilS3_lilPT5_i, .Lfunc_end22-_ZL23rocblas_gemvt_sn_kernelILb0ELi256ELi4EifffEviiT4_lPKT3_lilS3_lilPT5_i
                                        ; -- End function
	.set _ZL23rocblas_gemvt_sn_kernelILb0ELi256ELi4EifffEviiT4_lPKT3_lilS3_lilPT5_i.num_vgpr, 57
	.set _ZL23rocblas_gemvt_sn_kernelILb0ELi256ELi4EifffEviiT4_lPKT3_lilS3_lilPT5_i.num_agpr, 0
	.set _ZL23rocblas_gemvt_sn_kernelILb0ELi256ELi4EifffEviiT4_lPKT3_lilS3_lilPT5_i.numbered_sgpr, 76
	.set _ZL23rocblas_gemvt_sn_kernelILb0ELi256ELi4EifffEviiT4_lPKT3_lilS3_lilPT5_i.num_named_barrier, 0
	.set _ZL23rocblas_gemvt_sn_kernelILb0ELi256ELi4EifffEviiT4_lPKT3_lilS3_lilPT5_i.private_seg_size, 0
	.set _ZL23rocblas_gemvt_sn_kernelILb0ELi256ELi4EifffEviiT4_lPKT3_lilS3_lilPT5_i.uses_vcc, 1
	.set _ZL23rocblas_gemvt_sn_kernelILb0ELi256ELi4EifffEviiT4_lPKT3_lilS3_lilPT5_i.uses_flat_scratch, 0
	.set _ZL23rocblas_gemvt_sn_kernelILb0ELi256ELi4EifffEviiT4_lPKT3_lilS3_lilPT5_i.has_dyn_sized_stack, 0
	.set _ZL23rocblas_gemvt_sn_kernelILb0ELi256ELi4EifffEviiT4_lPKT3_lilS3_lilPT5_i.has_recursion, 0
	.set _ZL23rocblas_gemvt_sn_kernelILb0ELi256ELi4EifffEviiT4_lPKT3_lilS3_lilPT5_i.has_indirect_call, 0
	.section	.AMDGPU.csdata,"",@progbits
; Kernel info:
; codeLenInByte = 4496
; TotalNumSgprs: 78
; NumVgprs: 57
; ScratchSize: 0
; MemoryBound: 0
; FloatMode: 240
; IeeeMode: 1
; LDSByteSize: 128 bytes/workgroup (compile time only)
; SGPRBlocks: 0
; VGPRBlocks: 7
; NumSGPRsForWavesPerEU: 78
; NumVGPRsForWavesPerEU: 57
; Occupancy: 16
; WaveLimiterHint : 0
; COMPUTE_PGM_RSRC2:SCRATCH_EN: 0
; COMPUTE_PGM_RSRC2:USER_SGPR: 2
; COMPUTE_PGM_RSRC2:TRAP_HANDLER: 0
; COMPUTE_PGM_RSRC2:TGID_X_EN: 1
; COMPUTE_PGM_RSRC2:TGID_Y_EN: 0
; COMPUTE_PGM_RSRC2:TGID_Z_EN: 1
; COMPUTE_PGM_RSRC2:TIDIG_COMP_CNT: 0
	.section	.text._ZL23rocblas_gemvt_sn_kernelILb0ELi256ELi4ElfffEviiT4_lPKT3_lilS3_lilPT5_i,"axG",@progbits,_ZL23rocblas_gemvt_sn_kernelILb0ELi256ELi4ElfffEviiT4_lPKT3_lilS3_lilPT5_i,comdat
	.globl	_ZL23rocblas_gemvt_sn_kernelILb0ELi256ELi4ElfffEviiT4_lPKT3_lilS3_lilPT5_i ; -- Begin function _ZL23rocblas_gemvt_sn_kernelILb0ELi256ELi4ElfffEviiT4_lPKT3_lilS3_lilPT5_i
	.p2align	8
	.type	_ZL23rocblas_gemvt_sn_kernelILb0ELi256ELi4ElfffEviiT4_lPKT3_lilS3_lilPT5_i,@function
_ZL23rocblas_gemvt_sn_kernelILb0ELi256ELi4ElfffEviiT4_lPKT3_lilS3_lilPT5_i: ; @_ZL23rocblas_gemvt_sn_kernelILb0ELi256ELi4ElfffEviiT4_lPKT3_lilS3_lilPT5_i
; %bb.0:
	s_load_b32 s23, s[0:1], 0x60
	s_lshr_b32 s10, ttmp7, 16
	s_wait_kmcnt 0x0
	s_cmp_ge_u32 s10, s23
	s_cbranch_scc1 .LBB23_83
; %bb.1:
	s_clause 0x6
	s_load_b32 s26, s[0:1], 0x28
	s_load_b96 s[4:6], s[0:1], 0x40
	s_load_b128 s[36:39], s[0:1], 0x18
	s_load_b96 s[20:22], s[0:1], 0x0
	s_load_b128 s[12:15], s[0:1], 0x30
	s_load_b32 s28, s[0:1], 0x68
	s_load_b128 s[16:19], s[0:1], 0x50
	v_cmp_eq_u32_e64 s0, 0, v0
	v_mbcnt_lo_u32_b32 v33, -1, 0
	s_mov_b32 s25, 0
	s_mov_b32 s24, ttmp9
	s_mov_b32 s29, s25
	s_delay_alu instid0(VALU_DEP_1)
	v_lshl_or_b32 v34, v33, 2, 64
	s_wait_kmcnt 0x0
	s_ashr_i32 s27, s26, 31
	s_ashr_i32 s9, s6, 31
	s_lshl_b64 s[2:3], s[4:5], 2
	s_lshl_b64 s[4:5], s[38:39], 2
	s_ashr_i32 s35, s21, 31
	s_cmp_eq_f32 s22, 0
	s_add_nc_u64 s[14:15], s[14:15], s[2:3]
	s_add_nc_u64 s[2:3], s[36:37], s[4:5]
	s_mov_b32 s34, s21
	s_cselect_b32 s33, -1, 0
	s_cmp_gt_i32 s21, 0
	s_mov_b32 s8, s6
	s_cselect_b32 s1, -1, 0
	s_lshl_b32 s4, ttmp9, 10
	s_lshr_b32 s5, s35, 30
	v_lshl_or_b32 v1, v0, 2, s4
	s_ashr_i32 s4, s20, 31
	s_and_b32 s64, s0, s1
	s_wait_alu 0xfffe
	s_lshr_b32 s4, s4, 30
	s_add_co_i32 s1, s21, s5
	v_ashrrev_i32_e32 v2, 31, v1
	s_wait_alu 0xfffe
	s_add_co_i32 s4, s20, s4
	v_add_nc_u32_e32 v4, 4, v1
	v_cmp_gt_u32_e64 s5, 8, v0
	s_and_b32 s65, s1, -4
	v_lshlrev_b64_e32 v[2:3], 2, v[1:2]
	s_wait_alu 0xfffe
	s_and_b32 s1, s4, -4
	s_mul_u64 s[30:31], s[34:35], s[28:29]
	s_sub_co_i32 s66, s20, s1
	v_cmp_ge_i32_e64 s1, s20, v4
	v_add_nc_u32_e32 v5, s66, v1
	v_add_co_u32 v29, vcc_lo, s2, v2
	s_delay_alu instid0(VALU_DEP_1)
	v_add_co_ci_u32_e64 v30, null, s3, v3, vcc_lo
	v_and_b32_e32 v2, 31, v0
	v_lshrrev_b32_e32 v3, 3, v0
	v_cmp_gt_u32_e64 s3, 32, v0
	v_or_b32_e32 v0, 1, v1
	v_or_b32_e32 v4, 2, v1
	v_cmp_eq_u32_e64 s4, 0, v2
	v_lshlrev_b32_e32 v31, 2, v2
	v_and_b32_e32 v32, 28, v3
	v_mad_co_i64_i32 v[2:3], null, s6, v1, 0
	v_mad_co_i64_i32 v[9:10], null, s6, v0, 0
	v_or_b32_e32 v0, 3, v1
	v_cmp_ge_i32_e64 s2, s20, v5
	v_mad_co_i64_i32 v[11:12], null, s6, v4, 0
	v_lshlrev_b64_e32 v[5:6], 2, v[2:3]
	s_delay_alu instid0(VALU_DEP_4)
	v_mad_co_i64_i32 v[1:2], null, s6, v0, 0
	s_cmp_gt_i32 s65, 0
	v_lshlrev_b64_e32 v[9:10], 2, v[9:10]
	s_cselect_b32 s67, -1, 0
	v_add_co_u32 v7, vcc_lo, s14, v5
	s_cmp_gt_i32 s66, 0
	v_lshlrev_b64_e32 v[11:12], 2, v[11:12]
	v_lshlrev_b64_e32 v[13:14], 2, v[1:2]
	s_wait_alu 0xfffd
	v_add_co_ci_u32_e64 v8, null, s15, v6, vcc_lo
	v_mov_b32_e32 v0, 0
	s_cselect_b32 s20, -1, 0
	s_lshl_b64 s[34:35], s[24:25], 2
	s_lshl_b64 s[38:39], s[30:31], 2
	s_add_nc_u64 s[36:37], s[18:19], s[34:35]
	s_lshl_b64 s[40:41], s[28:29], 2
	s_lshl_b64 s[42:43], s[16:17], 2
	;; [unrolled: 1-line block ×4, first 2 shown]
	s_mul_u64 s[48:49], s[26:27], 12
	s_lshl_b64 s[50:51], s[26:27], 4
	s_lshl_b64 s[52:53], s[26:27], 2
	;; [unrolled: 1-line block ×3, first 2 shown]
	s_branch .LBB23_3
.LBB23_2:                               ;   in Loop: Header=BB23_3 Depth=1
	s_add_co_i32 s10, s10, 0x10000
	s_wait_alu 0xfffe
	s_cmp_lt_u32 s10, s23
	s_cbranch_scc0 .LBB23_83
.LBB23_3:                               ; =>This Loop Header: Depth=1
                                        ;     Child Loop BB23_6 Depth 2
                                        ;     Child Loop BB23_12 Depth 2
                                        ;       Child Loop BB23_43 Depth 3
                                        ;       Child Loop BB23_46 Depth 3
                                        ;     Child Loop BB23_62 Depth 2
                                        ;       Child Loop BB23_75 Depth 3
                                        ;       Child Loop BB23_78 Depth 3
	s_mov_b32 s11, s25
	s_and_not1_b32 vcc_lo, exec_lo, s33
	s_mov_b32 s6, -1
	s_wait_alu 0xfffe
	s_cbranch_vccnz .LBB23_8
; %bb.4:                                ;   in Loop: Header=BB23_3 Depth=1
	s_and_saveexec_b32 s8, s64
	s_cbranch_execz .LBB23_7
; %bb.5:                                ;   in Loop: Header=BB23_3 Depth=1
	s_mul_u64 s[6:7], s[38:39], s[10:11]
	s_mov_b32 s9, s21
	s_wait_alu 0xfffe
	s_add_nc_u64 s[6:7], s[36:37], s[6:7]
.LBB23_6:                               ;   Parent Loop BB23_3 Depth=1
                                        ; =>  This Inner Loop Header: Depth=2
	s_add_co_i32 s9, s9, -1
	global_store_b32 v0, v0, s[6:7]
	s_wait_alu 0xfffe
	s_cmp_eq_u32 s9, 0
	s_add_nc_u64 s[6:7], s[6:7], s[40:41]
	s_cbranch_scc0 .LBB23_6
.LBB23_7:                               ;   in Loop: Header=BB23_3 Depth=1
	s_wait_alu 0xfffe
	s_or_b32 exec_lo, exec_lo, s8
	s_mov_b32 s6, 0
.LBB23_8:                               ;   in Loop: Header=BB23_3 Depth=1
	s_wait_alu 0xfffe
	s_and_not1_b32 vcc_lo, exec_lo, s6
	s_wait_alu 0xfffe
	s_cbranch_vccnz .LBB23_2
; %bb.9:                                ;   in Loop: Header=BB23_3 Depth=1
	v_mad_co_u64_u32 v[15:16], null, s42, s10, v[7:8]
	s_mul_u64 s[62:63], s[12:13], s[10:11]
	s_mul_u64 s[56:57], s[16:17], s[10:11]
	s_wait_alu 0xfffe
	s_lshl_b64 s[62:63], s[62:63], 2
	s_mul_u64 s[60:61], s[30:31], s[10:11]
	s_wait_alu 0xfffe
	v_add_co_u32 v35, vcc_lo, v29, s62
	v_mov_b32_e32 v1, v16
	s_lshl_b64 s[56:57], s[56:57], 2
	s_lshl_b64 s[68:69], s[60:61], 2
	v_cmp_gt_u32_e64 s7, 24, v33
	v_cmp_gt_u32_e64 s8, 28, v33
	v_mad_co_u64_u32 v[1:2], null, s43, s10, v[1:2]
	v_cmp_gt_u32_e64 s6, 30, v33
	s_wait_alu 0xfffd
	v_add_co_ci_u32_e64 v36, null, s63, v30, vcc_lo
	v_cmp_ne_u32_e64 s9, 31, v33
	s_add_nc_u64 s[60:61], s[14:15], s[56:57]
	s_add_nc_u64 s[56:57], s[18:19], s[68:69]
	v_mov_b32_e32 v16, v1
	s_mul_u64 s[58:59], s[46:47], s[10:11]
	s_and_not1_b32 vcc_lo, exec_lo, s67
	s_add_nc_u64 s[56:57], s[56:57], s[34:35]
	s_wait_alu 0xfffe
	s_cbranch_vccnz .LBB23_58
; %bb.10:                               ;   in Loop: Header=BB23_3 Depth=1
	v_cndmask_b32_e64 v2, 0, 4, s8
	v_cndmask_b32_e64 v3, 0, 2, s6
	v_add_co_u32 v17, vcc_lo, v29, s58
	s_wait_alu 0xfffd
	v_add_co_ci_u32_e64 v18, null, s59, v30, vcc_lo
	v_add_co_u32 v19, vcc_lo, s60, v5
	v_cndmask_b32_e64 v1, 0, 8, s7
	v_add_co_ci_u32_e64 v4, null, 0, v33, s9
	v_add_lshl_u32 v38, v2, v33, 2
	v_add_lshl_u32 v39, v3, v33, 2
	s_wait_alu 0xfffd
	v_add_co_ci_u32_e64 v20, null, s61, v6, vcc_lo
	v_add_co_u32 v21, vcc_lo, s60, v9
	v_dual_mov_b32 v2, v0 :: v_dual_mov_b32 v3, v0
	s_wait_alu 0xfffd
	v_add_co_ci_u32_e64 v22, null, s61, v10, vcc_lo
	v_add_co_u32 v23, vcc_lo, s60, v11
	v_add_lshl_u32 v37, v1, v33, 2
	v_dual_mov_b32 v1, v0 :: v_dual_lshlrev_b32 v40, 2, v4
	s_wait_alu 0xfffd
	v_add_co_ci_u32_e64 v24, null, s61, v12, vcc_lo
	v_add_co_u32 v25, vcc_lo, s60, v13
	v_mov_b32_e32 v4, v3
	s_wait_alu 0xfffd
	v_add_co_ci_u32_e64 v26, null, s61, v14, vcc_lo
	v_mov_b32_e32 v3, v2
	v_mov_b32_e32 v2, v1
	;; [unrolled: 1-line block ×3, first 2 shown]
	s_mov_b32 s24, 0
	s_branch .LBB23_12
.LBB23_11:                              ;   in Loop: Header=BB23_12 Depth=2
	s_wait_alu 0xfffe
	s_or_b32 exec_lo, exec_lo, s6
	v_add_co_u32 v17, vcc_lo, v17, s50
	s_wait_alu 0xfffd
	v_add_co_ci_u32_e64 v18, null, s51, v18, vcc_lo
	s_add_co_i32 s24, s24, 4
	s_wait_alu 0xfffe
	s_cmp_ge_i32 s24, s65
	s_cbranch_scc1 .LBB23_59
.LBB23_12:                              ;   Parent Loop BB23_3 Depth=1
                                        ; =>  This Loop Header: Depth=2
                                        ;       Child Loop BB23_43 Depth 3
                                        ;       Child Loop BB23_46 Depth 3
                                        ; implicit-def: $vgpr41
                                        ; implicit-def: $vgpr42
                                        ; implicit-def: $vgpr43
                                        ; implicit-def: $vgpr44
	s_and_saveexec_b32 s6, s1
	s_wait_alu 0xfffe
	s_xor_b32 s6, exec_lo, s6
	s_cbranch_execnz .LBB23_39
; %bb.13:                               ;   in Loop: Header=BB23_12 Depth=2
	s_wait_alu 0xfffe
	s_and_not1_saveexec_b32 s11, s6
	s_cbranch_execnz .LBB23_40
.LBB23_14:                              ;   in Loop: Header=BB23_12 Depth=2
	s_wait_alu 0xfffe
	s_or_b32 exec_lo, exec_lo, s11
	s_and_saveexec_b32 s6, s3
.LBB23_15:                              ;   in Loop: Header=BB23_12 Depth=2
	ds_store_b32 v31, v0
.LBB23_16:                              ;   in Loop: Header=BB23_12 Depth=2
	s_wait_alu 0xfffe
	s_or_b32 exec_lo, exec_lo, s6
	s_wait_dscnt 0x0
	ds_bpermute_b32 v27, v34, v44
	s_wait_storecnt_dscnt 0x0
	s_barrier_signal -1
	s_barrier_wait -1
	global_inv scope:SCOPE_SE
	v_add_f32_e32 v27, v44, v27
	ds_bpermute_b32 v28, v37, v27
	s_wait_dscnt 0x0
	v_add_f32_e32 v27, v27, v28
	ds_bpermute_b32 v28, v38, v27
	s_wait_dscnt 0x0
	;; [unrolled: 3-line block ×3, first 2 shown]
	v_add_f32_e32 v27, v27, v28
	ds_bpermute_b32 v28, v40, v27
	s_and_saveexec_b32 s6, s4
	s_cbranch_execz .LBB23_18
; %bb.17:                               ;   in Loop: Header=BB23_12 Depth=2
	s_wait_dscnt 0x0
	v_add_f32_e32 v27, v27, v28
	ds_store_b32 v32, v27
.LBB23_18:                              ;   in Loop: Header=BB23_12 Depth=2
	s_wait_alu 0xfffe
	s_or_b32 exec_lo, exec_lo, s6
	v_mov_b32_e32 v27, 0
	s_wait_loadcnt_dscnt 0x0
	s_barrier_signal -1
	s_barrier_wait -1
	global_inv scope:SCOPE_SE
	s_and_saveexec_b32 s6, s5
	s_cbranch_execnz .LBB23_47
; %bb.19:                               ;   in Loop: Header=BB23_12 Depth=2
	s_wait_alu 0xfffe
	s_or_b32 exec_lo, exec_lo, s6
	s_and_saveexec_b32 s6, s3
	s_cbranch_execnz .LBB23_48
.LBB23_20:                              ;   in Loop: Header=BB23_12 Depth=2
	s_wait_alu 0xfffe
	s_or_b32 exec_lo, exec_lo, s6
	s_and_saveexec_b32 s6, s3
.LBB23_21:                              ;   in Loop: Header=BB23_12 Depth=2
	ds_store_b32 v31, v0
.LBB23_22:                              ;   in Loop: Header=BB23_12 Depth=2
	s_wait_alu 0xfffe
	s_or_b32 exec_lo, exec_lo, s6
	ds_bpermute_b32 v28, v34, v43
	s_wait_loadcnt_dscnt 0x0
	s_barrier_signal -1
	s_barrier_wait -1
	global_inv scope:SCOPE_SE
	v_add_f32_e32 v28, v43, v28
	ds_bpermute_b32 v43, v37, v28
	s_wait_dscnt 0x0
	v_add_f32_e32 v28, v28, v43
	ds_bpermute_b32 v43, v38, v28
	s_wait_dscnt 0x0
	;; [unrolled: 3-line block ×3, first 2 shown]
	v_add_f32_e32 v28, v28, v43
	ds_bpermute_b32 v43, v40, v28
	s_and_saveexec_b32 s6, s4
	s_cbranch_execz .LBB23_24
; %bb.23:                               ;   in Loop: Header=BB23_12 Depth=2
	s_wait_dscnt 0x0
	v_add_f32_e32 v28, v28, v43
	ds_store_b32 v32, v28
.LBB23_24:                              ;   in Loop: Header=BB23_12 Depth=2
	s_wait_alu 0xfffe
	s_or_b32 exec_lo, exec_lo, s6
	v_mov_b32_e32 v28, 0
	s_wait_loadcnt_dscnt 0x0
	s_barrier_signal -1
	s_barrier_wait -1
	global_inv scope:SCOPE_SE
	s_and_saveexec_b32 s6, s5
	s_cbranch_execnz .LBB23_49
; %bb.25:                               ;   in Loop: Header=BB23_12 Depth=2
	s_wait_alu 0xfffe
	s_or_b32 exec_lo, exec_lo, s6
	s_and_saveexec_b32 s6, s3
	s_cbranch_execnz .LBB23_50
.LBB23_26:                              ;   in Loop: Header=BB23_12 Depth=2
	s_wait_alu 0xfffe
	s_or_b32 exec_lo, exec_lo, s6
	s_and_saveexec_b32 s6, s3
.LBB23_27:                              ;   in Loop: Header=BB23_12 Depth=2
	ds_store_b32 v31, v0
.LBB23_28:                              ;   in Loop: Header=BB23_12 Depth=2
	s_wait_alu 0xfffe
	s_or_b32 exec_lo, exec_lo, s6
	ds_bpermute_b32 v43, v34, v42
	s_wait_loadcnt_dscnt 0x0
	s_barrier_signal -1
	s_barrier_wait -1
	global_inv scope:SCOPE_SE
	v_add_f32_e32 v42, v42, v43
	ds_bpermute_b32 v43, v37, v42
	s_wait_dscnt 0x0
	v_add_f32_e32 v42, v42, v43
	ds_bpermute_b32 v43, v38, v42
	s_wait_dscnt 0x0
	v_add_f32_e32 v42, v42, v43
	ds_bpermute_b32 v43, v39, v42
	s_wait_dscnt 0x0
	v_add_f32_e32 v42, v42, v43
	ds_bpermute_b32 v43, v40, v42
	s_and_saveexec_b32 s6, s4
	s_cbranch_execz .LBB23_30
; %bb.29:                               ;   in Loop: Header=BB23_12 Depth=2
	s_wait_dscnt 0x0
	v_add_f32_e32 v42, v42, v43
	ds_store_b32 v32, v42
.LBB23_30:                              ;   in Loop: Header=BB23_12 Depth=2
	s_wait_alu 0xfffe
	s_or_b32 exec_lo, exec_lo, s6
	v_mov_b32_e32 v42, 0
	s_wait_loadcnt_dscnt 0x0
	s_barrier_signal -1
	s_barrier_wait -1
	global_inv scope:SCOPE_SE
	s_and_saveexec_b32 s6, s5
	s_cbranch_execnz .LBB23_51
; %bb.31:                               ;   in Loop: Header=BB23_12 Depth=2
	s_wait_alu 0xfffe
	s_or_b32 exec_lo, exec_lo, s6
	s_and_saveexec_b32 s6, s3
	s_cbranch_execnz .LBB23_52
.LBB23_32:                              ;   in Loop: Header=BB23_12 Depth=2
	s_wait_alu 0xfffe
	s_or_b32 exec_lo, exec_lo, s6
	s_and_saveexec_b32 s6, s3
.LBB23_33:                              ;   in Loop: Header=BB23_12 Depth=2
	ds_store_b32 v31, v0
.LBB23_34:                              ;   in Loop: Header=BB23_12 Depth=2
	s_wait_alu 0xfffe
	s_or_b32 exec_lo, exec_lo, s6
	ds_bpermute_b32 v43, v34, v41
	s_wait_loadcnt_dscnt 0x0
	s_barrier_signal -1
	s_barrier_wait -1
	global_inv scope:SCOPE_SE
	v_add_f32_e32 v41, v41, v43
	ds_bpermute_b32 v43, v37, v41
	s_wait_dscnt 0x0
	v_add_f32_e32 v41, v41, v43
	ds_bpermute_b32 v43, v38, v41
	s_wait_dscnt 0x0
	;; [unrolled: 3-line block ×3, first 2 shown]
	v_add_f32_e32 v41, v41, v43
	ds_bpermute_b32 v43, v40, v41
	s_and_saveexec_b32 s6, s4
	s_cbranch_execz .LBB23_36
; %bb.35:                               ;   in Loop: Header=BB23_12 Depth=2
	s_wait_dscnt 0x0
	v_add_f32_e32 v41, v41, v43
	ds_store_b32 v32, v41
.LBB23_36:                              ;   in Loop: Header=BB23_12 Depth=2
	s_wait_alu 0xfffe
	s_or_b32 exec_lo, exec_lo, s6
	v_mov_b32_e32 v41, 0
	s_wait_loadcnt_dscnt 0x0
	s_barrier_signal -1
	s_barrier_wait -1
	global_inv scope:SCOPE_SE
	s_and_saveexec_b32 s6, s5
	s_cbranch_execnz .LBB23_53
; %bb.37:                               ;   in Loop: Header=BB23_12 Depth=2
	s_wait_alu 0xfffe
	s_or_b32 exec_lo, exec_lo, s6
	s_and_saveexec_b32 s6, s3
	s_cbranch_execnz .LBB23_54
.LBB23_38:                              ;   in Loop: Header=BB23_12 Depth=2
	s_wait_alu 0xfffe
	s_or_b32 exec_lo, exec_lo, s6
	s_and_saveexec_b32 s6, s0
	s_cbranch_execz .LBB23_11
	s_branch .LBB23_55
.LBB23_39:                              ;   in Loop: Header=BB23_12 Depth=2
	s_mul_u64 s[8:9], s[24:25], s[26:27]
	s_or_b32 s62, s24, 1
	s_mov_b32 s63, s25
	s_wait_alu 0xfffe
	s_lshl_b64 s[8:9], s[8:9], 2
	s_mul_u64 s[62:63], s[62:63], s[26:27]
	s_wait_alu 0xfffe
	v_add_co_u32 v2, vcc_lo, v35, s8
	s_wait_alu 0xfffd
	v_add_co_ci_u32_e64 v3, null, s9, v36, vcc_lo
	s_lshl_b64 s[8:9], s[62:63], 2
	s_or_b32 s62, s24, 2
	s_mov_b32 s63, s25
	s_wait_dscnt 0x0
	s_wait_alu 0xfffe
	v_add_co_u32 v27, vcc_lo, v35, s8
	s_wait_alu 0xfffd
	v_add_co_ci_u32_e64 v28, null, s9, v36, vcc_lo
	s_mul_u64 s[8:9], s[62:63], s[26:27]
	s_or_b32 s62, s24, 3
	s_wait_alu 0xfffe
	s_lshl_b64 s[8:9], s[8:9], 2
	s_mul_u64 s[62:63], s[62:63], s[26:27]
	s_wait_alu 0xfffe
	v_add_co_u32 v41, vcc_lo, v35, s8
	s_wait_alu 0xfffd
	v_add_co_ci_u32_e64 v42, null, s9, v36, vcc_lo
	s_lshl_b64 s[8:9], s[62:63], 2
	s_wait_alu 0xfffe
	v_add_co_u32 v56, vcc_lo, v35, s8
	s_wait_alu 0xfffd
	v_add_co_ci_u32_e64 v57, null, s9, v36, vcc_lo
	global_load_b32 v1, v[19:20], off
	s_clause 0x3
	global_load_b128 v[44:47], v[2:3], off
	global_load_b128 v[48:51], v[27:28], off
	;; [unrolled: 1-line block ×4, first 2 shown]
	s_clause 0x2
	global_load_b32 v2, v[21:22], off
	global_load_b32 v3, v[23:24], off
	;; [unrolled: 1-line block ×3, first 2 shown]
	s_wait_loadcnt 0x6
	v_fma_f32 v44, v1, v44, 0
	s_wait_loadcnt 0x5
	v_fma_f32 v43, v1, v48, 0
	s_wait_loadcnt 0x4
	v_fma_f32 v42, v1, v52, 0
	s_wait_loadcnt 0x3
	v_fma_f32 v41, v1, v56, 0
	s_wait_loadcnt 0x2
	v_fmac_f32_e32 v43, v2, v49
	v_fmac_f32_e32 v44, v2, v45
	s_delay_alu instid0(VALU_DEP_3) | instskip(SKIP_1) | instid1(VALU_DEP_3)
	v_fmac_f32_e32 v41, v2, v57
	s_wait_loadcnt 0x1
	v_dual_fmac_f32 v42, v2, v53 :: v_dual_fmac_f32 v43, v3, v50
	s_delay_alu instid0(VALU_DEP_3) | instskip(NEXT) | instid1(VALU_DEP_3)
	v_fmac_f32_e32 v44, v3, v46
	v_fmac_f32_e32 v41, v3, v58
	s_wait_loadcnt 0x0
	s_delay_alu instid0(VALU_DEP_3) | instskip(NEXT) | instid1(VALU_DEP_3)
	v_dual_fmac_f32 v42, v3, v54 :: v_dual_fmac_f32 v43, v4, v51
	v_fmac_f32_e32 v44, v4, v47
	s_delay_alu instid0(VALU_DEP_3) | instskip(NEXT) | instid1(VALU_DEP_3)
	v_fmac_f32_e32 v41, v4, v59
	v_fmac_f32_e32 v42, v4, v55
	s_and_not1_saveexec_b32 s11, s6
	s_cbranch_execz .LBB23_14
.LBB23_40:                              ;   in Loop: Header=BB23_12 Depth=2
	s_wait_dscnt 0x0
	v_dual_mov_b32 v41, 0 :: v_dual_mov_b32 v42, 0
	v_dual_mov_b32 v43, 0 :: v_dual_mov_b32 v44, 0
	s_and_saveexec_b32 s68, s2
	s_cbranch_execz .LBB23_57
; %bb.41:                               ;   in Loop: Header=BB23_12 Depth=2
	s_and_not1_b32 vcc_lo, exec_lo, s20
	s_wait_alu 0xfffe
	s_cbranch_vccnz .LBB23_44
; %bb.42:                               ;   in Loop: Header=BB23_12 Depth=2
	v_dual_mov_b32 v28, v16 :: v_dual_mov_b32 v27, v15
	s_mov_b64 s[62:63], 0
.LBB23_43:                              ;   Parent Loop BB23_3 Depth=1
                                        ;     Parent Loop BB23_12 Depth=2
                                        ; =>    This Inner Loop Header: Depth=3
	global_load_b32 v41, v[27:28], off
	s_wait_alu 0xfffe
	s_cmp_eq_u32 s62, 3
	v_add_co_u32 v27, vcc_lo, v27, s44
	s_wait_alu 0xfffd
	v_add_co_ci_u32_e64 v28, null, s45, v28, vcc_lo
	s_cselect_b32 vcc_lo, -1, 0
	s_cmp_eq_u32 s62, 2
	s_cselect_b32 s6, -1, 0
	s_cmp_eq_u32 s62, 1
	s_cselect_b32 s7, -1, 0
	s_cmp_eq_u32 s62, 0
	s_add_nc_u64 s[62:63], s[62:63], 1
	s_cselect_b32 s8, -1, 0
	s_wait_alu 0xfffe
	s_cmp_eq_u32 s66, s62
	s_wait_loadcnt 0x0
	v_cndmask_b32_e32 v4, v4, v41, vcc_lo
	v_cndmask_b32_e64 v3, v3, v41, s6
	v_cndmask_b32_e64 v2, v2, v41, s7
	;; [unrolled: 1-line block ×3, first 2 shown]
	s_cbranch_scc0 .LBB23_43
.LBB23_44:                              ;   in Loop: Header=BB23_12 Depth=2
	s_and_not1_b32 vcc_lo, exec_lo, s20
	s_wait_alu 0xfffe
	s_cbranch_vccnz .LBB23_56
; %bb.45:                               ;   in Loop: Header=BB23_12 Depth=2
	v_dual_mov_b32 v28, v18 :: v_dual_mov_b32 v43, 0
	v_dual_mov_b32 v44, 0 :: v_dual_mov_b32 v27, v17
	;; [unrolled: 1-line block ×3, first 2 shown]
	s_mov_b64 s[8:9], 0
.LBB23_46:                              ;   Parent Loop BB23_3 Depth=1
                                        ;     Parent Loop BB23_12 Depth=2
                                        ; =>    This Inner Loop Header: Depth=3
	s_delay_alu instid0(VALU_DEP_2)
	v_add_co_u32 v45, vcc_lo, v27, s52
	s_wait_alu 0xfffd
	v_add_co_ci_u32_e64 v46, null, s53, v28, vcc_lo
	v_add_co_u32 v47, vcc_lo, v27, s54
	s_wait_alu 0xfffd
	v_add_co_ci_u32_e64 v48, null, s55, v28, vcc_lo
	;; [unrolled: 3-line block ×3, first 2 shown]
	s_clause 0x3
	global_load_b32 v51, v[27:28], off
	global_load_b32 v45, v[45:46], off
	;; [unrolled: 1-line block ×4, first 2 shown]
	s_wait_alu 0xfffe
	s_cmp_eq_u32 s8, 1
	v_add_co_u32 v27, s6, v27, 4
	s_cselect_b32 vcc_lo, -1, 0
	s_cmp_eq_u32 s8, 2
	s_wait_alu 0xfffe
	v_cndmask_b32_e32 v48, v1, v2, vcc_lo
	s_cselect_b32 vcc_lo, -1, 0
	s_cmp_eq_u32 s8, 3
	v_add_co_ci_u32_e64 v28, null, 0, v28, s6
	s_wait_alu 0xfffe
	v_cndmask_b32_e32 v48, v48, v3, vcc_lo
	s_cselect_b32 vcc_lo, -1, 0
	s_add_nc_u64 s[8:9], s[8:9], 1
	s_wait_alu 0xfffe
	s_cmp_lg_u32 s66, s8
	v_cndmask_b32_e32 v48, v48, v4, vcc_lo
	s_wait_loadcnt 0x3
	s_delay_alu instid0(VALU_DEP_1)
	v_fmac_f32_e32 v44, v48, v51
	s_wait_loadcnt 0x2
	v_fmac_f32_e32 v43, v48, v45
	s_wait_loadcnt 0x1
	;; [unrolled: 2-line block ×3, first 2 shown]
	v_fmac_f32_e32 v41, v48, v47
	s_cbranch_scc1 .LBB23_46
	s_branch .LBB23_57
.LBB23_47:                              ;   in Loop: Header=BB23_12 Depth=2
	ds_load_b32 v27, v31
	s_wait_alu 0xfffe
	s_or_b32 exec_lo, exec_lo, s6
	s_and_saveexec_b32 s6, s3
	s_cbranch_execz .LBB23_20
.LBB23_48:                              ;   in Loop: Header=BB23_12 Depth=2
	s_wait_dscnt 0x0
	ds_bpermute_b32 v28, v38, v27
	s_wait_dscnt 0x0
	v_add_f32_e32 v27, v27, v28
	ds_bpermute_b32 v28, v39, v27
	s_wait_dscnt 0x0
	v_add_f32_e32 v27, v27, v28
	ds_bpermute_b32 v28, v40, v27
	s_wait_dscnt 0x0
	v_add_f32_e32 v27, v27, v28
	s_wait_alu 0xfffe
	s_or_b32 exec_lo, exec_lo, s6
	s_and_saveexec_b32 s6, s3
	s_cbranch_execnz .LBB23_21
	s_branch .LBB23_22
.LBB23_49:                              ;   in Loop: Header=BB23_12 Depth=2
	ds_load_b32 v28, v31
	s_wait_alu 0xfffe
	s_or_b32 exec_lo, exec_lo, s6
	s_and_saveexec_b32 s6, s3
	s_cbranch_execz .LBB23_26
.LBB23_50:                              ;   in Loop: Header=BB23_12 Depth=2
	s_wait_dscnt 0x0
	ds_bpermute_b32 v43, v38, v28
	s_wait_dscnt 0x0
	v_add_f32_e32 v28, v28, v43
	ds_bpermute_b32 v43, v39, v28
	s_wait_dscnt 0x0
	v_add_f32_e32 v28, v28, v43
	;; [unrolled: 3-line block ×3, first 2 shown]
	s_wait_alu 0xfffe
	s_or_b32 exec_lo, exec_lo, s6
	s_and_saveexec_b32 s6, s3
	s_cbranch_execnz .LBB23_27
	s_branch .LBB23_28
.LBB23_51:                              ;   in Loop: Header=BB23_12 Depth=2
	ds_load_b32 v42, v31
	s_wait_alu 0xfffe
	s_or_b32 exec_lo, exec_lo, s6
	s_and_saveexec_b32 s6, s3
	s_cbranch_execz .LBB23_32
.LBB23_52:                              ;   in Loop: Header=BB23_12 Depth=2
	s_wait_dscnt 0x0
	ds_bpermute_b32 v43, v38, v42
	s_wait_dscnt 0x0
	v_add_f32_e32 v42, v42, v43
	ds_bpermute_b32 v43, v39, v42
	s_wait_dscnt 0x0
	v_add_f32_e32 v42, v42, v43
	;; [unrolled: 3-line block ×3, first 2 shown]
	s_wait_alu 0xfffe
	s_or_b32 exec_lo, exec_lo, s6
	s_and_saveexec_b32 s6, s3
	s_cbranch_execnz .LBB23_33
	s_branch .LBB23_34
.LBB23_53:                              ;   in Loop: Header=BB23_12 Depth=2
	ds_load_b32 v41, v31
	s_wait_alu 0xfffe
	s_or_b32 exec_lo, exec_lo, s6
	s_and_saveexec_b32 s6, s3
	s_cbranch_execz .LBB23_38
.LBB23_54:                              ;   in Loop: Header=BB23_12 Depth=2
	s_wait_dscnt 0x0
	ds_bpermute_b32 v43, v38, v41
	s_wait_dscnt 0x0
	v_add_f32_e32 v41, v41, v43
	ds_bpermute_b32 v43, v39, v41
	s_wait_dscnt 0x0
	v_add_f32_e32 v41, v41, v43
	;; [unrolled: 3-line block ×3, first 2 shown]
	s_wait_alu 0xfffe
	s_or_b32 exec_lo, exec_lo, s6
	s_and_saveexec_b32 s6, s0
	s_cbranch_execz .LBB23_11
.LBB23_55:                              ;   in Loop: Header=BB23_12 Depth=2
	s_mul_u64 s[8:9], s[24:25], s[28:29]
	v_dual_mul_f32 v27, s22, v27 :: v_dual_mul_f32 v28, s22, v28
	s_or_b32 s62, s24, 1
	s_mov_b32 s63, s25
	s_wait_alu 0xfffe
	s_lshl_b64 s[8:9], s[8:9], 2
	s_mul_u64 s[62:63], s[62:63], s[28:29]
	s_wait_alu 0xfffe
	s_add_nc_u64 s[8:9], s[56:57], s[8:9]
	s_or_b32 s68, s24, 2
	s_mov_b32 s69, s25
	global_store_b32 v0, v27, s[8:9]
	s_lshl_b64 s[8:9], s[62:63], 2
	s_mul_u64 s[62:63], s[68:69], s[28:29]
	s_or_b32 s68, s24, 3
	s_wait_alu 0xfffe
	s_add_nc_u64 s[8:9], s[56:57], s[8:9]
	s_mul_u64 s[68:69], s[68:69], s[28:29]
	v_mul_f32_e32 v27, s22, v42
	global_store_b32 v0, v28, s[8:9]
	s_lshl_b64 s[8:9], s[62:63], 2
	s_wait_dscnt 0x0
	v_mul_f32_e32 v28, s22, v41
	s_lshl_b64 s[62:63], s[68:69], 2
	s_wait_alu 0xfffe
	s_add_nc_u64 s[8:9], s[56:57], s[8:9]
	s_add_nc_u64 s[62:63], s[56:57], s[62:63]
	s_clause 0x1
	global_store_b32 v0, v27, s[8:9]
	global_store_b32 v0, v28, s[62:63]
	s_branch .LBB23_11
.LBB23_56:                              ;   in Loop: Header=BB23_12 Depth=2
	v_dual_mov_b32 v41, 0 :: v_dual_mov_b32 v42, 0
	v_dual_mov_b32 v43, 0 :: v_dual_mov_b32 v44, 0
.LBB23_57:                              ;   in Loop: Header=BB23_12 Depth=2
	s_or_b32 exec_lo, exec_lo, s68
	s_wait_alu 0xfffe
	s_or_b32 exec_lo, exec_lo, s11
	s_and_saveexec_b32 s6, s3
	s_cbranch_execnz .LBB23_15
	s_branch .LBB23_16
.LBB23_58:                              ;   in Loop: Header=BB23_3 Depth=1
	v_mov_b32_e32 v3, v0
	v_dual_mov_b32 v1, v0 :: v_dual_mov_b32 v2, v0
	s_mov_b32 s24, 0
	s_delay_alu instid0(VALU_DEP_2) | instskip(NEXT) | instid1(VALU_DEP_2)
	v_mov_b32_e32 v4, v3
	v_mov_b32_e32 v3, v2
	s_delay_alu instid0(VALU_DEP_3)
	v_mov_b32_e32 v2, v1
	v_mov_b32_e32 v1, v0
.LBB23_59:                              ;   in Loop: Header=BB23_3 Depth=1
	s_wait_alu 0xfffe
	s_cmp_ge_i32 s24, s21
	s_cbranch_scc1 .LBB23_2
; %bb.60:                               ;   in Loop: Header=BB23_3 Depth=1
	v_cmp_gt_u32_e32 vcc_lo, 24, v33
	s_mul_u64 s[6:7], s[52:53], s[24:25]
	s_wait_alu 0xfffe
	s_add_nc_u64 s[6:7], s[6:7], s[58:59]
	s_wait_alu 0xfffd
	v_cndmask_b32_e64 v17, 0, 8, vcc_lo
	v_cmp_gt_u32_e32 vcc_lo, 28, v33
	s_delay_alu instid0(VALU_DEP_2) | instskip(SKIP_3) | instid1(VALU_DEP_2)
	v_add_lshl_u32 v37, v17, v33, 2
	s_wait_alu 0xfffd
	v_cndmask_b32_e64 v18, 0, 4, vcc_lo
	v_cmp_gt_u32_e32 vcc_lo, 30, v33
	v_add_lshl_u32 v38, v18, v33, 2
	s_wait_alu 0xfffd
	v_cndmask_b32_e64 v19, 0, 2, vcc_lo
	v_cmp_ne_u32_e32 vcc_lo, 31, v33
	s_delay_alu instid0(VALU_DEP_2)
	v_add_lshl_u32 v39, v19, v33, 2
	s_wait_alu 0xfffd
	v_add_co_ci_u32_e64 v20, null, 0, v33, vcc_lo
	v_add_co_u32 v17, vcc_lo, s60, v5
	s_wait_alu 0xfffd
	v_add_co_ci_u32_e64 v18, null, s61, v6, vcc_lo
	v_add_co_u32 v19, vcc_lo, s60, v9
	v_lshlrev_b32_e32 v40, 2, v20
	s_wait_alu 0xfffd
	v_add_co_ci_u32_e64 v20, null, s61, v10, vcc_lo
	v_add_co_u32 v21, vcc_lo, s60, v11
	s_wait_alu 0xfffd
	v_add_co_ci_u32_e64 v22, null, s61, v12, vcc_lo
	v_add_co_u32 v23, vcc_lo, s60, v13
	s_wait_alu 0xfffd
	v_add_co_ci_u32_e64 v24, null, s61, v14, vcc_lo
	s_wait_alu 0xfffe
	v_add_co_u32 v25, vcc_lo, v29, s6
	s_wait_alu 0xfffd
	v_add_co_ci_u32_e64 v26, null, s7, v30, vcc_lo
	s_branch .LBB23_62
.LBB23_61:                              ;   in Loop: Header=BB23_62 Depth=2
	s_wait_alu 0xfffe
	s_or_b32 exec_lo, exec_lo, s6
	v_add_co_u32 v25, vcc_lo, v25, s52
	s_wait_alu 0xfffd
	v_add_co_ci_u32_e64 v26, null, s53, v26, vcc_lo
	s_add_co_i32 s24, s24, 1
	s_wait_alu 0xfffe
	s_cmp_ge_i32 s24, s21
	s_cbranch_scc1 .LBB23_2
.LBB23_62:                              ;   Parent Loop BB23_3 Depth=1
                                        ; =>  This Loop Header: Depth=2
                                        ;       Child Loop BB23_75 Depth 3
                                        ;       Child Loop BB23_78 Depth 3
	s_wait_dscnt 0x0
	v_mov_b32_e32 v41, s25
	s_and_saveexec_b32 s6, s1
	s_wait_alu 0xfffe
	s_xor_b32 s6, exec_lo, s6
	s_cbranch_execnz .LBB23_71
; %bb.63:                               ;   in Loop: Header=BB23_62 Depth=2
	s_wait_alu 0xfffe
	s_and_not1_saveexec_b32 s9, s6
	s_cbranch_execnz .LBB23_72
.LBB23_64:                              ;   in Loop: Header=BB23_62 Depth=2
	s_wait_alu 0xfffe
	s_or_b32 exec_lo, exec_lo, s9
	s_and_saveexec_b32 s6, s3
.LBB23_65:                              ;   in Loop: Header=BB23_62 Depth=2
	ds_store_b32 v31, v0
.LBB23_66:                              ;   in Loop: Header=BB23_62 Depth=2
	s_wait_alu 0xfffe
	s_or_b32 exec_lo, exec_lo, s6
	ds_bpermute_b32 v27, v34, v41
	s_wait_storecnt 0x0
	s_wait_loadcnt_dscnt 0x0
	s_barrier_signal -1
	s_barrier_wait -1
	global_inv scope:SCOPE_SE
	v_add_f32_e32 v27, v41, v27
	ds_bpermute_b32 v28, v37, v27
	s_wait_dscnt 0x0
	v_add_f32_e32 v27, v27, v28
	ds_bpermute_b32 v28, v38, v27
	s_wait_dscnt 0x0
	;; [unrolled: 3-line block ×3, first 2 shown]
	v_add_f32_e32 v27, v27, v28
	ds_bpermute_b32 v28, v40, v27
	s_and_saveexec_b32 s6, s4
	s_cbranch_execz .LBB23_68
; %bb.67:                               ;   in Loop: Header=BB23_62 Depth=2
	s_wait_dscnt 0x0
	v_add_f32_e32 v27, v27, v28
	ds_store_b32 v32, v27
.LBB23_68:                              ;   in Loop: Header=BB23_62 Depth=2
	s_wait_alu 0xfffe
	s_or_b32 exec_lo, exec_lo, s6
	v_mov_b32_e32 v27, 0
	s_wait_loadcnt_dscnt 0x0
	s_barrier_signal -1
	s_barrier_wait -1
	global_inv scope:SCOPE_SE
	s_and_saveexec_b32 s6, s5
	s_cbranch_execnz .LBB23_80
; %bb.69:                               ;   in Loop: Header=BB23_62 Depth=2
	s_wait_alu 0xfffe
	s_or_b32 exec_lo, exec_lo, s6
	s_and_saveexec_b32 s6, s3
	s_cbranch_execnz .LBB23_81
.LBB23_70:                              ;   in Loop: Header=BB23_62 Depth=2
	s_wait_alu 0xfffe
	s_or_b32 exec_lo, exec_lo, s6
	s_and_saveexec_b32 s6, s0
	s_cbranch_execz .LBB23_61
	s_branch .LBB23_82
.LBB23_71:                              ;   in Loop: Header=BB23_62 Depth=2
	s_mul_u64 s[8:9], s[24:25], s[26:27]
	s_wait_alu 0xfffe
	s_lshl_b64 s[8:9], s[8:9], 2
	s_wait_alu 0xfffe
	v_add_co_u32 v1, vcc_lo, v35, s8
	s_wait_alu 0xfffd
	v_add_co_ci_u32_e64 v2, null, s9, v36, vcc_lo
	global_load_b128 v[41:44], v[1:2], off
	s_clause 0x3
	global_load_b32 v1, v[17:18], off
	global_load_b32 v2, v[19:20], off
	;; [unrolled: 1-line block ×4, first 2 shown]
	s_wait_loadcnt 0x3
	v_fma_f32 v41, v1, v41, 0
	s_wait_loadcnt 0x2
	s_delay_alu instid0(VALU_DEP_1) | instskip(SKIP_1) | instid1(VALU_DEP_1)
	v_fmac_f32_e32 v41, v2, v42
	s_wait_loadcnt 0x1
	v_fmac_f32_e32 v41, v3, v43
	s_wait_loadcnt 0x0
	s_delay_alu instid0(VALU_DEP_1)
	v_fmac_f32_e32 v41, v4, v44
	s_and_not1_saveexec_b32 s9, s6
	s_cbranch_execz .LBB23_64
.LBB23_72:                              ;   in Loop: Header=BB23_62 Depth=2
	s_and_saveexec_b32 s11, s2
	s_cbranch_execz .LBB23_79
; %bb.73:                               ;   in Loop: Header=BB23_62 Depth=2
	s_and_not1_b32 vcc_lo, exec_lo, s20
	s_wait_alu 0xfffe
	s_cbranch_vccnz .LBB23_76
; %bb.74:                               ;   in Loop: Header=BB23_62 Depth=2
	v_dual_mov_b32 v28, v16 :: v_dual_mov_b32 v27, v15
	s_mov_b64 s[58:59], 0
.LBB23_75:                              ;   Parent Loop BB23_3 Depth=1
                                        ;     Parent Loop BB23_62 Depth=2
                                        ; =>    This Inner Loop Header: Depth=3
	global_load_b32 v42, v[27:28], off
	s_wait_alu 0xfffe
	s_cmp_eq_u32 s58, 3
	v_add_co_u32 v27, vcc_lo, v27, s44
	s_wait_alu 0xfffd
	v_add_co_ci_u32_e64 v28, null, s45, v28, vcc_lo
	s_cselect_b32 vcc_lo, -1, 0
	s_cmp_eq_u32 s58, 2
	s_cselect_b32 s6, -1, 0
	s_cmp_eq_u32 s58, 1
	s_cselect_b32 s7, -1, 0
	s_cmp_eq_u32 s58, 0
	s_add_nc_u64 s[58:59], s[58:59], 1
	s_cselect_b32 s8, -1, 0
	s_wait_alu 0xfffe
	s_cmp_eq_u32 s66, s58
	s_wait_loadcnt 0x0
	v_cndmask_b32_e32 v4, v4, v42, vcc_lo
	v_cndmask_b32_e64 v3, v3, v42, s6
	v_cndmask_b32_e64 v2, v2, v42, s7
	;; [unrolled: 1-line block ×3, first 2 shown]
	s_cbranch_scc0 .LBB23_75
.LBB23_76:                              ;   in Loop: Header=BB23_62 Depth=2
	s_and_not1_b32 vcc_lo, exec_lo, s20
	s_wait_alu 0xfffe
	s_cbranch_vccnz .LBB23_79
; %bb.77:                               ;   in Loop: Header=BB23_62 Depth=2
	v_dual_mov_b32 v28, v26 :: v_dual_mov_b32 v27, v25
	s_mov_b64 s[6:7], 0
.LBB23_78:                              ;   Parent Loop BB23_3 Depth=1
                                        ;     Parent Loop BB23_62 Depth=2
                                        ; =>    This Inner Loop Header: Depth=3
	global_load_b32 v42, v[27:28], off
	s_wait_alu 0xfffe
	s_cmp_eq_u32 s6, 1
	s_cselect_b32 vcc_lo, -1, 0
	s_cmp_eq_u32 s6, 2
	s_wait_alu 0xfffe
	v_cndmask_b32_e32 v43, v1, v2, vcc_lo
	s_cselect_b32 vcc_lo, -1, 0
	s_cmp_eq_u32 s6, 3
	s_add_nc_u64 s[6:7], s[6:7], 1
	s_wait_alu 0xfffe
	v_cndmask_b32_e32 v43, v43, v3, vcc_lo
	s_cselect_b32 vcc_lo, -1, 0
	s_cmp_lg_u32 s66, s6
	s_wait_alu 0xfffe
	s_delay_alu instid0(VALU_DEP_1)
	v_cndmask_b32_e32 v43, v43, v4, vcc_lo
	v_add_co_u32 v27, vcc_lo, v27, 4
	s_wait_alu 0xfffd
	v_add_co_ci_u32_e64 v28, null, 0, v28, vcc_lo
	s_wait_loadcnt 0x0
	v_fmac_f32_e32 v41, v43, v42
	s_cbranch_scc1 .LBB23_78
.LBB23_79:                              ;   in Loop: Header=BB23_62 Depth=2
	s_wait_alu 0xfffe
	s_or_b32 exec_lo, exec_lo, s11
	s_delay_alu instid0(SALU_CYCLE_1)
	s_or_b32 exec_lo, exec_lo, s9
	s_and_saveexec_b32 s6, s3
	s_cbranch_execnz .LBB23_65
	s_branch .LBB23_66
.LBB23_80:                              ;   in Loop: Header=BB23_62 Depth=2
	ds_load_b32 v27, v31
	s_wait_alu 0xfffe
	s_or_b32 exec_lo, exec_lo, s6
	s_and_saveexec_b32 s6, s3
	s_cbranch_execz .LBB23_70
.LBB23_81:                              ;   in Loop: Header=BB23_62 Depth=2
	s_wait_dscnt 0x0
	ds_bpermute_b32 v28, v38, v27
	s_wait_dscnt 0x0
	v_add_f32_e32 v27, v27, v28
	ds_bpermute_b32 v28, v39, v27
	s_wait_dscnt 0x0
	v_add_f32_e32 v27, v27, v28
	;; [unrolled: 3-line block ×3, first 2 shown]
	s_wait_alu 0xfffe
	s_or_b32 exec_lo, exec_lo, s6
	s_and_saveexec_b32 s6, s0
	s_cbranch_execz .LBB23_61
.LBB23_82:                              ;   in Loop: Header=BB23_62 Depth=2
	s_mul_u64 s[8:9], s[24:25], s[28:29]
	s_wait_dscnt 0x0
	v_mul_f32_e32 v27, s22, v27
	s_wait_alu 0xfffe
	s_lshl_b64 s[8:9], s[8:9], 2
	s_wait_alu 0xfffe
	s_add_nc_u64 s[8:9], s[56:57], s[8:9]
	global_store_b32 v0, v27, s[8:9]
	s_branch .LBB23_61
.LBB23_83:
	s_endpgm
	.section	.rodata,"a",@progbits
	.p2align	6, 0x0
	.amdhsa_kernel _ZL23rocblas_gemvt_sn_kernelILb0ELi256ELi4ElfffEviiT4_lPKT3_lilS3_lilPT5_i
		.amdhsa_group_segment_fixed_size 128
		.amdhsa_private_segment_fixed_size 0
		.amdhsa_kernarg_size 360
		.amdhsa_user_sgpr_count 2
		.amdhsa_user_sgpr_dispatch_ptr 0
		.amdhsa_user_sgpr_queue_ptr 0
		.amdhsa_user_sgpr_kernarg_segment_ptr 1
		.amdhsa_user_sgpr_dispatch_id 0
		.amdhsa_user_sgpr_private_segment_size 0
		.amdhsa_wavefront_size32 1
		.amdhsa_uses_dynamic_stack 0
		.amdhsa_enable_private_segment 0
		.amdhsa_system_sgpr_workgroup_id_x 1
		.amdhsa_system_sgpr_workgroup_id_y 0
		.amdhsa_system_sgpr_workgroup_id_z 1
		.amdhsa_system_sgpr_workgroup_info 0
		.amdhsa_system_vgpr_workitem_id 0
		.amdhsa_next_free_vgpr 60
		.amdhsa_next_free_sgpr 70
		.amdhsa_reserve_vcc 1
		.amdhsa_float_round_mode_32 0
		.amdhsa_float_round_mode_16_64 0
		.amdhsa_float_denorm_mode_32 3
		.amdhsa_float_denorm_mode_16_64 3
		.amdhsa_fp16_overflow 0
		.amdhsa_workgroup_processor_mode 1
		.amdhsa_memory_ordered 1
		.amdhsa_forward_progress 1
		.amdhsa_inst_pref_size 35
		.amdhsa_round_robin_scheduling 0
		.amdhsa_exception_fp_ieee_invalid_op 0
		.amdhsa_exception_fp_denorm_src 0
		.amdhsa_exception_fp_ieee_div_zero 0
		.amdhsa_exception_fp_ieee_overflow 0
		.amdhsa_exception_fp_ieee_underflow 0
		.amdhsa_exception_fp_ieee_inexact 0
		.amdhsa_exception_int_div_zero 0
	.end_amdhsa_kernel
	.section	.text._ZL23rocblas_gemvt_sn_kernelILb0ELi256ELi4ElfffEviiT4_lPKT3_lilS3_lilPT5_i,"axG",@progbits,_ZL23rocblas_gemvt_sn_kernelILb0ELi256ELi4ElfffEviiT4_lPKT3_lilS3_lilPT5_i,comdat
.Lfunc_end23:
	.size	_ZL23rocblas_gemvt_sn_kernelILb0ELi256ELi4ElfffEviiT4_lPKT3_lilS3_lilPT5_i, .Lfunc_end23-_ZL23rocblas_gemvt_sn_kernelILb0ELi256ELi4ElfffEviiT4_lPKT3_lilS3_lilPT5_i
                                        ; -- End function
	.set _ZL23rocblas_gemvt_sn_kernelILb0ELi256ELi4ElfffEviiT4_lPKT3_lilS3_lilPT5_i.num_vgpr, 60
	.set _ZL23rocblas_gemvt_sn_kernelILb0ELi256ELi4ElfffEviiT4_lPKT3_lilS3_lilPT5_i.num_agpr, 0
	.set _ZL23rocblas_gemvt_sn_kernelILb0ELi256ELi4ElfffEviiT4_lPKT3_lilS3_lilPT5_i.numbered_sgpr, 70
	.set _ZL23rocblas_gemvt_sn_kernelILb0ELi256ELi4ElfffEviiT4_lPKT3_lilS3_lilPT5_i.num_named_barrier, 0
	.set _ZL23rocblas_gemvt_sn_kernelILb0ELi256ELi4ElfffEviiT4_lPKT3_lilS3_lilPT5_i.private_seg_size, 0
	.set _ZL23rocblas_gemvt_sn_kernelILb0ELi256ELi4ElfffEviiT4_lPKT3_lilS3_lilPT5_i.uses_vcc, 1
	.set _ZL23rocblas_gemvt_sn_kernelILb0ELi256ELi4ElfffEviiT4_lPKT3_lilS3_lilPT5_i.uses_flat_scratch, 0
	.set _ZL23rocblas_gemvt_sn_kernelILb0ELi256ELi4ElfffEviiT4_lPKT3_lilS3_lilPT5_i.has_dyn_sized_stack, 0
	.set _ZL23rocblas_gemvt_sn_kernelILb0ELi256ELi4ElfffEviiT4_lPKT3_lilS3_lilPT5_i.has_recursion, 0
	.set _ZL23rocblas_gemvt_sn_kernelILb0ELi256ELi4ElfffEviiT4_lPKT3_lilS3_lilPT5_i.has_indirect_call, 0
	.section	.AMDGPU.csdata,"",@progbits
; Kernel info:
; codeLenInByte = 4456
; TotalNumSgprs: 72
; NumVgprs: 60
; ScratchSize: 0
; MemoryBound: 0
; FloatMode: 240
; IeeeMode: 1
; LDSByteSize: 128 bytes/workgroup (compile time only)
; SGPRBlocks: 0
; VGPRBlocks: 7
; NumSGPRsForWavesPerEU: 72
; NumVGPRsForWavesPerEU: 60
; Occupancy: 16
; WaveLimiterHint : 0
; COMPUTE_PGM_RSRC2:SCRATCH_EN: 0
; COMPUTE_PGM_RSRC2:USER_SGPR: 2
; COMPUTE_PGM_RSRC2:TRAP_HANDLER: 0
; COMPUTE_PGM_RSRC2:TGID_X_EN: 1
; COMPUTE_PGM_RSRC2:TGID_Y_EN: 0
; COMPUTE_PGM_RSRC2:TGID_Z_EN: 1
; COMPUTE_PGM_RSRC2:TIDIG_COMP_CNT: 0
	.section	.text._ZL36rocblas_gemvt_double_buffered_kernelILb0ELi128ELi8ELi8EfPKffEviiT4_lPKT3_lilS5_lilPT5_lili,"axG",@progbits,_ZL36rocblas_gemvt_double_buffered_kernelILb0ELi128ELi8ELi8EfPKffEviiT4_lPKT3_lilS5_lilPT5_lili,comdat
	.globl	_ZL36rocblas_gemvt_double_buffered_kernelILb0ELi128ELi8ELi8EfPKffEviiT4_lPKT3_lilS5_lilPT5_lili ; -- Begin function _ZL36rocblas_gemvt_double_buffered_kernelILb0ELi128ELi8ELi8EfPKffEviiT4_lPKT3_lilS5_lilPT5_lili
	.p2align	8
	.type	_ZL36rocblas_gemvt_double_buffered_kernelILb0ELi128ELi8ELi8EfPKffEviiT4_lPKT3_lilS5_lilPT5_lili,@function
_ZL36rocblas_gemvt_double_buffered_kernelILb0ELi128ELi8ELi8EfPKffEviiT4_lPKT3_lilS5_lilPT5_lili: ; @_ZL36rocblas_gemvt_double_buffered_kernelILb0ELi128ELi8ELi8EfPKffEviiT4_lPKT3_lilS5_lilPT5_lili
; %bb.0:
	s_load_b32 s33, s[0:1], 0x78
	s_lshr_b32 s2, ttmp7, 16
	s_wait_kmcnt 0x0
	s_cmp_ge_u32 s2, s33
	s_cbranch_scc1 .LBB24_15
; %bb.1:
	s_clause 0x7
	s_load_b32 s30, s[0:1], 0x28
	s_load_b96 s[20:22], s[0:1], 0x40
	s_load_b96 s[24:26], s[0:1], 0x60
	s_load_b256 s[4:11], s[0:1], 0x8
	s_load_b32 s3, s[0:1], 0x0
	s_load_b128 s[16:19], s[0:1], 0x50
	s_load_b128 s[12:15], s[0:1], 0x30
	s_load_b64 s[28:29], s[0:1], 0x70
	v_and_b32_e32 v7, 0x3ff, v0
	s_lshl_b32 s36, ttmp9, 7
	v_dual_mov_b32 v2, 0 :: v_dual_and_b32 v1, 63, v0
	s_ashr_i32 s37, s36, 31
	v_bfe_u32 v0, v0, 10, 10
	v_add_nc_u32_e32 v12, 1, v7
	v_lshlrev_b32_e32 v10, 8, v7
	v_add_nc_u32_e32 v16, 5, v7
	v_add_nc_u32_e32 v17, 6, v7
	v_lshl_add_u32 v11, v0, 7, v7
	v_and_b32_e32 v12, 63, v12
	v_add_nc_u32_e32 v20, 9, v7
	v_and_b32_e32 v18, 63, v16
	s_wait_kmcnt 0x0
	s_ashr_i32 s39, s26, 31
	s_mov_b32 s38, s26
	s_lshl_b64 s[10:11], s[10:11], 2
	s_lshl_b64 s[24:25], s[24:25], 2
	s_add_nc_u64 s[34:35], s[8:9], s[10:11]
	s_add_nc_u64 s[10:11], s[0:1], 0x80
	s_mul_u64 s[0:1], s[38:39], s[36:37]
	s_add_nc_u64 s[24:25], s[18:19], s[24:25]
	s_lshl_b64 s[0:1], s[0:1], 2
	v_lshl_or_b32 v14, v12, 2, v10
	s_add_nc_u64 s[38:39], s[24:25], s[0:1]
	v_cmp_eq_u32_e64 s0, 0, v0
	v_add_nc_u32_e32 v0, 3, v7
	v_add_nc_u32_e32 v12, 4, v7
	v_and_b32_e32 v19, 63, v17
	v_add_nc_u32_e32 v21, 10, v7
	v_add_nc_u32_e32 v22, 11, v7
	v_and_b32_e32 v0, 63, v0
	v_and_b32_e32 v12, 63, v12
	;; [unrolled: 1-line block ×3, first 2 shown]
	v_add_nc_u32_e32 v25, 14, v7
	v_and_b32_e32 v24, 63, v22
	v_lshl_or_b32 v16, v0, 2, v10
	v_add_nc_u32_e32 v0, 7, v7
	v_lshl_or_b32 v17, v12, 2, v10
	v_add_nc_u32_e32 v12, 8, v7
	;; [unrolled: 2-line block ×3, first 2 shown]
	v_and_b32_e32 v0, 63, v0
	v_add_nc_u32_e32 v27, 16, v7
	v_and_b32_e32 v12, 63, v12
	v_and_b32_e32 v28, 63, v25
	v_add_nc_u32_e32 v30, 19, v7
	v_lshl_or_b32 v20, v0, 2, v10
	v_and_b32_e32 v0, 63, v21
	v_lshl_or_b32 v21, v12, 2, v10
	v_add_nc_u32_e32 v12, 12, v7
	v_and_b32_e32 v29, 63, v27
	v_lshl_or_b32 v27, v28, 2, v10
	v_lshl_or_b32 v23, v0, 2, v10
	v_add_nc_u32_e32 v0, 13, v7
	v_and_b32_e32 v12, 63, v12
	v_add_nc_u32_e32 v31, 20, v7
	v_add_nc_u32_e32 v32, 21, v7
	v_and_b32_e32 v33, 63, v30
	v_and_b32_e32 v0, 63, v0
	v_lshl_or_b32 v25, v12, 2, v10
	v_and_b32_e32 v12, 63, v26
	v_and_b32_e32 v34, 63, v32
	v_lshl_or_b32 v32, v33, 2, v10
	v_lshl_or_b32 v26, v0, 2, v10
	v_add_nc_u32_e32 v0, 17, v7
	v_lshl_or_b32 v28, v12, 2, v10
	v_add_nc_u32_e32 v12, 18, v7
	v_add_nc_u32_e32 v35, 24, v7
	;; [unrolled: 1-line block ×3, first 2 shown]
	v_and_b32_e32 v0, 63, v0
	v_add_nc_u32_e32 v37, 26, v7
	v_and_b32_e32 v12, 63, v12
	v_and_b32_e32 v38, 63, v35
	v_add_nc_u32_e32 v40, 29, v7
	v_lshl_or_b32 v30, v0, 2, v10
	v_and_b32_e32 v0, 63, v31
	v_lshl_or_b32 v31, v12, 2, v10
	v_add_nc_u32_e32 v12, 22, v7
	v_add_nc_u32_e32 v41, 30, v7
	v_lshrrev_b32_e32 v9, 3, v11
	v_lshl_or_b32 v33, v0, 2, v10
	v_add_nc_u32_e32 v0, 23, v7
	v_and_b32_e32 v12, 63, v12
	v_and_b32_e32 v39, 63, v37
	v_lshl_or_b32 v37, v38, 2, v10
	v_add_nc_u32_e32 v42, 31, v7
	v_and_b32_e32 v0, 63, v0
	v_lshl_or_b32 v35, v12, 2, v10
	v_and_b32_e32 v12, 63, v36
	v_and_b32_e32 v43, 63, v40
	v_and_b32_e32 v8, 0x7ff8, v9
	v_lshl_or_b32 v36, v0, 2, v10
	v_add_nc_u32_e32 v0, 27, v7
	v_lshl_or_b32 v38, v12, 2, v10
	v_add_nc_u32_e32 v12, 28, v7
	v_and_b32_e32 v44, 63, v42
	v_lshl_or_b32 v42, v43, 2, v10
	v_and_b32_e32 v0, 63, v0
	v_mad_co_i64_i32 v[5:6], null, s30, v8, v[1:2]
	v_and_b32_e32 v12, 63, v12
	v_lshlrev_b32_e32 v13, 2, v1
	s_delay_alu instid0(VALU_DEP_4)
	v_lshl_or_b32 v40, v0, 2, v10
	v_and_b32_e32 v0, 63, v41
	v_xor_b32_e32 v1, 32, v1
	v_lshl_or_b32 v41, v12, 2, v10
	v_add_nc_u32_e32 v12, 33, v7
	v_add_nc_u32_e32 v47, 35, v7
	v_lshl_or_b32 v43, v0, 2, v10
	v_add_nc_u32_e32 v0, 34, v7
	v_add_nc_u32_e32 v48, 36, v7
	v_and_b32_e32 v12, 63, v12
	v_lshl_or_b32 v45, v1, 2, v10
	v_and_b32_e32 v1, 63, v47
	v_and_b32_e32 v0, 63, v0
	v_add_nc_u32_e32 v50, 38, v7
	v_lshl_or_b32 v46, v12, 2, v10
	v_and_b32_e32 v12, 63, v48
	v_lshl_or_b32 v48, v1, 2, v10
	v_lshl_or_b32 v47, v0, 2, v10
	v_add_nc_u32_e32 v0, 37, v7
	v_add_nc_u32_e32 v1, 39, v7
	;; [unrolled: 1-line block ×3, first 2 shown]
	v_lshl_or_b32 v49, v12, 2, v10
	v_and_b32_e32 v12, 63, v50
	v_and_b32_e32 v0, 63, v0
	v_add_nc_u32_e32 v53, 41, v7
	v_and_b32_e32 v1, 63, v1
	v_add_nc_u32_e32 v55, 43, v7
	v_lshl_or_b32 v51, v12, 2, v10
	v_lshl_or_b32 v50, v0, 2, v10
	v_and_b32_e32 v0, 63, v52
	v_and_b32_e32 v12, 63, v53
	v_lshl_or_b32 v52, v1, 2, v10
	v_add_nc_u32_e32 v1, 42, v7
	v_add_nc_u32_e32 v57, 45, v7
	v_lshl_or_b32 v53, v0, 2, v10
	v_add_nc_u32_e32 v0, 44, v7
	v_lshl_or_b32 v54, v12, 2, v10
	v_and_b32_e32 v1, 63, v1
	v_and_b32_e32 v12, 63, v55
	v_add_nc_u32_e32 v58, 46, v7
	v_and_b32_e32 v0, 63, v0
	s_and_b32 s40, ttmp7, 0xffff
	v_lshl_or_b32 v55, v1, 2, v10
	v_and_b32_e32 v1, 63, v57
	v_cvt_f64_i32_e32 v[3:4], s40
	v_lshl_or_b32 v57, v0, 2, v10
	v_add_nc_u32_e32 v0, 47, v7
	v_lshl_or_b32 v56, v12, 2, v10
	v_and_b32_e32 v12, 63, v58
	v_add_nc_u32_e32 v60, 48, v7
	v_lshl_or_b32 v58, v1, 2, v10
	v_add_nc_u32_e32 v1, 49, v7
	v_and_b32_e32 v0, 63, v0
	v_add_nc_u32_e32 v62, 50, v7
	v_lshl_or_b32 v59, v12, 2, v10
	v_and_b32_e32 v12, 63, v60
	v_add_nc_u32_e32 v63, 51, v7
	v_and_b32_e32 v1, 63, v1
	v_lshl_or_b32 v60, v0, 2, v10
	v_and_b32_e32 v0, 63, v62
	v_lshl_or_b32 v61, v12, 2, v10
	;; [unrolled: 2-line block ×3, first 2 shown]
	v_add_nc_u32_e32 v1, 52, v7
	v_add_nc_u32_e32 v65, 53, v7
	v_lshl_or_b32 v63, v0, 2, v10
	v_add_nc_u32_e32 v0, 54, v7
	v_lshl_or_b32 v64, v12, 2, v10
	v_and_b32_e32 v1, 63, v1
	v_and_b32_e32 v12, 63, v65
	v_add_nc_u32_e32 v67, 55, v7
	v_add_nc_u32_e32 v68, 56, v7
	v_and_b32_e32 v0, 63, v0
	v_lshrrev_b32_e32 v11, 1, v11
	v_lshl_or_b32 v65, v1, 2, v10
	v_lshl_or_b32 v66, v12, 2, v10
	v_and_b32_e32 v1, 63, v67
	v_and_b32_e32 v12, 63, v68
	v_lshl_or_b32 v67, v0, 2, v10
	v_add_nc_u32_e32 v0, 57, v7
	v_and_b32_e32 v11, 0x1ffe0, v11
	s_ashr_i32 s27, s3, 31
	v_lshl_or_b32 v68, v1, 2, v10
	s_lshr_b32 s18, s27, 25
	v_lshl_or_b32 v69, v12, 2, v10
	v_and_b32_e32 v12, 63, v0
	v_mad_co_i64_i32 v[0:1], null, s26, v7, 0
	s_lshl_b64 s[26:27], s[36:37], 2
	v_add_nc_u32_e32 v70, 58, v7
	s_wait_alu 0xfffe
	v_add_co_u32 v74, s1, v11, s26
	s_delay_alu instid0(VALU_DEP_1)
	v_add_co_ci_u32_e64 v73, null, 0, s27, s1
	s_ashr_i32 s31, s30, 31
	v_or_b32_e32 v75, 4, v74
	v_max_num_f64_e32 v[3:4], v[3:4], v[3:4]
	v_mul_lo_u32 v77, v73, s30
	v_and_b32_e32 v71, 63, v70
	v_lshl_or_b32 v70, v12, 2, v10
	v_mad_co_u64_u32 v[80:81], null, v75, s30, s[34:35]
	s_wait_alu 0xfffe
	v_mul_lo_u32 v75, v75, s31
	v_lshlrev_b64_e32 v[11:12], 2, v[0:1]
	v_mad_co_u64_u32 v[0:1], null, v74, s30, s[34:35]
	v_mul_lo_u32 v76, v74, s31
	v_add_nc_u32_e32 v72, 59, v7
	v_or_b32_e32 v79, 8, v74
	v_or_b32_e32 v82, 20, v74
	v_add3_u32 v81, v77, v81, v75
	v_or_b32_e32 v75, 12, v74
	v_and_b32_e32 v78, 63, v72
	v_add_co_u32 v72, vcc_lo, s38, v11
	s_delay_alu instid0(VALU_DEP_1)
	v_add_co_ci_u32_e64 v73, null, s39, v12, vcc_lo
	v_add3_u32 v1, v77, v1, v76
	v_mad_co_u64_u32 v[11:12], null, v79, s30, s[34:35]
	v_mul_lo_u32 v76, v79, s31
	v_or_b32_e32 v79, 16, v74
	v_or_b32_e32 v83, 24, v74
	;; [unrolled: 1-line block ×3, first 2 shown]
	v_mad_co_u64_u32 v[84:85], null, v75, s30, s[34:35]
	v_mul_lo_u32 v75, v75, s31
	v_mad_co_u64_u32 v[88:89], null, v82, s30, s[34:35]
	v_mul_lo_u32 v82, v82, s31
	;; [unrolled: 2-line block ×5, first 2 shown]
	v_add3_u32 v12, v77, v12, v76
	v_add_co_u32 v80, vcc_lo, 0x200, v80
	v_add3_u32 v85, v77, v85, v75
	v_add3_u32 v89, v77, v89, v82
	s_wait_alu 0xfffd
	v_add_co_ci_u32_e64 v81, null, 0, v81, vcc_lo
	v_add_co_u32 v82, vcc_lo, 0x200, v11
	v_add3_u32 v87, v77, v87, v79
	v_add_nc_u32_e32 v15, 2, v7
	v_add_nc_u32_e32 v75, 60, v7
	v_add3_u32 v91, v77, v91, v83
	v_add_nc_u32_e32 v76, 61, v7
	v_add3_u32 v93, v77, v93, v74
	v_add_nc_u32_e32 v74, 62, v7
	v_add_nc_u32_e32 v7, -1, v7
	s_wait_alu 0xfffd
	v_add_co_ci_u32_e64 v83, null, 0, v12, vcc_lo
	v_add_co_u32 v84, vcc_lo, 0x200, v84
	s_wait_alu 0xfffd
	v_add_co_ci_u32_e64 v85, null, 0, v85, vcc_lo
	v_add_co_u32 v86, vcc_lo, 0x200, v86
	;; [unrolled: 3-line block ×3, first 2 shown]
	v_lshlrev_b32_e32 v8, 8, v8
	v_lshl_or_b32 v9, v9, 8, 0x700
	v_and_b32_e32 v15, 63, v15
	v_and_b32_e32 v75, 63, v75
	;; [unrolled: 1-line block ×5, first 2 shown]
	s_wait_alu 0xfffd
	v_add_co_ci_u32_e64 v89, null, 0, v89, vcc_lo
	v_add_co_u32 v90, vcc_lo, 0x200, v90
	s_wait_alu 0xfffd
	v_add_co_ci_u32_e64 v91, null, 0, v91, vcc_lo
	v_add_co_u32 v92, vcc_lo, 0x200, v92
	s_add_co_i32 s3, s3, s18
	s_mul_u64 s[18:19], s[30:31], s[36:37]
	v_lshlrev_b64_e32 v[5:6], 2, v[5:6]
	v_lshl_or_b32 v15, v15, 2, v10
	v_lshl_or_b32 v18, v18, 2, v10
	;; [unrolled: 1-line block ×14, first 2 shown]
	v_or_b32_e32 v79, v10, v13
	s_wait_alu 0xfffd
	v_add_co_ci_u32_e64 v93, null, 0, v93, vcc_lo
	v_or_b32_e32 v94, 0x100, v13
	v_add_nc_u32_e32 v95, v13, v8
	v_add_nc_u32_e32 v96, v13, v9
	s_ashr_i32 s23, s22, 31
	s_ashr_i32 s8, s3, 7
	s_lshl_b64 s[18:19], s[18:19], 2
	s_mov_b32 s3, 0
	s_lshl_b64 s[26:27], s[30:31], 2
	s_lshl_b64 s[30:31], s[20:21], 2
	s_add_nc_u64 s[18:19], s[34:35], s[18:19]
	s_lshl_b64 s[24:25], s[22:23], 9
	s_mov_b32 s9, s3
	s_lshl_b64 s[20:21], s[12:13], 2
	s_wait_alu 0xfffe
	s_add_nc_u64 s[14:15], s[14:15], s[30:31]
	s_lshl_b64 s[16:17], s[16:17], 2
	s_branch .LBB24_4
.LBB24_2:                               ;   in Loop: Header=BB24_4 Depth=1
	s_wait_alu 0xfffe
	s_or_b32 exec_lo, exec_lo, s1
.LBB24_3:                               ;   in Loop: Header=BB24_4 Depth=1
	s_add_co_i32 s2, s2, 0x10000
	s_delay_alu instid0(SALU_CYCLE_1)
	s_cmp_lt_u32 s2, s33
	s_cbranch_scc0 .LBB24_15
.LBB24_4:                               ; =>This Loop Header: Depth=1
                                        ;     Child Loop BB24_8 Depth 2
	s_mul_u64 s[30:31], s[6:7], s[2:3]
	s_wait_alu 0xfffe
	s_lshl_b64 s[30:31], s[30:31], 2
	s_wait_alu 0xfffe
	s_add_nc_u64 s[30:31], s[4:5], s[30:31]
	global_load_b32 v97, v2, s[30:31]
	s_wait_loadcnt 0x0
	v_cmp_eq_f32_e32 vcc_lo, 0, v97
	s_cbranch_vccnz .LBB24_3
; %bb.5:                                ;   in Loop: Header=BB24_4 Depth=1
	s_load_b32 s34, s[10:11], 0x4
	s_mov_b32 s31, s3
	s_wait_kmcnt 0x0
	s_cvt_f32_u32 s1, s34
	s_sub_co_i32 s30, 0, s34
	s_wait_alu 0xfffe
	s_delay_alu instid0(SALU_CYCLE_1) | instskip(NEXT) | instid1(TRANS32_DEP_1)
	v_rcp_iflag_f32_e32 v7, s1
	v_readfirstlane_b32 s1, v7
	s_mul_f32 s1, s1, 0x4f7ffffe
	s_wait_alu 0xfffe
	s_delay_alu instid0(SALU_CYCLE_2) | instskip(SKIP_1) | instid1(SALU_CYCLE_2)
	s_cvt_u32_f32 s1, s1
	s_wait_alu 0xfffe
	s_mul_i32 s30, s30, s1
	s_wait_alu 0xfffe
	s_mul_hi_u32 s30, s1, s30
	s_wait_alu 0xfffe
	s_add_co_i32 s30, s1, s30
	s_wait_alu 0xfffe
	s_mul_u64 s[30:31], s[8:9], s[30:31]
	s_wait_alu 0xfffe
	s_mul_i32 s1, s31, s34
	s_add_co_i32 s30, s31, 1
	s_wait_alu 0xfffe
	s_sub_co_i32 s1, s8, s1
	s_wait_alu 0xfffe
	s_sub_co_i32 s35, s1, s34
	s_cmp_ge_u32 s1, s34
	s_cselect_b32 s30, s30, s31
	s_wait_alu 0xfffe
	s_cselect_b32 s1, s35, s1
	s_add_co_i32 s31, s30, 1
	s_wait_alu 0xfffe
	s_cmp_ge_u32 s1, s34
	s_cselect_b32 s1, s31, s30
	s_wait_alu 0xfffe
	s_mul_i32 s30, s1, s34
	s_wait_alu 0xfffe
	s_sub_co_i32 s30, s8, s30
	s_wait_alu 0xfffe
	s_cmp_lt_u32 s40, s30
	s_cselect_b32 s31, -1, 0
	s_wait_alu 0xfffe
	s_cmp_lg_u32 s31, 0
	s_add_co_ci_u32 s34, s1, 0
	s_wait_alu 0xfffe
	s_cmp_eq_u32 s34, 0
	s_cbranch_scc1 .LBB24_3
; %bb.6:                                ;   in Loop: Header=BB24_4 Depth=1
	s_cmp_lt_i32 s34, 1
	s_cbranch_scc1 .LBB24_12
; %bb.7:                                ;   in Loop: Header=BB24_4 Depth=1
	v_cvt_f64_u32_e32 v[7:8], s30
	s_mul_i32 s1, s1, s40
	s_mul_u64 s[30:31], s[12:13], s[2:3]
	s_wait_alu 0xfffe
	v_cvt_f64_u32_e32 v[9:10], s1
	s_lshl_b64 s[30:31], s[30:31], 2
	v_dual_mov_b32 v108, 0 :: v_dual_mov_b32 v117, 0
	s_wait_alu 0xfffe
	s_add_nc_u64 s[30:31], s[18:19], s[30:31]
	v_dual_mov_b32 v115, 0 :: v_dual_mov_b32 v116, 0
	v_dual_mov_b32 v113, 0 :: v_dual_mov_b32 v114, 0
	s_mul_u64 s[38:39], s[16:17], s[2:3]
	s_add_co_i32 s35, s34, -1
	v_min_num_f64_e32 v[7:8], v[3:4], v[7:8]
	s_delay_alu instid0(VALU_DEP_1) | instskip(NEXT) | instid1(VALU_DEP_1)
	v_add_f64_e32 v[7:8], v[7:8], v[9:10]
	v_cvt_i32_f64_e32 v7, v[7:8]
	s_delay_alu instid0(VALU_DEP_1)
	v_readfirstlane_b32 s1, v7
	s_lshl_b32 s36, s1, 7
	s_wait_alu 0xfffe
	s_ashr_i32 s37, s36, 31
	s_wait_alu 0xfffe
	s_lshl_b64 s[36:37], s[36:37], 2
	s_wait_alu 0xfffe
	s_add_nc_u64 s[30:31], s[30:31], s[36:37]
	s_mul_i32 s1, s22, s37
	s_wait_alu 0xfffe
	v_add_co_u32 v7, vcc_lo, s30, v5
	s_wait_alu 0xfffd
	v_add_co_ci_u32_e64 v8, null, s31, v6, vcc_lo
	s_mul_u64 s[30:31], s[20:21], s[2:3]
	v_add_co_u32 v9, vcc_lo, v7, s26
	s_wait_alu 0xfffd
	v_add_co_ci_u32_e64 v10, null, s27, v8, vcc_lo
	s_wait_alu 0xfffe
	s_add_nc_u64 s[30:31], s[30:31], s[36:37]
	v_add_co_u32 v11, vcc_lo, v9, s26
	s_wait_alu 0xfffd
	v_add_co_ci_u32_e64 v12, null, s27, v10, vcc_lo
	s_delay_alu instid0(VALU_DEP_2) | instskip(SKIP_1) | instid1(VALU_DEP_2)
	v_add_co_u32 v98, vcc_lo, v11, s26
	s_wait_alu 0xfffd
	v_add_co_ci_u32_e64 v99, null, s27, v12, vcc_lo
	s_delay_alu instid0(VALU_DEP_2) | instskip(SKIP_1) | instid1(VALU_DEP_2)
	;; [unrolled: 4-line block ×5, first 2 shown]
	v_add_co_u32 v106, vcc_lo, v104, s26
	s_wait_alu 0xfffd
	v_add_co_ci_u32_e64 v107, null, s27, v105, vcc_lo
	s_clause 0x5
	global_load_b32 v122, v[7:8], off
	global_load_b32 v123, v[9:10], off
	;; [unrolled: 1-line block ×8, first 2 shown]
	s_wait_alu 0xfffe
	v_add_co_u32 v98, vcc_lo, v0, s30
	s_wait_alu 0xfffd
	v_add_co_ci_u32_e64 v99, null, s31, v1, vcc_lo
	v_add_co_u32 v100, vcc_lo, v80, s30
	v_or_b32_e32 v7, s36, v13
	v_or_b32_e32 v9, s36, v94
	s_wait_alu 0xfffd
	v_add_co_ci_u32_e64 v101, null, s31, v81, vcc_lo
	v_add_co_u32 v102, vcc_lo, v82, s30
	s_wait_alu 0xfffd
	v_add_co_ci_u32_e64 v103, null, s31, v83, vcc_lo
	v_add_co_u32 v104, vcc_lo, v84, s30
	;; [unrolled: 3-line block ×3, first 2 shown]
	v_mul_lo_u32 v11, s23, v7
	v_mad_co_u64_u32 v[7:8], null, s22, v7, 0
	v_mul_lo_u32 v12, s23, v9
	v_mad_co_u64_u32 v[9:10], null, s22, v9, 0
	s_wait_alu 0xfffd
	v_add_co_ci_u32_e64 v107, null, s31, v87, vcc_lo
	v_add_co_u32 v110, vcc_lo, v88, s30
	s_wait_alu 0xfffd
	v_add_co_ci_u32_e64 v112, null, s31, v89, vcc_lo
	v_add_co_u32 v118, vcc_lo, v90, s30
	;; [unrolled: 3-line block ×3, first 2 shown]
	s_wait_alu 0xfffd
	v_add_co_ci_u32_e64 v121, null, s31, v93, vcc_lo
	v_add3_u32 v8, v8, s1, v11
	v_add3_u32 v10, v10, s1, v12
	v_mov_b32_e32 v111, 0
	v_mov_b32_e32 v109, 0
	s_add_nc_u64 s[30:31], s[14:15], s[38:39]
	s_mov_b32 s36, 0
	s_wait_loadcnt 0x6
	v_dual_mov_b32 v130, v122 :: v_dual_mov_b32 v131, v123
	s_wait_loadcnt 0x4
	v_dual_mov_b32 v132, v124 :: v_dual_mov_b32 v133, v125
	;; [unrolled: 2-line block ×4, first 2 shown]
.LBB24_8:                               ;   Parent Loop BB24_4 Depth=1
                                        ; =>  This Inner Loop Header: Depth=2
	v_add_co_u32 v11, vcc_lo, v98, v13
	s_wait_alu 0xfffd
	v_add_co_ci_u32_e64 v12, null, 0, v99, vcc_lo
	s_wait_alu 0xfffe
	s_cmp_lg_u32 s35, s36
	v_add_co_u32 v138, vcc_lo, 0x100, v11
	s_wait_alu 0xfffd
	v_add_co_ci_u32_e64 v140, null, 0, v12, vcc_lo
	s_delay_alu instid0(VALU_DEP_2) | instskip(SKIP_1) | instid1(VALU_DEP_2)
	v_add_co_u32 v139, vcc_lo, v138, s26
	s_wait_alu 0xfffd
	v_add_co_ci_u32_e64 v140, null, s27, v140, vcc_lo
	global_load_b32 v138, v[11:12], off offset:256
	v_add_co_u32 v141, vcc_lo, v139, s26
	s_wait_alu 0xfffd
	v_add_co_ci_u32_e64 v142, null, s27, v140, vcc_lo
	v_add_co_u32 v146, vcc_lo, s30, v7
	s_delay_alu instid0(VALU_DEP_3) | instskip(SKIP_1) | instid1(VALU_DEP_3)
	v_add_co_u32 v143, s1, v141, s26
	s_wait_alu 0xf1ff
	v_add_co_ci_u32_e64 v144, null, s27, v142, s1
	s_wait_alu 0xfffd
	v_add_co_ci_u32_e64 v147, null, s31, v8, vcc_lo
	v_add_co_u32 v148, vcc_lo, v143, s26
	s_wait_alu 0xfffd
	v_add_co_ci_u32_e64 v149, null, s27, v144, vcc_lo
	global_load_b32 v139, v[139:140], off
	v_add_co_u32 v150, vcc_lo, v148, s26
	s_wait_alu 0xfffd
	v_add_co_ci_u32_e64 v151, null, s27, v149, vcc_lo
	global_load_b32 v140, v[141:142], off
	v_add_co_u32 v152, vcc_lo, v150, s26
	s_wait_alu 0xfffd
	v_add_co_ci_u32_e64 v153, null, s27, v151, vcc_lo
	s_delay_alu instid0(VALU_DEP_2) | instskip(SKIP_1) | instid1(VALU_DEP_2)
	v_add_co_u32 v154, vcc_lo, v152, s26
	s_wait_alu 0xfffd
	v_add_co_ci_u32_e64 v155, null, s27, v153, vcc_lo
	s_clause 0x4
	global_load_b32 v141, v[143:144], off
	global_load_b32 v142, v[148:149], off
	;; [unrolled: 1-line block ×6, first 2 shown]
	s_cbranch_scc0 .LBB24_10
; %bb.9:                                ;   in Loop: Header=BB24_8 Depth=2
	v_add_co_u32 v131, vcc_lo, v100, v13
	s_wait_alu 0xfffd
	v_add_co_ci_u32_e64 v132, null, 0, v101, vcc_lo
	v_add_co_u32 v133, vcc_lo, v102, v13
	s_wait_alu 0xfffd
	v_add_co_ci_u32_e64 v134, null, 0, v103, vcc_lo
	global_load_b32 v130, v[11:12], off offset:512
	global_load_b32 v131, v[131:132], off
	global_load_b32 v132, v[133:134], off
	v_add_co_u32 v11, vcc_lo, v104, v13
	s_wait_alu 0xfffd
	v_add_co_ci_u32_e64 v12, null, 0, v105, vcc_lo
	v_add_co_u32 v134, vcc_lo, v106, v13
	s_wait_alu 0xfffd
	v_add_co_ci_u32_e64 v135, null, 0, v107, vcc_lo
	;; [unrolled: 3-line block ×5, first 2 shown]
	global_load_b32 v133, v[11:12], off
	global_load_b32 v134, v[134:135], off
	;; [unrolled: 1-line block ×5, first 2 shown]
.LBB24_10:                              ;   in Loop: Header=BB24_8 Depth=2
	v_add_co_u32 v11, vcc_lo, s30, v9
	s_wait_alu 0xfffd
	v_add_co_ci_u32_e64 v12, null, s31, v10, vcc_lo
	v_add_co_u32 v98, vcc_lo, 0x200, v98
	s_wait_alu 0xfffd
	v_add_co_ci_u32_e64 v99, null, 0, v99, vcc_lo
	global_load_b32 v11, v[11:12], off
	v_add_co_u32 v100, vcc_lo, 0x200, v100
	s_wait_alu 0xfffd
	v_add_co_ci_u32_e64 v101, null, 0, v101, vcc_lo
	v_add_co_u32 v102, vcc_lo, 0x200, v102
	s_wait_alu 0xfffd
	v_add_co_ci_u32_e64 v103, null, 0, v103, vcc_lo
	;; [unrolled: 3-line block ×4, first 2 shown]
	v_add_co_u32 v110, vcc_lo, 0x200, v110
	s_wait_loadcnt 0x1
	v_fmac_f32_e32 v117, v123, v146
	v_fmac_f32_e32 v108, v122, v146
	;; [unrolled: 1-line block ×8, first 2 shown]
	s_wait_alu 0xfffd
	v_add_co_ci_u32_e64 v112, null, 0, v112, vcc_lo
	v_add_co_u32 v118, vcc_lo, 0x200, v118
	s_wait_alu 0xfffd
	v_add_co_ci_u32_e64 v119, null, 0, v119, vcc_lo
	v_add_co_u32 v120, vcc_lo, 0x200, v120
	s_wait_alu 0xfffd
	v_add_co_ci_u32_e64 v121, null, 0, v121, vcc_lo
	s_add_co_i32 s36, s36, 1
	s_add_nc_u64 s[30:31], s[30:31], s[24:25]
	s_wait_alu 0xfffe
	s_cmp_ge_i32 s36, s34
	s_wait_loadcnt 0x0
	v_fmac_f32_e32 v117, v139, v11
	v_fmac_f32_e32 v108, v138, v11
	;; [unrolled: 1-line block ×8, first 2 shown]
	s_cbranch_scc1 .LBB24_13
; %bb.11:                               ;   in Loop: Header=BB24_8 Depth=2
	v_dual_mov_b32 v122, v130 :: v_dual_mov_b32 v123, v131
	v_dual_mov_b32 v124, v132 :: v_dual_mov_b32 v125, v133
	;; [unrolled: 1-line block ×4, first 2 shown]
	s_branch .LBB24_8
.LBB24_12:                              ;   in Loop: Header=BB24_4 Depth=1
	v_dual_mov_b32 v109, 0 :: v_dual_mov_b32 v114, 0
	v_dual_mov_b32 v111, 0 :: v_dual_mov_b32 v116, 0
	;; [unrolled: 1-line block ×3, first 2 shown]
	v_mov_b32_e32 v115, 0
	v_mov_b32_e32 v117, 0
.LBB24_13:                              ;   in Loop: Header=BB24_4 Depth=1
	ds_store_2addr_stride64_b32 v95, v108, v117 offset1:1
	ds_store_2addr_stride64_b32 v95, v115, v116 offset0:2 offset1:3
	ds_store_2addr_stride64_b32 v95, v113, v114 offset0:4 offset1:5
	ds_store_b32 v95, v111 offset:1536
	ds_store_b32 v96, v109
	s_wait_dscnt 0x0
	s_barrier_signal -1
	s_barrier_wait -1
	global_inv scope:SCOPE_SE
	s_and_saveexec_b32 s1, s0
	s_cbranch_execz .LBB24_2
; %bb.14:                               ;   in Loop: Header=BB24_4 Depth=1
	ds_load_b32 v7, v79
	ds_load_b32 v8, v14
	;; [unrolled: 1-line block ×8, first 2 shown]
	s_mul_u64 s[30:31], s[28:29], s[2:3]
	s_wait_alu 0xfffe
	s_lshl_b64 s[30:31], s[30:31], 2
	s_wait_dscnt 0x7
	v_add_f32_e32 v7, 0, v7
	s_wait_dscnt 0x6
	s_delay_alu instid0(VALU_DEP_1)
	v_add_f32_e32 v7, v7, v8
	ds_load_b32 v8, v21
	s_wait_dscnt 0x6
	v_add_f32_e32 v7, v7, v9
	ds_load_b32 v9, v22
	s_wait_dscnt 0x6
	;; [unrolled: 3-line block ×3, first 2 shown]
	v_add_f32_e32 v7, v7, v11
	s_wait_dscnt 0x5
	s_delay_alu instid0(VALU_DEP_1) | instskip(SKIP_1) | instid1(VALU_DEP_1)
	v_add_f32_e32 v7, v7, v12
	s_wait_dscnt 0x4
	v_add_f32_e32 v7, v7, v98
	s_wait_dscnt 0x3
	s_delay_alu instid0(VALU_DEP_1)
	v_add_f32_e32 v7, v7, v99
	ds_load_b32 v11, v24
	ds_load_b32 v12, v25
	ds_load_b32 v98, v26
	ds_load_b32 v99, v27
	ds_load_b32 v100, v28
	s_wait_dscnt 0x7
	v_add_f32_e32 v7, v7, v8
	ds_load_b32 v8, v29
	s_wait_dscnt 0x7
	v_add_f32_e32 v7, v7, v9
	ds_load_b32 v9, v30
	s_wait_dscnt 0x7
	v_add_f32_e32 v7, v7, v10
	ds_load_b32 v10, v31
	s_wait_dscnt 0x7
	v_add_f32_e32 v7, v7, v11
	s_wait_dscnt 0x6
	s_delay_alu instid0(VALU_DEP_1) | instskip(SKIP_1) | instid1(VALU_DEP_1)
	v_add_f32_e32 v7, v7, v12
	s_wait_dscnt 0x5
	v_add_f32_e32 v7, v7, v98
	s_wait_dscnt 0x4
	s_delay_alu instid0(VALU_DEP_1) | instskip(SKIP_1) | instid1(VALU_DEP_1)
	v_add_f32_e32 v7, v7, v99
	s_wait_dscnt 0x3
	v_add_f32_e32 v7, v7, v100
	ds_load_b32 v11, v32
	ds_load_b32 v12, v33
	ds_load_b32 v98, v34
	ds_load_b32 v99, v35
	ds_load_b32 v100, v36
	s_wait_dscnt 0x7
	v_add_f32_e32 v7, v7, v8
	ds_load_b32 v8, v37
	s_wait_dscnt 0x7
	v_add_f32_e32 v7, v7, v9
	ds_load_b32 v9, v38
	s_wait_dscnt 0x7
	v_add_f32_e32 v7, v7, v10
	ds_load_b32 v10, v39
	s_wait_dscnt 0x7
	v_add_f32_e32 v7, v7, v11
	s_wait_dscnt 0x6
	s_delay_alu instid0(VALU_DEP_1) | instskip(SKIP_1) | instid1(VALU_DEP_1)
	v_add_f32_e32 v7, v7, v12
	s_wait_dscnt 0x5
	v_add_f32_e32 v7, v7, v98
	s_wait_dscnt 0x4
	s_delay_alu instid0(VALU_DEP_1) | instskip(SKIP_1) | instid1(VALU_DEP_1)
	v_add_f32_e32 v7, v7, v99
	s_wait_dscnt 0x3
	;; [unrolled: 26-line block ×6, first 2 shown]
	v_add_f32_e32 v7, v7, v100
	ds_load_b32 v11, v74
	ds_load_b32 v12, v75
	;; [unrolled: 1-line block ×5, first 2 shown]
	s_wait_dscnt 0x7
	v_add_f32_e32 v7, v7, v8
	s_wait_dscnt 0x6
	s_delay_alu instid0(VALU_DEP_1) | instskip(SKIP_1) | instid1(VALU_DEP_1)
	v_add_f32_e32 v7, v7, v9
	s_wait_dscnt 0x5
	v_add_f32_e32 v7, v7, v10
	s_wait_dscnt 0x4
	s_delay_alu instid0(VALU_DEP_1) | instskip(SKIP_1) | instid1(VALU_DEP_1)
	v_add_f32_e32 v7, v7, v11
	s_wait_dscnt 0x3
	v_add_f32_e32 v7, v7, v12
	s_wait_dscnt 0x2
	s_delay_alu instid0(VALU_DEP_1) | instskip(SKIP_1) | instid1(VALU_DEP_1)
	v_add_f32_e32 v7, v7, v98
	s_wait_dscnt 0x1
	v_add_f32_e32 v7, v7, v99
	s_wait_dscnt 0x0
	s_delay_alu instid0(VALU_DEP_1)
	v_add_f32_e32 v9, v7, v100
	s_wait_alu 0xfffe
	v_add_co_u32 v7, vcc_lo, v72, s30
	s_wait_alu 0xfffd
	v_add_co_ci_u32_e64 v8, null, s31, v73, vcc_lo
	v_mul_f32_e32 v9, v97, v9
	global_atomic_add_f32 v[7:8], v9, off scope:SCOPE_DEV
	s_branch .LBB24_2
.LBB24_15:
	s_nop 0
	s_sendmsg sendmsg(MSG_DEALLOC_VGPRS)
	s_endpgm
	.section	.rodata,"a",@progbits
	.p2align	6, 0x0
	.amdhsa_kernel _ZL36rocblas_gemvt_double_buffered_kernelILb0ELi128ELi8ELi8EfPKffEviiT4_lPKT3_lilS5_lilPT5_lili
		.amdhsa_group_segment_fixed_size 32768
		.amdhsa_private_segment_fixed_size 0
		.amdhsa_kernarg_size 384
		.amdhsa_user_sgpr_count 2
		.amdhsa_user_sgpr_dispatch_ptr 0
		.amdhsa_user_sgpr_queue_ptr 0
		.amdhsa_user_sgpr_kernarg_segment_ptr 1
		.amdhsa_user_sgpr_dispatch_id 0
		.amdhsa_user_sgpr_private_segment_size 0
		.amdhsa_wavefront_size32 1
		.amdhsa_uses_dynamic_stack 0
		.amdhsa_enable_private_segment 0
		.amdhsa_system_sgpr_workgroup_id_x 1
		.amdhsa_system_sgpr_workgroup_id_y 1
		.amdhsa_system_sgpr_workgroup_id_z 1
		.amdhsa_system_sgpr_workgroup_info 0
		.amdhsa_system_vgpr_workitem_id 1
		.amdhsa_next_free_vgpr 156
		.amdhsa_next_free_sgpr 41
		.amdhsa_reserve_vcc 1
		.amdhsa_float_round_mode_32 0
		.amdhsa_float_round_mode_16_64 0
		.amdhsa_float_denorm_mode_32 3
		.amdhsa_float_denorm_mode_16_64 3
		.amdhsa_fp16_overflow 0
		.amdhsa_workgroup_processor_mode 1
		.amdhsa_memory_ordered 1
		.amdhsa_forward_progress 1
		.amdhsa_inst_pref_size 40
		.amdhsa_round_robin_scheduling 0
		.amdhsa_exception_fp_ieee_invalid_op 0
		.amdhsa_exception_fp_denorm_src 0
		.amdhsa_exception_fp_ieee_div_zero 0
		.amdhsa_exception_fp_ieee_overflow 0
		.amdhsa_exception_fp_ieee_underflow 0
		.amdhsa_exception_fp_ieee_inexact 0
		.amdhsa_exception_int_div_zero 0
	.end_amdhsa_kernel
	.section	.text._ZL36rocblas_gemvt_double_buffered_kernelILb0ELi128ELi8ELi8EfPKffEviiT4_lPKT3_lilS5_lilPT5_lili,"axG",@progbits,_ZL36rocblas_gemvt_double_buffered_kernelILb0ELi128ELi8ELi8EfPKffEviiT4_lPKT3_lilS5_lilPT5_lili,comdat
.Lfunc_end24:
	.size	_ZL36rocblas_gemvt_double_buffered_kernelILb0ELi128ELi8ELi8EfPKffEviiT4_lPKT3_lilS5_lilPT5_lili, .Lfunc_end24-_ZL36rocblas_gemvt_double_buffered_kernelILb0ELi128ELi8ELi8EfPKffEviiT4_lPKT3_lilS5_lilPT5_lili
                                        ; -- End function
	.set _ZL36rocblas_gemvt_double_buffered_kernelILb0ELi128ELi8ELi8EfPKffEviiT4_lPKT3_lilS5_lilPT5_lili.num_vgpr, 156
	.set _ZL36rocblas_gemvt_double_buffered_kernelILb0ELi128ELi8ELi8EfPKffEviiT4_lPKT3_lilS5_lilPT5_lili.num_agpr, 0
	.set _ZL36rocblas_gemvt_double_buffered_kernelILb0ELi128ELi8ELi8EfPKffEviiT4_lPKT3_lilS5_lilPT5_lili.numbered_sgpr, 41
	.set _ZL36rocblas_gemvt_double_buffered_kernelILb0ELi128ELi8ELi8EfPKffEviiT4_lPKT3_lilS5_lilPT5_lili.num_named_barrier, 0
	.set _ZL36rocblas_gemvt_double_buffered_kernelILb0ELi128ELi8ELi8EfPKffEviiT4_lPKT3_lilS5_lilPT5_lili.private_seg_size, 0
	.set _ZL36rocblas_gemvt_double_buffered_kernelILb0ELi128ELi8ELi8EfPKffEviiT4_lPKT3_lilS5_lilPT5_lili.uses_vcc, 1
	.set _ZL36rocblas_gemvt_double_buffered_kernelILb0ELi128ELi8ELi8EfPKffEviiT4_lPKT3_lilS5_lilPT5_lili.uses_flat_scratch, 0
	.set _ZL36rocblas_gemvt_double_buffered_kernelILb0ELi128ELi8ELi8EfPKffEviiT4_lPKT3_lilS5_lilPT5_lili.has_dyn_sized_stack, 0
	.set _ZL36rocblas_gemvt_double_buffered_kernelILb0ELi128ELi8ELi8EfPKffEviiT4_lPKT3_lilS5_lilPT5_lili.has_recursion, 0
	.set _ZL36rocblas_gemvt_double_buffered_kernelILb0ELi128ELi8ELi8EfPKffEviiT4_lPKT3_lilS5_lilPT5_lili.has_indirect_call, 0
	.section	.AMDGPU.csdata,"",@progbits
; Kernel info:
; codeLenInByte = 5012
; TotalNumSgprs: 43
; NumVgprs: 156
; ScratchSize: 0
; MemoryBound: 0
; FloatMode: 240
; IeeeMode: 1
; LDSByteSize: 32768 bytes/workgroup (compile time only)
; SGPRBlocks: 0
; VGPRBlocks: 19
; NumSGPRsForWavesPerEU: 43
; NumVGPRsForWavesPerEU: 156
; Occupancy: 9
; WaveLimiterHint : 0
; COMPUTE_PGM_RSRC2:SCRATCH_EN: 0
; COMPUTE_PGM_RSRC2:USER_SGPR: 2
; COMPUTE_PGM_RSRC2:TRAP_HANDLER: 0
; COMPUTE_PGM_RSRC2:TGID_X_EN: 1
; COMPUTE_PGM_RSRC2:TGID_Y_EN: 1
; COMPUTE_PGM_RSRC2:TGID_Z_EN: 1
; COMPUTE_PGM_RSRC2:TIDIG_COMP_CNT: 1
	.section	.text._ZL36rocblas_gemvt_double_buffered_kernelILb0ELi128ELi8ELi8EfffEviiT4_lPKT3_lilS3_lilPT5_lili,"axG",@progbits,_ZL36rocblas_gemvt_double_buffered_kernelILb0ELi128ELi8ELi8EfffEviiT4_lPKT3_lilS3_lilPT5_lili,comdat
	.globl	_ZL36rocblas_gemvt_double_buffered_kernelILb0ELi128ELi8ELi8EfffEviiT4_lPKT3_lilS3_lilPT5_lili ; -- Begin function _ZL36rocblas_gemvt_double_buffered_kernelILb0ELi128ELi8ELi8EfffEviiT4_lPKT3_lilS3_lilPT5_lili
	.p2align	8
	.type	_ZL36rocblas_gemvt_double_buffered_kernelILb0ELi128ELi8ELi8EfffEviiT4_lPKT3_lilS3_lilPT5_lili,@function
_ZL36rocblas_gemvt_double_buffered_kernelILb0ELi128ELi8ELi8EfffEviiT4_lPKT3_lilS3_lilPT5_lili: ; @_ZL36rocblas_gemvt_double_buffered_kernelILb0ELi128ELi8ELi8EfffEviiT4_lPKT3_lilS3_lilPT5_lili
; %bb.0:
	s_load_b32 s33, s[0:1], 0x78
	s_lshr_b32 s2, ttmp7, 16
	s_wait_kmcnt 0x0
	s_cmp_ge_u32 s2, s33
	s_cbranch_scc1 .LBB25_15
; %bb.1:
	v_dual_mov_b32 v1, 0 :: v_dual_and_b32 v8, 0x3ff, v0
	v_bfe_u32 v9, v0, 10, 10
	s_clause 0x6
	s_load_b32 s26, s[0:1], 0x28
	s_load_b96 s[16:18], s[0:1], 0x40
	s_load_b96 s[20:22], s[0:1], 0x60
	s_load_b128 s[12:15], s[0:1], 0x18
	s_load_b32 s36, s[0:1], 0x8
	s_load_b128 s[8:11], s[0:1], 0x50
	s_load_b32 s23, s[0:1], 0x0
	v_and_b32_e32 v0, 63, v0
	v_add_nc_u32_e32 v11, 1, v8
	v_lshlrev_b32_e32 v76, 8, v8
	v_lshl_add_u32 v10, v9, 7, v8
	v_add_nc_u32_e32 v15, 5, v8
	s_clause 0x1
	s_load_b128 s[4:7], s[0:1], 0x30
	s_load_b64 s[24:25], s[0:1], 0x70
	v_add_nc_u32_e32 v16, 6, v8
	v_add_nc_u32_e32 v20, 10, v8
	v_lshrrev_b32_e32 v7, 3, v10
	v_and_b32_e32 v18, 63, v15
	v_add_nc_u32_e32 v21, 11, v8
	v_and_b32_e32 v19, 63, v16
	v_and_b32_e32 v23, 63, v20
	;; [unrolled: 1-line block ×3, first 2 shown]
	s_wait_kmcnt 0x0
	s_ashr_i32 s27, s26, 31
	s_ashr_i32 s19, s18, 31
	;; [unrolled: 1-line block ×3, first 2 shown]
	s_lshl_b64 s[20:21], s[20:21], 2
	v_mad_co_i64_i32 v[4:5], null, s26, v6, v[0:1]
	v_and_b32_e32 v1, 63, v11
	s_lshl_b64 s[14:15], s[14:15], 2
	s_cmp_neq_f32 s36, 0
	v_add_nc_u32_e32 v11, 4, v8
	s_add_nc_u64 s[28:29], s[12:13], s[14:15]
	v_lshl_or_b32 v14, v1, 2, v76
	v_add_nc_u32_e32 v1, 2, v8
	s_cselect_b32 s37, -1, 0
	s_lshl_b32 s34, ttmp9, 7
	v_and_b32_e32 v11, 63, v11
	s_ashr_i32 s35, s34, 31
	v_and_b32_e32 v1, 63, v1
	s_mul_u64 s[14:15], s[26:27], s[34:35]
	s_add_nc_u64 s[12:13], s[0:1], 0x80
	s_lshl_b64 s[0:1], s[14:15], 2
	v_lshl_or_b32 v17, v11, 2, v76
	s_add_nc_u64 s[14:15], s[28:29], s[0:1]
	v_cmp_eq_u32_e64 s0, 0, v9
	v_add_nc_u32_e32 v9, 3, v8
	v_lshl_or_b32 v15, v1, 2, v76
	v_add_nc_u32_e32 v1, 7, v8
	v_add_nc_u32_e32 v11, 9, v8
	;; [unrolled: 1-line block ×3, first 2 shown]
	v_and_b32_e32 v9, 63, v9
	v_and_b32_e32 v24, 63, v21
	;; [unrolled: 1-line block ×5, first 2 shown]
	v_lshl_or_b32 v16, v9, 2, v76
	v_add_nc_u32_e32 v9, 8, v8
	v_lshl_or_b32 v20, v1, 2, v76
	v_lshl_or_b32 v22, v11, 2, v76
	v_add_nc_u32_e32 v1, 12, v8
	v_add_nc_u32_e32 v11, 14, v8
	v_and_b32_e32 v9, 63, v9
	v_add_nc_u32_e32 v26, 16, v8
	v_add_nc_u32_e32 v30, 20, v8
	v_and_b32_e32 v1, 63, v1
	v_and_b32_e32 v11, 63, v11
	v_lshl_or_b32 v21, v9, 2, v76
	v_add_nc_u32_e32 v9, 13, v8
	v_and_b32_e32 v29, 63, v26
	v_lshl_or_b32 v25, v1, 2, v76
	v_lshl_or_b32 v27, v11, 2, v76
	v_add_nc_u32_e32 v1, 17, v8
	v_add_nc_u32_e32 v11, 19, v8
	v_and_b32_e32 v9, 63, v9
	v_and_b32_e32 v33, 63, v30
	v_add_nc_u32_e32 v31, 21, v8
	v_and_b32_e32 v1, 63, v1
	v_and_b32_e32 v11, 63, v11
	v_lshl_or_b32 v26, v9, 2, v76
	v_add_nc_u32_e32 v9, 18, v8
	v_add_nc_u32_e32 v35, 25, v8
	v_lshl_or_b32 v30, v1, 2, v76
	v_lshl_or_b32 v32, v11, 2, v76
	v_add_nc_u32_e32 v1, 22, v8
	v_add_nc_u32_e32 v11, 24, v8
	v_and_b32_e32 v9, 63, v9
	v_and_b32_e32 v34, 63, v31
	;; [unrolled: 1-line block ×5, first 2 shown]
	v_lshl_or_b32 v31, v9, 2, v76
	v_add_nc_u32_e32 v9, 23, v8
	v_add_nc_u32_e32 v36, 26, v8
	v_lshl_or_b32 v35, v1, 2, v76
	v_lshl_or_b32 v37, v11, 2, v76
	v_add_nc_u32_e32 v1, 27, v8
	v_add_nc_u32_e32 v11, 29, v8
	v_and_b32_e32 v9, 63, v9
	v_add_nc_u32_e32 v40, 30, v8
	v_lshlrev_b32_e32 v12, 2, v0
	v_and_b32_e32 v1, 63, v1
	v_and_b32_e32 v11, 63, v11
	;; [unrolled: 1-line block ×3, first 2 shown]
	v_lshl_or_b32 v36, v9, 2, v76
	v_add_nc_u32_e32 v9, 28, v8
	v_and_b32_e32 v43, 63, v40
	v_lshl_or_b32 v40, v1, 2, v76
	v_lshl_or_b32 v42, v11, 2, v76
	v_add_nc_u32_e32 v1, 33, v8
	v_xor_b32_e32 v0, 32, v0
	v_add_nc_u32_e32 v11, 35, v8
	v_add_nc_u32_e32 v41, 31, v8
	v_and_b32_e32 v9, 63, v9
	v_add_nc_u32_e32 v46, 36, v8
	v_and_b32_e32 v1, 63, v1
	v_lshl_or_b32 v45, v0, 2, v76
	v_and_b32_e32 v0, 63, v11
	v_and_b32_e32 v44, 63, v41
	v_lshl_or_b32 v41, v9, 2, v76
	v_add_nc_u32_e32 v9, 34, v8
	v_and_b32_e32 v11, 63, v46
	v_lshl_or_b32 v46, v1, 2, v76
	v_add_nc_u32_e32 v1, 37, v8
	v_lshl_or_b32 v48, v0, 2, v76
	v_add_nc_u32_e32 v0, 38, v8
	v_and_b32_e32 v9, 63, v9
	v_lshl_or_b32 v49, v11, 2, v76
	v_and_b32_e32 v1, 63, v1
	v_add_nc_u32_e32 v11, 40, v8
	v_add_nc_u32_e32 v51, 41, v8
	v_and_b32_e32 v0, 63, v0
	v_lshl_or_b32 v47, v9, 2, v76
	v_add_nc_u32_e32 v9, 39, v8
	v_lshl_or_b32 v50, v1, 2, v76
	v_and_b32_e32 v1, 63, v11
	v_and_b32_e32 v11, 63, v51
	v_lshl_or_b32 v51, v0, 2, v76
	v_add_nc_u32_e32 v0, 42, v8
	v_and_b32_e32 v9, 63, v9
	v_lshl_or_b32 v53, v1, 2, v76
	v_lshl_or_b32 v54, v11, 2, v76
	v_add_nc_u32_e32 v1, 43, v8
	v_and_b32_e32 v0, 63, v0
	v_add_nc_u32_e32 v11, 45, v8
	v_lshl_or_b32 v52, v9, 2, v76
	v_add_nc_u32_e32 v9, 44, v8
	v_add_nc_u32_e32 v56, 46, v8
	v_and_b32_e32 v1, 63, v1
	v_lshl_or_b32 v55, v0, 2, v76
	v_and_b32_e32 v0, 63, v11
	v_and_b32_e32 v9, 63, v9
	;; [unrolled: 1-line block ×3, first 2 shown]
	v_lshl_or_b32 v56, v1, 2, v76
	v_add_nc_u32_e32 v1, 47, v8
	v_lshl_or_b32 v58, v0, 2, v76
	v_add_nc_u32_e32 v0, 48, v8
	v_lshl_or_b32 v57, v9, 2, v76
	v_lshl_or_b32 v59, v11, 2, v76
	v_add_nc_u32_e32 v9, 49, v8
	v_and_b32_e32 v1, 63, v1
	v_add_nc_u32_e32 v11, 50, v8
	v_add_nc_u32_e32 v61, 51, v8
	v_and_b32_e32 v0, 63, v0
	v_and_b32_e32 v9, 63, v9
	v_lshl_or_b32 v60, v1, 2, v76
	v_and_b32_e32 v1, 63, v11
	v_and_b32_e32 v11, 63, v61
	v_lshl_or_b32 v61, v0, 2, v76
	v_add_nc_u32_e32 v0, 52, v8
	v_lshl_or_b32 v62, v9, 2, v76
	v_lshl_or_b32 v63, v1, 2, v76
	;; [unrolled: 1-line block ×3, first 2 shown]
	v_add_nc_u32_e32 v1, 53, v8
	v_add_nc_u32_e32 v9, 54, v8
	v_and_b32_e32 v0, 63, v0
	v_add_nc_u32_e32 v11, 55, v8
	v_add_nc_u32_e32 v66, 56, v8
	v_and_b32_e32 v1, 63, v1
	v_and_b32_e32 v9, 63, v9
	v_lshl_or_b32 v65, v0, 2, v76
	v_and_b32_e32 v0, 63, v11
	s_and_b32 s38, ttmp7, 0xffff
	v_and_b32_e32 v11, 63, v66
	v_cvt_f64_i32_e32 v[2:3], s38
	v_lshl_or_b32 v66, v1, 2, v76
	v_lshl_or_b32 v67, v9, 2, v76
	v_add_nc_u32_e32 v1, 57, v8
	v_lshl_or_b32 v68, v0, 2, v76
	v_add_nc_u32_e32 v0, 58, v8
	v_add_nc_u32_e32 v9, 59, v8
	v_lshl_or_b32 v69, v11, 2, v76
	v_and_b32_e32 v1, 63, v1
	v_add_nc_u32_e32 v11, 60, v8
	v_add_nc_u32_e32 v71, 61, v8
	v_and_b32_e32 v0, 63, v0
	v_and_b32_e32 v9, 63, v9
	v_lshl_or_b32 v70, v1, 2, v76
	v_and_b32_e32 v1, 63, v11
	v_and_b32_e32 v11, 63, v71
	v_lshl_or_b32 v71, v0, 2, v76
	v_lshl_or_b32 v72, v9, 2, v76
	v_add_nc_u32_e32 v0, 62, v8
	v_lshrrev_b32_e32 v9, 1, v10
	s_add_nc_u64 s[20:21], s[10:11], s[20:21]
	s_ashr_i32 s10, s23, 31
	v_lshl_or_b32 v73, v1, 2, v76
	s_lshr_b32 s10, s10, 25
	v_lshl_or_b32 v74, v11, 2, v76
	v_add_nc_u32_e32 v10, -1, v8
	v_and_b32_e32 v11, 63, v0
	v_mad_co_i64_i32 v[0:1], null, s22, v8, 0
	v_and_b32_e32 v8, 0x1ffe0, v9
	s_add_co_i32 s23, s23, s10
	s_mov_b32 s30, s22
	s_wait_alu 0xfffe
	s_ashr_i32 s10, s23, 7
	s_lshl_b64 s[22:23], s[34:35], 2
	v_and_b32_e32 v9, 63, v10
	s_wait_alu 0xfffe
	v_add_co_u32 v83, s1, v8, s22
	s_delay_alu instid0(VALU_DEP_1)
	v_add_co_ci_u32_e64 v10, null, 0, s23, s1
	s_mul_u64 s[30:31], s[30:31], s[34:35]
	v_or_b32_e32 v77, 4, v83
	v_or_b32_e32 v13, v76, v12
	v_lshl_or_b32 v18, v18, 2, v76
	v_lshl_or_b32 v19, v19, 2, v76
	;; [unrolled: 1-line block ×14, first 2 shown]
	v_lshlrev_b64_e32 v[8:9], 2, v[0:1]
	s_lshl_b64 s[30:31], s[30:31], 2
	v_mul_lo_u32 v89, v10, s26
	v_mad_co_u64_u32 v[10:11], null, v77, s26, s[28:29]
	v_mul_lo_u32 v80, v77, s27
	v_or_b32_e32 v81, 8, v83
	s_add_nc_u64 s[30:31], s[20:21], s[30:31]
	v_mad_co_u64_u32 v[0:1], null, v83, s26, s[28:29]
	v_mul_lo_u32 v79, v83, s27
	v_add_co_u32 v77, vcc_lo, s30, v8
	s_delay_alu instid0(VALU_DEP_1)
	v_add_co_ci_u32_e64 v78, null, s31, v9, vcc_lo
	v_mad_co_u64_u32 v[8:9], null, v81, s26, s[28:29]
	v_mul_lo_u32 v81, v81, s27
	v_add3_u32 v11, v89, v11, v80
	v_or_b32_e32 v82, 12, v83
	v_max_num_f64_e32 v[2:3], v[2:3], v[2:3]
	v_add3_u32 v1, v89, v1, v79
	v_add_co_u32 v79, vcc_lo, 0x200, v10
	s_wait_alu 0xfffd
	v_add_co_ci_u32_e64 v80, null, 0, v11, vcc_lo
	v_add3_u32 v11, v89, v9, v81
	v_or_b32_e32 v81, 16, v83
	v_mad_co_u64_u32 v[9:10], null, v82, s26, s[28:29]
	v_mul_lo_u32 v84, v82, s27
	v_or_b32_e32 v82, 20, v83
	s_delay_alu instid0(VALU_DEP_4) | instskip(SKIP_2) | instid1(VALU_DEP_4)
	v_mad_co_u64_u32 v[85:86], null, v81, s26, s[28:29]
	v_mul_lo_u32 v90, v81, s27
	v_add_co_u32 v81, vcc_lo, 0x200, v8
	v_mad_co_u64_u32 v[87:88], null, v82, s26, s[28:29]
	v_mul_lo_u32 v91, v82, s27
	v_add3_u32 v8, v89, v10, v84
	v_or_b32_e32 v84, 24, v83
	v_or_b32_e32 v83, 28, v83
	s_wait_alu 0xfffd
	v_add_co_ci_u32_e64 v82, null, 0, v11, vcc_lo
	v_add3_u32 v86, v89, v86, v90
	v_mad_co_u64_u32 v[10:11], null, v84, s26, s[28:29]
	v_mul_lo_u32 v90, v84, s27
	v_add3_u32 v88, v89, v88, v91
	v_mad_co_u64_u32 v[91:92], null, v83, s26, s[28:29]
	v_mul_lo_u32 v93, v83, s27
	v_add_co_u32 v83, vcc_lo, 0x200, v9
	s_wait_alu 0xfffd
	v_add_co_ci_u32_e64 v84, null, 0, v8, vcc_lo
	v_add_co_u32 v85, vcc_lo, 0x200, v85
	v_add3_u32 v8, v89, v11, v90
	s_wait_alu 0xfffd
	v_add_co_ci_u32_e64 v86, null, 0, v86, vcc_lo
	v_add_co_u32 v87, vcc_lo, 0x200, v87
	v_lshlrev_b32_e32 v6, 8, v6
	v_lshl_or_b32 v7, v7, 8, 0x700
	v_add3_u32 v9, v89, v92, v93
	s_wait_alu 0xfffd
	v_add_co_ci_u32_e64 v88, null, 0, v88, vcc_lo
	v_add_co_u32 v89, vcc_lo, 0x200, v10
	s_wait_alu 0xfffd
	v_add_co_ci_u32_e64 v90, null, 0, v8, vcc_lo
	v_add_co_u32 v91, vcc_lo, 0x200, v91
	v_lshlrev_b64_e32 v[4:5], 2, v[4:5]
	s_wait_alu 0xfffd
	v_add_co_ci_u32_e64 v92, null, 0, v9, vcc_lo
	v_or_b32_e32 v93, 0x100, v12
	v_add_nc_u32_e32 v94, v12, v6
	v_add_nc_u32_e32 v95, v12, v7
	s_mov_b32 s3, 0
	s_lshl_b64 s[22:23], s[26:27], 2
	s_lshl_b64 s[26:27], s[16:17], 2
	;; [unrolled: 1-line block ×3, first 2 shown]
	s_mov_b32 s11, s3
	s_lshl_b64 s[16:17], s[4:5], 2
	s_wait_alu 0xfffe
	s_add_nc_u64 s[6:7], s[6:7], s[26:27]
	s_lshl_b64 s[8:9], s[8:9], 2
	s_branch .LBB25_4
.LBB25_2:                               ;   in Loop: Header=BB25_4 Depth=1
	s_wait_alu 0xfffe
	s_or_b32 exec_lo, exec_lo, s1
.LBB25_3:                               ;   in Loop: Header=BB25_4 Depth=1
	s_add_co_i32 s2, s2, 0x10000
	s_delay_alu instid0(SALU_CYCLE_1)
	s_cmp_lt_u32 s2, s33
	s_cbranch_scc0 .LBB25_15
.LBB25_4:                               ; =>This Loop Header: Depth=1
                                        ;     Child Loop BB25_8 Depth 2
	s_and_not1_b32 vcc_lo, exec_lo, s37
	s_wait_alu 0xfffe
	s_cbranch_vccnz .LBB25_3
; %bb.5:                                ;   in Loop: Header=BB25_4 Depth=1
	s_load_b32 s28, s[12:13], 0x4
	s_mov_b32 s27, s3
	s_wait_kmcnt 0x0
	s_cvt_f32_u32 s1, s28
	s_sub_co_i32 s26, 0, s28
	s_wait_alu 0xfffe
	s_delay_alu instid0(SALU_CYCLE_1) | instskip(NEXT) | instid1(TRANS32_DEP_1)
	v_rcp_iflag_f32_e32 v6, s1
	v_readfirstlane_b32 s1, v6
	s_mul_f32 s1, s1, 0x4f7ffffe
	s_wait_alu 0xfffe
	s_delay_alu instid0(SALU_CYCLE_2) | instskip(SKIP_1) | instid1(SALU_CYCLE_2)
	s_cvt_u32_f32 s1, s1
	s_wait_alu 0xfffe
	s_mul_i32 s26, s26, s1
	s_wait_alu 0xfffe
	s_mul_hi_u32 s26, s1, s26
	s_wait_alu 0xfffe
	s_add_co_i32 s26, s1, s26
	s_wait_alu 0xfffe
	s_mul_u64 s[26:27], s[10:11], s[26:27]
	s_wait_alu 0xfffe
	s_mul_i32 s1, s27, s28
	s_add_co_i32 s26, s27, 1
	s_wait_alu 0xfffe
	s_sub_co_i32 s1, s10, s1
	s_wait_alu 0xfffe
	s_sub_co_i32 s29, s1, s28
	s_cmp_ge_u32 s1, s28
	s_cselect_b32 s26, s26, s27
	s_wait_alu 0xfffe
	s_cselect_b32 s1, s29, s1
	s_add_co_i32 s27, s26, 1
	s_wait_alu 0xfffe
	s_cmp_ge_u32 s1, s28
	s_cselect_b32 s1, s27, s26
	s_wait_alu 0xfffe
	s_mul_i32 s26, s1, s28
	s_wait_alu 0xfffe
	s_sub_co_i32 s26, s10, s26
	s_wait_alu 0xfffe
	s_cmp_lt_u32 s38, s26
	s_cselect_b32 s27, -1, 0
	s_wait_alu 0xfffe
	s_cmp_lg_u32 s27, 0
	s_add_co_ci_u32 s28, s1, 0
	s_wait_alu 0xfffe
	s_cmp_eq_u32 s28, 0
	s_cbranch_scc1 .LBB25_3
; %bb.6:                                ;   in Loop: Header=BB25_4 Depth=1
	s_cmp_lt_i32 s28, 1
	s_cbranch_scc1 .LBB25_12
; %bb.7:                                ;   in Loop: Header=BB25_4 Depth=1
	v_cvt_f64_u32_e32 v[6:7], s26
	s_mul_i32 s1, s1, s38
	s_mul_u64 s[26:27], s[4:5], s[2:3]
	s_wait_alu 0xfffe
	v_cvt_f64_u32_e32 v[8:9], s1
	s_lshl_b64 s[26:27], s[26:27], 2
	v_dual_mov_b32 v106, 0 :: v_dual_mov_b32 v115, 0
	s_wait_alu 0xfffe
	s_add_nc_u64 s[26:27], s[14:15], s[26:27]
	v_dual_mov_b32 v113, 0 :: v_dual_mov_b32 v114, 0
	v_dual_mov_b32 v111, 0 :: v_dual_mov_b32 v112, 0
	s_mul_u64 s[34:35], s[8:9], s[2:3]
	s_add_co_i32 s29, s28, -1
	v_min_num_f64_e32 v[6:7], v[2:3], v[6:7]
	s_delay_alu instid0(VALU_DEP_1) | instskip(NEXT) | instid1(VALU_DEP_1)
	v_add_f64_e32 v[6:7], v[6:7], v[8:9]
	v_cvt_i32_f64_e32 v6, v[6:7]
	s_delay_alu instid0(VALU_DEP_1)
	v_readfirstlane_b32 s1, v6
	s_lshl_b32 s30, s1, 7
	s_wait_alu 0xfffe
	s_ashr_i32 s31, s30, 31
	s_wait_alu 0xfffe
	s_lshl_b64 s[30:31], s[30:31], 2
	s_wait_alu 0xfffe
	s_add_nc_u64 s[26:27], s[26:27], s[30:31]
	s_mul_i32 s1, s18, s31
	s_wait_alu 0xfffe
	v_add_co_u32 v6, vcc_lo, s26, v4
	s_wait_alu 0xfffd
	v_add_co_ci_u32_e64 v7, null, s27, v5, vcc_lo
	s_mul_u64 s[26:27], s[16:17], s[2:3]
	v_add_co_u32 v8, vcc_lo, v6, s22
	s_wait_alu 0xfffd
	v_add_co_ci_u32_e64 v9, null, s23, v7, vcc_lo
	s_wait_alu 0xfffe
	s_add_nc_u64 s[26:27], s[26:27], s[30:31]
	v_add_co_u32 v10, vcc_lo, v8, s22
	s_wait_alu 0xfffd
	v_add_co_ci_u32_e64 v11, null, s23, v9, vcc_lo
	s_delay_alu instid0(VALU_DEP_2) | instskip(SKIP_1) | instid1(VALU_DEP_2)
	v_add_co_u32 v96, vcc_lo, v10, s22
	s_wait_alu 0xfffd
	v_add_co_ci_u32_e64 v97, null, s23, v11, vcc_lo
	s_delay_alu instid0(VALU_DEP_2) | instskip(SKIP_1) | instid1(VALU_DEP_2)
	;; [unrolled: 4-line block ×5, first 2 shown]
	v_add_co_u32 v104, vcc_lo, v102, s22
	s_wait_alu 0xfffd
	v_add_co_ci_u32_e64 v105, null, s23, v103, vcc_lo
	s_clause 0x5
	global_load_b32 v120, v[6:7], off
	global_load_b32 v121, v[8:9], off
	;; [unrolled: 1-line block ×8, first 2 shown]
	s_wait_alu 0xfffe
	v_add_co_u32 v96, vcc_lo, v0, s26
	s_wait_alu 0xfffd
	v_add_co_ci_u32_e64 v97, null, s27, v1, vcc_lo
	v_add_co_u32 v98, vcc_lo, v79, s26
	v_or_b32_e32 v6, s30, v12
	v_or_b32_e32 v8, s30, v93
	s_wait_alu 0xfffd
	v_add_co_ci_u32_e64 v99, null, s27, v80, vcc_lo
	v_add_co_u32 v100, vcc_lo, v81, s26
	s_wait_alu 0xfffd
	v_add_co_ci_u32_e64 v101, null, s27, v82, vcc_lo
	v_add_co_u32 v102, vcc_lo, v83, s26
	;; [unrolled: 3-line block ×3, first 2 shown]
	v_mul_lo_u32 v10, s19, v6
	v_mad_co_u64_u32 v[6:7], null, s18, v6, 0
	v_mul_lo_u32 v11, s19, v8
	v_mad_co_u64_u32 v[8:9], null, s18, v8, 0
	s_wait_alu 0xfffd
	v_add_co_ci_u32_e64 v105, null, s27, v86, vcc_lo
	v_add_co_u32 v108, vcc_lo, v87, s26
	s_wait_alu 0xfffd
	v_add_co_ci_u32_e64 v110, null, s27, v88, vcc_lo
	v_add_co_u32 v116, vcc_lo, v89, s26
	;; [unrolled: 3-line block ×3, first 2 shown]
	s_wait_alu 0xfffd
	v_add_co_ci_u32_e64 v119, null, s27, v92, vcc_lo
	v_add3_u32 v7, v7, s1, v10
	v_add3_u32 v9, v9, s1, v11
	v_mov_b32_e32 v109, 0
	v_mov_b32_e32 v107, 0
	s_add_nc_u64 s[26:27], s[6:7], s[34:35]
	s_mov_b32 s30, 0
	s_wait_loadcnt 0x6
	v_dual_mov_b32 v128, v120 :: v_dual_mov_b32 v129, v121
	s_wait_loadcnt 0x4
	v_dual_mov_b32 v130, v122 :: v_dual_mov_b32 v131, v123
	;; [unrolled: 2-line block ×4, first 2 shown]
.LBB25_8:                               ;   Parent Loop BB25_4 Depth=1
                                        ; =>  This Inner Loop Header: Depth=2
	v_add_co_u32 v10, vcc_lo, v96, v12
	s_wait_alu 0xfffd
	v_add_co_ci_u32_e64 v11, null, 0, v97, vcc_lo
	s_wait_alu 0xfffe
	s_cmp_lg_u32 s29, s30
	v_add_co_u32 v136, vcc_lo, 0x100, v10
	s_wait_alu 0xfffd
	v_add_co_ci_u32_e64 v138, null, 0, v11, vcc_lo
	s_delay_alu instid0(VALU_DEP_2) | instskip(SKIP_1) | instid1(VALU_DEP_2)
	v_add_co_u32 v137, vcc_lo, v136, s22
	s_wait_alu 0xfffd
	v_add_co_ci_u32_e64 v138, null, s23, v138, vcc_lo
	global_load_b32 v136, v[10:11], off offset:256
	v_add_co_u32 v139, vcc_lo, v137, s22
	s_wait_alu 0xfffd
	v_add_co_ci_u32_e64 v140, null, s23, v138, vcc_lo
	v_add_co_u32 v144, vcc_lo, s26, v6
	s_delay_alu instid0(VALU_DEP_3) | instskip(SKIP_1) | instid1(VALU_DEP_3)
	v_add_co_u32 v141, s1, v139, s22
	s_wait_alu 0xf1ff
	v_add_co_ci_u32_e64 v142, null, s23, v140, s1
	s_wait_alu 0xfffd
	v_add_co_ci_u32_e64 v145, null, s27, v7, vcc_lo
	v_add_co_u32 v146, vcc_lo, v141, s22
	s_wait_alu 0xfffd
	v_add_co_ci_u32_e64 v147, null, s23, v142, vcc_lo
	global_load_b32 v137, v[137:138], off
	v_add_co_u32 v148, vcc_lo, v146, s22
	s_wait_alu 0xfffd
	v_add_co_ci_u32_e64 v149, null, s23, v147, vcc_lo
	global_load_b32 v138, v[139:140], off
	v_add_co_u32 v150, vcc_lo, v148, s22
	s_wait_alu 0xfffd
	v_add_co_ci_u32_e64 v151, null, s23, v149, vcc_lo
	s_delay_alu instid0(VALU_DEP_2) | instskip(SKIP_1) | instid1(VALU_DEP_2)
	v_add_co_u32 v152, vcc_lo, v150, s22
	s_wait_alu 0xfffd
	v_add_co_ci_u32_e64 v153, null, s23, v151, vcc_lo
	s_clause 0x4
	global_load_b32 v139, v[141:142], off
	global_load_b32 v140, v[146:147], off
	;; [unrolled: 1-line block ×6, first 2 shown]
	s_cbranch_scc0 .LBB25_10
; %bb.9:                                ;   in Loop: Header=BB25_8 Depth=2
	v_add_co_u32 v129, vcc_lo, v98, v12
	s_wait_alu 0xfffd
	v_add_co_ci_u32_e64 v130, null, 0, v99, vcc_lo
	v_add_co_u32 v131, vcc_lo, v100, v12
	s_wait_alu 0xfffd
	v_add_co_ci_u32_e64 v132, null, 0, v101, vcc_lo
	global_load_b32 v128, v[10:11], off offset:512
	global_load_b32 v129, v[129:130], off
	global_load_b32 v130, v[131:132], off
	v_add_co_u32 v10, vcc_lo, v102, v12
	s_wait_alu 0xfffd
	v_add_co_ci_u32_e64 v11, null, 0, v103, vcc_lo
	v_add_co_u32 v132, vcc_lo, v104, v12
	s_wait_alu 0xfffd
	v_add_co_ci_u32_e64 v133, null, 0, v105, vcc_lo
	;; [unrolled: 3-line block ×5, first 2 shown]
	global_load_b32 v131, v[10:11], off
	global_load_b32 v132, v[132:133], off
	;; [unrolled: 1-line block ×5, first 2 shown]
.LBB25_10:                              ;   in Loop: Header=BB25_8 Depth=2
	v_add_co_u32 v10, vcc_lo, s26, v8
	s_wait_alu 0xfffd
	v_add_co_ci_u32_e64 v11, null, s27, v9, vcc_lo
	v_add_co_u32 v96, vcc_lo, 0x200, v96
	s_wait_alu 0xfffd
	v_add_co_ci_u32_e64 v97, null, 0, v97, vcc_lo
	global_load_b32 v10, v[10:11], off
	v_add_co_u32 v98, vcc_lo, 0x200, v98
	s_wait_alu 0xfffd
	v_add_co_ci_u32_e64 v99, null, 0, v99, vcc_lo
	v_add_co_u32 v100, vcc_lo, 0x200, v100
	s_wait_alu 0xfffd
	v_add_co_ci_u32_e64 v101, null, 0, v101, vcc_lo
	;; [unrolled: 3-line block ×4, first 2 shown]
	v_add_co_u32 v108, vcc_lo, 0x200, v108
	s_wait_loadcnt 0x1
	v_fmac_f32_e32 v115, v121, v144
	v_fmac_f32_e32 v106, v120, v144
	;; [unrolled: 1-line block ×8, first 2 shown]
	s_wait_alu 0xfffd
	v_add_co_ci_u32_e64 v110, null, 0, v110, vcc_lo
	v_add_co_u32 v116, vcc_lo, 0x200, v116
	s_wait_alu 0xfffd
	v_add_co_ci_u32_e64 v117, null, 0, v117, vcc_lo
	v_add_co_u32 v118, vcc_lo, 0x200, v118
	s_wait_alu 0xfffd
	v_add_co_ci_u32_e64 v119, null, 0, v119, vcc_lo
	s_add_co_i32 s30, s30, 1
	s_add_nc_u64 s[26:27], s[26:27], s[20:21]
	s_wait_alu 0xfffe
	s_cmp_ge_i32 s30, s28
	s_wait_loadcnt 0x0
	v_fmac_f32_e32 v115, v137, v10
	v_fmac_f32_e32 v106, v136, v10
	;; [unrolled: 1-line block ×8, first 2 shown]
	s_cbranch_scc1 .LBB25_13
; %bb.11:                               ;   in Loop: Header=BB25_8 Depth=2
	v_dual_mov_b32 v120, v128 :: v_dual_mov_b32 v121, v129
	v_dual_mov_b32 v122, v130 :: v_dual_mov_b32 v123, v131
	;; [unrolled: 1-line block ×4, first 2 shown]
	s_branch .LBB25_8
.LBB25_12:                              ;   in Loop: Header=BB25_4 Depth=1
	v_dual_mov_b32 v107, 0 :: v_dual_mov_b32 v112, 0
	v_dual_mov_b32 v109, 0 :: v_dual_mov_b32 v114, 0
	;; [unrolled: 1-line block ×3, first 2 shown]
	v_mov_b32_e32 v113, 0
	v_mov_b32_e32 v115, 0
.LBB25_13:                              ;   in Loop: Header=BB25_4 Depth=1
	ds_store_2addr_stride64_b32 v94, v106, v115 offset1:1
	ds_store_2addr_stride64_b32 v94, v113, v114 offset0:2 offset1:3
	ds_store_2addr_stride64_b32 v94, v111, v112 offset0:4 offset1:5
	ds_store_b32 v94, v109 offset:1536
	ds_store_b32 v95, v107
	s_wait_dscnt 0x0
	s_barrier_signal -1
	s_barrier_wait -1
	global_inv scope:SCOPE_SE
	s_and_saveexec_b32 s1, s0
	s_cbranch_execz .LBB25_2
; %bb.14:                               ;   in Loop: Header=BB25_4 Depth=1
	ds_load_b32 v6, v13
	ds_load_b32 v7, v14
	;; [unrolled: 1-line block ×8, first 2 shown]
	s_mul_u64 s[26:27], s[24:25], s[2:3]
	s_wait_alu 0xfffe
	s_lshl_b64 s[26:27], s[26:27], 2
	s_wait_dscnt 0x7
	v_add_f32_e32 v6, 0, v6
	s_wait_dscnt 0x6
	s_delay_alu instid0(VALU_DEP_1)
	v_add_f32_e32 v6, v6, v7
	ds_load_b32 v7, v21
	s_wait_dscnt 0x6
	v_add_f32_e32 v6, v6, v8
	ds_load_b32 v8, v22
	s_wait_dscnt 0x6
	;; [unrolled: 3-line block ×3, first 2 shown]
	v_add_f32_e32 v6, v6, v10
	s_wait_dscnt 0x5
	s_delay_alu instid0(VALU_DEP_1) | instskip(SKIP_1) | instid1(VALU_DEP_1)
	v_add_f32_e32 v6, v6, v11
	s_wait_dscnt 0x4
	v_add_f32_e32 v6, v6, v96
	s_wait_dscnt 0x3
	s_delay_alu instid0(VALU_DEP_1)
	v_add_f32_e32 v6, v6, v97
	ds_load_b32 v10, v24
	ds_load_b32 v11, v25
	ds_load_b32 v96, v26
	ds_load_b32 v97, v27
	ds_load_b32 v98, v28
	s_wait_dscnt 0x7
	v_add_f32_e32 v6, v6, v7
	ds_load_b32 v7, v29
	s_wait_dscnt 0x7
	v_add_f32_e32 v6, v6, v8
	ds_load_b32 v8, v30
	s_wait_dscnt 0x7
	v_add_f32_e32 v6, v6, v9
	ds_load_b32 v9, v31
	s_wait_dscnt 0x7
	v_add_f32_e32 v6, v6, v10
	s_wait_dscnt 0x6
	s_delay_alu instid0(VALU_DEP_1) | instskip(SKIP_1) | instid1(VALU_DEP_1)
	v_add_f32_e32 v6, v6, v11
	s_wait_dscnt 0x5
	v_add_f32_e32 v6, v6, v96
	s_wait_dscnt 0x4
	s_delay_alu instid0(VALU_DEP_1) | instskip(SKIP_1) | instid1(VALU_DEP_1)
	v_add_f32_e32 v6, v6, v97
	s_wait_dscnt 0x3
	v_add_f32_e32 v6, v6, v98
	ds_load_b32 v10, v32
	ds_load_b32 v11, v33
	ds_load_b32 v96, v34
	ds_load_b32 v97, v35
	ds_load_b32 v98, v36
	s_wait_dscnt 0x7
	v_add_f32_e32 v6, v6, v7
	ds_load_b32 v7, v37
	s_wait_dscnt 0x7
	v_add_f32_e32 v6, v6, v8
	ds_load_b32 v8, v38
	s_wait_dscnt 0x7
	v_add_f32_e32 v6, v6, v9
	ds_load_b32 v9, v39
	s_wait_dscnt 0x7
	v_add_f32_e32 v6, v6, v10
	s_wait_dscnt 0x6
	s_delay_alu instid0(VALU_DEP_1) | instskip(SKIP_1) | instid1(VALU_DEP_1)
	v_add_f32_e32 v6, v6, v11
	s_wait_dscnt 0x5
	v_add_f32_e32 v6, v6, v96
	s_wait_dscnt 0x4
	s_delay_alu instid0(VALU_DEP_1) | instskip(SKIP_1) | instid1(VALU_DEP_1)
	v_add_f32_e32 v6, v6, v97
	s_wait_dscnt 0x3
	;; [unrolled: 26-line block ×6, first 2 shown]
	v_add_f32_e32 v6, v6, v98
	ds_load_b32 v10, v72
	ds_load_b32 v11, v73
	;; [unrolled: 1-line block ×5, first 2 shown]
	s_wait_dscnt 0x7
	v_add_f32_e32 v6, v6, v7
	s_wait_dscnt 0x6
	s_delay_alu instid0(VALU_DEP_1) | instskip(SKIP_1) | instid1(VALU_DEP_1)
	v_add_f32_e32 v6, v6, v8
	s_wait_dscnt 0x5
	v_add_f32_e32 v6, v6, v9
	s_wait_dscnt 0x4
	s_delay_alu instid0(VALU_DEP_1) | instskip(SKIP_1) | instid1(VALU_DEP_1)
	v_add_f32_e32 v6, v6, v10
	s_wait_dscnt 0x3
	v_add_f32_e32 v6, v6, v11
	s_wait_dscnt 0x2
	s_delay_alu instid0(VALU_DEP_1) | instskip(SKIP_1) | instid1(VALU_DEP_1)
	v_add_f32_e32 v6, v6, v96
	s_wait_dscnt 0x1
	v_add_f32_e32 v6, v6, v97
	s_wait_dscnt 0x0
	s_delay_alu instid0(VALU_DEP_1)
	v_add_f32_e32 v8, v6, v98
	s_wait_alu 0xfffe
	v_add_co_u32 v6, vcc_lo, v77, s26
	s_wait_alu 0xfffd
	v_add_co_ci_u32_e64 v7, null, s27, v78, vcc_lo
	v_mul_f32_e32 v8, s36, v8
	global_atomic_add_f32 v[6:7], v8, off scope:SCOPE_DEV
	s_branch .LBB25_2
.LBB25_15:
	s_nop 0
	s_sendmsg sendmsg(MSG_DEALLOC_VGPRS)
	s_endpgm
	.section	.rodata,"a",@progbits
	.p2align	6, 0x0
	.amdhsa_kernel _ZL36rocblas_gemvt_double_buffered_kernelILb0ELi128ELi8ELi8EfffEviiT4_lPKT3_lilS3_lilPT5_lili
		.amdhsa_group_segment_fixed_size 32768
		.amdhsa_private_segment_fixed_size 0
		.amdhsa_kernarg_size 384
		.amdhsa_user_sgpr_count 2
		.amdhsa_user_sgpr_dispatch_ptr 0
		.amdhsa_user_sgpr_queue_ptr 0
		.amdhsa_user_sgpr_kernarg_segment_ptr 1
		.amdhsa_user_sgpr_dispatch_id 0
		.amdhsa_user_sgpr_private_segment_size 0
		.amdhsa_wavefront_size32 1
		.amdhsa_uses_dynamic_stack 0
		.amdhsa_enable_private_segment 0
		.amdhsa_system_sgpr_workgroup_id_x 1
		.amdhsa_system_sgpr_workgroup_id_y 1
		.amdhsa_system_sgpr_workgroup_id_z 1
		.amdhsa_system_sgpr_workgroup_info 0
		.amdhsa_system_vgpr_workitem_id 1
		.amdhsa_next_free_vgpr 154
		.amdhsa_next_free_sgpr 39
		.amdhsa_reserve_vcc 1
		.amdhsa_float_round_mode_32 0
		.amdhsa_float_round_mode_16_64 0
		.amdhsa_float_denorm_mode_32 3
		.amdhsa_float_denorm_mode_16_64 3
		.amdhsa_fp16_overflow 0
		.amdhsa_workgroup_processor_mode 1
		.amdhsa_memory_ordered 1
		.amdhsa_forward_progress 1
		.amdhsa_inst_pref_size 40
		.amdhsa_round_robin_scheduling 0
		.amdhsa_exception_fp_ieee_invalid_op 0
		.amdhsa_exception_fp_denorm_src 0
		.amdhsa_exception_fp_ieee_div_zero 0
		.amdhsa_exception_fp_ieee_overflow 0
		.amdhsa_exception_fp_ieee_underflow 0
		.amdhsa_exception_fp_ieee_inexact 0
		.amdhsa_exception_int_div_zero 0
	.end_amdhsa_kernel
	.section	.text._ZL36rocblas_gemvt_double_buffered_kernelILb0ELi128ELi8ELi8EfffEviiT4_lPKT3_lilS3_lilPT5_lili,"axG",@progbits,_ZL36rocblas_gemvt_double_buffered_kernelILb0ELi128ELi8ELi8EfffEviiT4_lPKT3_lilS3_lilPT5_lili,comdat
.Lfunc_end25:
	.size	_ZL36rocblas_gemvt_double_buffered_kernelILb0ELi128ELi8ELi8EfffEviiT4_lPKT3_lilS3_lilPT5_lili, .Lfunc_end25-_ZL36rocblas_gemvt_double_buffered_kernelILb0ELi128ELi8ELi8EfffEviiT4_lPKT3_lilS3_lilPT5_lili
                                        ; -- End function
	.set _ZL36rocblas_gemvt_double_buffered_kernelILb0ELi128ELi8ELi8EfffEviiT4_lPKT3_lilS3_lilPT5_lili.num_vgpr, 154
	.set _ZL36rocblas_gemvt_double_buffered_kernelILb0ELi128ELi8ELi8EfffEviiT4_lPKT3_lilS3_lilPT5_lili.num_agpr, 0
	.set _ZL36rocblas_gemvt_double_buffered_kernelILb0ELi128ELi8ELi8EfffEviiT4_lPKT3_lilS3_lilPT5_lili.numbered_sgpr, 39
	.set _ZL36rocblas_gemvt_double_buffered_kernelILb0ELi128ELi8ELi8EfffEviiT4_lPKT3_lilS3_lilPT5_lili.num_named_barrier, 0
	.set _ZL36rocblas_gemvt_double_buffered_kernelILb0ELi128ELi8ELi8EfffEviiT4_lPKT3_lilS3_lilPT5_lili.private_seg_size, 0
	.set _ZL36rocblas_gemvt_double_buffered_kernelILb0ELi128ELi8ELi8EfffEviiT4_lPKT3_lilS3_lilPT5_lili.uses_vcc, 1
	.set _ZL36rocblas_gemvt_double_buffered_kernelILb0ELi128ELi8ELi8EfffEviiT4_lPKT3_lilS3_lilPT5_lili.uses_flat_scratch, 0
	.set _ZL36rocblas_gemvt_double_buffered_kernelILb0ELi128ELi8ELi8EfffEviiT4_lPKT3_lilS3_lilPT5_lili.has_dyn_sized_stack, 0
	.set _ZL36rocblas_gemvt_double_buffered_kernelILb0ELi128ELi8ELi8EfffEviiT4_lPKT3_lilS3_lilPT5_lili.has_recursion, 0
	.set _ZL36rocblas_gemvt_double_buffered_kernelILb0ELi128ELi8ELi8EfffEviiT4_lPKT3_lilS3_lilPT5_lili.has_indirect_call, 0
	.section	.AMDGPU.csdata,"",@progbits
; Kernel info:
; codeLenInByte = 5000
; TotalNumSgprs: 41
; NumVgprs: 154
; ScratchSize: 0
; MemoryBound: 0
; FloatMode: 240
; IeeeMode: 1
; LDSByteSize: 32768 bytes/workgroup (compile time only)
; SGPRBlocks: 0
; VGPRBlocks: 19
; NumSGPRsForWavesPerEU: 41
; NumVGPRsForWavesPerEU: 154
; Occupancy: 9
; WaveLimiterHint : 0
; COMPUTE_PGM_RSRC2:SCRATCH_EN: 0
; COMPUTE_PGM_RSRC2:USER_SGPR: 2
; COMPUTE_PGM_RSRC2:TRAP_HANDLER: 0
; COMPUTE_PGM_RSRC2:TGID_X_EN: 1
; COMPUTE_PGM_RSRC2:TGID_Y_EN: 1
; COMPUTE_PGM_RSRC2:TGID_Z_EN: 1
; COMPUTE_PGM_RSRC2:TIDIG_COMP_CNT: 1
	.section	.text._ZL32rocblas_gemvt_warp_reduce_kernelILb0ELi256EifPKffEviiT3_lPKT2_lT1_lS5_lS6_lS2_lPT4_lS6_li,"axG",@progbits,_ZL32rocblas_gemvt_warp_reduce_kernelILb0ELi256EifPKffEviiT3_lPKT2_lT1_lS5_lS6_lS2_lPT4_lS6_li,comdat
	.globl	_ZL32rocblas_gemvt_warp_reduce_kernelILb0ELi256EifPKffEviiT3_lPKT2_lT1_lS5_lS6_lS2_lPT4_lS6_li ; -- Begin function _ZL32rocblas_gemvt_warp_reduce_kernelILb0ELi256EifPKffEviiT3_lPKT2_lT1_lS5_lS6_lS2_lPT4_lS6_li
	.p2align	8
	.type	_ZL32rocblas_gemvt_warp_reduce_kernelILb0ELi256EifPKffEviiT3_lPKT2_lT1_lS5_lS6_lS2_lPT4_lS6_li,@function
_ZL32rocblas_gemvt_warp_reduce_kernelILb0ELi256EifPKffEviiT3_lPKT2_lT1_lS5_lS6_lS2_lPT4_lS6_li: ; @_ZL32rocblas_gemvt_warp_reduce_kernelILb0ELi256EifPKffEviiT3_lPKT2_lT1_lS5_lS6_lS2_lPT4_lS6_li
; %bb.0:
	s_load_b32 s7, s[0:1], 0x88
	s_lshr_b32 s28, ttmp7, 16
	s_wait_kmcnt 0x0
	s_cmp_ge_u32 s28, s7
	s_cbranch_scc1 .LBB26_34
; %bb.1:
	s_clause 0x7
	s_load_b96 s[4:6], s[0:1], 0x40
	s_load_b96 s[36:38], s[0:1], 0x70
	s_load_b256 s[8:15], s[0:1], 0x8
	s_load_b32 s33, s[0:1], 0x0
	s_load_b32 s39, s[0:1], 0x28
	s_load_b128 s[24:27], s[0:1], 0x30
	s_load_b256 s[16:23], s[0:1], 0x50
	s_load_b64 s[30:31], s[0:1], 0x80
	v_mov_b32_e32 v9, 0
	v_mbcnt_lo_u32_b32 v14, -1, 0
	v_cmp_eq_u32_e64 s0, 0, v0
	s_mov_b32 s29, 0
	v_lshl_or_b32 v16, v14, 2, 64
	s_wait_kmcnt 0x0
	s_lshl_b64 s[2:3], s[4:5], 2
	s_lshl_b64 s[4:5], s[36:37], 2
	;; [unrolled: 1-line block ×3, first 2 shown]
	v_cmp_gt_i32_e32 vcc_lo, s33, v0
	s_ashr_i32 s1, s33, 31
	s_add_nc_u64 s[14:15], s[26:27], s[2:3]
	s_lshr_b32 s1, s1, 24
	s_add_nc_u64 s[2:3], s[12:13], s[34:35]
	s_add_co_i32 s1, s33, s1
	v_cndmask_b32_e32 v1, 0, v0, vcc_lo
	s_and_b32 s26, s1, 0xffffff00
	s_mul_i32 s36, s38, ttmp9
	v_or_b32_e32 v2, s26, v0
	s_mul_i32 s38, s39, ttmp9
	v_lshlrev_b32_e32 v1, 2, v1
	s_ashr_i32 s39, s38, 31
	v_mul_lo_u32 v15, v0, s6
	v_mul_lo_u32 v3, s6, v2
	s_lshl_b64 s[38:39], s[38:39], 2
	v_add_co_u32 v4, s1, s2, v1
	s_delay_alu instid0(VALU_DEP_1)
	v_add_co_ci_u32_e64 v5, null, s3, 0, s1
	s_add_nc_u64 s[34:35], s[34:35], s[38:39]
	v_add_co_u32 v10, vcc_lo, v4, s38
	v_ashrrev_i32_e32 v4, 31, v3
	s_wait_alu 0xfffd
	v_add_co_ci_u32_e64 v11, null, s39, v5, vcc_lo
	v_cmp_gt_i32_e64 s2, s33, v2
	v_and_b32_e32 v2, 31, v0
	v_lshrrev_b32_e32 v5, 3, v0
	s_add_nc_u64 s[12:13], s[12:13], s[34:35]
	v_lshlrev_b64_e32 v[3:4], 2, v[3:4]
	v_add_co_u32 v1, s12, s12, v1
	s_add_nc_u64 s[22:23], s[22:23], s[4:5]
	v_cmp_gt_i32_e64 s1, s26, v0
	v_cmp_gt_u32_e64 s3, 32, v0
	v_lshlrev_b32_e32 v12, 2, v2
	v_cmp_eq_u32_e64 s4, 0, v2
	v_and_b32_e32 v13, 28, v5
	v_cmp_gt_u32_e64 s5, 8, v0
	s_wait_alu 0xf1ff
	v_add_co_ci_u32_e64 v2, null, s13, 0, s12
	s_ashr_i32 s37, s36, 31
	s_ashr_i32 s27, s26, 31
	s_lshl_b64 s[12:13], s[24:25], 2
	s_lshl_b32 s33, s6, 8
	s_lshl_b64 s[34:35], s[36:37], 2
	s_wait_alu 0xfffe
	s_lshl_b64 s[36:37], s[26:27], 2
	s_branch .LBB26_4
.LBB26_2:                               ;   in Loop: Header=BB26_4 Depth=1
	s_wait_alu 0xfffe
	s_or_b32 exec_lo, exec_lo, s6
.LBB26_3:                               ;   in Loop: Header=BB26_4 Depth=1
	s_add_co_i32 s28, s28, 0x10000
	s_wait_alu 0xfffe
	s_cmp_lt_u32 s28, s7
	s_cbranch_scc0 .LBB26_34
.LBB26_4:                               ; =>This Loop Header: Depth=1
                                        ;     Child Loop BB26_23 Depth 2
	s_mul_u64 s[38:39], s[10:11], s[28:29]
	s_mul_u64 s[40:41], s[20:21], s[28:29]
	s_wait_alu 0xfffe
	s_lshl_b64 s[38:39], s[38:39], 2
	s_lshl_b64 s[40:41], s[40:41], 2
	s_wait_alu 0xfffe
	s_add_nc_u64 s[38:39], s[8:9], s[38:39]
	s_add_nc_u64 s[40:41], s[18:19], s[40:41]
	s_clause 0x1
	global_load_b32 v17, v9, s[38:39]
	global_load_b32 v5, v9, s[40:41]
	s_wait_loadcnt 0x1
	v_cmp_eq_f32_e32 vcc_lo, 0, v17
	s_wait_loadcnt 0x0
	v_cmp_eq_f32_e64 s6, 1.0, v5
	v_readfirstlane_b32 s27, v5
	s_and_b32 s6, vcc_lo, s6
	s_wait_alu 0xfffe
	s_and_b32 vcc_lo, exec_lo, s6
	s_wait_alu 0xfffe
	s_cbranch_vccnz .LBB26_3
; %bb.5:                                ;   in Loop: Header=BB26_4 Depth=1
	v_cmp_neq_f32_e32 vcc_lo, 0, v17
	s_mul_u64 s[38:39], s[30:31], s[28:29]
	s_wait_alu 0xfffe
	s_lshl_b64 s[38:39], s[38:39], 2
	s_wait_alu 0xfffe
	s_add_nc_u64 s[38:39], s[22:23], s[38:39]
	s_cbranch_vccnz .LBB26_9
; %bb.6:                                ;   in Loop: Header=BB26_4 Depth=1
	s_mov_b32 s6, 0
	s_mov_b32 s42, 0
                                        ; implicit-def: $vgpr5
	s_and_saveexec_b32 s40, s0
	s_cbranch_execz .LBB26_10
; %bb.7:                                ;   in Loop: Header=BB26_4 Depth=1
	s_cmp_eq_f32 s27, 0
	s_cbranch_scc1 .LBB26_11
; %bb.8:                                ;   in Loop: Header=BB26_4 Depth=1
	s_wait_alu 0xfffe
	s_add_nc_u64 s[42:43], s[38:39], s[34:35]
	global_load_b32 v5, v9, s[42:43]
	s_wait_loadcnt 0x0
	v_mul_f32_e32 v5, s27, v5
	s_branch .LBB26_12
.LBB26_9:                               ;   in Loop: Header=BB26_4 Depth=1
	s_mov_b32 s42, 0
                                        ; implicit-def: $vgpr5
	s_cbranch_execnz .LBB26_13
	s_branch .LBB26_32
.LBB26_10:                              ;   in Loop: Header=BB26_4 Depth=1
	s_wait_alu 0xfffe
	s_or_b32 exec_lo, exec_lo, s40
	s_delay_alu instid0(SALU_CYCLE_1)
	s_and_b32 vcc_lo, exec_lo, s6
	s_wait_alu 0xfffe
	s_cbranch_vccnz .LBB26_13
	s_branch .LBB26_32
.LBB26_11:                              ;   in Loop: Header=BB26_4 Depth=1
	v_mov_b32_e32 v5, 0
.LBB26_12:                              ;   in Loop: Header=BB26_4 Depth=1
	s_mov_b32 s42, exec_lo
	s_wait_alu 0xfffe
	s_or_b32 exec_lo, exec_lo, s40
	s_delay_alu instid0(SALU_CYCLE_1)
	s_and_b32 vcc_lo, exec_lo, s6
	s_wait_alu 0xfffe
	s_cbranch_vccz .LBB26_32
.LBB26_13:                              ;   in Loop: Header=BB26_4 Depth=1
	s_mul_u64 s[40:41], s[16:17], s[28:29]
	v_mov_b32_e32 v18, 0
	s_wait_alu 0xfffe
	s_lshl_b64 s[40:41], s[40:41], 2
	s_wait_alu 0xfffe
	s_add_nc_u64 s[40:41], s[14:15], s[40:41]
	s_and_saveexec_b32 s43, s1
	s_cbranch_execnz .LBB26_22
; %bb.14:                               ;   in Loop: Header=BB26_4 Depth=1
	s_or_b32 exec_lo, exec_lo, s43
	s_and_saveexec_b32 s6, s2
	s_cbranch_execnz .LBB26_25
.LBB26_15:                              ;   in Loop: Header=BB26_4 Depth=1
	s_wait_alu 0xfffe
	s_or_b32 exec_lo, exec_lo, s6
	s_and_saveexec_b32 s6, s3
.LBB26_16:                              ;   in Loop: Header=BB26_4 Depth=1
	ds_store_b32 v12, v9
.LBB26_17:                              ;   in Loop: Header=BB26_4 Depth=1
	s_wait_alu 0xfffe
	s_or_b32 exec_lo, exec_lo, s6
	ds_bpermute_b32 v5, v16, v18
	v_cmp_gt_u32_e32 vcc_lo, 24, v14
	s_wait_dscnt 0x0
	s_barrier_signal -1
	s_barrier_wait -1
	global_inv scope:SCOPE_SE
	s_wait_alu 0xfffd
	v_cndmask_b32_e64 v6, 0, 8, vcc_lo
	v_cmp_gt_u32_e32 vcc_lo, 28, v14
	s_delay_alu instid0(VALU_DEP_2)
	v_add_lshl_u32 v6, v6, v14, 2
	v_add_f32_e32 v7, v18, v5
	s_wait_alu 0xfffd
	v_cndmask_b32_e64 v5, 0, 4, vcc_lo
	v_cmp_gt_u32_e32 vcc_lo, 30, v14
	ds_bpermute_b32 v6, v6, v7
	v_add_lshl_u32 v5, v5, v14, 2
	s_wait_dscnt 0x0
	v_add_f32_e32 v7, v7, v6
	s_wait_alu 0xfffd
	v_cndmask_b32_e64 v6, 0, 2, vcc_lo
	v_cmp_ne_u32_e32 vcc_lo, 31, v14
	ds_bpermute_b32 v8, v5, v7
	v_add_lshl_u32 v6, v6, v14, 2
	s_wait_alu 0xfffd
	v_add_co_ci_u32_e64 v18, null, 0, v14, vcc_lo
	s_wait_dscnt 0x0
	v_add_f32_e32 v7, v7, v8
	ds_bpermute_b32 v8, v6, v7
	s_wait_dscnt 0x0
	v_dual_add_f32 v8, v7, v8 :: v_dual_lshlrev_b32 v7, 2, v18
	ds_bpermute_b32 v18, v7, v8
	s_and_saveexec_b32 s6, s4
	s_cbranch_execz .LBB26_19
; %bb.18:                               ;   in Loop: Header=BB26_4 Depth=1
	s_wait_dscnt 0x0
	v_add_f32_e32 v8, v8, v18
	ds_store_b32 v13, v8
.LBB26_19:                              ;   in Loop: Header=BB26_4 Depth=1
	s_wait_alu 0xfffe
	s_or_b32 exec_lo, exec_lo, s6
	v_mov_b32_e32 v8, 0
	s_wait_loadcnt_dscnt 0x0
	s_barrier_signal -1
	s_barrier_wait -1
	global_inv scope:SCOPE_SE
	s_and_saveexec_b32 s6, s5
	s_cbranch_execnz .LBB26_26
; %bb.20:                               ;   in Loop: Header=BB26_4 Depth=1
	s_wait_alu 0xfffe
	s_or_b32 exec_lo, exec_lo, s6
	s_and_saveexec_b32 s6, s3
	s_cbranch_execnz .LBB26_27
.LBB26_21:                              ;   in Loop: Header=BB26_4 Depth=1
	s_wait_alu 0xfffe
	s_or_b32 exec_lo, exec_lo, s6
                                        ; implicit-def: $vgpr5
	s_and_saveexec_b32 s6, s0
	s_cbranch_execnz .LBB26_28
	s_branch .LBB26_31
.LBB26_22:                              ;   in Loop: Header=BB26_4 Depth=1
	v_mad_co_u64_u32 v[5:6], null, s12, s28, v[1:2]
	v_dual_mov_b32 v18, 0 :: v_dual_mov_b32 v19, v0
	s_mov_b32 s44, 0
	s_delay_alu instid0(VALU_DEP_2)
	v_mad_co_u64_u32 v[6:7], null, s13, s28, v[6:7]
	v_mov_b32_e32 v7, v15
.LBB26_23:                              ;   Parent Loop BB26_4 Depth=1
                                        ; =>  This Inner Loop Header: Depth=2
	s_wait_dscnt 0x0
	s_delay_alu instid0(VALU_DEP_1) | instskip(NEXT) | instid1(VALU_DEP_1)
	v_ashrrev_i32_e32 v8, 31, v7
	v_lshlrev_b64_e32 v[20:21], 2, v[7:8]
	v_add_nc_u32_e32 v7, s33, v7
	s_wait_alu 0xfffe
	s_delay_alu instid0(VALU_DEP_2) | instskip(SKIP_1) | instid1(VALU_DEP_3)
	v_add_co_u32 v20, vcc_lo, s40, v20
	s_wait_alu 0xfffd
	v_add_co_ci_u32_e64 v21, null, s41, v21, vcc_lo
	global_load_b32 v8, v[5:6], off
	global_load_b32 v20, v[20:21], off
	v_add_nc_u32_e32 v19, 0x100, v19
	v_add_co_u32 v5, vcc_lo, 0x400, v5
	s_wait_alu 0xfffd
	v_add_co_ci_u32_e64 v6, null, 0, v6, vcc_lo
	s_wait_loadcnt 0x0
	v_fmac_f32_e32 v18, v8, v20
	v_cmp_le_i32_e64 s6, s26, v19
	s_or_b32 s44, s6, s44
	s_wait_alu 0xfffe
	s_and_not1_b32 exec_lo, exec_lo, s44
	s_cbranch_execnz .LBB26_23
; %bb.24:                               ;   in Loop: Header=BB26_4 Depth=1
	s_or_b32 exec_lo, exec_lo, s44
	s_delay_alu instid0(SALU_CYCLE_1)
	s_or_b32 exec_lo, exec_lo, s43
	s_and_saveexec_b32 s6, s2
	s_cbranch_execz .LBB26_15
.LBB26_25:                              ;   in Loop: Header=BB26_4 Depth=1
	s_mul_u64 s[44:45], s[24:25], s[28:29]
	s_wait_alu 0xfffe
	s_lshl_b64 s[44:45], s[44:45], 2
	s_wait_alu 0xfffe
	v_add_co_u32 v5, vcc_lo, v10, s44
	s_wait_alu 0xfffd
	v_add_co_ci_u32_e64 v6, null, s45, v11, vcc_lo
	s_delay_alu instid0(VALU_DEP_2) | instskip(SKIP_1) | instid1(VALU_DEP_2)
	v_add_co_u32 v5, vcc_lo, v5, s36
	s_wait_alu 0xfffd
	v_add_co_ci_u32_e64 v6, null, s37, v6, vcc_lo
	v_add_co_u32 v7, vcc_lo, s40, v3
	s_wait_dscnt 0x0
	s_wait_alu 0xfffd
	v_add_co_ci_u32_e64 v8, null, s41, v4, vcc_lo
	global_load_b32 v5, v[5:6], off
	global_load_b32 v6, v[7:8], off
	s_wait_loadcnt 0x0
	v_fmac_f32_e32 v18, v5, v6
	s_or_b32 exec_lo, exec_lo, s6
	s_and_saveexec_b32 s6, s3
	s_cbranch_execnz .LBB26_16
	s_branch .LBB26_17
.LBB26_26:                              ;   in Loop: Header=BB26_4 Depth=1
	ds_load_b32 v8, v12
	s_wait_alu 0xfffe
	s_or_b32 exec_lo, exec_lo, s6
	s_and_saveexec_b32 s6, s3
	s_cbranch_execz .LBB26_21
.LBB26_27:                              ;   in Loop: Header=BB26_4 Depth=1
	s_wait_dscnt 0x0
	ds_bpermute_b32 v5, v5, v8
	s_wait_dscnt 0x0
	v_add_f32_e32 v5, v8, v5
	ds_bpermute_b32 v6, v6, v5
	s_wait_dscnt 0x0
	v_add_f32_e32 v5, v5, v6
	;; [unrolled: 3-line block ×3, first 2 shown]
	s_wait_alu 0xfffe
	s_or_b32 exec_lo, exec_lo, s6
                                        ; implicit-def: $vgpr5
	s_and_saveexec_b32 s6, s0
	s_cbranch_execz .LBB26_31
.LBB26_28:                              ;   in Loop: Header=BB26_4 Depth=1
	s_wait_dscnt 0x0
	v_mul_f32_e32 v5, v17, v8
	s_cmp_eq_f32 s27, 0
	s_cbranch_scc1 .LBB26_30
; %bb.29:                               ;   in Loop: Header=BB26_4 Depth=1
	s_add_nc_u64 s[40:41], s[38:39], s[34:35]
	global_load_b32 v6, v9, s[40:41]
	s_wait_loadcnt 0x0
	v_fmac_f32_e32 v5, s27, v6
.LBB26_30:                              ;   in Loop: Header=BB26_4 Depth=1
	s_or_b32 s42, s42, exec_lo
.LBB26_31:                              ;   in Loop: Header=BB26_4 Depth=1
	s_wait_alu 0xfffe
	s_or_b32 exec_lo, exec_lo, s6
.LBB26_32:                              ;   in Loop: Header=BB26_4 Depth=1
	s_and_saveexec_b32 s6, s42
	s_cbranch_execz .LBB26_2
; %bb.33:                               ;   in Loop: Header=BB26_4 Depth=1
	s_wait_alu 0xfffe
	s_add_nc_u64 s[38:39], s[38:39], s[34:35]
	global_store_b32 v9, v5, s[38:39]
	s_branch .LBB26_2
.LBB26_34:
	s_endpgm
	.section	.rodata,"a",@progbits
	.p2align	6, 0x0
	.amdhsa_kernel _ZL32rocblas_gemvt_warp_reduce_kernelILb0ELi256EifPKffEviiT3_lPKT2_lT1_lS5_lS6_lS2_lPT4_lS6_li
		.amdhsa_group_segment_fixed_size 128
		.amdhsa_private_segment_fixed_size 0
		.amdhsa_kernarg_size 140
		.amdhsa_user_sgpr_count 2
		.amdhsa_user_sgpr_dispatch_ptr 0
		.amdhsa_user_sgpr_queue_ptr 0
		.amdhsa_user_sgpr_kernarg_segment_ptr 1
		.amdhsa_user_sgpr_dispatch_id 0
		.amdhsa_user_sgpr_private_segment_size 0
		.amdhsa_wavefront_size32 1
		.amdhsa_uses_dynamic_stack 0
		.amdhsa_enable_private_segment 0
		.amdhsa_system_sgpr_workgroup_id_x 1
		.amdhsa_system_sgpr_workgroup_id_y 0
		.amdhsa_system_sgpr_workgroup_id_z 1
		.amdhsa_system_sgpr_workgroup_info 0
		.amdhsa_system_vgpr_workitem_id 0
		.amdhsa_next_free_vgpr 22
		.amdhsa_next_free_sgpr 46
		.amdhsa_reserve_vcc 1
		.amdhsa_float_round_mode_32 0
		.amdhsa_float_round_mode_16_64 0
		.amdhsa_float_denorm_mode_32 3
		.amdhsa_float_denorm_mode_16_64 3
		.amdhsa_fp16_overflow 0
		.amdhsa_workgroup_processor_mode 1
		.amdhsa_memory_ordered 1
		.amdhsa_forward_progress 1
		.amdhsa_inst_pref_size 13
		.amdhsa_round_robin_scheduling 0
		.amdhsa_exception_fp_ieee_invalid_op 0
		.amdhsa_exception_fp_denorm_src 0
		.amdhsa_exception_fp_ieee_div_zero 0
		.amdhsa_exception_fp_ieee_overflow 0
		.amdhsa_exception_fp_ieee_underflow 0
		.amdhsa_exception_fp_ieee_inexact 0
		.amdhsa_exception_int_div_zero 0
	.end_amdhsa_kernel
	.section	.text._ZL32rocblas_gemvt_warp_reduce_kernelILb0ELi256EifPKffEviiT3_lPKT2_lT1_lS5_lS6_lS2_lPT4_lS6_li,"axG",@progbits,_ZL32rocblas_gemvt_warp_reduce_kernelILb0ELi256EifPKffEviiT3_lPKT2_lT1_lS5_lS6_lS2_lPT4_lS6_li,comdat
.Lfunc_end26:
	.size	_ZL32rocblas_gemvt_warp_reduce_kernelILb0ELi256EifPKffEviiT3_lPKT2_lT1_lS5_lS6_lS2_lPT4_lS6_li, .Lfunc_end26-_ZL32rocblas_gemvt_warp_reduce_kernelILb0ELi256EifPKffEviiT3_lPKT2_lT1_lS5_lS6_lS2_lPT4_lS6_li
                                        ; -- End function
	.set _ZL32rocblas_gemvt_warp_reduce_kernelILb0ELi256EifPKffEviiT3_lPKT2_lT1_lS5_lS6_lS2_lPT4_lS6_li.num_vgpr, 22
	.set _ZL32rocblas_gemvt_warp_reduce_kernelILb0ELi256EifPKffEviiT3_lPKT2_lT1_lS5_lS6_lS2_lPT4_lS6_li.num_agpr, 0
	.set _ZL32rocblas_gemvt_warp_reduce_kernelILb0ELi256EifPKffEviiT3_lPKT2_lT1_lS5_lS6_lS2_lPT4_lS6_li.numbered_sgpr, 46
	.set _ZL32rocblas_gemvt_warp_reduce_kernelILb0ELi256EifPKffEviiT3_lPKT2_lT1_lS5_lS6_lS2_lPT4_lS6_li.num_named_barrier, 0
	.set _ZL32rocblas_gemvt_warp_reduce_kernelILb0ELi256EifPKffEviiT3_lPKT2_lT1_lS5_lS6_lS2_lPT4_lS6_li.private_seg_size, 0
	.set _ZL32rocblas_gemvt_warp_reduce_kernelILb0ELi256EifPKffEviiT3_lPKT2_lT1_lS5_lS6_lS2_lPT4_lS6_li.uses_vcc, 1
	.set _ZL32rocblas_gemvt_warp_reduce_kernelILb0ELi256EifPKffEviiT3_lPKT2_lT1_lS5_lS6_lS2_lPT4_lS6_li.uses_flat_scratch, 0
	.set _ZL32rocblas_gemvt_warp_reduce_kernelILb0ELi256EifPKffEviiT3_lPKT2_lT1_lS5_lS6_lS2_lPT4_lS6_li.has_dyn_sized_stack, 0
	.set _ZL32rocblas_gemvt_warp_reduce_kernelILb0ELi256EifPKffEviiT3_lPKT2_lT1_lS5_lS6_lS2_lPT4_lS6_li.has_recursion, 0
	.set _ZL32rocblas_gemvt_warp_reduce_kernelILb0ELi256EifPKffEviiT3_lPKT2_lT1_lS5_lS6_lS2_lPT4_lS6_li.has_indirect_call, 0
	.section	.AMDGPU.csdata,"",@progbits
; Kernel info:
; codeLenInByte = 1540
; TotalNumSgprs: 48
; NumVgprs: 22
; ScratchSize: 0
; MemoryBound: 0
; FloatMode: 240
; IeeeMode: 1
; LDSByteSize: 128 bytes/workgroup (compile time only)
; SGPRBlocks: 0
; VGPRBlocks: 2
; NumSGPRsForWavesPerEU: 48
; NumVGPRsForWavesPerEU: 22
; Occupancy: 16
; WaveLimiterHint : 0
; COMPUTE_PGM_RSRC2:SCRATCH_EN: 0
; COMPUTE_PGM_RSRC2:USER_SGPR: 2
; COMPUTE_PGM_RSRC2:TRAP_HANDLER: 0
; COMPUTE_PGM_RSRC2:TGID_X_EN: 1
; COMPUTE_PGM_RSRC2:TGID_Y_EN: 0
; COMPUTE_PGM_RSRC2:TGID_Z_EN: 1
; COMPUTE_PGM_RSRC2:TIDIG_COMP_CNT: 0
	.section	.text._ZL32rocblas_gemvt_warp_reduce_kernelILb0ELi256ElfPKffEviiT3_lPKT2_lT1_lS5_lS6_lS2_lPT4_lS6_li,"axG",@progbits,_ZL32rocblas_gemvt_warp_reduce_kernelILb0ELi256ElfPKffEviiT3_lPKT2_lT1_lS5_lS6_lS2_lPT4_lS6_li,comdat
	.globl	_ZL32rocblas_gemvt_warp_reduce_kernelILb0ELi256ElfPKffEviiT3_lPKT2_lT1_lS5_lS6_lS2_lPT4_lS6_li ; -- Begin function _ZL32rocblas_gemvt_warp_reduce_kernelILb0ELi256ElfPKffEviiT3_lPKT2_lT1_lS5_lS6_lS2_lPT4_lS6_li
	.p2align	8
	.type	_ZL32rocblas_gemvt_warp_reduce_kernelILb0ELi256ElfPKffEviiT3_lPKT2_lT1_lS5_lS6_lS2_lPT4_lS6_li,@function
_ZL32rocblas_gemvt_warp_reduce_kernelILb0ELi256ElfPKffEviiT3_lPKT2_lT1_lS5_lS6_lS2_lPT4_lS6_li: ; @_ZL32rocblas_gemvt_warp_reduce_kernelILb0ELi256ElfPKffEviiT3_lPKT2_lT1_lS5_lS6_lS2_lPT4_lS6_li
; %bb.0:
	s_load_b32 s7, s[0:1], 0x88
	s_lshr_b32 s24, ttmp7, 16
	s_wait_kmcnt 0x0
	s_cmp_ge_u32 s24, s7
	s_cbranch_scc1 .LBB27_34
; %bb.1:
	s_clause 0x2
	s_load_b512 s[8:23], s[0:1], 0x8
	s_load_b512 s[36:51], s[0:1], 0x48
	s_load_b32 s6, s[0:1], 0x0
	s_mov_b32 s2, ttmp9
	s_ashr_i32 s3, ttmp9, 31
	v_mbcnt_lo_u32_b32 v16, -1, 0
	v_cmp_eq_u32_e64 s0, 0, v0
	s_mov_b32 s25, 0
	v_lshl_or_b32 v17, v16, 2, 64
	s_wait_kmcnt 0x0
	s_lshl_b64 s[4:5], s[22:23], 2
	s_lshl_b64 s[26:27], s[14:15], 2
	v_cmp_gt_i32_e32 vcc_lo, s6, v0
	s_ashr_i32 s1, s6, 31
	v_mad_co_u64_u32 v[1:2], null, s36, v0, 0
	s_lshr_b32 s1, s1, 24
	v_cndmask_b32_e32 v3, 0, v0, vcc_lo
	s_add_nc_u64 s[14:15], s[20:21], s[4:5]
	s_add_nc_u64 s[4:5], s[12:13], s[26:27]
	s_add_co_i32 s1, s6, s1
	s_lshl_b64 s[22:23], s[46:47], 2
	v_lshlrev_b32_e32 v7, 2, v3
	s_and_b32 s20, s1, 0xffffff00
	s_mul_u64 s[28:29], s[48:49], s[2:3]
	s_mul_u64 s[2:3], s[16:17], s[2:3]
	v_or_b32_e32 v4, s20, v0
	v_add_co_u32 v3, s1, s4, v7
	s_delay_alu instid0(VALU_DEP_1)
	v_add_co_ci_u32_e64 v5, null, s5, 0, s1
	s_add_nc_u64 s[16:17], s[44:45], s[22:23]
	s_lshl_b64 s[22:23], s[2:3], 2
	v_mul_lo_u32 v8, s37, v4
	v_add_co_u32 v12, vcc_lo, v3, s22
	v_mad_co_u64_u32 v[2:3], null, s37, v0, v[2:3]
	s_wait_alu 0xfffd
	v_add_co_ci_u32_e64 v13, null, s23, v5, vcc_lo
	v_mad_co_u64_u32 v[5:6], null, s36, v4, 0
	v_and_b32_e32 v3, 31, v0
	v_cmp_gt_i32_e64 s2, s6, v4
	v_lshrrev_b32_e32 v4, 3, v0
	s_ashr_i32 s21, s20, 31
	v_dual_mov_b32 v11, 0 :: v_dual_lshlrev_b32 v14, 2, v3
	s_wait_alu 0xfffe
	s_mul_i32 s3, s36, s21
	v_cmp_eq_u32_e64 s4, 0, v3
	v_and_b32_e32 v15, 28, v4
	v_lshlrev_b64_e32 v[3:4], 2, v[1:2]
	v_add3_u32 v6, v6, s3, v8
	s_add_nc_u64 s[22:23], s[22:23], s[26:27]
	v_cmp_gt_i32_e64 s1, s20, v0
	s_wait_alu 0xfffe
	s_add_nc_u64 s[12:13], s[12:13], s[22:23]
	v_cmp_gt_u32_e64 s3, 32, v0
	v_add_co_u32 v1, s6, s12, v7
	v_add_co_u32 v3, vcc_lo, s14, v3
	v_lshlrev_b64_e32 v[5:6], 2, v[5:6]
	v_cmp_gt_u32_e64 s5, 8, v0
	s_wait_alu 0xf1ff
	v_add_co_ci_u32_e64 v2, null, s13, 0, s6
	s_wait_alu 0xfffd
	v_add_co_ci_u32_e64 v4, null, s15, v4, vcc_lo
	s_lshl_b64 s[12:13], s[18:19], 2
	s_lshl_b64 s[22:23], s[38:39], 2
	;; [unrolled: 1-line block ×5, first 2 shown]
	s_branch .LBB27_4
.LBB27_2:                               ;   in Loop: Header=BB27_4 Depth=1
	s_wait_alu 0xfffe
	s_or_b32 exec_lo, exec_lo, s6
.LBB27_3:                               ;   in Loop: Header=BB27_4 Depth=1
	s_add_co_i32 s24, s24, 0x10000
	s_wait_alu 0xfffe
	s_cmp_lt_u32 s24, s7
	s_cbranch_scc0 .LBB27_34
.LBB27_4:                               ; =>This Loop Header: Depth=1
                                        ;     Child Loop BB27_23 Depth 2
	s_mul_u64 s[34:35], s[10:11], s[24:25]
	s_mul_u64 s[36:37], s[42:43], s[24:25]
	s_lshl_b64 s[34:35], s[34:35], 2
	s_wait_alu 0xfffe
	s_lshl_b64 s[36:37], s[36:37], 2
	s_add_nc_u64 s[34:35], s[8:9], s[34:35]
	s_wait_alu 0xfffe
	s_add_nc_u64 s[36:37], s[40:41], s[36:37]
	s_clause 0x1
	global_load_b32 v18, v11, s[34:35]
	global_load_b32 v7, v11, s[36:37]
	s_wait_loadcnt 0x1
	v_cmp_eq_f32_e32 vcc_lo, 0, v18
	s_wait_loadcnt 0x0
	v_cmp_eq_f32_e64 s6, 1.0, v7
	v_readfirstlane_b32 s21, v7
	s_and_b32 s6, vcc_lo, s6
	s_wait_alu 0xfffe
	s_and_b32 vcc_lo, exec_lo, s6
	s_wait_alu 0xfffe
	s_cbranch_vccnz .LBB27_3
; %bb.5:                                ;   in Loop: Header=BB27_4 Depth=1
	v_cmp_neq_f32_e32 vcc_lo, 0, v18
	s_mul_u64 s[34:35], s[50:51], s[24:25]
	s_delay_alu instid0(SALU_CYCLE_1) | instskip(NEXT) | instid1(SALU_CYCLE_1)
	s_lshl_b64 s[34:35], s[34:35], 2
	s_add_nc_u64 s[34:35], s[16:17], s[34:35]
	s_cbranch_vccnz .LBB27_9
; %bb.6:                                ;   in Loop: Header=BB27_4 Depth=1
	s_mov_b32 s6, 0
	s_mov_b32 s33, 0
                                        ; implicit-def: $vgpr7
	s_and_saveexec_b32 s36, s0
	s_cbranch_execz .LBB27_10
; %bb.7:                                ;   in Loop: Header=BB27_4 Depth=1
	s_cmp_eq_f32 s21, 0
	s_cbranch_scc1 .LBB27_11
; %bb.8:                                ;   in Loop: Header=BB27_4 Depth=1
	s_add_nc_u64 s[44:45], s[34:35], s[28:29]
	global_load_b32 v7, v11, s[44:45]
	s_wait_loadcnt 0x0
	v_mul_f32_e32 v7, s21, v7
	s_branch .LBB27_12
.LBB27_9:                               ;   in Loop: Header=BB27_4 Depth=1
	s_mov_b32 s33, 0
                                        ; implicit-def: $vgpr7
	s_cbranch_execnz .LBB27_13
	s_branch .LBB27_32
.LBB27_10:                              ;   in Loop: Header=BB27_4 Depth=1
	s_wait_alu 0xfffe
	s_or_b32 exec_lo, exec_lo, s36
	s_delay_alu instid0(SALU_CYCLE_1)
	s_and_b32 vcc_lo, exec_lo, s6
	s_wait_alu 0xfffe
	s_cbranch_vccnz .LBB27_13
	s_branch .LBB27_32
.LBB27_11:                              ;   in Loop: Header=BB27_4 Depth=1
	v_mov_b32_e32 v7, 0
.LBB27_12:                              ;   in Loop: Header=BB27_4 Depth=1
	s_mov_b32 s33, exec_lo
	s_wait_alu 0xfffe
	s_or_b32 exec_lo, exec_lo, s36
	s_delay_alu instid0(SALU_CYCLE_1)
	s_and_b32 vcc_lo, exec_lo, s6
	s_wait_alu 0xfffe
	s_cbranch_vccz .LBB27_32
.LBB27_13:                              ;   in Loop: Header=BB27_4 Depth=1
	v_mov_b32_e32 v19, 0
	s_and_saveexec_b32 s36, s1
	s_cbranch_execnz .LBB27_22
; %bb.14:                               ;   in Loop: Header=BB27_4 Depth=1
	s_wait_alu 0xfffe
	s_or_b32 exec_lo, exec_lo, s36
	s_and_saveexec_b32 s6, s2
	s_cbranch_execnz .LBB27_25
.LBB27_15:                              ;   in Loop: Header=BB27_4 Depth=1
	s_wait_alu 0xfffe
	s_or_b32 exec_lo, exec_lo, s6
	s_and_saveexec_b32 s6, s3
.LBB27_16:                              ;   in Loop: Header=BB27_4 Depth=1
	ds_store_b32 v14, v11
.LBB27_17:                              ;   in Loop: Header=BB27_4 Depth=1
	s_wait_alu 0xfffe
	s_or_b32 exec_lo, exec_lo, s6
	ds_bpermute_b32 v7, v17, v19
	v_cmp_gt_u32_e32 vcc_lo, 24, v16
	s_wait_dscnt 0x0
	s_barrier_signal -1
	s_barrier_wait -1
	global_inv scope:SCOPE_SE
	s_wait_alu 0xfffd
	v_cndmask_b32_e64 v8, 0, 8, vcc_lo
	v_cmp_gt_u32_e32 vcc_lo, 28, v16
	s_delay_alu instid0(VALU_DEP_2)
	v_add_lshl_u32 v8, v8, v16, 2
	v_add_f32_e32 v9, v19, v7
	s_wait_alu 0xfffd
	v_cndmask_b32_e64 v7, 0, 4, vcc_lo
	v_cmp_gt_u32_e32 vcc_lo, 30, v16
	ds_bpermute_b32 v8, v8, v9
	v_add_lshl_u32 v7, v7, v16, 2
	s_wait_dscnt 0x0
	v_add_f32_e32 v9, v9, v8
	s_wait_alu 0xfffd
	v_cndmask_b32_e64 v8, 0, 2, vcc_lo
	v_cmp_ne_u32_e32 vcc_lo, 31, v16
	ds_bpermute_b32 v10, v7, v9
	v_add_lshl_u32 v8, v8, v16, 2
	s_wait_alu 0xfffd
	v_add_co_ci_u32_e64 v19, null, 0, v16, vcc_lo
	s_wait_dscnt 0x0
	v_add_f32_e32 v9, v9, v10
	ds_bpermute_b32 v10, v8, v9
	s_wait_dscnt 0x0
	v_dual_add_f32 v10, v9, v10 :: v_dual_lshlrev_b32 v9, 2, v19
	ds_bpermute_b32 v19, v9, v10
	s_and_saveexec_b32 s6, s4
	s_cbranch_execz .LBB27_19
; %bb.18:                               ;   in Loop: Header=BB27_4 Depth=1
	s_wait_dscnt 0x0
	v_add_f32_e32 v10, v10, v19
	ds_store_b32 v15, v10
.LBB27_19:                              ;   in Loop: Header=BB27_4 Depth=1
	s_wait_alu 0xfffe
	s_or_b32 exec_lo, exec_lo, s6
	v_mov_b32_e32 v10, 0
	s_wait_loadcnt_dscnt 0x0
	s_barrier_signal -1
	s_barrier_wait -1
	global_inv scope:SCOPE_SE
	s_and_saveexec_b32 s6, s5
	s_cbranch_execnz .LBB27_26
; %bb.20:                               ;   in Loop: Header=BB27_4 Depth=1
	s_wait_alu 0xfffe
	s_or_b32 exec_lo, exec_lo, s6
	s_and_saveexec_b32 s6, s3
	s_cbranch_execnz .LBB27_27
.LBB27_21:                              ;   in Loop: Header=BB27_4 Depth=1
	s_wait_alu 0xfffe
	s_or_b32 exec_lo, exec_lo, s6
                                        ; implicit-def: $vgpr7
	s_and_saveexec_b32 s6, s0
	s_cbranch_execnz .LBB27_28
	s_branch .LBB27_31
.LBB27_22:                              ;   in Loop: Header=BB27_4 Depth=1
	v_mad_co_u64_u32 v[7:8], null, s12, s24, v[1:2]
	s_wait_dscnt 0x0
	v_mad_co_u64_u32 v[9:10], null, s22, s24, v[3:4]
	s_mov_b32 s37, 0
	v_mad_co_u64_u32 v[20:21], null, s13, s24, v[8:9]
	v_mad_co_u64_u32 v[21:22], null, s23, s24, v[10:11]
	s_delay_alu instid0(VALU_DEP_2) | instskip(SKIP_1) | instid1(VALU_DEP_3)
	v_dual_mov_b32 v19, 0 :: v_dual_mov_b32 v8, v20
	v_mov_b32_e32 v20, v0
	v_mov_b32_e32 v10, v21
.LBB27_23:                              ;   Parent Loop BB27_4 Depth=1
                                        ; =>  This Inner Loop Header: Depth=2
	global_load_b32 v21, v[7:8], off
	global_load_b32 v22, v[9:10], off
	v_add_nc_u32_e32 v20, 0x100, v20
	v_add_co_u32 v7, vcc_lo, 0x400, v7
	s_wait_alu 0xfffd
	v_add_co_ci_u32_e64 v8, null, 0, v8, vcc_lo
	v_add_co_u32 v9, vcc_lo, v9, s26
	s_wait_alu 0xfffd
	v_add_co_ci_u32_e64 v10, null, s27, v10, vcc_lo
	s_wait_loadcnt 0x0
	v_fmac_f32_e32 v19, v21, v22
	v_cmp_le_i32_e64 s6, s20, v20
	s_wait_alu 0xfffe
	s_or_b32 s37, s6, s37
	s_wait_alu 0xfffe
	s_and_not1_b32 exec_lo, exec_lo, s37
	s_cbranch_execnz .LBB27_23
; %bb.24:                               ;   in Loop: Header=BB27_4 Depth=1
	s_or_b32 exec_lo, exec_lo, s37
	s_delay_alu instid0(SALU_CYCLE_1)
	s_or_b32 exec_lo, exec_lo, s36
	s_and_saveexec_b32 s6, s2
	s_cbranch_execz .LBB27_15
.LBB27_25:                              ;   in Loop: Header=BB27_4 Depth=1
	s_mul_u64 s[36:37], s[18:19], s[24:25]
	s_mul_u64 s[44:45], s[38:39], s[24:25]
	s_wait_alu 0xfffe
	s_lshl_b64 s[36:37], s[36:37], 2
	s_lshl_b64 s[44:45], s[44:45], 2
	s_wait_alu 0xfffe
	v_add_co_u32 v7, vcc_lo, v12, s36
	s_wait_alu 0xfffd
	v_add_co_ci_u32_e64 v8, null, s37, v13, vcc_lo
	s_add_nc_u64 s[36:37], s[14:15], s[44:45]
	v_add_co_u32 v7, vcc_lo, v7, s30
	s_wait_alu 0xfffd
	v_add_co_ci_u32_e64 v8, null, s31, v8, vcc_lo
	s_wait_alu 0xfffe
	v_add_co_u32 v9, vcc_lo, s36, v5
	s_wait_dscnt 0x0
	s_wait_alu 0xfffd
	v_add_co_ci_u32_e64 v10, null, s37, v6, vcc_lo
	global_load_b32 v7, v[7:8], off
	global_load_b32 v8, v[9:10], off
	s_wait_loadcnt 0x0
	v_fmac_f32_e32 v19, v7, v8
	s_or_b32 exec_lo, exec_lo, s6
	s_and_saveexec_b32 s6, s3
	s_cbranch_execnz .LBB27_16
	s_branch .LBB27_17
.LBB27_26:                              ;   in Loop: Header=BB27_4 Depth=1
	ds_load_b32 v10, v14
	s_wait_alu 0xfffe
	s_or_b32 exec_lo, exec_lo, s6
	s_and_saveexec_b32 s6, s3
	s_cbranch_execz .LBB27_21
.LBB27_27:                              ;   in Loop: Header=BB27_4 Depth=1
	s_wait_dscnt 0x0
	ds_bpermute_b32 v7, v7, v10
	s_wait_dscnt 0x0
	v_add_f32_e32 v7, v10, v7
	ds_bpermute_b32 v8, v8, v7
	s_wait_dscnt 0x0
	v_add_f32_e32 v7, v7, v8
	;; [unrolled: 3-line block ×3, first 2 shown]
	s_wait_alu 0xfffe
	s_or_b32 exec_lo, exec_lo, s6
                                        ; implicit-def: $vgpr7
	s_and_saveexec_b32 s6, s0
	s_cbranch_execz .LBB27_31
.LBB27_28:                              ;   in Loop: Header=BB27_4 Depth=1
	s_wait_dscnt 0x0
	v_mul_f32_e32 v7, v18, v10
	s_cmp_eq_f32 s21, 0
	s_cbranch_scc1 .LBB27_30
; %bb.29:                               ;   in Loop: Header=BB27_4 Depth=1
	s_add_nc_u64 s[36:37], s[34:35], s[28:29]
	global_load_b32 v8, v11, s[36:37]
	s_wait_loadcnt 0x0
	v_fmac_f32_e32 v7, s21, v8
.LBB27_30:                              ;   in Loop: Header=BB27_4 Depth=1
	s_or_b32 s33, s33, exec_lo
.LBB27_31:                              ;   in Loop: Header=BB27_4 Depth=1
	s_wait_alu 0xfffe
	s_or_b32 exec_lo, exec_lo, s6
.LBB27_32:                              ;   in Loop: Header=BB27_4 Depth=1
	s_and_saveexec_b32 s6, s33
	s_cbranch_execz .LBB27_2
; %bb.33:                               ;   in Loop: Header=BB27_4 Depth=1
	s_add_nc_u64 s[34:35], s[34:35], s[28:29]
	global_store_b32 v11, v7, s[34:35]
	s_branch .LBB27_2
.LBB27_34:
	s_endpgm
	.section	.rodata,"a",@progbits
	.p2align	6, 0x0
	.amdhsa_kernel _ZL32rocblas_gemvt_warp_reduce_kernelILb0ELi256ElfPKffEviiT3_lPKT2_lT1_lS5_lS6_lS2_lPT4_lS6_li
		.amdhsa_group_segment_fixed_size 128
		.amdhsa_private_segment_fixed_size 0
		.amdhsa_kernarg_size 140
		.amdhsa_user_sgpr_count 2
		.amdhsa_user_sgpr_dispatch_ptr 0
		.amdhsa_user_sgpr_queue_ptr 0
		.amdhsa_user_sgpr_kernarg_segment_ptr 1
		.amdhsa_user_sgpr_dispatch_id 0
		.amdhsa_user_sgpr_private_segment_size 0
		.amdhsa_wavefront_size32 1
		.amdhsa_uses_dynamic_stack 0
		.amdhsa_enable_private_segment 0
		.amdhsa_system_sgpr_workgroup_id_x 1
		.amdhsa_system_sgpr_workgroup_id_y 0
		.amdhsa_system_sgpr_workgroup_id_z 1
		.amdhsa_system_sgpr_workgroup_info 0
		.amdhsa_system_vgpr_workitem_id 0
		.amdhsa_next_free_vgpr 23
		.amdhsa_next_free_sgpr 52
		.amdhsa_reserve_vcc 1
		.amdhsa_float_round_mode_32 0
		.amdhsa_float_round_mode_16_64 0
		.amdhsa_float_denorm_mode_32 3
		.amdhsa_float_denorm_mode_16_64 3
		.amdhsa_fp16_overflow 0
		.amdhsa_workgroup_processor_mode 1
		.amdhsa_memory_ordered 1
		.amdhsa_forward_progress 1
		.amdhsa_inst_pref_size 13
		.amdhsa_round_robin_scheduling 0
		.amdhsa_exception_fp_ieee_invalid_op 0
		.amdhsa_exception_fp_denorm_src 0
		.amdhsa_exception_fp_ieee_div_zero 0
		.amdhsa_exception_fp_ieee_overflow 0
		.amdhsa_exception_fp_ieee_underflow 0
		.amdhsa_exception_fp_ieee_inexact 0
		.amdhsa_exception_int_div_zero 0
	.end_amdhsa_kernel
	.section	.text._ZL32rocblas_gemvt_warp_reduce_kernelILb0ELi256ElfPKffEviiT3_lPKT2_lT1_lS5_lS6_lS2_lPT4_lS6_li,"axG",@progbits,_ZL32rocblas_gemvt_warp_reduce_kernelILb0ELi256ElfPKffEviiT3_lPKT2_lT1_lS5_lS6_lS2_lPT4_lS6_li,comdat
.Lfunc_end27:
	.size	_ZL32rocblas_gemvt_warp_reduce_kernelILb0ELi256ElfPKffEviiT3_lPKT2_lT1_lS5_lS6_lS2_lPT4_lS6_li, .Lfunc_end27-_ZL32rocblas_gemvt_warp_reduce_kernelILb0ELi256ElfPKffEviiT3_lPKT2_lT1_lS5_lS6_lS2_lPT4_lS6_li
                                        ; -- End function
	.set _ZL32rocblas_gemvt_warp_reduce_kernelILb0ELi256ElfPKffEviiT3_lPKT2_lT1_lS5_lS6_lS2_lPT4_lS6_li.num_vgpr, 23
	.set _ZL32rocblas_gemvt_warp_reduce_kernelILb0ELi256ElfPKffEviiT3_lPKT2_lT1_lS5_lS6_lS2_lPT4_lS6_li.num_agpr, 0
	.set _ZL32rocblas_gemvt_warp_reduce_kernelILb0ELi256ElfPKffEviiT3_lPKT2_lT1_lS5_lS6_lS2_lPT4_lS6_li.numbered_sgpr, 52
	.set _ZL32rocblas_gemvt_warp_reduce_kernelILb0ELi256ElfPKffEviiT3_lPKT2_lT1_lS5_lS6_lS2_lPT4_lS6_li.num_named_barrier, 0
	.set _ZL32rocblas_gemvt_warp_reduce_kernelILb0ELi256ElfPKffEviiT3_lPKT2_lT1_lS5_lS6_lS2_lPT4_lS6_li.private_seg_size, 0
	.set _ZL32rocblas_gemvt_warp_reduce_kernelILb0ELi256ElfPKffEviiT3_lPKT2_lT1_lS5_lS6_lS2_lPT4_lS6_li.uses_vcc, 1
	.set _ZL32rocblas_gemvt_warp_reduce_kernelILb0ELi256ElfPKffEviiT3_lPKT2_lT1_lS5_lS6_lS2_lPT4_lS6_li.uses_flat_scratch, 0
	.set _ZL32rocblas_gemvt_warp_reduce_kernelILb0ELi256ElfPKffEviiT3_lPKT2_lT1_lS5_lS6_lS2_lPT4_lS6_li.has_dyn_sized_stack, 0
	.set _ZL32rocblas_gemvt_warp_reduce_kernelILb0ELi256ElfPKffEviiT3_lPKT2_lT1_lS5_lS6_lS2_lPT4_lS6_li.has_recursion, 0
	.set _ZL32rocblas_gemvt_warp_reduce_kernelILb0ELi256ElfPKffEviiT3_lPKT2_lT1_lS5_lS6_lS2_lPT4_lS6_li.has_indirect_call, 0
	.section	.AMDGPU.csdata,"",@progbits
; Kernel info:
; codeLenInByte = 1540
; TotalNumSgprs: 54
; NumVgprs: 23
; ScratchSize: 0
; MemoryBound: 0
; FloatMode: 240
; IeeeMode: 1
; LDSByteSize: 128 bytes/workgroup (compile time only)
; SGPRBlocks: 0
; VGPRBlocks: 2
; NumSGPRsForWavesPerEU: 54
; NumVGPRsForWavesPerEU: 23
; Occupancy: 16
; WaveLimiterHint : 0
; COMPUTE_PGM_RSRC2:SCRATCH_EN: 0
; COMPUTE_PGM_RSRC2:USER_SGPR: 2
; COMPUTE_PGM_RSRC2:TRAP_HANDLER: 0
; COMPUTE_PGM_RSRC2:TGID_X_EN: 1
; COMPUTE_PGM_RSRC2:TGID_Y_EN: 0
; COMPUTE_PGM_RSRC2:TGID_Z_EN: 1
; COMPUTE_PGM_RSRC2:TIDIG_COMP_CNT: 0
	.section	.text._ZL32rocblas_gemvt_warp_reduce_kernelILb0ELi256EifffEviiT3_lPKT2_lT1_lS3_lS4_lS0_lPT4_lS4_li,"axG",@progbits,_ZL32rocblas_gemvt_warp_reduce_kernelILb0ELi256EifffEviiT3_lPKT2_lT1_lS3_lS4_lS0_lPT4_lS4_li,comdat
	.globl	_ZL32rocblas_gemvt_warp_reduce_kernelILb0ELi256EifffEviiT3_lPKT2_lT1_lS3_lS4_lS0_lPT4_lS4_li ; -- Begin function _ZL32rocblas_gemvt_warp_reduce_kernelILb0ELi256EifffEviiT3_lPKT2_lT1_lS3_lS4_lS0_lPT4_lS4_li
	.p2align	8
	.type	_ZL32rocblas_gemvt_warp_reduce_kernelILb0ELi256EifffEviiT3_lPKT2_lT1_lS3_lS4_lS0_lPT4_lS4_li,@function
_ZL32rocblas_gemvt_warp_reduce_kernelILb0ELi256EifffEviiT3_lPKT2_lT1_lS3_lS4_lS0_lPT4_lS4_li: ; @_ZL32rocblas_gemvt_warp_reduce_kernelILb0ELi256EifffEviiT3_lPKT2_lT1_lS3_lS4_lS0_lPT4_lS4_li
; %bb.0:
	s_load_b32 s19, s[0:1], 0x88
	s_lshr_b32 s24, ttmp7, 16
	s_wait_kmcnt 0x0
	s_cmp_ge_u32 s24, s19
	s_cbranch_scc1 .LBB28_34
; %bb.1:
	s_clause 0x9
	s_load_b96 s[20:22], s[0:1], 0x40
	s_load_b128 s[4:7], s[0:1], 0x68
	s_load_b128 s[12:15], s[0:1], 0x18
	s_load_b32 s33, s[0:1], 0x8
	s_load_b96 s[16:18], s[0:1], 0x50
	s_load_b128 s[8:11], s[0:1], 0x30
	s_load_b32 s23, s[0:1], 0x0
	s_load_b32 s35, s[0:1], 0x28
	;; [unrolled: 1-line block ×3, first 2 shown]
	s_load_b64 s[26:27], s[0:1], 0x80
	v_and_b32_e32 v1, 31, v0
	v_lshrrev_b32_e32 v2, 3, v0
	v_mov_b32_e32 v9, 0
	v_mbcnt_lo_u32_b32 v15, -1, 0
	v_cmp_eq_u32_e64 s0, 0, v0
	v_lshlrev_b32_e32 v10, 2, v1
	v_cmp_eq_u32_e64 s3, 0, v1
	v_and_b32_e32 v11, 28, v2
	v_cmp_gt_u32_e64 s1, 32, v0
	v_cmp_gt_u32_e64 s2, 8, v0
	s_wait_kmcnt 0x0
	s_lshl_b64 s[20:21], s[20:21], 2
	s_lshl_b64 s[28:29], s[6:7], 2
	;; [unrolled: 1-line block ×3, first 2 shown]
	s_cmp_eq_f32 s33, 0
	v_mul_lo_u32 v14, v0, s22
	s_add_nc_u64 s[10:11], s[10:11], s[20:21]
	v_cmp_gt_i32_e32 vcc_lo, s23, v0
	s_cselect_b32 s7, -1, 0
	s_cmp_neq_f32 s33, 0
	s_mul_i32 s38, s35, ttmp9
	s_mul_i32 s34, s34, ttmp9
	v_cndmask_b32_e32 v1, 0, v0, vcc_lo
	s_cselect_b32 s6, -1, 0
	s_cmp_neq_f32 s18, 1.0
	v_lshl_or_b32 v16, v15, 2, 64
	s_mov_b32 s25, 0
	v_lshlrev_b32_e32 v1, 2, v1
	s_cselect_b32 s14, -1, 0
	s_delay_alu instid0(SALU_CYCLE_1)
	s_or_b32 s36, s6, s14
	s_cmp_neq_f32 s18, 0
	s_add_nc_u64 s[14:15], s[4:5], s[28:29]
	s_cselect_b32 s37, -1, 0
	s_ashr_i32 s6, s23, 31
	s_ashr_i32 s39, s38, 31
	s_lshr_b32 s6, s6, 24
	s_ashr_i32 s35, s34, 31
	s_add_co_i32 s4, s23, s6
	s_delay_alu instid0(SALU_CYCLE_1)
	s_and_b32 s20, s4, 0xffffff00
	s_add_nc_u64 s[4:5], s[12:13], s[30:31]
	v_or_b32_e32 v2, s20, v0
	v_add_co_u32 v4, s4, s4, v1
	s_wait_alu 0xf1ff
	v_add_co_ci_u32_e64 v5, null, s5, 0, s4
	s_delay_alu instid0(VALU_DEP_3)
	v_mul_lo_u32 v3, s22, v2
	s_lshl_b64 s[4:5], s[38:39], 2
	s_ashr_i32 s21, s20, 31
	s_wait_alu 0xfffe
	v_add_co_u32 v12, vcc_lo, v4, s4
	s_add_nc_u64 s[28:29], s[30:31], s[4:5]
	s_wait_alu 0xfffd
	v_add_co_ci_u32_e64 v13, null, s5, v5, vcc_lo
	v_ashrrev_i32_e32 v4, 31, v3
	s_add_nc_u64 s[12:13], s[12:13], s[28:29]
	v_cmp_gt_i32_e64 s4, s20, v0
	v_add_co_u32 v1, s6, s12, v1
	s_delay_alu instid0(VALU_DEP_3)
	v_lshlrev_b64_e32 v[3:4], 2, v[3:4]
	v_cmp_gt_i32_e64 s5, s23, v2
	v_add_co_ci_u32_e64 v2, null, s13, 0, s6
	s_lshl_b64 s[12:13], s[8:9], 2
	s_lshl_b32 s38, s22, 8
	s_lshl_b64 s[22:23], s[34:35], 2
	s_lshl_b64 s[28:29], s[20:21], 2
	s_branch .LBB28_4
.LBB28_2:                               ;   in Loop: Header=BB28_4 Depth=1
	s_wait_alu 0xfffe
	s_or_b32 exec_lo, exec_lo, s6
.LBB28_3:                               ;   in Loop: Header=BB28_4 Depth=1
	s_add_co_i32 s24, s24, 0x10000
	s_wait_alu 0xfffe
	s_cmp_lt_u32 s24, s19
	s_cbranch_scc0 .LBB28_34
.LBB28_4:                               ; =>This Loop Header: Depth=1
                                        ;     Child Loop BB28_23 Depth 2
	s_and_not1_b32 vcc_lo, exec_lo, s36
	s_wait_alu 0xfffe
	s_cbranch_vccnz .LBB28_3
; %bb.5:                                ;   in Loop: Header=BB28_4 Depth=1
	s_mul_u64 s[30:31], s[26:27], s[24:25]
	s_and_not1_b32 vcc_lo, exec_lo, s7
	s_lshl_b64 s[30:31], s[30:31], 2
	s_delay_alu instid0(SALU_CYCLE_1)
	s_add_nc_u64 s[30:31], s[14:15], s[30:31]
	s_wait_alu 0xfffe
	s_cbranch_vccnz .LBB28_9
; %bb.6:                                ;   in Loop: Header=BB28_4 Depth=1
	s_mov_b32 s6, 0
	s_mov_b32 s21, 0
                                        ; implicit-def: $vgpr5
	s_and_saveexec_b32 s34, s0
	s_cbranch_execz .LBB28_10
; %bb.7:                                ;   in Loop: Header=BB28_4 Depth=1
	s_and_not1_b32 vcc_lo, exec_lo, s37
	s_wait_alu 0xfffe
	s_cbranch_vccnz .LBB28_11
; %bb.8:                                ;   in Loop: Header=BB28_4 Depth=1
	s_add_nc_u64 s[40:41], s[30:31], s[22:23]
	global_load_b32 v5, v9, s[40:41]
	s_wait_loadcnt 0x0
	v_mul_f32_e32 v5, s18, v5
	s_branch .LBB28_12
.LBB28_9:                               ;   in Loop: Header=BB28_4 Depth=1
	s_mov_b32 s21, 0
                                        ; implicit-def: $vgpr5
	s_cbranch_execnz .LBB28_13
	s_branch .LBB28_32
.LBB28_10:                              ;   in Loop: Header=BB28_4 Depth=1
	s_wait_alu 0xfffe
	s_or_b32 exec_lo, exec_lo, s34
	s_delay_alu instid0(SALU_CYCLE_1)
	s_and_b32 vcc_lo, exec_lo, s6
	s_wait_alu 0xfffe
	s_cbranch_vccnz .LBB28_13
	s_branch .LBB28_32
.LBB28_11:                              ;   in Loop: Header=BB28_4 Depth=1
	v_mov_b32_e32 v5, 0
.LBB28_12:                              ;   in Loop: Header=BB28_4 Depth=1
	s_mov_b32 s21, exec_lo
	s_or_b32 exec_lo, exec_lo, s34
	s_delay_alu instid0(SALU_CYCLE_1)
	s_and_b32 vcc_lo, exec_lo, s6
	s_wait_alu 0xfffe
	s_cbranch_vccz .LBB28_32
.LBB28_13:                              ;   in Loop: Header=BB28_4 Depth=1
	s_mul_u64 s[34:35], s[16:17], s[24:25]
	v_mov_b32_e32 v17, 0
	s_wait_alu 0xfffe
	s_lshl_b64 s[34:35], s[34:35], 2
	s_wait_alu 0xfffe
	s_add_nc_u64 s[34:35], s[10:11], s[34:35]
	s_and_saveexec_b32 s39, s4
	s_cbranch_execnz .LBB28_22
; %bb.14:                               ;   in Loop: Header=BB28_4 Depth=1
	s_wait_alu 0xfffe
	s_or_b32 exec_lo, exec_lo, s39
	s_and_saveexec_b32 s6, s5
	s_cbranch_execnz .LBB28_25
.LBB28_15:                              ;   in Loop: Header=BB28_4 Depth=1
	s_wait_alu 0xfffe
	s_or_b32 exec_lo, exec_lo, s6
	s_and_saveexec_b32 s6, s1
.LBB28_16:                              ;   in Loop: Header=BB28_4 Depth=1
	ds_store_b32 v10, v9
.LBB28_17:                              ;   in Loop: Header=BB28_4 Depth=1
	s_wait_alu 0xfffe
	s_or_b32 exec_lo, exec_lo, s6
	ds_bpermute_b32 v5, v16, v17
	v_cmp_gt_u32_e32 vcc_lo, 24, v15
	s_wait_dscnt 0x0
	s_barrier_signal -1
	s_barrier_wait -1
	global_inv scope:SCOPE_SE
	s_wait_alu 0xfffd
	v_cndmask_b32_e64 v6, 0, 8, vcc_lo
	v_cmp_gt_u32_e32 vcc_lo, 28, v15
	s_delay_alu instid0(VALU_DEP_2)
	v_add_lshl_u32 v6, v6, v15, 2
	v_add_f32_e32 v7, v17, v5
	s_wait_alu 0xfffd
	v_cndmask_b32_e64 v5, 0, 4, vcc_lo
	v_cmp_gt_u32_e32 vcc_lo, 30, v15
	ds_bpermute_b32 v6, v6, v7
	v_add_lshl_u32 v5, v5, v15, 2
	s_wait_dscnt 0x0
	v_add_f32_e32 v7, v7, v6
	s_wait_alu 0xfffd
	v_cndmask_b32_e64 v6, 0, 2, vcc_lo
	v_cmp_ne_u32_e32 vcc_lo, 31, v15
	ds_bpermute_b32 v8, v5, v7
	v_add_lshl_u32 v6, v6, v15, 2
	s_wait_alu 0xfffd
	v_add_co_ci_u32_e64 v17, null, 0, v15, vcc_lo
	s_wait_dscnt 0x0
	v_add_f32_e32 v7, v7, v8
	ds_bpermute_b32 v8, v6, v7
	s_wait_dscnt 0x0
	v_dual_add_f32 v8, v7, v8 :: v_dual_lshlrev_b32 v7, 2, v17
	ds_bpermute_b32 v17, v7, v8
	s_and_saveexec_b32 s6, s3
	s_cbranch_execz .LBB28_19
; %bb.18:                               ;   in Loop: Header=BB28_4 Depth=1
	s_wait_dscnt 0x0
	v_add_f32_e32 v8, v8, v17
	ds_store_b32 v11, v8
.LBB28_19:                              ;   in Loop: Header=BB28_4 Depth=1
	s_wait_alu 0xfffe
	s_or_b32 exec_lo, exec_lo, s6
	v_mov_b32_e32 v8, 0
	s_wait_loadcnt_dscnt 0x0
	s_barrier_signal -1
	s_barrier_wait -1
	global_inv scope:SCOPE_SE
	s_and_saveexec_b32 s6, s2
	s_cbranch_execnz .LBB28_26
; %bb.20:                               ;   in Loop: Header=BB28_4 Depth=1
	s_wait_alu 0xfffe
	s_or_b32 exec_lo, exec_lo, s6
	s_and_saveexec_b32 s6, s1
	s_cbranch_execnz .LBB28_27
.LBB28_21:                              ;   in Loop: Header=BB28_4 Depth=1
	s_wait_alu 0xfffe
	s_or_b32 exec_lo, exec_lo, s6
                                        ; implicit-def: $vgpr5
	s_and_saveexec_b32 s6, s0
	s_cbranch_execnz .LBB28_28
	s_branch .LBB28_31
.LBB28_22:                              ;   in Loop: Header=BB28_4 Depth=1
	v_mad_co_u64_u32 v[5:6], null, s12, s24, v[1:2]
	v_dual_mov_b32 v17, 0 :: v_dual_mov_b32 v18, v0
	s_mov_b32 s40, 0
	s_delay_alu instid0(VALU_DEP_2)
	v_mad_co_u64_u32 v[6:7], null, s13, s24, v[6:7]
	v_mov_b32_e32 v7, v14
.LBB28_23:                              ;   Parent Loop BB28_4 Depth=1
                                        ; =>  This Inner Loop Header: Depth=2
	s_wait_dscnt 0x0
	s_delay_alu instid0(VALU_DEP_1) | instskip(NEXT) | instid1(VALU_DEP_1)
	v_ashrrev_i32_e32 v8, 31, v7
	v_lshlrev_b64_e32 v[19:20], 2, v[7:8]
	v_add_nc_u32_e32 v7, s38, v7
	s_wait_alu 0xfffe
	s_delay_alu instid0(VALU_DEP_2) | instskip(SKIP_1) | instid1(VALU_DEP_3)
	v_add_co_u32 v19, vcc_lo, s34, v19
	s_wait_alu 0xfffd
	v_add_co_ci_u32_e64 v20, null, s35, v20, vcc_lo
	global_load_b32 v8, v[5:6], off
	global_load_b32 v19, v[19:20], off
	v_add_nc_u32_e32 v18, 0x100, v18
	v_add_co_u32 v5, vcc_lo, 0x400, v5
	s_wait_alu 0xfffd
	v_add_co_ci_u32_e64 v6, null, 0, v6, vcc_lo
	s_wait_loadcnt 0x0
	v_fmac_f32_e32 v17, v8, v19
	v_cmp_le_i32_e64 s6, s20, v18
	s_or_b32 s40, s6, s40
	s_wait_alu 0xfffe
	s_and_not1_b32 exec_lo, exec_lo, s40
	s_cbranch_execnz .LBB28_23
; %bb.24:                               ;   in Loop: Header=BB28_4 Depth=1
	s_or_b32 exec_lo, exec_lo, s40
	s_delay_alu instid0(SALU_CYCLE_1)
	s_or_b32 exec_lo, exec_lo, s39
	s_and_saveexec_b32 s6, s5
	s_cbranch_execz .LBB28_15
.LBB28_25:                              ;   in Loop: Header=BB28_4 Depth=1
	s_mul_u64 s[40:41], s[8:9], s[24:25]
	s_wait_alu 0xfffe
	s_lshl_b64 s[40:41], s[40:41], 2
	s_wait_alu 0xfffe
	v_add_co_u32 v5, vcc_lo, v12, s40
	s_wait_alu 0xfffd
	v_add_co_ci_u32_e64 v6, null, s41, v13, vcc_lo
	s_delay_alu instid0(VALU_DEP_2) | instskip(SKIP_1) | instid1(VALU_DEP_2)
	v_add_co_u32 v5, vcc_lo, v5, s28
	s_wait_alu 0xfffd
	v_add_co_ci_u32_e64 v6, null, s29, v6, vcc_lo
	v_add_co_u32 v7, vcc_lo, s34, v3
	s_wait_dscnt 0x0
	s_wait_alu 0xfffd
	v_add_co_ci_u32_e64 v8, null, s35, v4, vcc_lo
	global_load_b32 v5, v[5:6], off
	global_load_b32 v6, v[7:8], off
	s_wait_loadcnt 0x0
	v_fmac_f32_e32 v17, v5, v6
	s_or_b32 exec_lo, exec_lo, s6
	s_and_saveexec_b32 s6, s1
	s_cbranch_execnz .LBB28_16
	s_branch .LBB28_17
.LBB28_26:                              ;   in Loop: Header=BB28_4 Depth=1
	ds_load_b32 v8, v10
	s_wait_alu 0xfffe
	s_or_b32 exec_lo, exec_lo, s6
	s_and_saveexec_b32 s6, s1
	s_cbranch_execz .LBB28_21
.LBB28_27:                              ;   in Loop: Header=BB28_4 Depth=1
	s_wait_dscnt 0x0
	ds_bpermute_b32 v5, v5, v8
	s_wait_dscnt 0x0
	v_add_f32_e32 v5, v8, v5
	ds_bpermute_b32 v6, v6, v5
	s_wait_dscnt 0x0
	v_add_f32_e32 v5, v5, v6
	;; [unrolled: 3-line block ×3, first 2 shown]
	s_wait_alu 0xfffe
	s_or_b32 exec_lo, exec_lo, s6
                                        ; implicit-def: $vgpr5
	s_and_saveexec_b32 s6, s0
	s_cbranch_execz .LBB28_31
.LBB28_28:                              ;   in Loop: Header=BB28_4 Depth=1
	s_wait_dscnt 0x0
	v_mul_f32_e32 v5, s33, v8
	s_and_not1_b32 vcc_lo, exec_lo, s37
	s_wait_alu 0xfffe
	s_cbranch_vccnz .LBB28_30
; %bb.29:                               ;   in Loop: Header=BB28_4 Depth=1
	s_add_nc_u64 s[34:35], s[30:31], s[22:23]
	global_load_b32 v6, v9, s[34:35]
	s_wait_loadcnt 0x0
	v_fmac_f32_e32 v5, s18, v6
.LBB28_30:                              ;   in Loop: Header=BB28_4 Depth=1
	s_or_b32 s21, s21, exec_lo
.LBB28_31:                              ;   in Loop: Header=BB28_4 Depth=1
	s_wait_alu 0xfffe
	s_or_b32 exec_lo, exec_lo, s6
.LBB28_32:                              ;   in Loop: Header=BB28_4 Depth=1
	s_wait_alu 0xfffe
	s_and_saveexec_b32 s6, s21
	s_cbranch_execz .LBB28_2
; %bb.33:                               ;   in Loop: Header=BB28_4 Depth=1
	s_add_nc_u64 s[30:31], s[30:31], s[22:23]
	global_store_b32 v9, v5, s[30:31]
	s_branch .LBB28_2
.LBB28_34:
	s_endpgm
	.section	.rodata,"a",@progbits
	.p2align	6, 0x0
	.amdhsa_kernel _ZL32rocblas_gemvt_warp_reduce_kernelILb0ELi256EifffEviiT3_lPKT2_lT1_lS3_lS4_lS0_lPT4_lS4_li
		.amdhsa_group_segment_fixed_size 128
		.amdhsa_private_segment_fixed_size 0
		.amdhsa_kernarg_size 140
		.amdhsa_user_sgpr_count 2
		.amdhsa_user_sgpr_dispatch_ptr 0
		.amdhsa_user_sgpr_queue_ptr 0
		.amdhsa_user_sgpr_kernarg_segment_ptr 1
		.amdhsa_user_sgpr_dispatch_id 0
		.amdhsa_user_sgpr_private_segment_size 0
		.amdhsa_wavefront_size32 1
		.amdhsa_uses_dynamic_stack 0
		.amdhsa_enable_private_segment 0
		.amdhsa_system_sgpr_workgroup_id_x 1
		.amdhsa_system_sgpr_workgroup_id_y 0
		.amdhsa_system_sgpr_workgroup_id_z 1
		.amdhsa_system_sgpr_workgroup_info 0
		.amdhsa_system_vgpr_workitem_id 0
		.amdhsa_next_free_vgpr 21
		.amdhsa_next_free_sgpr 42
		.amdhsa_reserve_vcc 1
		.amdhsa_float_round_mode_32 0
		.amdhsa_float_round_mode_16_64 0
		.amdhsa_float_denorm_mode_32 3
		.amdhsa_float_denorm_mode_16_64 3
		.amdhsa_fp16_overflow 0
		.amdhsa_workgroup_processor_mode 1
		.amdhsa_memory_ordered 1
		.amdhsa_forward_progress 1
		.amdhsa_inst_pref_size 12
		.amdhsa_round_robin_scheduling 0
		.amdhsa_exception_fp_ieee_invalid_op 0
		.amdhsa_exception_fp_denorm_src 0
		.amdhsa_exception_fp_ieee_div_zero 0
		.amdhsa_exception_fp_ieee_overflow 0
		.amdhsa_exception_fp_ieee_underflow 0
		.amdhsa_exception_fp_ieee_inexact 0
		.amdhsa_exception_int_div_zero 0
	.end_amdhsa_kernel
	.section	.text._ZL32rocblas_gemvt_warp_reduce_kernelILb0ELi256EifffEviiT3_lPKT2_lT1_lS3_lS4_lS0_lPT4_lS4_li,"axG",@progbits,_ZL32rocblas_gemvt_warp_reduce_kernelILb0ELi256EifffEviiT3_lPKT2_lT1_lS3_lS4_lS0_lPT4_lS4_li,comdat
.Lfunc_end28:
	.size	_ZL32rocblas_gemvt_warp_reduce_kernelILb0ELi256EifffEviiT3_lPKT2_lT1_lS3_lS4_lS0_lPT4_lS4_li, .Lfunc_end28-_ZL32rocblas_gemvt_warp_reduce_kernelILb0ELi256EifffEviiT3_lPKT2_lT1_lS3_lS4_lS0_lPT4_lS4_li
                                        ; -- End function
	.set _ZL32rocblas_gemvt_warp_reduce_kernelILb0ELi256EifffEviiT3_lPKT2_lT1_lS3_lS4_lS0_lPT4_lS4_li.num_vgpr, 21
	.set _ZL32rocblas_gemvt_warp_reduce_kernelILb0ELi256EifffEviiT3_lPKT2_lT1_lS3_lS4_lS0_lPT4_lS4_li.num_agpr, 0
	.set _ZL32rocblas_gemvt_warp_reduce_kernelILb0ELi256EifffEviiT3_lPKT2_lT1_lS3_lS4_lS0_lPT4_lS4_li.numbered_sgpr, 42
	.set _ZL32rocblas_gemvt_warp_reduce_kernelILb0ELi256EifffEviiT3_lPKT2_lT1_lS3_lS4_lS0_lPT4_lS4_li.num_named_barrier, 0
	.set _ZL32rocblas_gemvt_warp_reduce_kernelILb0ELi256EifffEviiT3_lPKT2_lT1_lS3_lS4_lS0_lPT4_lS4_li.private_seg_size, 0
	.set _ZL32rocblas_gemvt_warp_reduce_kernelILb0ELi256EifffEviiT3_lPKT2_lT1_lS3_lS4_lS0_lPT4_lS4_li.uses_vcc, 1
	.set _ZL32rocblas_gemvt_warp_reduce_kernelILb0ELi256EifffEviiT3_lPKT2_lT1_lS3_lS4_lS0_lPT4_lS4_li.uses_flat_scratch, 0
	.set _ZL32rocblas_gemvt_warp_reduce_kernelILb0ELi256EifffEviiT3_lPKT2_lT1_lS3_lS4_lS0_lPT4_lS4_li.has_dyn_sized_stack, 0
	.set _ZL32rocblas_gemvt_warp_reduce_kernelILb0ELi256EifffEviiT3_lPKT2_lT1_lS3_lS4_lS0_lPT4_lS4_li.has_recursion, 0
	.set _ZL32rocblas_gemvt_warp_reduce_kernelILb0ELi256EifffEviiT3_lPKT2_lT1_lS3_lS4_lS0_lPT4_lS4_li.has_indirect_call, 0
	.section	.AMDGPU.csdata,"",@progbits
; Kernel info:
; codeLenInByte = 1516
; TotalNumSgprs: 44
; NumVgprs: 21
; ScratchSize: 0
; MemoryBound: 0
; FloatMode: 240
; IeeeMode: 1
; LDSByteSize: 128 bytes/workgroup (compile time only)
; SGPRBlocks: 0
; VGPRBlocks: 2
; NumSGPRsForWavesPerEU: 44
; NumVGPRsForWavesPerEU: 21
; Occupancy: 16
; WaveLimiterHint : 0
; COMPUTE_PGM_RSRC2:SCRATCH_EN: 0
; COMPUTE_PGM_RSRC2:USER_SGPR: 2
; COMPUTE_PGM_RSRC2:TRAP_HANDLER: 0
; COMPUTE_PGM_RSRC2:TGID_X_EN: 1
; COMPUTE_PGM_RSRC2:TGID_Y_EN: 0
; COMPUTE_PGM_RSRC2:TGID_Z_EN: 1
; COMPUTE_PGM_RSRC2:TIDIG_COMP_CNT: 0
	.section	.text._ZL32rocblas_gemvt_warp_reduce_kernelILb0ELi256ElfffEviiT3_lPKT2_lT1_lS3_lS4_lS0_lPT4_lS4_li,"axG",@progbits,_ZL32rocblas_gemvt_warp_reduce_kernelILb0ELi256ElfffEviiT3_lPKT2_lT1_lS3_lS4_lS0_lPT4_lS4_li,comdat
	.globl	_ZL32rocblas_gemvt_warp_reduce_kernelILb0ELi256ElfffEviiT3_lPKT2_lT1_lS3_lS4_lS0_lPT4_lS4_li ; -- Begin function _ZL32rocblas_gemvt_warp_reduce_kernelILb0ELi256ElfffEviiT3_lPKT2_lT1_lS3_lS4_lS0_lPT4_lS4_li
	.p2align	8
	.type	_ZL32rocblas_gemvt_warp_reduce_kernelILb0ELi256ElfffEviiT3_lPKT2_lT1_lS3_lS4_lS0_lPT4_lS4_li,@function
_ZL32rocblas_gemvt_warp_reduce_kernelILb0ELi256ElfffEviiT3_lPKT2_lT1_lS3_lS4_lS0_lPT4_lS4_li: ; @_ZL32rocblas_gemvt_warp_reduce_kernelILb0ELi256ElfffEviiT3_lPKT2_lT1_lS3_lS4_lS0_lPT4_lS4_li
; %bb.0:
	s_load_b32 s7, s[0:1], 0x88
	s_lshr_b32 s34, ttmp7, 16
	s_wait_kmcnt 0x0
	s_cmp_ge_u32 s34, s7
	s_cbranch_scc1 .LBB29_34
; %bb.1:
	s_clause 0x4
	s_load_b512 s[8:23], s[0:1], 0x18
	s_load_b256 s[24:31], s[0:1], 0x68
	s_load_b32 s33, s[0:1], 0x8
	s_load_b32 s36, s[0:1], 0x58
	;; [unrolled: 1-line block ×3, first 2 shown]
	v_and_b32_e32 v1, 31, v0
	v_mov_b32_e32 v11, 0
	s_mov_b32 s4, ttmp9
	v_lshrrev_b32_e32 v4, 3, v0
	v_mbcnt_lo_u32_b32 v16, -1, 0
	v_lshlrev_b32_e32 v12, 2, v1
	v_cmp_eq_u32_e64 s2, 0, v1
	v_cmp_eq_u32_e64 s0, 0, v0
	v_and_b32_e32 v15, 28, v4
	v_cmp_gt_u32_e64 s1, 32, v0
	v_lshl_or_b32 v17, v16, 2, 64
	s_mov_b32 s35, 0
	s_wait_kmcnt 0x0
	s_lshl_b64 s[18:19], s[18:19], 2
	s_lshl_b64 s[26:27], s[26:27], 2
	s_lshl_b64 s[40:41], s[10:11], 2
	s_cmp_eq_f32 s33, 0
	v_cmp_gt_i32_e32 vcc_lo, s6, v0
	v_mad_co_u64_u32 v[1:2], null, s20, v0, 0
	s_cselect_b32 s37, -1, 0
	s_cmp_neq_f32 s33, 0
	v_cndmask_b32_e32 v3, 0, v0, vcc_lo
	s_add_nc_u64 s[10:11], s[16:17], s[18:19]
	s_add_nc_u64 s[18:19], s[8:9], s[40:41]
	s_cselect_b32 s3, -1, 0
	s_cmp_neq_f32 s36, 1.0
	v_lshlrev_b32_e32 v7, 2, v3
	v_mad_co_u64_u32 v[2:3], null, s21, v0, v[2:3]
	s_cselect_b32 s5, -1, 0
	s_add_nc_u64 s[16:17], s[24:25], s[26:27]
	s_or_b32 s38, s3, s5
	s_cmp_neq_f32 s36, 0
	v_add_co_u32 v8, s5, s18, v7
	s_delay_alu instid0(VALU_DEP_1)
	v_add_co_ci_u32_e64 v9, null, s19, 0, s5
	s_cselect_b32 s39, -1, 0
	s_ashr_i32 s3, s6, 31
	s_ashr_i32 s5, ttmp9, 31
	s_lshr_b32 s3, s3, 24
	s_wait_alu 0xfffe
	s_mul_u64 s[12:13], s[12:13], s[4:5]
	s_add_co_i32 s3, s6, s3
	s_mul_u64 s[24:25], s[28:29], s[4:5]
	s_and_b32 s18, s3, 0xffffff00
	s_lshl_b64 s[12:13], s[12:13], 2
	s_wait_alu 0xfffe
	v_or_b32_e32 v10, s18, v0
	s_ashr_i32 s19, s18, 31
	v_add_co_u32 v13, vcc_lo, v8, s12
	s_wait_alu 0xfffe
	s_mul_i32 s5, s20, s19
	v_mul_lo_u32 v3, s21, v10
	v_mad_co_u64_u32 v[5:6], null, s20, v10, 0
	s_wait_alu 0xfffd
	v_add_co_ci_u32_e64 v14, null, s13, v9, vcc_lo
	s_add_nc_u64 s[12:13], s[12:13], s[40:41]
	v_cmp_gt_i32_e64 s4, s6, v10
	s_wait_alu 0xfffe
	s_add_nc_u64 s[8:9], s[8:9], s[12:13]
	v_cmp_gt_i32_e64 s3, s18, v0
	v_add3_u32 v6, v6, s5, v3
	v_lshlrev_b64_e32 v[3:4], 2, v[1:2]
	v_add_co_u32 v1, s6, s8, v7
	v_cmp_gt_u32_e64 s5, 8, v0
	s_delay_alu instid0(VALU_DEP_4)
	v_lshlrev_b64_e32 v[5:6], 2, v[5:6]
	s_wait_alu 0xf1ff
	v_add_co_ci_u32_e64 v2, null, s9, 0, s6
	v_add_co_u32 v3, vcc_lo, s10, v3
	s_wait_alu 0xfffd
	v_add_co_ci_u32_e64 v4, null, s11, v4, vcc_lo
	s_lshl_b64 s[8:9], s[14:15], 2
	s_lshl_b64 s[12:13], s[22:23], 2
	;; [unrolled: 1-line block ×5, first 2 shown]
	s_branch .LBB29_4
.LBB29_2:                               ;   in Loop: Header=BB29_4 Depth=1
	s_wait_alu 0xfffe
	s_or_b32 exec_lo, exec_lo, s6
.LBB29_3:                               ;   in Loop: Header=BB29_4 Depth=1
	s_add_co_i32 s34, s34, 0x10000
	s_wait_alu 0xfffe
	s_cmp_lt_u32 s34, s7
	s_cbranch_scc0 .LBB29_34
.LBB29_4:                               ; =>This Loop Header: Depth=1
                                        ;     Child Loop BB29_23 Depth 2
	s_and_not1_b32 vcc_lo, exec_lo, s38
	s_wait_alu 0xfffe
	s_cbranch_vccnz .LBB29_3
; %bb.5:                                ;   in Loop: Header=BB29_4 Depth=1
	s_mul_u64 s[28:29], s[30:31], s[34:35]
	s_and_not1_b32 vcc_lo, exec_lo, s37
	s_lshl_b64 s[28:29], s[28:29], 2
	s_delay_alu instid0(SALU_CYCLE_1)
	s_add_nc_u64 s[28:29], s[16:17], s[28:29]
	s_wait_alu 0xfffe
	s_cbranch_vccnz .LBB29_9
; %bb.6:                                ;   in Loop: Header=BB29_4 Depth=1
	s_mov_b32 s6, 0
	s_mov_b32 s19, 0
                                        ; implicit-def: $vgpr7
	s_and_saveexec_b32 s40, s0
	s_cbranch_execz .LBB29_10
; %bb.7:                                ;   in Loop: Header=BB29_4 Depth=1
	s_and_not1_b32 vcc_lo, exec_lo, s39
	s_wait_alu 0xfffe
	s_cbranch_vccnz .LBB29_11
; %bb.8:                                ;   in Loop: Header=BB29_4 Depth=1
	s_add_nc_u64 s[42:43], s[28:29], s[24:25]
	global_load_b32 v7, v11, s[42:43]
	s_wait_loadcnt 0x0
	v_mul_f32_e32 v7, s36, v7
	s_branch .LBB29_12
.LBB29_9:                               ;   in Loop: Header=BB29_4 Depth=1
	s_mov_b32 s19, 0
                                        ; implicit-def: $vgpr7
	s_cbranch_execnz .LBB29_13
	s_branch .LBB29_32
.LBB29_10:                              ;   in Loop: Header=BB29_4 Depth=1
	s_wait_alu 0xfffe
	s_or_b32 exec_lo, exec_lo, s40
	s_delay_alu instid0(SALU_CYCLE_1)
	s_and_b32 vcc_lo, exec_lo, s6
	s_wait_alu 0xfffe
	s_cbranch_vccnz .LBB29_13
	s_branch .LBB29_32
.LBB29_11:                              ;   in Loop: Header=BB29_4 Depth=1
	v_mov_b32_e32 v7, 0
.LBB29_12:                              ;   in Loop: Header=BB29_4 Depth=1
	s_mov_b32 s19, exec_lo
	s_or_b32 exec_lo, exec_lo, s40
	s_delay_alu instid0(SALU_CYCLE_1)
	s_and_b32 vcc_lo, exec_lo, s6
	s_wait_alu 0xfffe
	s_cbranch_vccz .LBB29_32
.LBB29_13:                              ;   in Loop: Header=BB29_4 Depth=1
	v_mov_b32_e32 v18, 0
	s_and_saveexec_b32 s40, s3
	s_cbranch_execnz .LBB29_22
; %bb.14:                               ;   in Loop: Header=BB29_4 Depth=1
	s_wait_alu 0xfffe
	s_or_b32 exec_lo, exec_lo, s40
	s_and_saveexec_b32 s6, s4
	s_cbranch_execnz .LBB29_25
.LBB29_15:                              ;   in Loop: Header=BB29_4 Depth=1
	s_wait_alu 0xfffe
	s_or_b32 exec_lo, exec_lo, s6
	s_and_saveexec_b32 s6, s1
.LBB29_16:                              ;   in Loop: Header=BB29_4 Depth=1
	ds_store_b32 v12, v11
.LBB29_17:                              ;   in Loop: Header=BB29_4 Depth=1
	s_wait_alu 0xfffe
	s_or_b32 exec_lo, exec_lo, s6
	ds_bpermute_b32 v7, v17, v18
	v_cmp_gt_u32_e32 vcc_lo, 24, v16
	s_wait_dscnt 0x0
	s_barrier_signal -1
	s_barrier_wait -1
	global_inv scope:SCOPE_SE
	s_wait_alu 0xfffd
	v_cndmask_b32_e64 v8, 0, 8, vcc_lo
	v_cmp_gt_u32_e32 vcc_lo, 28, v16
	s_delay_alu instid0(VALU_DEP_2)
	v_add_lshl_u32 v8, v8, v16, 2
	v_add_f32_e32 v9, v18, v7
	s_wait_alu 0xfffd
	v_cndmask_b32_e64 v7, 0, 4, vcc_lo
	v_cmp_gt_u32_e32 vcc_lo, 30, v16
	ds_bpermute_b32 v8, v8, v9
	v_add_lshl_u32 v7, v7, v16, 2
	s_wait_dscnt 0x0
	v_add_f32_e32 v9, v9, v8
	s_wait_alu 0xfffd
	v_cndmask_b32_e64 v8, 0, 2, vcc_lo
	v_cmp_ne_u32_e32 vcc_lo, 31, v16
	ds_bpermute_b32 v10, v7, v9
	v_add_lshl_u32 v8, v8, v16, 2
	s_wait_alu 0xfffd
	v_add_co_ci_u32_e64 v18, null, 0, v16, vcc_lo
	s_wait_dscnt 0x0
	v_add_f32_e32 v9, v9, v10
	ds_bpermute_b32 v10, v8, v9
	s_wait_dscnt 0x0
	v_add_f32_e32 v10, v9, v10
	v_lshlrev_b32_e32 v9, 2, v18
	ds_bpermute_b32 v18, v9, v10
	s_and_saveexec_b32 s6, s2
	s_cbranch_execz .LBB29_19
; %bb.18:                               ;   in Loop: Header=BB29_4 Depth=1
	s_wait_dscnt 0x0
	v_add_f32_e32 v10, v10, v18
	ds_store_b32 v15, v10
.LBB29_19:                              ;   in Loop: Header=BB29_4 Depth=1
	s_wait_alu 0xfffe
	s_or_b32 exec_lo, exec_lo, s6
	v_mov_b32_e32 v10, 0
	s_wait_loadcnt_dscnt 0x0
	s_barrier_signal -1
	s_barrier_wait -1
	global_inv scope:SCOPE_SE
	s_and_saveexec_b32 s6, s5
	s_cbranch_execnz .LBB29_26
; %bb.20:                               ;   in Loop: Header=BB29_4 Depth=1
	s_wait_alu 0xfffe
	s_or_b32 exec_lo, exec_lo, s6
	s_and_saveexec_b32 s6, s1
	s_cbranch_execnz .LBB29_27
.LBB29_21:                              ;   in Loop: Header=BB29_4 Depth=1
	s_wait_alu 0xfffe
	s_or_b32 exec_lo, exec_lo, s6
                                        ; implicit-def: $vgpr7
	s_and_saveexec_b32 s6, s0
	s_cbranch_execnz .LBB29_28
	s_branch .LBB29_31
.LBB29_22:                              ;   in Loop: Header=BB29_4 Depth=1
	v_mad_co_u64_u32 v[7:8], null, s8, s34, v[1:2]
	s_wait_dscnt 0x0
	v_mad_co_u64_u32 v[9:10], null, s12, s34, v[3:4]
	v_mov_b32_e32 v18, 0
	s_mov_b32 s41, 0
	s_delay_alu instid0(VALU_DEP_2) | instskip(NEXT) | instid1(VALU_DEP_3)
	v_mad_co_u64_u32 v[19:20], null, s9, s34, v[8:9]
	v_mad_co_u64_u32 v[20:21], null, s13, s34, v[10:11]
	s_delay_alu instid0(VALU_DEP_2) | instskip(NEXT) | instid1(VALU_DEP_2)
	v_dual_mov_b32 v8, v19 :: v_dual_mov_b32 v19, v0
	v_mov_b32_e32 v10, v20
.LBB29_23:                              ;   Parent Loop BB29_4 Depth=1
                                        ; =>  This Inner Loop Header: Depth=2
	global_load_b32 v20, v[7:8], off
	global_load_b32 v21, v[9:10], off
	v_add_nc_u32_e32 v19, 0x100, v19
	v_add_co_u32 v7, vcc_lo, 0x400, v7
	s_wait_alu 0xfffd
	v_add_co_ci_u32_e64 v8, null, 0, v8, vcc_lo
	v_add_co_u32 v9, vcc_lo, v9, s20
	s_wait_alu 0xfffd
	v_add_co_ci_u32_e64 v10, null, s21, v10, vcc_lo
	s_wait_loadcnt 0x0
	v_fmac_f32_e32 v18, v20, v21
	v_cmp_le_i32_e64 s6, s18, v19
	s_wait_alu 0xfffe
	s_or_b32 s41, s6, s41
	s_wait_alu 0xfffe
	s_and_not1_b32 exec_lo, exec_lo, s41
	s_cbranch_execnz .LBB29_23
; %bb.24:                               ;   in Loop: Header=BB29_4 Depth=1
	s_or_b32 exec_lo, exec_lo, s41
	s_delay_alu instid0(SALU_CYCLE_1)
	s_or_b32 exec_lo, exec_lo, s40
	s_and_saveexec_b32 s6, s4
	s_cbranch_execz .LBB29_15
.LBB29_25:                              ;   in Loop: Header=BB29_4 Depth=1
	s_mul_u64 s[40:41], s[14:15], s[34:35]
	s_mul_u64 s[42:43], s[22:23], s[34:35]
	s_wait_alu 0xfffe
	s_lshl_b64 s[40:41], s[40:41], 2
	s_lshl_b64 s[42:43], s[42:43], 2
	s_wait_alu 0xfffe
	v_add_co_u32 v7, vcc_lo, v13, s40
	s_wait_alu 0xfffd
	v_add_co_ci_u32_e64 v8, null, s41, v14, vcc_lo
	s_add_nc_u64 s[40:41], s[10:11], s[42:43]
	v_add_co_u32 v7, vcc_lo, v7, s26
	s_wait_alu 0xfffd
	v_add_co_ci_u32_e64 v8, null, s27, v8, vcc_lo
	s_wait_alu 0xfffe
	v_add_co_u32 v9, vcc_lo, s40, v5
	s_wait_dscnt 0x0
	s_wait_alu 0xfffd
	v_add_co_ci_u32_e64 v10, null, s41, v6, vcc_lo
	global_load_b32 v7, v[7:8], off
	global_load_b32 v8, v[9:10], off
	s_wait_loadcnt 0x0
	v_fmac_f32_e32 v18, v7, v8
	s_or_b32 exec_lo, exec_lo, s6
	s_and_saveexec_b32 s6, s1
	s_cbranch_execnz .LBB29_16
	s_branch .LBB29_17
.LBB29_26:                              ;   in Loop: Header=BB29_4 Depth=1
	ds_load_b32 v10, v12
	s_wait_alu 0xfffe
	s_or_b32 exec_lo, exec_lo, s6
	s_and_saveexec_b32 s6, s1
	s_cbranch_execz .LBB29_21
.LBB29_27:                              ;   in Loop: Header=BB29_4 Depth=1
	s_wait_dscnt 0x0
	ds_bpermute_b32 v7, v7, v10
	s_wait_dscnt 0x0
	v_add_f32_e32 v7, v10, v7
	ds_bpermute_b32 v8, v8, v7
	s_wait_dscnt 0x0
	v_add_f32_e32 v7, v7, v8
	;; [unrolled: 3-line block ×3, first 2 shown]
	s_wait_alu 0xfffe
	s_or_b32 exec_lo, exec_lo, s6
                                        ; implicit-def: $vgpr7
	s_and_saveexec_b32 s6, s0
	s_cbranch_execz .LBB29_31
.LBB29_28:                              ;   in Loop: Header=BB29_4 Depth=1
	s_wait_dscnt 0x0
	v_mul_f32_e32 v7, s33, v10
	s_and_not1_b32 vcc_lo, exec_lo, s39
	s_wait_alu 0xfffe
	s_cbranch_vccnz .LBB29_30
; %bb.29:                               ;   in Loop: Header=BB29_4 Depth=1
	s_add_nc_u64 s[40:41], s[28:29], s[24:25]
	global_load_b32 v8, v11, s[40:41]
	s_wait_loadcnt 0x0
	v_fmac_f32_e32 v7, s36, v8
.LBB29_30:                              ;   in Loop: Header=BB29_4 Depth=1
	s_or_b32 s19, s19, exec_lo
.LBB29_31:                              ;   in Loop: Header=BB29_4 Depth=1
	s_wait_alu 0xfffe
	s_or_b32 exec_lo, exec_lo, s6
.LBB29_32:                              ;   in Loop: Header=BB29_4 Depth=1
	s_wait_alu 0xfffe
	s_and_saveexec_b32 s6, s19
	s_cbranch_execz .LBB29_2
; %bb.33:                               ;   in Loop: Header=BB29_4 Depth=1
	s_add_nc_u64 s[28:29], s[28:29], s[24:25]
	global_store_b32 v11, v7, s[28:29]
	s_branch .LBB29_2
.LBB29_34:
	s_endpgm
	.section	.rodata,"a",@progbits
	.p2align	6, 0x0
	.amdhsa_kernel _ZL32rocblas_gemvt_warp_reduce_kernelILb0ELi256ElfffEviiT3_lPKT2_lT1_lS3_lS4_lS0_lPT4_lS4_li
		.amdhsa_group_segment_fixed_size 128
		.amdhsa_private_segment_fixed_size 0
		.amdhsa_kernarg_size 140
		.amdhsa_user_sgpr_count 2
		.amdhsa_user_sgpr_dispatch_ptr 0
		.amdhsa_user_sgpr_queue_ptr 0
		.amdhsa_user_sgpr_kernarg_segment_ptr 1
		.amdhsa_user_sgpr_dispatch_id 0
		.amdhsa_user_sgpr_private_segment_size 0
		.amdhsa_wavefront_size32 1
		.amdhsa_uses_dynamic_stack 0
		.amdhsa_enable_private_segment 0
		.amdhsa_system_sgpr_workgroup_id_x 1
		.amdhsa_system_sgpr_workgroup_id_y 0
		.amdhsa_system_sgpr_workgroup_id_z 1
		.amdhsa_system_sgpr_workgroup_info 0
		.amdhsa_system_vgpr_workitem_id 0
		.amdhsa_next_free_vgpr 22
		.amdhsa_next_free_sgpr 44
		.amdhsa_reserve_vcc 1
		.amdhsa_float_round_mode_32 0
		.amdhsa_float_round_mode_16_64 0
		.amdhsa_float_denorm_mode_32 3
		.amdhsa_float_denorm_mode_16_64 3
		.amdhsa_fp16_overflow 0
		.amdhsa_workgroup_processor_mode 1
		.amdhsa_memory_ordered 1
		.amdhsa_forward_progress 1
		.amdhsa_inst_pref_size 12
		.amdhsa_round_robin_scheduling 0
		.amdhsa_exception_fp_ieee_invalid_op 0
		.amdhsa_exception_fp_denorm_src 0
		.amdhsa_exception_fp_ieee_div_zero 0
		.amdhsa_exception_fp_ieee_overflow 0
		.amdhsa_exception_fp_ieee_underflow 0
		.amdhsa_exception_fp_ieee_inexact 0
		.amdhsa_exception_int_div_zero 0
	.end_amdhsa_kernel
	.section	.text._ZL32rocblas_gemvt_warp_reduce_kernelILb0ELi256ElfffEviiT3_lPKT2_lT1_lS3_lS4_lS0_lPT4_lS4_li,"axG",@progbits,_ZL32rocblas_gemvt_warp_reduce_kernelILb0ELi256ElfffEviiT3_lPKT2_lT1_lS3_lS4_lS0_lPT4_lS4_li,comdat
.Lfunc_end29:
	.size	_ZL32rocblas_gemvt_warp_reduce_kernelILb0ELi256ElfffEviiT3_lPKT2_lT1_lS3_lS4_lS0_lPT4_lS4_li, .Lfunc_end29-_ZL32rocblas_gemvt_warp_reduce_kernelILb0ELi256ElfffEviiT3_lPKT2_lT1_lS3_lS4_lS0_lPT4_lS4_li
                                        ; -- End function
	.set _ZL32rocblas_gemvt_warp_reduce_kernelILb0ELi256ElfffEviiT3_lPKT2_lT1_lS3_lS4_lS0_lPT4_lS4_li.num_vgpr, 22
	.set _ZL32rocblas_gemvt_warp_reduce_kernelILb0ELi256ElfffEviiT3_lPKT2_lT1_lS3_lS4_lS0_lPT4_lS4_li.num_agpr, 0
	.set _ZL32rocblas_gemvt_warp_reduce_kernelILb0ELi256ElfffEviiT3_lPKT2_lT1_lS3_lS4_lS0_lPT4_lS4_li.numbered_sgpr, 44
	.set _ZL32rocblas_gemvt_warp_reduce_kernelILb0ELi256ElfffEviiT3_lPKT2_lT1_lS3_lS4_lS0_lPT4_lS4_li.num_named_barrier, 0
	.set _ZL32rocblas_gemvt_warp_reduce_kernelILb0ELi256ElfffEviiT3_lPKT2_lT1_lS3_lS4_lS0_lPT4_lS4_li.private_seg_size, 0
	.set _ZL32rocblas_gemvt_warp_reduce_kernelILb0ELi256ElfffEviiT3_lPKT2_lT1_lS3_lS4_lS0_lPT4_lS4_li.uses_vcc, 1
	.set _ZL32rocblas_gemvt_warp_reduce_kernelILb0ELi256ElfffEviiT3_lPKT2_lT1_lS3_lS4_lS0_lPT4_lS4_li.uses_flat_scratch, 0
	.set _ZL32rocblas_gemvt_warp_reduce_kernelILb0ELi256ElfffEviiT3_lPKT2_lT1_lS3_lS4_lS0_lPT4_lS4_li.has_dyn_sized_stack, 0
	.set _ZL32rocblas_gemvt_warp_reduce_kernelILb0ELi256ElfffEviiT3_lPKT2_lT1_lS3_lS4_lS0_lPT4_lS4_li.has_recursion, 0
	.set _ZL32rocblas_gemvt_warp_reduce_kernelILb0ELi256ElfffEviiT3_lPKT2_lT1_lS3_lS4_lS0_lPT4_lS4_li.has_indirect_call, 0
	.section	.AMDGPU.csdata,"",@progbits
; Kernel info:
; codeLenInByte = 1528
; TotalNumSgprs: 46
; NumVgprs: 22
; ScratchSize: 0
; MemoryBound: 0
; FloatMode: 240
; IeeeMode: 1
; LDSByteSize: 128 bytes/workgroup (compile time only)
; SGPRBlocks: 0
; VGPRBlocks: 2
; NumSGPRsForWavesPerEU: 46
; NumVGPRsForWavesPerEU: 22
; Occupancy: 16
; WaveLimiterHint : 0
; COMPUTE_PGM_RSRC2:SCRATCH_EN: 0
; COMPUTE_PGM_RSRC2:USER_SGPR: 2
; COMPUTE_PGM_RSRC2:TRAP_HANDLER: 0
; COMPUTE_PGM_RSRC2:TGID_X_EN: 1
; COMPUTE_PGM_RSRC2:TGID_Y_EN: 0
; COMPUTE_PGM_RSRC2:TGID_Z_EN: 1
; COMPUTE_PGM_RSRC2:TIDIG_COMP_CNT: 0
	.section	.text._ZL20rocblas_gemvt_kernelILb0ELi256EfPKffEviiT2_lPKT1_lilS5_lilS2_lPT3_lili,"axG",@progbits,_ZL20rocblas_gemvt_kernelILb0ELi256EfPKffEviiT2_lPKT1_lilS5_lilS2_lPT3_lili,comdat
	.globl	_ZL20rocblas_gemvt_kernelILb0ELi256EfPKffEviiT2_lPKT1_lilS5_lilS2_lPT3_lili ; -- Begin function _ZL20rocblas_gemvt_kernelILb0ELi256EfPKffEviiT2_lPKT1_lilS5_lilS2_lPT3_lili
	.p2align	8
	.type	_ZL20rocblas_gemvt_kernelILb0ELi256EfPKffEviiT2_lPKT1_lilS5_lilS2_lPT3_lili,@function
_ZL20rocblas_gemvt_kernelILb0ELi256EfPKffEviiT2_lPKT1_lilS5_lilS2_lPT3_lili: ; @_ZL20rocblas_gemvt_kernelILb0ELi256EfPKffEviiT2_lPKT1_lilS5_lilS2_lPT3_lili
; %bb.0:
	s_load_b32 s33, s[0:1], 0x88
	s_lshr_b32 s10, ttmp7, 16
	s_wait_kmcnt 0x0
	s_cmp_ge_u32 s10, s33
	s_cbranch_scc1 .LBB30_41
; %bb.1:
	s_clause 0x7
	s_load_b32 s8, s[0:1], 0x28
	s_load_b96 s[4:6], s[0:1], 0x40
	s_load_b96 s[36:38], s[0:1], 0x70
	s_load_b256 s[12:19], s[0:1], 0x8
	s_load_b32 s7, s[0:1], 0x0
	s_load_b128 s[28:31], s[0:1], 0x30
	s_load_b256 s[20:27], s[0:1], 0x50
	s_load_b64 s[34:35], s[0:1], 0x80
	s_mov_b32 s2, ttmp9
	s_ashr_i32 s3, ttmp9, 31
	v_lshlrev_b32_e32 v13, 2, v0
	s_mov_b32 s11, 0
	v_mov_b32_e32 v10, 0
	s_wait_kmcnt 0x0
	s_ashr_i32 s9, s8, 31
	s_lshl_b64 s[0:1], s[4:5], 2
	s_lshl_b64 s[4:5], s[36:37], 2
	;; [unrolled: 1-line block ×3, first 2 shown]
	v_cmp_gt_i32_e32 vcc_lo, s7, v0
	s_ashr_i32 s39, s38, 31
	s_add_nc_u64 s[26:27], s[26:27], s[4:5]
	s_add_nc_u64 s[4:5], s[16:17], s[42:43]
	s_mul_u64 s[44:45], s[38:39], s[2:3]
	v_cndmask_b32_e32 v1, 0, v0, vcc_lo
	s_mul_u64 s[2:3], s[8:9], s[2:3]
	s_add_nc_u64 s[18:19], s[30:31], s[0:1]
	s_ashr_i32 s1, s7, 31
	s_lshl_b64 s[38:39], s[2:3], 2
	v_lshlrev_b32_e32 v3, 2, v1
	s_lshr_b32 s1, s1, 24
	s_add_nc_u64 s[42:43], s[38:39], s[42:43]
	s_add_co_i32 s1, s7, s1
	s_ashr_i32 s41, s6, 31
	v_add_co_u32 v1, s4, s4, v3
	s_wait_alu 0xf1ff
	v_add_co_ci_u32_e64 v2, null, s5, 0, s4
	s_and_b32 s30, s1, 0xffffff00
	v_add_co_u32 v11, vcc_lo, v1, s38
	s_wait_alu 0xfffd
	v_add_co_ci_u32_e64 v12, null, s39, v2, vcc_lo
	v_mad_co_i64_i32 v[1:2], null, s6, v0, 0
	v_or_b32_e32 v4, s30, v0
	s_mov_b32 s40, s6
	v_cmp_eq_u32_e64 s0, 0, v0
	s_cmp_gt_i32 s7, 0xff
	v_cmp_gt_u32_e64 s2, 0x80, v0
	v_cmp_gt_i32_e64 s1, s7, v4
	v_lshlrev_b64_e32 v[1:2], 2, v[1:2]
	v_mad_co_i64_i32 v[4:5], null, s6, v4, 0
	v_cmp_gt_u32_e64 s3, 64, v0
	v_cmp_gt_u32_e64 s4, 32, v0
	;; [unrolled: 1-line block ×6, first 2 shown]
	v_add_co_u32 v0, vcc_lo, s18, v1
	s_add_nc_u64 s[16:17], s[16:17], s[42:43]
	s_wait_alu 0xfffd
	v_add_co_ci_u32_e64 v1, null, s19, v2, vcc_lo
	v_add_co_u32 v2, s9, s16, v3
	v_lshlrev_b64_e32 v[4:5], 2, v[4:5]
	v_add_co_ci_u32_e64 v3, null, s17, 0, s9
	s_cselect_b32 s46, -1, 0
	s_ashr_i32 s31, s30, 31
	s_lshl_b64 s[36:37], s[20:21], 2
	s_lshl_b64 s[38:39], s[40:41], 10
	;; [unrolled: 1-line block ×4, first 2 shown]
	s_wait_alu 0xfffe
	s_lshl_b64 s[42:43], s[30:31], 2
	s_branch .LBB30_4
.LBB30_2:                               ;   in Loop: Header=BB30_4 Depth=1
	s_wait_alu 0xfffe
	s_or_b32 exec_lo, exec_lo, s31
.LBB30_3:                               ;   in Loop: Header=BB30_4 Depth=1
	s_add_co_i32 s10, s10, 0x10000
	s_wait_alu 0xfffe
	s_cmp_lt_u32 s10, s33
	s_cbranch_scc0 .LBB30_41
.LBB30_4:                               ; =>This Loop Header: Depth=1
                                        ;     Child Loop BB30_15 Depth 2
	s_mul_u64 s[44:45], s[14:15], s[10:11]
	s_mul_u64 s[48:49], s[24:25], s[10:11]
	s_lshl_b64 s[44:45], s[44:45], 2
	s_wait_alu 0xfffe
	s_lshl_b64 s[48:49], s[48:49], 2
	s_add_nc_u64 s[44:45], s[12:13], s[44:45]
	s_wait_alu 0xfffe
	s_add_nc_u64 s[48:49], s[22:23], s[48:49]
	s_clause 0x1
	global_load_b32 v15, v10, s[44:45]
	global_load_b32 v14, v10, s[48:49]
	s_wait_loadcnt 0x1
	v_cmp_eq_f32_e32 vcc_lo, 0, v15
	s_wait_loadcnt 0x0
	v_cmp_eq_f32_e64 s9, 1.0, v14
	s_and_b32 s9, vcc_lo, s9
	s_wait_alu 0xfffe
	s_and_b32 vcc_lo, exec_lo, s9
	s_wait_alu 0xfffe
	s_cbranch_vccnz .LBB30_3
; %bb.5:                                ;   in Loop: Header=BB30_4 Depth=1
	v_cmp_neq_f32_e32 vcc_lo, 0, v15
	s_mul_u64 s[44:45], s[34:35], s[10:11]
	s_delay_alu instid0(SALU_CYCLE_1) | instskip(NEXT) | instid1(SALU_CYCLE_1)
	s_lshl_b64 s[44:45], s[44:45], 2
	s_add_nc_u64 s[44:45], s[26:27], s[44:45]
	s_cbranch_vccnz .LBB30_9
; %bb.6:                                ;   in Loop: Header=BB30_4 Depth=1
	s_mov_b32 s31, 0
	s_mov_b32 s9, 0
                                        ; implicit-def: $vgpr6
	s_and_saveexec_b32 s47, s0
	s_cbranch_execz .LBB30_10
; %bb.7:                                ;   in Loop: Header=BB30_4 Depth=1
	v_cmp_eq_f32_e32 vcc_lo, 0, v14
	s_cbranch_vccnz .LBB30_11
; %bb.8:                                ;   in Loop: Header=BB30_4 Depth=1
	s_add_nc_u64 s[48:49], s[44:45], s[40:41]
	global_load_b32 v6, v10, s[48:49]
	s_wait_loadcnt 0x0
	v_mul_f32_e32 v6, v14, v6
	s_branch .LBB30_12
.LBB30_9:                               ;   in Loop: Header=BB30_4 Depth=1
	s_mov_b32 s9, 0
                                        ; implicit-def: $vgpr6
	s_cbranch_execnz .LBB30_13
	s_branch .LBB30_39
.LBB30_10:                              ;   in Loop: Header=BB30_4 Depth=1
	s_or_b32 exec_lo, exec_lo, s47
	s_wait_alu 0xfffe
	s_and_b32 vcc_lo, exec_lo, s31
	s_wait_alu 0xfffe
	s_cbranch_vccnz .LBB30_13
	s_branch .LBB30_39
.LBB30_11:                              ;   in Loop: Header=BB30_4 Depth=1
	v_mov_b32_e32 v6, 0
.LBB30_12:                              ;   in Loop: Header=BB30_4 Depth=1
	s_mov_b32 s9, exec_lo
	s_or_b32 exec_lo, exec_lo, s47
	s_wait_alu 0xfffe
	s_and_b32 vcc_lo, exec_lo, s31
	s_wait_alu 0xfffe
	s_cbranch_vccz .LBB30_39
.LBB30_13:                              ;   in Loop: Header=BB30_4 Depth=1
	v_mov_b32_e32 v16, 0
	s_and_not1_b32 vcc_lo, exec_lo, s46
	s_wait_alu 0xfffe
	s_cbranch_vccnz .LBB30_16
; %bb.14:                               ;   in Loop: Header=BB30_4 Depth=1
	v_mad_co_u64_u32 v[6:7], null, s36, s10, v[0:1]
	v_mad_co_u64_u32 v[8:9], null, s16, s10, v[2:3]
	s_mov_b32 s31, 0
	v_mad_co_u64_u32 v[16:17], null, s37, s10, v[7:8]
	v_mad_co_u64_u32 v[17:18], null, s17, s10, v[9:10]
	s_delay_alu instid0(VALU_DEP_2) | instskip(NEXT) | instid1(VALU_DEP_2)
	v_dual_mov_b32 v7, v16 :: v_dual_mov_b32 v16, 0
	v_mov_b32_e32 v9, v17
.LBB30_15:                              ;   Parent Loop BB30_4 Depth=1
                                        ; =>  This Inner Loop Header: Depth=2
	global_load_b32 v17, v[8:9], off
	global_load_b32 v18, v[6:7], off
	v_add_co_u32 v6, vcc_lo, v6, s38
	s_wait_alu 0xfffd
	v_add_co_ci_u32_e64 v7, null, s39, v7, vcc_lo
	v_add_co_u32 v8, vcc_lo, 0x400, v8
	s_wait_alu 0xfffd
	v_add_co_ci_u32_e64 v9, null, 0, v9, vcc_lo
	s_wait_alu 0xfffe
	s_addk_co_i32 s31, 0x100
	s_wait_alu 0xfffe
	s_cmp_ge_i32 s31, s30
	s_wait_loadcnt 0x0
	v_fmac_f32_e32 v16, v17, v18
	s_cbranch_scc0 .LBB30_15
.LBB30_16:                              ;   in Loop: Header=BB30_4 Depth=1
	s_and_saveexec_b32 s31, s1
	s_cbranch_execz .LBB30_18
; %bb.17:                               ;   in Loop: Header=BB30_4 Depth=1
	s_mul_u64 s[48:49], s[28:29], s[10:11]
	s_mul_u64 s[50:51], s[20:21], s[10:11]
	s_wait_alu 0xfffe
	s_lshl_b64 s[48:49], s[48:49], 2
	s_lshl_b64 s[50:51], s[50:51], 2
	s_wait_alu 0xfffe
	v_add_co_u32 v6, vcc_lo, v11, s48
	s_wait_alu 0xfffd
	v_add_co_ci_u32_e64 v7, null, s49, v12, vcc_lo
	s_add_nc_u64 s[48:49], s[18:19], s[50:51]
	v_add_co_u32 v6, vcc_lo, v6, s42
	s_wait_alu 0xfffd
	v_add_co_ci_u32_e64 v7, null, s43, v7, vcc_lo
	s_wait_alu 0xfffe
	v_add_co_u32 v8, vcc_lo, s48, v4
	s_wait_alu 0xfffd
	v_add_co_ci_u32_e64 v9, null, s49, v5, vcc_lo
	global_load_b32 v6, v[6:7], off
	global_load_b32 v7, v[8:9], off
	s_wait_loadcnt 0x0
	v_fmac_f32_e32 v16, v6, v7
.LBB30_18:                              ;   in Loop: Header=BB30_4 Depth=1
	s_wait_alu 0xfffe
	s_or_b32 exec_lo, exec_lo, s31
	ds_store_b32 v13, v16
	s_wait_dscnt 0x0
	s_barrier_signal -1
	s_barrier_wait -1
	global_inv scope:SCOPE_SE
	s_and_saveexec_b32 s31, s2
	s_cbranch_execz .LBB30_20
; %bb.19:                               ;   in Loop: Header=BB30_4 Depth=1
	ds_load_2addr_stride64_b32 v[6:7], v13 offset1:2
	s_wait_dscnt 0x0
	v_add_f32_e32 v6, v7, v6
	ds_store_b32 v13, v6
.LBB30_20:                              ;   in Loop: Header=BB30_4 Depth=1
	s_wait_alu 0xfffe
	s_or_b32 exec_lo, exec_lo, s31
	s_wait_loadcnt_dscnt 0x0
	s_barrier_signal -1
	s_barrier_wait -1
	global_inv scope:SCOPE_SE
	s_and_saveexec_b32 s31, s3
	s_cbranch_execz .LBB30_22
; %bb.21:                               ;   in Loop: Header=BB30_4 Depth=1
	ds_load_2addr_stride64_b32 v[6:7], v13 offset1:1
	s_wait_dscnt 0x0
	v_add_f32_e32 v6, v7, v6
	ds_store_b32 v13, v6
.LBB30_22:                              ;   in Loop: Header=BB30_4 Depth=1
	s_wait_alu 0xfffe
	s_or_b32 exec_lo, exec_lo, s31
	s_wait_loadcnt_dscnt 0x0
	s_barrier_signal -1
	s_barrier_wait -1
	global_inv scope:SCOPE_SE
	s_and_saveexec_b32 s31, s4
	s_cbranch_execz .LBB30_24
; %bb.23:                               ;   in Loop: Header=BB30_4 Depth=1
	ds_load_2addr_b32 v[6:7], v13 offset1:32
	s_wait_dscnt 0x0
	v_add_f32_e32 v6, v7, v6
	ds_store_b32 v13, v6
.LBB30_24:                              ;   in Loop: Header=BB30_4 Depth=1
	s_wait_alu 0xfffe
	s_or_b32 exec_lo, exec_lo, s31
	s_wait_loadcnt_dscnt 0x0
	s_barrier_signal -1
	s_barrier_wait -1
	global_inv scope:SCOPE_SE
	s_and_saveexec_b32 s31, s5
	s_cbranch_execz .LBB30_26
; %bb.25:                               ;   in Loop: Header=BB30_4 Depth=1
	ds_load_2addr_b32 v[6:7], v13 offset1:16
	s_wait_dscnt 0x0
	v_add_f32_e32 v6, v7, v6
	ds_store_b32 v13, v6
.LBB30_26:                              ;   in Loop: Header=BB30_4 Depth=1
	;; [unrolled: 14-line block ×5, first 2 shown]
	s_wait_alu 0xfffe
	s_or_b32 exec_lo, exec_lo, s31
	s_wait_loadcnt_dscnt 0x0
	s_barrier_signal -1
	s_barrier_wait -1
	global_inv scope:SCOPE_SE
	s_and_saveexec_b32 s31, s0
	s_cbranch_execz .LBB30_34
; %bb.33:                               ;   in Loop: Header=BB30_4 Depth=1
	ds_load_b64 v[6:7], v10
	s_wait_dscnt 0x0
	v_add_f32_e32 v6, v7, v6
	ds_store_b32 v10, v6
.LBB30_34:                              ;   in Loop: Header=BB30_4 Depth=1
	s_wait_alu 0xfffe
	s_or_b32 exec_lo, exec_lo, s31
	s_wait_loadcnt_dscnt 0x0
	s_barrier_signal -1
	s_barrier_wait -1
	global_inv scope:SCOPE_SE
                                        ; implicit-def: $vgpr6
	s_and_saveexec_b32 s31, s0
	s_cbranch_execz .LBB30_38
; %bb.35:                               ;   in Loop: Header=BB30_4 Depth=1
	ds_load_b32 v6, v10
	v_cmp_eq_f32_e32 vcc_lo, 0, v14
	s_wait_dscnt 0x0
	v_mul_f32_e32 v6, v15, v6
	s_cbranch_vccnz .LBB30_37
; %bb.36:                               ;   in Loop: Header=BB30_4 Depth=1
	s_add_nc_u64 s[48:49], s[44:45], s[40:41]
	global_load_b32 v7, v10, s[48:49]
	s_wait_loadcnt 0x0
	v_fmac_f32_e32 v6, v14, v7
.LBB30_37:                              ;   in Loop: Header=BB30_4 Depth=1
	s_or_b32 s9, s9, exec_lo
.LBB30_38:                              ;   in Loop: Header=BB30_4 Depth=1
	s_wait_alu 0xfffe
	s_or_b32 exec_lo, exec_lo, s31
.LBB30_39:                              ;   in Loop: Header=BB30_4 Depth=1
	s_wait_alu 0xfffe
	s_and_saveexec_b32 s31, s9
	s_cbranch_execz .LBB30_2
; %bb.40:                               ;   in Loop: Header=BB30_4 Depth=1
	s_add_nc_u64 s[44:45], s[44:45], s[40:41]
	global_store_b32 v10, v6, s[44:45]
	s_branch .LBB30_2
.LBB30_41:
	s_endpgm
	.section	.rodata,"a",@progbits
	.p2align	6, 0x0
	.amdhsa_kernel _ZL20rocblas_gemvt_kernelILb0ELi256EfPKffEviiT2_lPKT1_lilS5_lilS2_lPT3_lili
		.amdhsa_group_segment_fixed_size 1024
		.amdhsa_private_segment_fixed_size 0
		.amdhsa_kernarg_size 140
		.amdhsa_user_sgpr_count 2
		.amdhsa_user_sgpr_dispatch_ptr 0
		.amdhsa_user_sgpr_queue_ptr 0
		.amdhsa_user_sgpr_kernarg_segment_ptr 1
		.amdhsa_user_sgpr_dispatch_id 0
		.amdhsa_user_sgpr_private_segment_size 0
		.amdhsa_wavefront_size32 1
		.amdhsa_uses_dynamic_stack 0
		.amdhsa_enable_private_segment 0
		.amdhsa_system_sgpr_workgroup_id_x 1
		.amdhsa_system_sgpr_workgroup_id_y 0
		.amdhsa_system_sgpr_workgroup_id_z 1
		.amdhsa_system_sgpr_workgroup_info 0
		.amdhsa_system_vgpr_workitem_id 0
		.amdhsa_next_free_vgpr 19
		.amdhsa_next_free_sgpr 52
		.amdhsa_reserve_vcc 1
		.amdhsa_float_round_mode_32 0
		.amdhsa_float_round_mode_16_64 0
		.amdhsa_float_denorm_mode_32 3
		.amdhsa_float_denorm_mode_16_64 3
		.amdhsa_fp16_overflow 0
		.amdhsa_workgroup_processor_mode 1
		.amdhsa_memory_ordered 1
		.amdhsa_forward_progress 1
		.amdhsa_inst_pref_size 13
		.amdhsa_round_robin_scheduling 0
		.amdhsa_exception_fp_ieee_invalid_op 0
		.amdhsa_exception_fp_denorm_src 0
		.amdhsa_exception_fp_ieee_div_zero 0
		.amdhsa_exception_fp_ieee_overflow 0
		.amdhsa_exception_fp_ieee_underflow 0
		.amdhsa_exception_fp_ieee_inexact 0
		.amdhsa_exception_int_div_zero 0
	.end_amdhsa_kernel
	.section	.text._ZL20rocblas_gemvt_kernelILb0ELi256EfPKffEviiT2_lPKT1_lilS5_lilS2_lPT3_lili,"axG",@progbits,_ZL20rocblas_gemvt_kernelILb0ELi256EfPKffEviiT2_lPKT1_lilS5_lilS2_lPT3_lili,comdat
.Lfunc_end30:
	.size	_ZL20rocblas_gemvt_kernelILb0ELi256EfPKffEviiT2_lPKT1_lilS5_lilS2_lPT3_lili, .Lfunc_end30-_ZL20rocblas_gemvt_kernelILb0ELi256EfPKffEviiT2_lPKT1_lilS5_lilS2_lPT3_lili
                                        ; -- End function
	.set _ZL20rocblas_gemvt_kernelILb0ELi256EfPKffEviiT2_lPKT1_lilS5_lilS2_lPT3_lili.num_vgpr, 19
	.set _ZL20rocblas_gemvt_kernelILb0ELi256EfPKffEviiT2_lPKT1_lilS5_lilS2_lPT3_lili.num_agpr, 0
	.set _ZL20rocblas_gemvt_kernelILb0ELi256EfPKffEviiT2_lPKT1_lilS5_lilS2_lPT3_lili.numbered_sgpr, 52
	.set _ZL20rocblas_gemvt_kernelILb0ELi256EfPKffEviiT2_lPKT1_lilS5_lilS2_lPT3_lili.num_named_barrier, 0
	.set _ZL20rocblas_gemvt_kernelILb0ELi256EfPKffEviiT2_lPKT1_lilS5_lilS2_lPT3_lili.private_seg_size, 0
	.set _ZL20rocblas_gemvt_kernelILb0ELi256EfPKffEviiT2_lPKT1_lilS5_lilS2_lPT3_lili.uses_vcc, 1
	.set _ZL20rocblas_gemvt_kernelILb0ELi256EfPKffEviiT2_lPKT1_lilS5_lilS2_lPT3_lili.uses_flat_scratch, 0
	.set _ZL20rocblas_gemvt_kernelILb0ELi256EfPKffEviiT2_lPKT1_lilS5_lilS2_lPT3_lili.has_dyn_sized_stack, 0
	.set _ZL20rocblas_gemvt_kernelILb0ELi256EfPKffEviiT2_lPKT1_lilS5_lilS2_lPT3_lili.has_recursion, 0
	.set _ZL20rocblas_gemvt_kernelILb0ELi256EfPKffEviiT2_lPKT1_lilS5_lilS2_lPT3_lili.has_indirect_call, 0
	.section	.AMDGPU.csdata,"",@progbits
; Kernel info:
; codeLenInByte = 1652
; TotalNumSgprs: 54
; NumVgprs: 19
; ScratchSize: 0
; MemoryBound: 0
; FloatMode: 240
; IeeeMode: 1
; LDSByteSize: 1024 bytes/workgroup (compile time only)
; SGPRBlocks: 0
; VGPRBlocks: 2
; NumSGPRsForWavesPerEU: 54
; NumVGPRsForWavesPerEU: 19
; Occupancy: 16
; WaveLimiterHint : 0
; COMPUTE_PGM_RSRC2:SCRATCH_EN: 0
; COMPUTE_PGM_RSRC2:USER_SGPR: 2
; COMPUTE_PGM_RSRC2:TRAP_HANDLER: 0
; COMPUTE_PGM_RSRC2:TGID_X_EN: 1
; COMPUTE_PGM_RSRC2:TGID_Y_EN: 0
; COMPUTE_PGM_RSRC2:TGID_Z_EN: 1
; COMPUTE_PGM_RSRC2:TIDIG_COMP_CNT: 0
	.section	.text._ZL20rocblas_gemvt_kernelILb0ELi256EfffEviiT2_lPKT1_lilS3_lilS0_lPT3_lili,"axG",@progbits,_ZL20rocblas_gemvt_kernelILb0ELi256EfffEviiT2_lPKT1_lilS3_lilS0_lPT3_lili,comdat
	.globl	_ZL20rocblas_gemvt_kernelILb0ELi256EfffEviiT2_lPKT1_lilS3_lilS0_lPT3_lili ; -- Begin function _ZL20rocblas_gemvt_kernelILb0ELi256EfffEviiT2_lPKT1_lilS3_lilS0_lPT3_lili
	.p2align	8
	.type	_ZL20rocblas_gemvt_kernelILb0ELi256EfffEviiT2_lPKT1_lilS3_lilS0_lPT3_lili,@function
_ZL20rocblas_gemvt_kernelILb0ELi256EfffEviiT2_lPKT1_lilS3_lilS0_lPT3_lili: ; @_ZL20rocblas_gemvt_kernelILb0ELi256EfffEviiT2_lPKT1_lilS3_lilS0_lPT3_lili
; %bb.0:
	s_load_b32 s9, s[0:1], 0x88
	s_lshr_b32 s10, ttmp7, 16
	s_wait_kmcnt 0x0
	s_cmp_ge_u32 s10, s9
	s_cbranch_scc1 .LBB31_41
; %bb.1:
	s_clause 0x9
	s_load_b32 s26, s[0:1], 0x28
	s_load_b96 s[4:6], s[0:1], 0x40
	s_load_b32 s34, s[0:1], 0x78
	s_load_b128 s[28:31], s[0:1], 0x68
	s_load_b128 s[16:19], s[0:1], 0x18
	s_load_b32 s23, s[0:1], 0x8
	s_load_b96 s[20:22], s[0:1], 0x50
	s_load_b32 s7, s[0:1], 0x0
	s_load_b128 s[12:15], s[0:1], 0x30
	s_load_b64 s[24:25], s[0:1], 0x80
	s_mov_b32 s2, ttmp9
	v_cmp_eq_u32_e64 s0, 0, v0
	v_lshlrev_b32_e32 v13, 2, v0
	v_cmp_gt_u32_e64 s8, 2, v0
	s_mov_b32 s11, 0
	s_wait_kmcnt 0x0
	s_ashr_i32 s27, s26, 31
	s_ashr_i32 s37, s6, 31
	;; [unrolled: 1-line block ×3, first 2 shown]
	s_lshl_b64 s[4:5], s[4:5], 2
	s_lshl_b64 s[30:31], s[30:31], 2
	;; [unrolled: 1-line block ×3, first 2 shown]
	s_cmp_eq_f32 s23, 0
	v_cmp_gt_i32_e32 vcc_lo, s7, v0
	v_mov_b32_e32 v10, 0
	s_add_nc_u64 s[14:15], s[14:15], s[4:5]
	s_cselect_b32 s33, -1, 0
	s_cmp_neq_f32 s23, 0
	v_cndmask_b32_e32 v1, 0, v0, vcc_lo
	s_add_nc_u64 s[4:5], s[16:17], s[38:39]
	s_add_nc_u64 s[18:19], s[28:29], s[30:31]
	s_cselect_b32 s1, -1, 0
	s_cmp_neq_f32 s22, 1.0
	v_lshlrev_b32_e32 v3, 2, v1
	s_mov_b32 s36, s6
	s_cselect_b32 s3, -1, 0
	s_delay_alu instid0(SALU_CYCLE_1)
	s_or_b32 s40, s1, s3
	s_cmp_neq_f32 s22, 0
	v_add_co_u32 v1, s4, s4, v3
	s_wait_alu 0xf1ff
	v_add_co_ci_u32_e64 v2, null, s5, 0, s4
	s_cselect_b32 s41, -1, 0
	s_ashr_i32 s3, ttmp9, 31
	s_ashr_i32 s1, s7, 31
	s_mul_u64 s[28:29], s[26:27], s[2:3]
	s_lshr_b32 s1, s1, 24
	s_lshl_b64 s[30:31], s[28:29], 2
	s_add_co_i32 s1, s7, s1
	v_add_co_u32 v11, vcc_lo, v1, s30
	s_wait_alu 0xfffd
	v_add_co_ci_u32_e64 v12, null, s31, v2, vcc_lo
	v_mad_co_i64_i32 v[1:2], null, s6, v0, 0
	s_and_b32 s26, s1, 0xffffff00
	s_add_nc_u64 s[38:39], s[30:31], s[38:39]
	v_or_b32_e32 v4, s26, v0
	s_mul_u64 s[34:35], s[34:35], s[2:3]
	s_cmp_gt_i32 s7, 0xff
	v_cmp_gt_u32_e64 s2, 0x80, v0
	v_lshlrev_b64_e32 v[1:2], 2, v[1:2]
	v_cmp_gt_i32_e64 s1, s7, v4
	v_mad_co_i64_i32 v[4:5], null, s6, v4, 0
	v_cmp_gt_u32_e64 s3, 64, v0
	v_cmp_gt_u32_e64 s4, 32, v0
	;; [unrolled: 1-line block ×5, first 2 shown]
	v_add_co_u32 v0, vcc_lo, s14, v1
	s_add_nc_u64 s[16:17], s[16:17], s[38:39]
	s_wait_alu 0xfffd
	v_add_co_ci_u32_e64 v1, null, s15, v2, vcc_lo
	v_add_co_u32 v2, s16, s16, v3
	v_lshlrev_b64_e32 v[4:5], 2, v[4:5]
	s_wait_alu 0xf1ff
	v_add_co_ci_u32_e64 v3, null, s17, 0, s16
	s_cselect_b32 s42, -1, 0
	s_ashr_i32 s27, s26, 31
	s_lshl_b64 s[28:29], s[20:21], 2
	s_lshl_b64 s[30:31], s[36:37], 10
	;; [unrolled: 1-line block ×4, first 2 shown]
	s_wait_alu 0xfffe
	s_lshl_b64 s[36:37], s[26:27], 2
	s_branch .LBB31_4
.LBB31_2:                               ;   in Loop: Header=BB31_4 Depth=1
	s_or_b32 exec_lo, exec_lo, s43
.LBB31_3:                               ;   in Loop: Header=BB31_4 Depth=1
	s_add_co_i32 s10, s10, 0x10000
	s_wait_alu 0xfffe
	s_cmp_lt_u32 s10, s9
	s_cbranch_scc0 .LBB31_41
.LBB31_4:                               ; =>This Loop Header: Depth=1
                                        ;     Child Loop BB31_15 Depth 2
	s_and_not1_b32 vcc_lo, exec_lo, s40
	s_wait_alu 0xfffe
	s_cbranch_vccnz .LBB31_3
; %bb.5:                                ;   in Loop: Header=BB31_4 Depth=1
	s_mul_u64 s[38:39], s[24:25], s[10:11]
	s_and_not1_b32 vcc_lo, exec_lo, s33
	s_lshl_b64 s[38:39], s[38:39], 2
	s_delay_alu instid0(SALU_CYCLE_1)
	s_add_nc_u64 s[38:39], s[18:19], s[38:39]
	s_wait_alu 0xfffe
	s_cbranch_vccnz .LBB31_9
; %bb.6:                                ;   in Loop: Header=BB31_4 Depth=1
	s_mov_b32 s43, 0
	s_mov_b32 s27, 0
                                        ; implicit-def: $vgpr6
	s_and_saveexec_b32 s44, s0
	s_cbranch_execz .LBB31_10
; %bb.7:                                ;   in Loop: Header=BB31_4 Depth=1
	s_and_not1_b32 vcc_lo, exec_lo, s41
	s_wait_alu 0xfffe
	s_cbranch_vccnz .LBB31_11
; %bb.8:                                ;   in Loop: Header=BB31_4 Depth=1
	s_add_nc_u64 s[46:47], s[38:39], s[34:35]
	global_load_b32 v6, v10, s[46:47]
	s_wait_loadcnt 0x0
	v_mul_f32_e32 v6, s22, v6
	s_branch .LBB31_12
.LBB31_9:                               ;   in Loop: Header=BB31_4 Depth=1
	s_mov_b32 s27, 0
                                        ; implicit-def: $vgpr6
	s_cbranch_execnz .LBB31_13
	s_branch .LBB31_39
.LBB31_10:                              ;   in Loop: Header=BB31_4 Depth=1
	s_wait_alu 0xfffe
	s_or_b32 exec_lo, exec_lo, s44
	s_delay_alu instid0(SALU_CYCLE_1)
	s_and_b32 vcc_lo, exec_lo, s43
	s_wait_alu 0xfffe
	s_cbranch_vccnz .LBB31_13
	s_branch .LBB31_39
.LBB31_11:                              ;   in Loop: Header=BB31_4 Depth=1
	v_mov_b32_e32 v6, 0
.LBB31_12:                              ;   in Loop: Header=BB31_4 Depth=1
	s_mov_b32 s27, exec_lo
	s_or_b32 exec_lo, exec_lo, s44
	s_delay_alu instid0(SALU_CYCLE_1)
	s_and_b32 vcc_lo, exec_lo, s43
	s_wait_alu 0xfffe
	s_cbranch_vccz .LBB31_39
.LBB31_13:                              ;   in Loop: Header=BB31_4 Depth=1
	v_mov_b32_e32 v14, 0
	s_and_not1_b32 vcc_lo, exec_lo, s42
	s_wait_alu 0xfffe
	s_cbranch_vccnz .LBB31_16
; %bb.14:                               ;   in Loop: Header=BB31_4 Depth=1
	v_mad_co_u64_u32 v[6:7], null, s28, s10, v[0:1]
	v_mad_co_u64_u32 v[8:9], null, s16, s10, v[2:3]
	s_mov_b32 s43, 0
	v_mad_co_u64_u32 v[14:15], null, s29, s10, v[7:8]
	v_mad_co_u64_u32 v[15:16], null, s17, s10, v[9:10]
	s_delay_alu instid0(VALU_DEP_2) | instskip(NEXT) | instid1(VALU_DEP_2)
	v_dual_mov_b32 v7, v14 :: v_dual_mov_b32 v14, 0
	v_mov_b32_e32 v9, v15
.LBB31_15:                              ;   Parent Loop BB31_4 Depth=1
                                        ; =>  This Inner Loop Header: Depth=2
	global_load_b32 v15, v[8:9], off
	global_load_b32 v16, v[6:7], off
	v_add_co_u32 v6, vcc_lo, v6, s30
	s_wait_alu 0xfffd
	v_add_co_ci_u32_e64 v7, null, s31, v7, vcc_lo
	v_add_co_u32 v8, vcc_lo, 0x400, v8
	s_wait_alu 0xfffd
	v_add_co_ci_u32_e64 v9, null, 0, v9, vcc_lo
	s_addk_co_i32 s43, 0x100
	s_delay_alu instid0(SALU_CYCLE_1)
	s_cmp_ge_i32 s43, s26
	s_wait_loadcnt 0x0
	v_fmac_f32_e32 v14, v15, v16
	s_cbranch_scc0 .LBB31_15
.LBB31_16:                              ;   in Loop: Header=BB31_4 Depth=1
	s_and_saveexec_b32 s43, s1
	s_cbranch_execz .LBB31_18
; %bb.17:                               ;   in Loop: Header=BB31_4 Depth=1
	s_mul_u64 s[44:45], s[12:13], s[10:11]
	s_mul_u64 s[46:47], s[20:21], s[10:11]
	s_wait_alu 0xfffe
	s_lshl_b64 s[44:45], s[44:45], 2
	s_lshl_b64 s[46:47], s[46:47], 2
	s_wait_alu 0xfffe
	v_add_co_u32 v6, vcc_lo, v11, s44
	s_wait_alu 0xfffd
	v_add_co_ci_u32_e64 v7, null, s45, v12, vcc_lo
	s_add_nc_u64 s[44:45], s[14:15], s[46:47]
	v_add_co_u32 v6, vcc_lo, v6, s36
	s_wait_alu 0xfffd
	v_add_co_ci_u32_e64 v7, null, s37, v7, vcc_lo
	s_wait_alu 0xfffe
	v_add_co_u32 v8, vcc_lo, s44, v4
	s_wait_alu 0xfffd
	v_add_co_ci_u32_e64 v9, null, s45, v5, vcc_lo
	global_load_b32 v6, v[6:7], off
	global_load_b32 v7, v[8:9], off
	s_wait_loadcnt 0x0
	v_fmac_f32_e32 v14, v6, v7
.LBB31_18:                              ;   in Loop: Header=BB31_4 Depth=1
	s_or_b32 exec_lo, exec_lo, s43
	ds_store_b32 v13, v14
	s_wait_dscnt 0x0
	s_barrier_signal -1
	s_barrier_wait -1
	global_inv scope:SCOPE_SE
	s_and_saveexec_b32 s43, s2
	s_cbranch_execz .LBB31_20
; %bb.19:                               ;   in Loop: Header=BB31_4 Depth=1
	ds_load_2addr_stride64_b32 v[6:7], v13 offset1:2
	s_wait_dscnt 0x0
	v_add_f32_e32 v6, v7, v6
	ds_store_b32 v13, v6
.LBB31_20:                              ;   in Loop: Header=BB31_4 Depth=1
	s_or_b32 exec_lo, exec_lo, s43
	s_wait_loadcnt_dscnt 0x0
	s_barrier_signal -1
	s_barrier_wait -1
	global_inv scope:SCOPE_SE
	s_and_saveexec_b32 s43, s3
	s_cbranch_execz .LBB31_22
; %bb.21:                               ;   in Loop: Header=BB31_4 Depth=1
	ds_load_2addr_stride64_b32 v[6:7], v13 offset1:1
	s_wait_dscnt 0x0
	v_add_f32_e32 v6, v7, v6
	ds_store_b32 v13, v6
.LBB31_22:                              ;   in Loop: Header=BB31_4 Depth=1
	s_or_b32 exec_lo, exec_lo, s43
	s_wait_loadcnt_dscnt 0x0
	s_barrier_signal -1
	s_barrier_wait -1
	global_inv scope:SCOPE_SE
	s_and_saveexec_b32 s43, s4
	s_cbranch_execz .LBB31_24
; %bb.23:                               ;   in Loop: Header=BB31_4 Depth=1
	ds_load_2addr_b32 v[6:7], v13 offset1:32
	s_wait_dscnt 0x0
	v_add_f32_e32 v6, v7, v6
	ds_store_b32 v13, v6
.LBB31_24:                              ;   in Loop: Header=BB31_4 Depth=1
	s_or_b32 exec_lo, exec_lo, s43
	s_wait_loadcnt_dscnt 0x0
	s_barrier_signal -1
	s_barrier_wait -1
	global_inv scope:SCOPE_SE
	s_and_saveexec_b32 s43, s5
	s_cbranch_execz .LBB31_26
; %bb.25:                               ;   in Loop: Header=BB31_4 Depth=1
	ds_load_2addr_b32 v[6:7], v13 offset1:16
	s_wait_dscnt 0x0
	v_add_f32_e32 v6, v7, v6
	ds_store_b32 v13, v6
.LBB31_26:                              ;   in Loop: Header=BB31_4 Depth=1
	;; [unrolled: 13-line block ×5, first 2 shown]
	s_or_b32 exec_lo, exec_lo, s43
	s_wait_loadcnt_dscnt 0x0
	s_barrier_signal -1
	s_barrier_wait -1
	global_inv scope:SCOPE_SE
	s_and_saveexec_b32 s43, s0
	s_cbranch_execz .LBB31_34
; %bb.33:                               ;   in Loop: Header=BB31_4 Depth=1
	ds_load_b64 v[6:7], v10
	s_wait_dscnt 0x0
	v_add_f32_e32 v6, v7, v6
	ds_store_b32 v10, v6
.LBB31_34:                              ;   in Loop: Header=BB31_4 Depth=1
	s_or_b32 exec_lo, exec_lo, s43
	s_wait_loadcnt_dscnt 0x0
	s_barrier_signal -1
	s_barrier_wait -1
	global_inv scope:SCOPE_SE
                                        ; implicit-def: $vgpr6
	s_and_saveexec_b32 s43, s0
	s_cbranch_execz .LBB31_38
; %bb.35:                               ;   in Loop: Header=BB31_4 Depth=1
	ds_load_b32 v6, v10
	s_and_not1_b32 vcc_lo, exec_lo, s41
	s_wait_dscnt 0x0
	v_mul_f32_e32 v6, s23, v6
	s_wait_alu 0xfffe
	s_cbranch_vccnz .LBB31_37
; %bb.36:                               ;   in Loop: Header=BB31_4 Depth=1
	s_add_nc_u64 s[44:45], s[38:39], s[34:35]
	global_load_b32 v7, v10, s[44:45]
	s_wait_loadcnt 0x0
	v_fmac_f32_e32 v6, s22, v7
.LBB31_37:                              ;   in Loop: Header=BB31_4 Depth=1
	s_or_b32 s27, s27, exec_lo
.LBB31_38:                              ;   in Loop: Header=BB31_4 Depth=1
	s_or_b32 exec_lo, exec_lo, s43
.LBB31_39:                              ;   in Loop: Header=BB31_4 Depth=1
	s_wait_alu 0xfffe
	s_and_saveexec_b32 s43, s27
	s_cbranch_execz .LBB31_2
; %bb.40:                               ;   in Loop: Header=BB31_4 Depth=1
	s_add_nc_u64 s[38:39], s[38:39], s[34:35]
	global_store_b32 v10, v6, s[38:39]
	s_branch .LBB31_2
.LBB31_41:
	s_endpgm
	.section	.rodata,"a",@progbits
	.p2align	6, 0x0
	.amdhsa_kernel _ZL20rocblas_gemvt_kernelILb0ELi256EfffEviiT2_lPKT1_lilS3_lilS0_lPT3_lili
		.amdhsa_group_segment_fixed_size 1024
		.amdhsa_private_segment_fixed_size 0
		.amdhsa_kernarg_size 140
		.amdhsa_user_sgpr_count 2
		.amdhsa_user_sgpr_dispatch_ptr 0
		.amdhsa_user_sgpr_queue_ptr 0
		.amdhsa_user_sgpr_kernarg_segment_ptr 1
		.amdhsa_user_sgpr_dispatch_id 0
		.amdhsa_user_sgpr_private_segment_size 0
		.amdhsa_wavefront_size32 1
		.amdhsa_uses_dynamic_stack 0
		.amdhsa_enable_private_segment 0
		.amdhsa_system_sgpr_workgroup_id_x 1
		.amdhsa_system_sgpr_workgroup_id_y 0
		.amdhsa_system_sgpr_workgroup_id_z 1
		.amdhsa_system_sgpr_workgroup_info 0
		.amdhsa_system_vgpr_workitem_id 0
		.amdhsa_next_free_vgpr 17
		.amdhsa_next_free_sgpr 48
		.amdhsa_reserve_vcc 1
		.amdhsa_float_round_mode_32 0
		.amdhsa_float_round_mode_16_64 0
		.amdhsa_float_denorm_mode_32 3
		.amdhsa_float_denorm_mode_16_64 3
		.amdhsa_fp16_overflow 0
		.amdhsa_workgroup_processor_mode 1
		.amdhsa_memory_ordered 1
		.amdhsa_forward_progress 1
		.amdhsa_inst_pref_size 13
		.amdhsa_round_robin_scheduling 0
		.amdhsa_exception_fp_ieee_invalid_op 0
		.amdhsa_exception_fp_denorm_src 0
		.amdhsa_exception_fp_ieee_div_zero 0
		.amdhsa_exception_fp_ieee_overflow 0
		.amdhsa_exception_fp_ieee_underflow 0
		.amdhsa_exception_fp_ieee_inexact 0
		.amdhsa_exception_int_div_zero 0
	.end_amdhsa_kernel
	.section	.text._ZL20rocblas_gemvt_kernelILb0ELi256EfffEviiT2_lPKT1_lilS3_lilS0_lPT3_lili,"axG",@progbits,_ZL20rocblas_gemvt_kernelILb0ELi256EfffEviiT2_lPKT1_lilS3_lilS0_lPT3_lili,comdat
.Lfunc_end31:
	.size	_ZL20rocblas_gemvt_kernelILb0ELi256EfffEviiT2_lPKT1_lilS3_lilS0_lPT3_lili, .Lfunc_end31-_ZL20rocblas_gemvt_kernelILb0ELi256EfffEviiT2_lPKT1_lilS3_lilS0_lPT3_lili
                                        ; -- End function
	.set _ZL20rocblas_gemvt_kernelILb0ELi256EfffEviiT2_lPKT1_lilS3_lilS0_lPT3_lili.num_vgpr, 17
	.set _ZL20rocblas_gemvt_kernelILb0ELi256EfffEviiT2_lPKT1_lilS3_lilS0_lPT3_lili.num_agpr, 0
	.set _ZL20rocblas_gemvt_kernelILb0ELi256EfffEviiT2_lPKT1_lilS3_lilS0_lPT3_lili.numbered_sgpr, 48
	.set _ZL20rocblas_gemvt_kernelILb0ELi256EfffEviiT2_lPKT1_lilS3_lilS0_lPT3_lili.num_named_barrier, 0
	.set _ZL20rocblas_gemvt_kernelILb0ELi256EfffEviiT2_lPKT1_lilS3_lilS0_lPT3_lili.private_seg_size, 0
	.set _ZL20rocblas_gemvt_kernelILb0ELi256EfffEviiT2_lPKT1_lilS3_lilS0_lPT3_lili.uses_vcc, 1
	.set _ZL20rocblas_gemvt_kernelILb0ELi256EfffEviiT2_lPKT1_lilS3_lilS0_lPT3_lili.uses_flat_scratch, 0
	.set _ZL20rocblas_gemvt_kernelILb0ELi256EfffEviiT2_lPKT1_lilS3_lilS0_lPT3_lili.has_dyn_sized_stack, 0
	.set _ZL20rocblas_gemvt_kernelILb0ELi256EfffEviiT2_lPKT1_lilS3_lilS0_lPT3_lili.has_recursion, 0
	.set _ZL20rocblas_gemvt_kernelILb0ELi256EfffEviiT2_lPKT1_lilS3_lilS0_lPT3_lili.has_indirect_call, 0
	.section	.AMDGPU.csdata,"",@progbits
; Kernel info:
; codeLenInByte = 1592
; TotalNumSgprs: 50
; NumVgprs: 17
; ScratchSize: 0
; MemoryBound: 0
; FloatMode: 240
; IeeeMode: 1
; LDSByteSize: 1024 bytes/workgroup (compile time only)
; SGPRBlocks: 0
; VGPRBlocks: 2
; NumSGPRsForWavesPerEU: 50
; NumVGPRsForWavesPerEU: 17
; Occupancy: 16
; WaveLimiterHint : 0
; COMPUTE_PGM_RSRC2:SCRATCH_EN: 0
; COMPUTE_PGM_RSRC2:USER_SGPR: 2
; COMPUTE_PGM_RSRC2:TRAP_HANDLER: 0
; COMPUTE_PGM_RSRC2:TGID_X_EN: 1
; COMPUTE_PGM_RSRC2:TGID_Y_EN: 0
; COMPUTE_PGM_RSRC2:TGID_Z_EN: 1
; COMPUTE_PGM_RSRC2:TIDIG_COMP_CNT: 0
	.section	.text._ZL32rocblas_gemvt_warp_reduce_kernelILb0ELi1024EifPKffEviiT3_lPKT2_lT1_lS5_lS6_lS2_lPT4_lS6_li,"axG",@progbits,_ZL32rocblas_gemvt_warp_reduce_kernelILb0ELi1024EifPKffEviiT3_lPKT2_lT1_lS5_lS6_lS2_lPT4_lS6_li,comdat
	.globl	_ZL32rocblas_gemvt_warp_reduce_kernelILb0ELi1024EifPKffEviiT3_lPKT2_lT1_lS5_lS6_lS2_lPT4_lS6_li ; -- Begin function _ZL32rocblas_gemvt_warp_reduce_kernelILb0ELi1024EifPKffEviiT3_lPKT2_lT1_lS5_lS6_lS2_lPT4_lS6_li
	.p2align	8
	.type	_ZL32rocblas_gemvt_warp_reduce_kernelILb0ELi1024EifPKffEviiT3_lPKT2_lT1_lS5_lS6_lS2_lPT4_lS6_li,@function
_ZL32rocblas_gemvt_warp_reduce_kernelILb0ELi1024EifPKffEviiT3_lPKT2_lT1_lS5_lS6_lS2_lPT4_lS6_li: ; @_ZL32rocblas_gemvt_warp_reduce_kernelILb0ELi1024EifPKffEviiT3_lPKT2_lT1_lS5_lS6_lS2_lPT4_lS6_li
; %bb.0:
	s_load_b32 s33, s[0:1], 0x88
	s_lshr_b32 s28, ttmp7, 16
	s_wait_kmcnt 0x0
	s_cmp_ge_u32 s28, s33
	s_cbranch_scc1 .LBB32_34
; %bb.1:
	s_clause 0x7
	s_load_b96 s[4:6], s[0:1], 0x40
	s_load_b96 s[36:38], s[0:1], 0x70
	s_load_b256 s[8:15], s[0:1], 0x8
	s_load_b32 s7, s[0:1], 0x0
	s_load_b32 s39, s[0:1], 0x28
	s_load_b128 s[24:27], s[0:1], 0x30
	s_load_b256 s[16:23], s[0:1], 0x50
	s_load_b64 s[30:31], s[0:1], 0x80
	v_mov_b32_e32 v9, 0
	v_mbcnt_lo_u32_b32 v15, -1, 0
	v_cmp_eq_u32_e64 s0, 0, v0
	s_mov_b32 s29, 0
	v_lshl_or_b32 v16, v15, 2, 64
	s_wait_kmcnt 0x0
	s_lshl_b64 s[2:3], s[4:5], 2
	s_lshl_b64 s[4:5], s[36:37], 2
	;; [unrolled: 1-line block ×3, first 2 shown]
	v_cmp_gt_i32_e32 vcc_lo, s7, v0
	s_ashr_i32 s1, s7, 31
	s_add_nc_u64 s[14:15], s[26:27], s[2:3]
	s_lshr_b32 s1, s1, 22
	s_add_nc_u64 s[2:3], s[12:13], s[34:35]
	s_add_co_i32 s1, s7, s1
	v_cndmask_b32_e32 v1, 0, v0, vcc_lo
	s_and_b32 s26, s1, 0xfffffc00
	s_mul_i32 s36, s38, ttmp9
	v_or_b32_e32 v2, s26, v0
	s_mul_i32 s38, s39, ttmp9
	v_lshlrev_b32_e32 v1, 2, v1
	s_ashr_i32 s39, s38, 31
	v_mul_lo_u32 v14, v0, s6
	v_mul_lo_u32 v3, s6, v2
	s_lshl_b64 s[38:39], s[38:39], 2
	v_add_co_u32 v4, s1, s2, v1
	s_delay_alu instid0(VALU_DEP_1)
	v_add_co_ci_u32_e64 v5, null, s3, 0, s1
	s_add_nc_u64 s[34:35], s[34:35], s[38:39]
	v_add_co_u32 v10, vcc_lo, v4, s38
	v_ashrrev_i32_e32 v4, 31, v3
	s_wait_alu 0xfffd
	v_add_co_ci_u32_e64 v11, null, s39, v5, vcc_lo
	v_cmp_gt_i32_e64 s2, s7, v2
	v_and_b32_e32 v2, 31, v0
	v_lshrrev_b32_e32 v5, 3, v0
	s_lshl_b32 s40, s6, 10
	s_add_nc_u64 s[6:7], s[12:13], s[34:35]
	s_add_nc_u64 s[22:23], s[22:23], s[4:5]
	s_wait_alu 0xfffe
	v_add_co_u32 v1, s5, s6, v1
	v_lshlrev_b64_e32 v[3:4], 2, v[3:4]
	v_cmp_gt_i32_e64 s1, s26, v0
	v_cmp_gt_u32_e64 s3, 32, v0
	v_lshlrev_b32_e32 v12, 2, v2
	v_cmp_eq_u32_e64 s4, 0, v2
	v_and_b32_e32 v13, 0x7c, v5
	v_add_co_ci_u32_e64 v2, null, s7, 0, s5
	s_ashr_i32 s37, s36, 31
	s_ashr_i32 s27, s26, 31
	s_lshl_b64 s[6:7], s[24:25], 2
	s_lshl_b64 s[12:13], s[36:37], 2
	s_wait_alu 0xfffe
	s_lshl_b64 s[34:35], s[26:27], 2
	s_branch .LBB32_4
.LBB32_2:                               ;   in Loop: Header=BB32_4 Depth=1
	s_wait_alu 0xfffe
	s_or_b32 exec_lo, exec_lo, s5
.LBB32_3:                               ;   in Loop: Header=BB32_4 Depth=1
	s_add_co_i32 s28, s28, 0x10000
	s_wait_alu 0xfffe
	s_cmp_lt_u32 s28, s33
	s_cbranch_scc0 .LBB32_34
.LBB32_4:                               ; =>This Loop Header: Depth=1
                                        ;     Child Loop BB32_23 Depth 2
	s_mul_u64 s[36:37], s[10:11], s[28:29]
	s_mul_u64 s[38:39], s[20:21], s[28:29]
	s_lshl_b64 s[36:37], s[36:37], 2
	s_wait_alu 0xfffe
	s_lshl_b64 s[38:39], s[38:39], 2
	s_add_nc_u64 s[36:37], s[8:9], s[36:37]
	s_wait_alu 0xfffe
	s_add_nc_u64 s[38:39], s[18:19], s[38:39]
	s_clause 0x1
	global_load_b32 v17, v9, s[36:37]
	global_load_b32 v5, v9, s[38:39]
	s_wait_loadcnt 0x1
	v_cmp_eq_f32_e32 vcc_lo, 0, v17
	s_wait_loadcnt 0x0
	v_cmp_eq_f32_e64 s5, 1.0, v5
	v_readfirstlane_b32 s27, v5
	s_and_b32 s5, vcc_lo, s5
	s_wait_alu 0xfffe
	s_and_b32 vcc_lo, exec_lo, s5
	s_wait_alu 0xfffe
	s_cbranch_vccnz .LBB32_3
; %bb.5:                                ;   in Loop: Header=BB32_4 Depth=1
	v_cmp_neq_f32_e32 vcc_lo, 0, v17
	s_mul_u64 s[36:37], s[30:31], s[28:29]
	s_delay_alu instid0(SALU_CYCLE_1) | instskip(NEXT) | instid1(SALU_CYCLE_1)
	s_lshl_b64 s[36:37], s[36:37], 2
	s_add_nc_u64 s[36:37], s[22:23], s[36:37]
	s_cbranch_vccnz .LBB32_9
; %bb.6:                                ;   in Loop: Header=BB32_4 Depth=1
	s_mov_b32 s5, 0
	s_mov_b32 s41, 0
                                        ; implicit-def: $vgpr5
	s_and_saveexec_b32 s38, s0
	s_cbranch_execz .LBB32_10
; %bb.7:                                ;   in Loop: Header=BB32_4 Depth=1
	s_cmp_eq_f32 s27, 0
	s_cbranch_scc1 .LBB32_11
; %bb.8:                                ;   in Loop: Header=BB32_4 Depth=1
	s_add_nc_u64 s[42:43], s[36:37], s[12:13]
	global_load_b32 v5, v9, s[42:43]
	s_wait_loadcnt 0x0
	v_mul_f32_e32 v5, s27, v5
	s_branch .LBB32_12
.LBB32_9:                               ;   in Loop: Header=BB32_4 Depth=1
	s_mov_b32 s41, 0
                                        ; implicit-def: $vgpr5
	s_cbranch_execnz .LBB32_13
	s_branch .LBB32_32
.LBB32_10:                              ;   in Loop: Header=BB32_4 Depth=1
	s_wait_alu 0xfffe
	s_or_b32 exec_lo, exec_lo, s38
	s_delay_alu instid0(SALU_CYCLE_1)
	s_and_b32 vcc_lo, exec_lo, s5
	s_wait_alu 0xfffe
	s_cbranch_vccnz .LBB32_13
	s_branch .LBB32_32
.LBB32_11:                              ;   in Loop: Header=BB32_4 Depth=1
	v_mov_b32_e32 v5, 0
.LBB32_12:                              ;   in Loop: Header=BB32_4 Depth=1
	s_mov_b32 s41, exec_lo
	s_wait_alu 0xfffe
	s_or_b32 exec_lo, exec_lo, s38
	s_delay_alu instid0(SALU_CYCLE_1)
	s_and_b32 vcc_lo, exec_lo, s5
	s_wait_alu 0xfffe
	s_cbranch_vccz .LBB32_32
.LBB32_13:                              ;   in Loop: Header=BB32_4 Depth=1
	s_mul_u64 s[38:39], s[16:17], s[28:29]
	s_wait_dscnt 0x0
	v_mov_b32_e32 v18, 0
	s_wait_alu 0xfffe
	s_lshl_b64 s[38:39], s[38:39], 2
	s_wait_alu 0xfffe
	s_add_nc_u64 s[38:39], s[14:15], s[38:39]
	s_and_saveexec_b32 s42, s1
	s_cbranch_execnz .LBB32_22
; %bb.14:                               ;   in Loop: Header=BB32_4 Depth=1
	s_wait_alu 0xfffe
	s_or_b32 exec_lo, exec_lo, s42
	s_and_saveexec_b32 s5, s2
	s_cbranch_execnz .LBB32_25
.LBB32_15:                              ;   in Loop: Header=BB32_4 Depth=1
	s_wait_alu 0xfffe
	s_or_b32 exec_lo, exec_lo, s5
	s_and_saveexec_b32 s5, s3
.LBB32_16:                              ;   in Loop: Header=BB32_4 Depth=1
	ds_store_b32 v12, v9
.LBB32_17:                              ;   in Loop: Header=BB32_4 Depth=1
	s_wait_alu 0xfffe
	s_or_b32 exec_lo, exec_lo, s5
	ds_bpermute_b32 v6, v16, v18
	v_cmp_gt_u32_e32 vcc_lo, 24, v15
	s_wait_dscnt 0x0
	s_barrier_signal -1
	s_barrier_wait -1
	global_inv scope:SCOPE_SE
	s_wait_alu 0xfffd
	v_cndmask_b32_e64 v5, 0, 8, vcc_lo
	v_cmp_gt_u32_e32 vcc_lo, 28, v15
	s_delay_alu instid0(VALU_DEP_2)
	v_add_lshl_u32 v5, v5, v15, 2
	v_add_f32_e32 v7, v18, v6
	s_wait_alu 0xfffd
	v_cndmask_b32_e64 v6, 0, 4, vcc_lo
	v_cmp_gt_u32_e32 vcc_lo, 30, v15
	ds_bpermute_b32 v8, v5, v7
	v_add_lshl_u32 v6, v6, v15, 2
	s_wait_dscnt 0x0
	v_add_f32_e32 v8, v7, v8
	s_wait_alu 0xfffd
	v_cndmask_b32_e64 v7, 0, 2, vcc_lo
	v_cmp_ne_u32_e32 vcc_lo, 31, v15
	ds_bpermute_b32 v18, v6, v8
	v_add_lshl_u32 v7, v7, v15, 2
	s_wait_alu 0xfffd
	v_add_co_ci_u32_e64 v19, null, 0, v15, vcc_lo
	s_wait_dscnt 0x0
	v_add_f32_e32 v8, v8, v18
	ds_bpermute_b32 v18, v7, v8
	s_wait_dscnt 0x0
	v_add_f32_e32 v18, v8, v18
	v_lshlrev_b32_e32 v8, 2, v19
	ds_bpermute_b32 v19, v8, v18
	s_and_saveexec_b32 s5, s4
	s_cbranch_execz .LBB32_19
; %bb.18:                               ;   in Loop: Header=BB32_4 Depth=1
	s_wait_dscnt 0x0
	v_add_f32_e32 v18, v18, v19
	ds_store_b32 v13, v18
.LBB32_19:                              ;   in Loop: Header=BB32_4 Depth=1
	s_wait_alu 0xfffe
	s_or_b32 exec_lo, exec_lo, s5
	v_mov_b32_e32 v18, 0
	s_wait_loadcnt_dscnt 0x0
	s_barrier_signal -1
	s_barrier_wait -1
	global_inv scope:SCOPE_SE
	s_and_saveexec_b32 s5, s3
	s_cbranch_execnz .LBB32_26
; %bb.20:                               ;   in Loop: Header=BB32_4 Depth=1
	s_wait_alu 0xfffe
	s_or_b32 exec_lo, exec_lo, s5
	s_and_saveexec_b32 s5, s3
	s_cbranch_execnz .LBB32_27
.LBB32_21:                              ;   in Loop: Header=BB32_4 Depth=1
	s_wait_alu 0xfffe
	s_or_b32 exec_lo, exec_lo, s5
                                        ; implicit-def: $vgpr5
	s_and_saveexec_b32 s5, s0
	s_cbranch_execnz .LBB32_28
	s_branch .LBB32_31
.LBB32_22:                              ;   in Loop: Header=BB32_4 Depth=1
	v_mad_co_u64_u32 v[5:6], null, s6, s28, v[1:2]
	v_dual_mov_b32 v18, 0 :: v_dual_mov_b32 v19, v0
	s_mov_b32 s43, 0
	s_delay_alu instid0(VALU_DEP_2)
	v_mad_co_u64_u32 v[6:7], null, s7, s28, v[6:7]
	v_mov_b32_e32 v7, v14
.LBB32_23:                              ;   Parent Loop BB32_4 Depth=1
                                        ; =>  This Inner Loop Header: Depth=2
	s_delay_alu instid0(VALU_DEP_1) | instskip(NEXT) | instid1(VALU_DEP_1)
	v_ashrrev_i32_e32 v8, 31, v7
	v_lshlrev_b64_e32 v[20:21], 2, v[7:8]
	v_add_nc_u32_e32 v7, s40, v7
	s_wait_alu 0xfffe
	s_delay_alu instid0(VALU_DEP_2) | instskip(SKIP_1) | instid1(VALU_DEP_3)
	v_add_co_u32 v20, vcc_lo, s38, v20
	s_wait_alu 0xfffd
	v_add_co_ci_u32_e64 v21, null, s39, v21, vcc_lo
	global_load_b32 v8, v[5:6], off
	global_load_b32 v20, v[20:21], off
	v_add_nc_u32_e32 v19, 0x400, v19
	v_add_co_u32 v5, vcc_lo, 0x1000, v5
	s_wait_alu 0xfffd
	v_add_co_ci_u32_e64 v6, null, 0, v6, vcc_lo
	s_wait_loadcnt 0x0
	v_fmac_f32_e32 v18, v8, v20
	v_cmp_le_i32_e64 s5, s26, v19
	s_or_b32 s43, s5, s43
	s_wait_alu 0xfffe
	s_and_not1_b32 exec_lo, exec_lo, s43
	s_cbranch_execnz .LBB32_23
; %bb.24:                               ;   in Loop: Header=BB32_4 Depth=1
	s_or_b32 exec_lo, exec_lo, s43
	s_delay_alu instid0(SALU_CYCLE_1)
	s_or_b32 exec_lo, exec_lo, s42
	s_and_saveexec_b32 s5, s2
	s_cbranch_execz .LBB32_15
.LBB32_25:                              ;   in Loop: Header=BB32_4 Depth=1
	s_mul_u64 s[42:43], s[24:25], s[28:29]
	s_wait_alu 0xfffe
	s_lshl_b64 s[42:43], s[42:43], 2
	s_wait_alu 0xfffe
	v_add_co_u32 v5, vcc_lo, v10, s42
	s_wait_alu 0xfffd
	v_add_co_ci_u32_e64 v6, null, s43, v11, vcc_lo
	s_delay_alu instid0(VALU_DEP_2) | instskip(SKIP_1) | instid1(VALU_DEP_2)
	v_add_co_u32 v5, vcc_lo, v5, s34
	s_wait_alu 0xfffd
	v_add_co_ci_u32_e64 v6, null, s35, v6, vcc_lo
	v_add_co_u32 v7, vcc_lo, s38, v3
	s_wait_alu 0xfffd
	v_add_co_ci_u32_e64 v8, null, s39, v4, vcc_lo
	global_load_b32 v5, v[5:6], off
	global_load_b32 v6, v[7:8], off
	s_wait_loadcnt 0x0
	v_fmac_f32_e32 v18, v5, v6
	s_or_b32 exec_lo, exec_lo, s5
	s_and_saveexec_b32 s5, s3
	s_cbranch_execnz .LBB32_16
	s_branch .LBB32_17
.LBB32_26:                              ;   in Loop: Header=BB32_4 Depth=1
	ds_load_b32 v18, v12
	s_wait_alu 0xfffe
	s_or_b32 exec_lo, exec_lo, s5
	s_and_saveexec_b32 s5, s3
	s_cbranch_execz .LBB32_21
.LBB32_27:                              ;   in Loop: Header=BB32_4 Depth=1
	s_wait_dscnt 0x0
	ds_bpermute_b32 v19, v16, v18
	s_wait_dscnt 0x0
	v_add_f32_e32 v18, v18, v19
	ds_bpermute_b32 v5, v5, v18
	s_wait_dscnt 0x0
	v_add_f32_e32 v5, v18, v5
	;; [unrolled: 3-line block ×5, first 2 shown]
	s_wait_alu 0xfffe
	s_or_b32 exec_lo, exec_lo, s5
                                        ; implicit-def: $vgpr5
	s_and_saveexec_b32 s5, s0
	s_cbranch_execz .LBB32_31
.LBB32_28:                              ;   in Loop: Header=BB32_4 Depth=1
	s_wait_dscnt 0x0
	v_mul_f32_e32 v5, v17, v18
	s_cmp_eq_f32 s27, 0
	s_cbranch_scc1 .LBB32_30
; %bb.29:                               ;   in Loop: Header=BB32_4 Depth=1
	s_add_nc_u64 s[38:39], s[36:37], s[12:13]
	global_load_b32 v6, v9, s[38:39]
	s_wait_loadcnt 0x0
	v_fmac_f32_e32 v5, s27, v6
.LBB32_30:                              ;   in Loop: Header=BB32_4 Depth=1
	s_or_b32 s41, s41, exec_lo
.LBB32_31:                              ;   in Loop: Header=BB32_4 Depth=1
	s_wait_alu 0xfffe
	s_or_b32 exec_lo, exec_lo, s5
.LBB32_32:                              ;   in Loop: Header=BB32_4 Depth=1
	s_wait_alu 0xfffe
	s_and_saveexec_b32 s5, s41
	s_cbranch_execz .LBB32_2
; %bb.33:                               ;   in Loop: Header=BB32_4 Depth=1
	s_add_nc_u64 s[36:37], s[36:37], s[12:13]
	global_store_b32 v9, v5, s[36:37]
	s_branch .LBB32_2
.LBB32_34:
	s_endpgm
	.section	.rodata,"a",@progbits
	.p2align	6, 0x0
	.amdhsa_kernel _ZL32rocblas_gemvt_warp_reduce_kernelILb0ELi1024EifPKffEviiT3_lPKT2_lT1_lS5_lS6_lS2_lPT4_lS6_li
		.amdhsa_group_segment_fixed_size 128
		.amdhsa_private_segment_fixed_size 0
		.amdhsa_kernarg_size 140
		.amdhsa_user_sgpr_count 2
		.amdhsa_user_sgpr_dispatch_ptr 0
		.amdhsa_user_sgpr_queue_ptr 0
		.amdhsa_user_sgpr_kernarg_segment_ptr 1
		.amdhsa_user_sgpr_dispatch_id 0
		.amdhsa_user_sgpr_private_segment_size 0
		.amdhsa_wavefront_size32 1
		.amdhsa_uses_dynamic_stack 0
		.amdhsa_enable_private_segment 0
		.amdhsa_system_sgpr_workgroup_id_x 1
		.amdhsa_system_sgpr_workgroup_id_y 0
		.amdhsa_system_sgpr_workgroup_id_z 1
		.amdhsa_system_sgpr_workgroup_info 0
		.amdhsa_system_vgpr_workitem_id 0
		.amdhsa_next_free_vgpr 22
		.amdhsa_next_free_sgpr 44
		.amdhsa_reserve_vcc 1
		.amdhsa_float_round_mode_32 0
		.amdhsa_float_round_mode_16_64 0
		.amdhsa_float_denorm_mode_32 3
		.amdhsa_float_denorm_mode_16_64 3
		.amdhsa_fp16_overflow 0
		.amdhsa_workgroup_processor_mode 1
		.amdhsa_memory_ordered 1
		.amdhsa_forward_progress 1
		.amdhsa_inst_pref_size 13
		.amdhsa_round_robin_scheduling 0
		.amdhsa_exception_fp_ieee_invalid_op 0
		.amdhsa_exception_fp_denorm_src 0
		.amdhsa_exception_fp_ieee_div_zero 0
		.amdhsa_exception_fp_ieee_overflow 0
		.amdhsa_exception_fp_ieee_underflow 0
		.amdhsa_exception_fp_ieee_inexact 0
		.amdhsa_exception_int_div_zero 0
	.end_amdhsa_kernel
	.section	.text._ZL32rocblas_gemvt_warp_reduce_kernelILb0ELi1024EifPKffEviiT3_lPKT2_lT1_lS5_lS6_lS2_lPT4_lS6_li,"axG",@progbits,_ZL32rocblas_gemvt_warp_reduce_kernelILb0ELi1024EifPKffEviiT3_lPKT2_lT1_lS5_lS6_lS2_lPT4_lS6_li,comdat
.Lfunc_end32:
	.size	_ZL32rocblas_gemvt_warp_reduce_kernelILb0ELi1024EifPKffEviiT3_lPKT2_lT1_lS5_lS6_lS2_lPT4_lS6_li, .Lfunc_end32-_ZL32rocblas_gemvt_warp_reduce_kernelILb0ELi1024EifPKffEviiT3_lPKT2_lT1_lS5_lS6_lS2_lPT4_lS6_li
                                        ; -- End function
	.set _ZL32rocblas_gemvt_warp_reduce_kernelILb0ELi1024EifPKffEviiT3_lPKT2_lT1_lS5_lS6_lS2_lPT4_lS6_li.num_vgpr, 22
	.set _ZL32rocblas_gemvt_warp_reduce_kernelILb0ELi1024EifPKffEviiT3_lPKT2_lT1_lS5_lS6_lS2_lPT4_lS6_li.num_agpr, 0
	.set _ZL32rocblas_gemvt_warp_reduce_kernelILb0ELi1024EifPKffEviiT3_lPKT2_lT1_lS5_lS6_lS2_lPT4_lS6_li.numbered_sgpr, 44
	.set _ZL32rocblas_gemvt_warp_reduce_kernelILb0ELi1024EifPKffEviiT3_lPKT2_lT1_lS5_lS6_lS2_lPT4_lS6_li.num_named_barrier, 0
	.set _ZL32rocblas_gemvt_warp_reduce_kernelILb0ELi1024EifPKffEviiT3_lPKT2_lT1_lS5_lS6_lS2_lPT4_lS6_li.private_seg_size, 0
	.set _ZL32rocblas_gemvt_warp_reduce_kernelILb0ELi1024EifPKffEviiT3_lPKT2_lT1_lS5_lS6_lS2_lPT4_lS6_li.uses_vcc, 1
	.set _ZL32rocblas_gemvt_warp_reduce_kernelILb0ELi1024EifPKffEviiT3_lPKT2_lT1_lS5_lS6_lS2_lPT4_lS6_li.uses_flat_scratch, 0
	.set _ZL32rocblas_gemvt_warp_reduce_kernelILb0ELi1024EifPKffEviiT3_lPKT2_lT1_lS5_lS6_lS2_lPT4_lS6_li.has_dyn_sized_stack, 0
	.set _ZL32rocblas_gemvt_warp_reduce_kernelILb0ELi1024EifPKffEviiT3_lPKT2_lT1_lS5_lS6_lS2_lPT4_lS6_li.has_recursion, 0
	.set _ZL32rocblas_gemvt_warp_reduce_kernelILb0ELi1024EifPKffEviiT3_lPKT2_lT1_lS5_lS6_lS2_lPT4_lS6_li.has_indirect_call, 0
	.section	.AMDGPU.csdata,"",@progbits
; Kernel info:
; codeLenInByte = 1560
; TotalNumSgprs: 46
; NumVgprs: 22
; ScratchSize: 0
; MemoryBound: 0
; FloatMode: 240
; IeeeMode: 1
; LDSByteSize: 128 bytes/workgroup (compile time only)
; SGPRBlocks: 0
; VGPRBlocks: 2
; NumSGPRsForWavesPerEU: 46
; NumVGPRsForWavesPerEU: 22
; Occupancy: 16
; WaveLimiterHint : 0
; COMPUTE_PGM_RSRC2:SCRATCH_EN: 0
; COMPUTE_PGM_RSRC2:USER_SGPR: 2
; COMPUTE_PGM_RSRC2:TRAP_HANDLER: 0
; COMPUTE_PGM_RSRC2:TGID_X_EN: 1
; COMPUTE_PGM_RSRC2:TGID_Y_EN: 0
; COMPUTE_PGM_RSRC2:TGID_Z_EN: 1
; COMPUTE_PGM_RSRC2:TIDIG_COMP_CNT: 0
	.section	.text._ZL32rocblas_gemvt_warp_reduce_kernelILb0ELi1024ElfPKffEviiT3_lPKT2_lT1_lS5_lS6_lS2_lPT4_lS6_li,"axG",@progbits,_ZL32rocblas_gemvt_warp_reduce_kernelILb0ELi1024ElfPKffEviiT3_lPKT2_lT1_lS5_lS6_lS2_lPT4_lS6_li,comdat
	.globl	_ZL32rocblas_gemvt_warp_reduce_kernelILb0ELi1024ElfPKffEviiT3_lPKT2_lT1_lS5_lS6_lS2_lPT4_lS6_li ; -- Begin function _ZL32rocblas_gemvt_warp_reduce_kernelILb0ELi1024ElfPKffEviiT3_lPKT2_lT1_lS5_lS6_lS2_lPT4_lS6_li
	.p2align	8
	.type	_ZL32rocblas_gemvt_warp_reduce_kernelILb0ELi1024ElfPKffEviiT3_lPKT2_lT1_lS5_lS6_lS2_lPT4_lS6_li,@function
_ZL32rocblas_gemvt_warp_reduce_kernelILb0ELi1024ElfPKffEviiT3_lPKT2_lT1_lS5_lS6_lS2_lPT4_lS6_li: ; @_ZL32rocblas_gemvt_warp_reduce_kernelILb0ELi1024ElfPKffEviiT3_lPKT2_lT1_lS5_lS6_lS2_lPT4_lS6_li
; %bb.0:
	s_load_b32 s33, s[0:1], 0x88
	s_lshr_b32 s6, ttmp7, 16
	s_wait_kmcnt 0x0
	s_cmp_ge_u32 s6, s33
	s_cbranch_scc1 .LBB33_34
; %bb.1:
	s_clause 0x2
	s_load_b512 s[8:23], s[0:1], 0x8
	s_load_b512 s[36:51], s[0:1], 0x48
	s_load_b32 s28, s[0:1], 0x0
	s_mov_b32 s2, ttmp9
	s_ashr_i32 s3, ttmp9, 31
	v_mbcnt_lo_u32_b32 v16, -1, 0
	v_cmp_eq_u32_e64 s0, 0, v0
	s_mov_b32 s7, 0
	v_lshl_or_b32 v17, v16, 2, 64
	s_wait_kmcnt 0x0
	s_lshl_b64 s[4:5], s[22:23], 2
	s_lshl_b64 s[24:25], s[14:15], 2
	v_cmp_gt_i32_e32 vcc_lo, s28, v0
	s_ashr_i32 s1, s28, 31
	v_mad_co_u64_u32 v[1:2], null, s36, v0, 0
	s_lshr_b32 s1, s1, 22
	v_cndmask_b32_e32 v3, 0, v0, vcc_lo
	s_add_nc_u64 s[14:15], s[20:21], s[4:5]
	s_add_nc_u64 s[4:5], s[12:13], s[24:25]
	s_add_co_i32 s1, s28, s1
	s_lshl_b64 s[22:23], s[46:47], 2
	v_lshlrev_b32_e32 v7, 2, v3
	s_and_b32 s20, s1, 0xfffffc00
	s_mul_u64 s[26:27], s[48:49], s[2:3]
	s_mul_u64 s[2:3], s[16:17], s[2:3]
	v_or_b32_e32 v4, s20, v0
	v_add_co_u32 v3, s1, s4, v7
	s_delay_alu instid0(VALU_DEP_1)
	v_add_co_ci_u32_e64 v5, null, s5, 0, s1
	s_add_nc_u64 s[16:17], s[44:45], s[22:23]
	s_lshl_b64 s[22:23], s[2:3], 2
	v_mul_lo_u32 v8, s37, v4
	v_add_co_u32 v12, vcc_lo, v3, s22
	v_mad_co_u64_u32 v[2:3], null, s37, v0, v[2:3]
	s_wait_alu 0xfffd
	v_add_co_ci_u32_e64 v13, null, s23, v5, vcc_lo
	v_mad_co_u64_u32 v[5:6], null, s36, v4, 0
	v_and_b32_e32 v3, 31, v0
	v_cmp_gt_i32_e64 s2, s28, v4
	v_lshrrev_b32_e32 v4, 3, v0
	s_ashr_i32 s21, s20, 31
	v_dual_mov_b32 v11, 0 :: v_dual_lshlrev_b32 v14, 2, v3
	s_wait_alu 0xfffe
	s_mul_i32 s3, s36, s21
	v_cmp_eq_u32_e64 s4, 0, v3
	v_and_b32_e32 v15, 0x7c, v4
	v_lshlrev_b64_e32 v[3:4], 2, v[1:2]
	v_add3_u32 v6, v6, s3, v8
	s_add_nc_u64 s[22:23], s[22:23], s[24:25]
	v_cmp_gt_i32_e64 s1, s20, v0
	s_wait_alu 0xfffe
	s_add_nc_u64 s[12:13], s[12:13], s[22:23]
	v_cmp_gt_u32_e64 s3, 32, v0
	v_add_co_u32 v1, s5, s12, v7
	v_add_co_u32 v3, vcc_lo, s14, v3
	v_lshlrev_b64_e32 v[5:6], 2, v[5:6]
	s_wait_alu 0xf1ff
	v_add_co_ci_u32_e64 v2, null, s13, 0, s5
	s_wait_alu 0xfffd
	v_add_co_ci_u32_e64 v4, null, s15, v4, vcc_lo
	s_lshl_b64 s[12:13], s[18:19], 2
	s_lshl_b64 s[22:23], s[38:39], 2
	;; [unrolled: 1-line block ×5, first 2 shown]
	s_branch .LBB33_4
.LBB33_2:                               ;   in Loop: Header=BB33_4 Depth=1
	s_wait_alu 0xfffe
	s_or_b32 exec_lo, exec_lo, s5
.LBB33_3:                               ;   in Loop: Header=BB33_4 Depth=1
	s_add_co_i32 s6, s6, 0x10000
	s_wait_alu 0xfffe
	s_cmp_lt_u32 s6, s33
	s_cbranch_scc0 .LBB33_34
.LBB33_4:                               ; =>This Loop Header: Depth=1
                                        ;     Child Loop BB33_23 Depth 2
	s_mul_u64 s[30:31], s[10:11], s[6:7]
	s_mul_u64 s[34:35], s[42:43], s[6:7]
	s_lshl_b64 s[30:31], s[30:31], 2
	s_lshl_b64 s[34:35], s[34:35], 2
	s_add_nc_u64 s[30:31], s[8:9], s[30:31]
	s_add_nc_u64 s[34:35], s[40:41], s[34:35]
	s_clause 0x1
	global_load_b32 v18, v11, s[30:31]
	global_load_b32 v7, v11, s[34:35]
	s_wait_loadcnt 0x1
	v_cmp_eq_f32_e32 vcc_lo, 0, v18
	s_wait_loadcnt 0x0
	v_cmp_eq_f32_e64 s5, 1.0, v7
	v_readfirstlane_b32 s21, v7
	s_and_b32 s5, vcc_lo, s5
	s_wait_alu 0xfffe
	s_and_b32 vcc_lo, exec_lo, s5
	s_wait_alu 0xfffe
	s_cbranch_vccnz .LBB33_3
; %bb.5:                                ;   in Loop: Header=BB33_4 Depth=1
	v_cmp_neq_f32_e32 vcc_lo, 0, v18
	s_mul_u64 s[30:31], s[50:51], s[6:7]
	s_delay_alu instid0(SALU_CYCLE_1) | instskip(NEXT) | instid1(SALU_CYCLE_1)
	s_lshl_b64 s[30:31], s[30:31], 2
	s_add_nc_u64 s[30:31], s[16:17], s[30:31]
	s_cbranch_vccnz .LBB33_9
; %bb.6:                                ;   in Loop: Header=BB33_4 Depth=1
	s_mov_b32 s5, 0
	s_mov_b32 s34, 0
                                        ; implicit-def: $vgpr7
	s_and_saveexec_b32 s35, s0
	s_cbranch_execz .LBB33_10
; %bb.7:                                ;   in Loop: Header=BB33_4 Depth=1
	s_cmp_eq_f32 s21, 0
	s_cbranch_scc1 .LBB33_11
; %bb.8:                                ;   in Loop: Header=BB33_4 Depth=1
	s_add_nc_u64 s[36:37], s[30:31], s[26:27]
	global_load_b32 v7, v11, s[36:37]
	s_wait_loadcnt 0x0
	v_mul_f32_e32 v7, s21, v7
	s_branch .LBB33_12
.LBB33_9:                               ;   in Loop: Header=BB33_4 Depth=1
	s_mov_b32 s34, 0
                                        ; implicit-def: $vgpr7
	s_cbranch_execnz .LBB33_13
	s_branch .LBB33_32
.LBB33_10:                              ;   in Loop: Header=BB33_4 Depth=1
	s_or_b32 exec_lo, exec_lo, s35
	s_wait_alu 0xfffe
	s_and_b32 vcc_lo, exec_lo, s5
	s_wait_alu 0xfffe
	s_cbranch_vccnz .LBB33_13
	s_branch .LBB33_32
.LBB33_11:                              ;   in Loop: Header=BB33_4 Depth=1
	v_mov_b32_e32 v7, 0
.LBB33_12:                              ;   in Loop: Header=BB33_4 Depth=1
	s_mov_b32 s34, exec_lo
	s_or_b32 exec_lo, exec_lo, s35
	s_wait_alu 0xfffe
	s_and_b32 vcc_lo, exec_lo, s5
	s_wait_alu 0xfffe
	s_cbranch_vccz .LBB33_32
.LBB33_13:                              ;   in Loop: Header=BB33_4 Depth=1
	s_wait_dscnt 0x0
	v_mov_b32_e32 v19, 0
	s_and_saveexec_b32 s35, s1
	s_cbranch_execnz .LBB33_22
; %bb.14:                               ;   in Loop: Header=BB33_4 Depth=1
	s_or_b32 exec_lo, exec_lo, s35
	s_and_saveexec_b32 s5, s2
	s_cbranch_execnz .LBB33_25
.LBB33_15:                              ;   in Loop: Header=BB33_4 Depth=1
	s_wait_alu 0xfffe
	s_or_b32 exec_lo, exec_lo, s5
	s_and_saveexec_b32 s5, s3
.LBB33_16:                              ;   in Loop: Header=BB33_4 Depth=1
	ds_store_b32 v14, v11
.LBB33_17:                              ;   in Loop: Header=BB33_4 Depth=1
	s_wait_alu 0xfffe
	s_or_b32 exec_lo, exec_lo, s5
	ds_bpermute_b32 v8, v17, v19
	v_cmp_gt_u32_e32 vcc_lo, 24, v16
	s_wait_dscnt 0x0
	s_barrier_signal -1
	s_barrier_wait -1
	global_inv scope:SCOPE_SE
	s_wait_alu 0xfffd
	v_cndmask_b32_e64 v7, 0, 8, vcc_lo
	v_cmp_gt_u32_e32 vcc_lo, 28, v16
	s_delay_alu instid0(VALU_DEP_2)
	v_add_lshl_u32 v7, v7, v16, 2
	v_add_f32_e32 v9, v19, v8
	s_wait_alu 0xfffd
	v_cndmask_b32_e64 v8, 0, 4, vcc_lo
	v_cmp_gt_u32_e32 vcc_lo, 30, v16
	ds_bpermute_b32 v10, v7, v9
	v_add_lshl_u32 v8, v8, v16, 2
	s_wait_dscnt 0x0
	v_add_f32_e32 v10, v9, v10
	s_wait_alu 0xfffd
	v_cndmask_b32_e64 v9, 0, 2, vcc_lo
	v_cmp_ne_u32_e32 vcc_lo, 31, v16
	ds_bpermute_b32 v19, v8, v10
	v_add_lshl_u32 v9, v9, v16, 2
	s_wait_alu 0xfffd
	v_add_co_ci_u32_e64 v20, null, 0, v16, vcc_lo
	s_wait_dscnt 0x0
	v_add_f32_e32 v10, v10, v19
	ds_bpermute_b32 v19, v9, v10
	s_wait_dscnt 0x0
	v_dual_add_f32 v19, v10, v19 :: v_dual_lshlrev_b32 v10, 2, v20
	ds_bpermute_b32 v20, v10, v19
	s_and_saveexec_b32 s5, s4
	s_cbranch_execz .LBB33_19
; %bb.18:                               ;   in Loop: Header=BB33_4 Depth=1
	s_wait_dscnt 0x0
	v_add_f32_e32 v19, v19, v20
	ds_store_b32 v15, v19
.LBB33_19:                              ;   in Loop: Header=BB33_4 Depth=1
	s_wait_alu 0xfffe
	s_or_b32 exec_lo, exec_lo, s5
	v_mov_b32_e32 v19, 0
	s_wait_loadcnt_dscnt 0x0
	s_barrier_signal -1
	s_barrier_wait -1
	global_inv scope:SCOPE_SE
	s_and_saveexec_b32 s5, s3
	s_cbranch_execnz .LBB33_26
; %bb.20:                               ;   in Loop: Header=BB33_4 Depth=1
	s_wait_alu 0xfffe
	s_or_b32 exec_lo, exec_lo, s5
	s_and_saveexec_b32 s5, s3
	s_cbranch_execnz .LBB33_27
.LBB33_21:                              ;   in Loop: Header=BB33_4 Depth=1
	s_wait_alu 0xfffe
	s_or_b32 exec_lo, exec_lo, s5
                                        ; implicit-def: $vgpr7
	s_and_saveexec_b32 s5, s0
	s_cbranch_execnz .LBB33_28
	s_branch .LBB33_31
.LBB33_22:                              ;   in Loop: Header=BB33_4 Depth=1
	v_mad_co_u64_u32 v[7:8], null, s12, s6, v[1:2]
	v_mad_co_u64_u32 v[9:10], null, s22, s6, v[3:4]
	s_mov_b32 s36, 0
	v_mad_co_u64_u32 v[20:21], null, s13, s6, v[8:9]
	v_mad_co_u64_u32 v[21:22], null, s23, s6, v[10:11]
	s_delay_alu instid0(VALU_DEP_2) | instskip(SKIP_1) | instid1(VALU_DEP_3)
	v_dual_mov_b32 v19, 0 :: v_dual_mov_b32 v8, v20
	v_mov_b32_e32 v20, v0
	v_mov_b32_e32 v10, v21
.LBB33_23:                              ;   Parent Loop BB33_4 Depth=1
                                        ; =>  This Inner Loop Header: Depth=2
	global_load_b32 v21, v[7:8], off
	global_load_b32 v22, v[9:10], off
	v_add_nc_u32_e32 v20, 0x400, v20
	v_add_co_u32 v7, vcc_lo, 0x1000, v7
	s_wait_alu 0xfffd
	v_add_co_ci_u32_e64 v8, null, 0, v8, vcc_lo
	v_add_co_u32 v9, vcc_lo, v9, s24
	s_wait_alu 0xfffd
	v_add_co_ci_u32_e64 v10, null, s25, v10, vcc_lo
	s_wait_loadcnt 0x0
	v_fmac_f32_e32 v19, v21, v22
	v_cmp_le_i32_e64 s5, s20, v20
	s_wait_alu 0xfffe
	s_or_b32 s36, s5, s36
	s_wait_alu 0xfffe
	s_and_not1_b32 exec_lo, exec_lo, s36
	s_cbranch_execnz .LBB33_23
; %bb.24:                               ;   in Loop: Header=BB33_4 Depth=1
	s_or_b32 exec_lo, exec_lo, s36
	s_delay_alu instid0(SALU_CYCLE_1)
	s_or_b32 exec_lo, exec_lo, s35
	s_and_saveexec_b32 s5, s2
	s_cbranch_execz .LBB33_15
.LBB33_25:                              ;   in Loop: Header=BB33_4 Depth=1
	s_mul_u64 s[36:37], s[18:19], s[6:7]
	s_mul_u64 s[44:45], s[38:39], s[6:7]
	s_wait_alu 0xfffe
	s_lshl_b64 s[36:37], s[36:37], 2
	s_lshl_b64 s[44:45], s[44:45], 2
	s_wait_alu 0xfffe
	v_add_co_u32 v7, vcc_lo, v12, s36
	s_wait_alu 0xfffd
	v_add_co_ci_u32_e64 v8, null, s37, v13, vcc_lo
	s_add_nc_u64 s[36:37], s[14:15], s[44:45]
	v_add_co_u32 v7, vcc_lo, v7, s28
	s_wait_alu 0xfffd
	v_add_co_ci_u32_e64 v8, null, s29, v8, vcc_lo
	s_wait_alu 0xfffe
	v_add_co_u32 v9, vcc_lo, s36, v5
	s_wait_alu 0xfffd
	v_add_co_ci_u32_e64 v10, null, s37, v6, vcc_lo
	global_load_b32 v7, v[7:8], off
	global_load_b32 v8, v[9:10], off
	s_wait_loadcnt 0x0
	v_fmac_f32_e32 v19, v7, v8
	s_or_b32 exec_lo, exec_lo, s5
	s_and_saveexec_b32 s5, s3
	s_cbranch_execnz .LBB33_16
	s_branch .LBB33_17
.LBB33_26:                              ;   in Loop: Header=BB33_4 Depth=1
	ds_load_b32 v19, v14
	s_wait_alu 0xfffe
	s_or_b32 exec_lo, exec_lo, s5
	s_and_saveexec_b32 s5, s3
	s_cbranch_execz .LBB33_21
.LBB33_27:                              ;   in Loop: Header=BB33_4 Depth=1
	s_wait_dscnt 0x0
	ds_bpermute_b32 v20, v17, v19
	s_wait_dscnt 0x0
	v_add_f32_e32 v19, v19, v20
	ds_bpermute_b32 v7, v7, v19
	s_wait_dscnt 0x0
	v_add_f32_e32 v7, v19, v7
	;; [unrolled: 3-line block ×5, first 2 shown]
	s_wait_alu 0xfffe
	s_or_b32 exec_lo, exec_lo, s5
                                        ; implicit-def: $vgpr7
	s_and_saveexec_b32 s5, s0
	s_cbranch_execz .LBB33_31
.LBB33_28:                              ;   in Loop: Header=BB33_4 Depth=1
	s_wait_dscnt 0x0
	v_mul_f32_e32 v7, v18, v19
	s_cmp_eq_f32 s21, 0
	s_cbranch_scc1 .LBB33_30
; %bb.29:                               ;   in Loop: Header=BB33_4 Depth=1
	s_add_nc_u64 s[36:37], s[30:31], s[26:27]
	global_load_b32 v8, v11, s[36:37]
	s_wait_loadcnt 0x0
	v_fmac_f32_e32 v7, s21, v8
.LBB33_30:                              ;   in Loop: Header=BB33_4 Depth=1
	s_or_b32 s34, s34, exec_lo
.LBB33_31:                              ;   in Loop: Header=BB33_4 Depth=1
	s_wait_alu 0xfffe
	s_or_b32 exec_lo, exec_lo, s5
.LBB33_32:                              ;   in Loop: Header=BB33_4 Depth=1
	s_and_saveexec_b32 s5, s34
	s_cbranch_execz .LBB33_2
; %bb.33:                               ;   in Loop: Header=BB33_4 Depth=1
	s_add_nc_u64 s[30:31], s[30:31], s[26:27]
	global_store_b32 v11, v7, s[30:31]
	s_branch .LBB33_2
.LBB33_34:
	s_endpgm
	.section	.rodata,"a",@progbits
	.p2align	6, 0x0
	.amdhsa_kernel _ZL32rocblas_gemvt_warp_reduce_kernelILb0ELi1024ElfPKffEviiT3_lPKT2_lT1_lS5_lS6_lS2_lPT4_lS6_li
		.amdhsa_group_segment_fixed_size 128
		.amdhsa_private_segment_fixed_size 0
		.amdhsa_kernarg_size 140
		.amdhsa_user_sgpr_count 2
		.amdhsa_user_sgpr_dispatch_ptr 0
		.amdhsa_user_sgpr_queue_ptr 0
		.amdhsa_user_sgpr_kernarg_segment_ptr 1
		.amdhsa_user_sgpr_dispatch_id 0
		.amdhsa_user_sgpr_private_segment_size 0
		.amdhsa_wavefront_size32 1
		.amdhsa_uses_dynamic_stack 0
		.amdhsa_enable_private_segment 0
		.amdhsa_system_sgpr_workgroup_id_x 1
		.amdhsa_system_sgpr_workgroup_id_y 0
		.amdhsa_system_sgpr_workgroup_id_z 1
		.amdhsa_system_sgpr_workgroup_info 0
		.amdhsa_system_vgpr_workitem_id 0
		.amdhsa_next_free_vgpr 23
		.amdhsa_next_free_sgpr 52
		.amdhsa_reserve_vcc 1
		.amdhsa_float_round_mode_32 0
		.amdhsa_float_round_mode_16_64 0
		.amdhsa_float_denorm_mode_32 3
		.amdhsa_float_denorm_mode_16_64 3
		.amdhsa_fp16_overflow 0
		.amdhsa_workgroup_processor_mode 1
		.amdhsa_memory_ordered 1
		.amdhsa_forward_progress 1
		.amdhsa_inst_pref_size 13
		.amdhsa_round_robin_scheduling 0
		.amdhsa_exception_fp_ieee_invalid_op 0
		.amdhsa_exception_fp_denorm_src 0
		.amdhsa_exception_fp_ieee_div_zero 0
		.amdhsa_exception_fp_ieee_overflow 0
		.amdhsa_exception_fp_ieee_underflow 0
		.amdhsa_exception_fp_ieee_inexact 0
		.amdhsa_exception_int_div_zero 0
	.end_amdhsa_kernel
	.section	.text._ZL32rocblas_gemvt_warp_reduce_kernelILb0ELi1024ElfPKffEviiT3_lPKT2_lT1_lS5_lS6_lS2_lPT4_lS6_li,"axG",@progbits,_ZL32rocblas_gemvt_warp_reduce_kernelILb0ELi1024ElfPKffEviiT3_lPKT2_lT1_lS5_lS6_lS2_lPT4_lS6_li,comdat
.Lfunc_end33:
	.size	_ZL32rocblas_gemvt_warp_reduce_kernelILb0ELi1024ElfPKffEviiT3_lPKT2_lT1_lS5_lS6_lS2_lPT4_lS6_li, .Lfunc_end33-_ZL32rocblas_gemvt_warp_reduce_kernelILb0ELi1024ElfPKffEviiT3_lPKT2_lT1_lS5_lS6_lS2_lPT4_lS6_li
                                        ; -- End function
	.set _ZL32rocblas_gemvt_warp_reduce_kernelILb0ELi1024ElfPKffEviiT3_lPKT2_lT1_lS5_lS6_lS2_lPT4_lS6_li.num_vgpr, 23
	.set _ZL32rocblas_gemvt_warp_reduce_kernelILb0ELi1024ElfPKffEviiT3_lPKT2_lT1_lS5_lS6_lS2_lPT4_lS6_li.num_agpr, 0
	.set _ZL32rocblas_gemvt_warp_reduce_kernelILb0ELi1024ElfPKffEviiT3_lPKT2_lT1_lS5_lS6_lS2_lPT4_lS6_li.numbered_sgpr, 52
	.set _ZL32rocblas_gemvt_warp_reduce_kernelILb0ELi1024ElfPKffEviiT3_lPKT2_lT1_lS5_lS6_lS2_lPT4_lS6_li.num_named_barrier, 0
	.set _ZL32rocblas_gemvt_warp_reduce_kernelILb0ELi1024ElfPKffEviiT3_lPKT2_lT1_lS5_lS6_lS2_lPT4_lS6_li.private_seg_size, 0
	.set _ZL32rocblas_gemvt_warp_reduce_kernelILb0ELi1024ElfPKffEviiT3_lPKT2_lT1_lS5_lS6_lS2_lPT4_lS6_li.uses_vcc, 1
	.set _ZL32rocblas_gemvt_warp_reduce_kernelILb0ELi1024ElfPKffEviiT3_lPKT2_lT1_lS5_lS6_lS2_lPT4_lS6_li.uses_flat_scratch, 0
	.set _ZL32rocblas_gemvt_warp_reduce_kernelILb0ELi1024ElfPKffEviiT3_lPKT2_lT1_lS5_lS6_lS2_lPT4_lS6_li.has_dyn_sized_stack, 0
	.set _ZL32rocblas_gemvt_warp_reduce_kernelILb0ELi1024ElfPKffEviiT3_lPKT2_lT1_lS5_lS6_lS2_lPT4_lS6_li.has_recursion, 0
	.set _ZL32rocblas_gemvt_warp_reduce_kernelILb0ELi1024ElfPKffEviiT3_lPKT2_lT1_lS5_lS6_lS2_lPT4_lS6_li.has_indirect_call, 0
	.section	.AMDGPU.csdata,"",@progbits
; Kernel info:
; codeLenInByte = 1544
; TotalNumSgprs: 54
; NumVgprs: 23
; ScratchSize: 0
; MemoryBound: 0
; FloatMode: 240
; IeeeMode: 1
; LDSByteSize: 128 bytes/workgroup (compile time only)
; SGPRBlocks: 0
; VGPRBlocks: 2
; NumSGPRsForWavesPerEU: 54
; NumVGPRsForWavesPerEU: 23
; Occupancy: 16
; WaveLimiterHint : 0
; COMPUTE_PGM_RSRC2:SCRATCH_EN: 0
; COMPUTE_PGM_RSRC2:USER_SGPR: 2
; COMPUTE_PGM_RSRC2:TRAP_HANDLER: 0
; COMPUTE_PGM_RSRC2:TGID_X_EN: 1
; COMPUTE_PGM_RSRC2:TGID_Y_EN: 0
; COMPUTE_PGM_RSRC2:TGID_Z_EN: 1
; COMPUTE_PGM_RSRC2:TIDIG_COMP_CNT: 0
	.section	.text._ZL32rocblas_gemvt_warp_reduce_kernelILb0ELi1024EifffEviiT3_lPKT2_lT1_lS3_lS4_lS0_lPT4_lS4_li,"axG",@progbits,_ZL32rocblas_gemvt_warp_reduce_kernelILb0ELi1024EifffEviiT3_lPKT2_lT1_lS3_lS4_lS0_lPT4_lS4_li,comdat
	.globl	_ZL32rocblas_gemvt_warp_reduce_kernelILb0ELi1024EifffEviiT3_lPKT2_lT1_lS3_lS4_lS0_lPT4_lS4_li ; -- Begin function _ZL32rocblas_gemvt_warp_reduce_kernelILb0ELi1024EifffEviiT3_lPKT2_lT1_lS3_lS4_lS0_lPT4_lS4_li
	.p2align	8
	.type	_ZL32rocblas_gemvt_warp_reduce_kernelILb0ELi1024EifffEviiT3_lPKT2_lT1_lS3_lS4_lS0_lPT4_lS4_li,@function
_ZL32rocblas_gemvt_warp_reduce_kernelILb0ELi1024EifffEviiT3_lPKT2_lT1_lS3_lS4_lS0_lPT4_lS4_li: ; @_ZL32rocblas_gemvt_warp_reduce_kernelILb0ELi1024EifffEviiT3_lPKT2_lT1_lS3_lS4_lS0_lPT4_lS4_li
; %bb.0:
	s_load_b32 s19, s[0:1], 0x88
	s_lshr_b32 s24, ttmp7, 16
	s_wait_kmcnt 0x0
	s_cmp_ge_u32 s24, s19
	s_cbranch_scc1 .LBB34_34
; %bb.1:
	s_clause 0x9
	s_load_b96 s[20:22], s[0:1], 0x40
	s_load_b128 s[4:7], s[0:1], 0x68
	s_load_b128 s[12:15], s[0:1], 0x18
	s_load_b32 s33, s[0:1], 0x8
	s_load_b96 s[16:18], s[0:1], 0x50
	s_load_b128 s[8:11], s[0:1], 0x30
	s_load_b32 s23, s[0:1], 0x0
	s_load_b32 s3, s[0:1], 0x28
	;; [unrolled: 1-line block ×3, first 2 shown]
	s_load_b64 s[26:27], s[0:1], 0x80
	v_and_b32_e32 v1, 31, v0
	v_lshrrev_b32_e32 v2, 3, v0
	v_mov_b32_e32 v9, 0
	v_mbcnt_lo_u32_b32 v15, -1, 0
	v_cmp_eq_u32_e64 s0, 0, v0
	v_lshlrev_b32_e32 v10, 2, v1
	v_cmp_eq_u32_e64 s2, 0, v1
	v_and_b32_e32 v11, 0x7c, v2
	v_cmp_gt_u32_e64 s1, 32, v0
	v_lshl_or_b32 v16, v15, 2, 64
	s_wait_kmcnt 0x0
	s_lshl_b64 s[20:21], s[20:21], 2
	s_lshl_b64 s[28:29], s[6:7], 2
	;; [unrolled: 1-line block ×3, first 2 shown]
	s_cmp_eq_f32 s33, 0
	v_mul_lo_u32 v12, v0, s22
	s_mov_b32 s25, 0
	v_cmp_gt_i32_e32 vcc_lo, s23, v0
	s_cselect_b32 s34, -1, 0
	s_cmp_neq_f32 s33, 0
	s_mul_i32 s38, s35, ttmp9
	s_mul_i32 s40, s3, ttmp9
	v_cndmask_b32_e32 v1, 0, v0, vcc_lo
	s_cselect_b32 s6, -1, 0
	s_cmp_neq_f32 s18, 1.0
	s_delay_alu instid0(VALU_DEP_1) | instskip(SKIP_1) | instid1(SALU_CYCLE_1)
	v_lshlrev_b32_e32 v1, 2, v1
	s_cselect_b32 s7, -1, 0
	s_or_b32 s35, s6, s7
	s_cmp_neq_f32 s18, 0
	s_add_nc_u64 s[6:7], s[10:11], s[20:21]
	s_add_nc_u64 s[10:11], s[4:5], s[28:29]
	;; [unrolled: 1-line block ×3, first 2 shown]
	s_cselect_b32 s36, -1, 0
	s_ashr_i32 s3, s23, 31
	s_ashr_i32 s41, s40, 31
	s_lshr_b32 s3, s3, 22
	s_ashr_i32 s39, s38, 31
	s_add_co_i32 s3, s23, s3
	s_lshl_b32 s37, s22, 10
	s_and_b32 s14, s3, 0xfffffc00
	v_add_co_u32 v4, s3, s4, v1
	v_or_b32_e32 v2, s14, v0
	v_add_co_ci_u32_e64 v5, null, s5, 0, s3
	s_lshl_b64 s[4:5], s[40:41], 2
	v_cmp_gt_i32_e64 s3, s14, v0
	v_mul_lo_u32 v3, s22, v2
	s_wait_alu 0xfffe
	v_add_co_u32 v13, vcc_lo, v4, s4
	s_add_nc_u64 s[20:21], s[30:31], s[4:5]
	s_wait_alu 0xfffd
	v_add_co_ci_u32_e64 v14, null, s5, v5, vcc_lo
	s_add_nc_u64 s[12:13], s[12:13], s[20:21]
	v_cmp_gt_i32_e64 s4, s23, v2
	v_ashrrev_i32_e32 v4, 31, v3
	v_add_co_u32 v1, s5, s12, v1
	s_wait_alu 0xf1ff
	v_add_co_ci_u32_e64 v2, null, s13, 0, s5
	s_delay_alu instid0(VALU_DEP_3)
	v_lshlrev_b64_e32 v[3:4], 2, v[3:4]
	s_ashr_i32 s15, s14, 31
	s_lshl_b64 s[12:13], s[8:9], 2
	s_lshl_b64 s[20:21], s[38:39], 2
	s_wait_alu 0xfffe
	s_lshl_b64 s[22:23], s[14:15], 2
	s_branch .LBB34_4
.LBB34_2:                               ;   in Loop: Header=BB34_4 Depth=1
	s_wait_alu 0xfffe
	s_or_b32 exec_lo, exec_lo, s5
.LBB34_3:                               ;   in Loop: Header=BB34_4 Depth=1
	s_add_co_i32 s24, s24, 0x10000
	s_wait_alu 0xfffe
	s_cmp_lt_u32 s24, s19
	s_cbranch_scc0 .LBB34_34
.LBB34_4:                               ; =>This Loop Header: Depth=1
                                        ;     Child Loop BB34_23 Depth 2
	s_and_not1_b32 vcc_lo, exec_lo, s35
	s_wait_alu 0xfffe
	s_cbranch_vccnz .LBB34_3
; %bb.5:                                ;   in Loop: Header=BB34_4 Depth=1
	s_mul_u64 s[28:29], s[26:27], s[24:25]
	s_and_not1_b32 vcc_lo, exec_lo, s34
	s_lshl_b64 s[28:29], s[28:29], 2
	s_delay_alu instid0(SALU_CYCLE_1)
	s_add_nc_u64 s[28:29], s[10:11], s[28:29]
	s_wait_alu 0xfffe
	s_cbranch_vccnz .LBB34_9
; %bb.6:                                ;   in Loop: Header=BB34_4 Depth=1
	s_mov_b32 s5, 0
	s_mov_b32 s15, 0
                                        ; implicit-def: $vgpr5
	s_and_saveexec_b32 s30, s0
	s_cbranch_execz .LBB34_10
; %bb.7:                                ;   in Loop: Header=BB34_4 Depth=1
	s_and_not1_b32 vcc_lo, exec_lo, s36
	s_wait_alu 0xfffe
	s_cbranch_vccnz .LBB34_11
; %bb.8:                                ;   in Loop: Header=BB34_4 Depth=1
	s_add_nc_u64 s[38:39], s[28:29], s[20:21]
	global_load_b32 v5, v9, s[38:39]
	s_wait_loadcnt 0x0
	v_mul_f32_e32 v5, s18, v5
	s_branch .LBB34_12
.LBB34_9:                               ;   in Loop: Header=BB34_4 Depth=1
	s_mov_b32 s15, 0
                                        ; implicit-def: $vgpr5
	s_cbranch_execnz .LBB34_13
	s_branch .LBB34_32
.LBB34_10:                              ;   in Loop: Header=BB34_4 Depth=1
	s_wait_alu 0xfffe
	s_or_b32 exec_lo, exec_lo, s30
	s_delay_alu instid0(SALU_CYCLE_1)
	s_and_b32 vcc_lo, exec_lo, s5
	s_wait_alu 0xfffe
	s_cbranch_vccnz .LBB34_13
	s_branch .LBB34_32
.LBB34_11:                              ;   in Loop: Header=BB34_4 Depth=1
	v_mov_b32_e32 v5, 0
.LBB34_12:                              ;   in Loop: Header=BB34_4 Depth=1
	s_mov_b32 s15, exec_lo
	s_or_b32 exec_lo, exec_lo, s30
	s_delay_alu instid0(SALU_CYCLE_1)
	s_and_b32 vcc_lo, exec_lo, s5
	s_wait_alu 0xfffe
	s_cbranch_vccz .LBB34_32
.LBB34_13:                              ;   in Loop: Header=BB34_4 Depth=1
	s_mul_u64 s[30:31], s[16:17], s[24:25]
	s_wait_dscnt 0x0
	v_mov_b32_e32 v17, 0
	s_wait_alu 0xfffe
	s_lshl_b64 s[30:31], s[30:31], 2
	s_wait_alu 0xfffe
	s_add_nc_u64 s[30:31], s[6:7], s[30:31]
	s_and_saveexec_b32 s38, s3
	s_cbranch_execnz .LBB34_22
; %bb.14:                               ;   in Loop: Header=BB34_4 Depth=1
	s_wait_alu 0xfffe
	s_or_b32 exec_lo, exec_lo, s38
	s_and_saveexec_b32 s5, s4
	s_cbranch_execnz .LBB34_25
.LBB34_15:                              ;   in Loop: Header=BB34_4 Depth=1
	s_wait_alu 0xfffe
	s_or_b32 exec_lo, exec_lo, s5
	s_and_saveexec_b32 s5, s1
.LBB34_16:                              ;   in Loop: Header=BB34_4 Depth=1
	ds_store_b32 v10, v9
.LBB34_17:                              ;   in Loop: Header=BB34_4 Depth=1
	s_wait_alu 0xfffe
	s_or_b32 exec_lo, exec_lo, s5
	ds_bpermute_b32 v6, v16, v17
	v_cmp_gt_u32_e32 vcc_lo, 24, v15
	s_wait_dscnt 0x0
	s_barrier_signal -1
	s_barrier_wait -1
	global_inv scope:SCOPE_SE
	s_wait_alu 0xfffd
	v_cndmask_b32_e64 v5, 0, 8, vcc_lo
	v_cmp_gt_u32_e32 vcc_lo, 28, v15
	s_delay_alu instid0(VALU_DEP_2)
	v_add_lshl_u32 v5, v5, v15, 2
	v_add_f32_e32 v7, v17, v6
	s_wait_alu 0xfffd
	v_cndmask_b32_e64 v6, 0, 4, vcc_lo
	v_cmp_gt_u32_e32 vcc_lo, 30, v15
	ds_bpermute_b32 v8, v5, v7
	v_add_lshl_u32 v6, v6, v15, 2
	s_wait_dscnt 0x0
	v_add_f32_e32 v8, v7, v8
	s_wait_alu 0xfffd
	v_cndmask_b32_e64 v7, 0, 2, vcc_lo
	v_cmp_ne_u32_e32 vcc_lo, 31, v15
	ds_bpermute_b32 v17, v6, v8
	v_add_lshl_u32 v7, v7, v15, 2
	s_wait_alu 0xfffd
	v_add_co_ci_u32_e64 v18, null, 0, v15, vcc_lo
	s_wait_dscnt 0x0
	v_add_f32_e32 v8, v8, v17
	ds_bpermute_b32 v17, v7, v8
	s_wait_dscnt 0x0
	v_dual_add_f32 v17, v8, v17 :: v_dual_lshlrev_b32 v8, 2, v18
	ds_bpermute_b32 v18, v8, v17
	s_and_saveexec_b32 s5, s2
	s_cbranch_execz .LBB34_19
; %bb.18:                               ;   in Loop: Header=BB34_4 Depth=1
	s_wait_dscnt 0x0
	v_add_f32_e32 v17, v17, v18
	ds_store_b32 v11, v17
.LBB34_19:                              ;   in Loop: Header=BB34_4 Depth=1
	s_wait_alu 0xfffe
	s_or_b32 exec_lo, exec_lo, s5
	v_mov_b32_e32 v17, 0
	s_wait_loadcnt_dscnt 0x0
	s_barrier_signal -1
	s_barrier_wait -1
	global_inv scope:SCOPE_SE
	s_and_saveexec_b32 s5, s1
	s_cbranch_execnz .LBB34_26
; %bb.20:                               ;   in Loop: Header=BB34_4 Depth=1
	s_wait_alu 0xfffe
	s_or_b32 exec_lo, exec_lo, s5
	s_and_saveexec_b32 s5, s1
	s_cbranch_execnz .LBB34_27
.LBB34_21:                              ;   in Loop: Header=BB34_4 Depth=1
	s_wait_alu 0xfffe
	s_or_b32 exec_lo, exec_lo, s5
                                        ; implicit-def: $vgpr5
	s_and_saveexec_b32 s5, s0
	s_cbranch_execnz .LBB34_28
	s_branch .LBB34_31
.LBB34_22:                              ;   in Loop: Header=BB34_4 Depth=1
	v_mad_co_u64_u32 v[5:6], null, s12, s24, v[1:2]
	v_dual_mov_b32 v17, 0 :: v_dual_mov_b32 v18, v0
	s_mov_b32 s39, 0
	s_delay_alu instid0(VALU_DEP_2)
	v_mad_co_u64_u32 v[6:7], null, s13, s24, v[6:7]
	v_mov_b32_e32 v7, v12
.LBB34_23:                              ;   Parent Loop BB34_4 Depth=1
                                        ; =>  This Inner Loop Header: Depth=2
	s_delay_alu instid0(VALU_DEP_1) | instskip(NEXT) | instid1(VALU_DEP_1)
	v_ashrrev_i32_e32 v8, 31, v7
	v_lshlrev_b64_e32 v[19:20], 2, v[7:8]
	v_add_nc_u32_e32 v7, s37, v7
	s_wait_alu 0xfffe
	s_delay_alu instid0(VALU_DEP_2) | instskip(SKIP_1) | instid1(VALU_DEP_3)
	v_add_co_u32 v19, vcc_lo, s30, v19
	s_wait_alu 0xfffd
	v_add_co_ci_u32_e64 v20, null, s31, v20, vcc_lo
	global_load_b32 v8, v[5:6], off
	global_load_b32 v19, v[19:20], off
	v_add_nc_u32_e32 v18, 0x400, v18
	v_add_co_u32 v5, vcc_lo, 0x1000, v5
	s_wait_alu 0xfffd
	v_add_co_ci_u32_e64 v6, null, 0, v6, vcc_lo
	s_wait_loadcnt 0x0
	v_fmac_f32_e32 v17, v8, v19
	v_cmp_le_i32_e64 s5, s14, v18
	s_or_b32 s39, s5, s39
	s_wait_alu 0xfffe
	s_and_not1_b32 exec_lo, exec_lo, s39
	s_cbranch_execnz .LBB34_23
; %bb.24:                               ;   in Loop: Header=BB34_4 Depth=1
	s_or_b32 exec_lo, exec_lo, s39
	s_delay_alu instid0(SALU_CYCLE_1)
	s_or_b32 exec_lo, exec_lo, s38
	s_and_saveexec_b32 s5, s4
	s_cbranch_execz .LBB34_15
.LBB34_25:                              ;   in Loop: Header=BB34_4 Depth=1
	s_mul_u64 s[38:39], s[8:9], s[24:25]
	s_wait_alu 0xfffe
	s_lshl_b64 s[38:39], s[38:39], 2
	s_wait_alu 0xfffe
	v_add_co_u32 v5, vcc_lo, v13, s38
	s_wait_alu 0xfffd
	v_add_co_ci_u32_e64 v6, null, s39, v14, vcc_lo
	s_delay_alu instid0(VALU_DEP_2) | instskip(SKIP_1) | instid1(VALU_DEP_2)
	v_add_co_u32 v5, vcc_lo, v5, s22
	s_wait_alu 0xfffd
	v_add_co_ci_u32_e64 v6, null, s23, v6, vcc_lo
	v_add_co_u32 v7, vcc_lo, s30, v3
	s_wait_alu 0xfffd
	v_add_co_ci_u32_e64 v8, null, s31, v4, vcc_lo
	global_load_b32 v5, v[5:6], off
	global_load_b32 v6, v[7:8], off
	s_wait_loadcnt 0x0
	v_fmac_f32_e32 v17, v5, v6
	s_or_b32 exec_lo, exec_lo, s5
	s_and_saveexec_b32 s5, s1
	s_cbranch_execnz .LBB34_16
	s_branch .LBB34_17
.LBB34_26:                              ;   in Loop: Header=BB34_4 Depth=1
	ds_load_b32 v17, v10
	s_wait_alu 0xfffe
	s_or_b32 exec_lo, exec_lo, s5
	s_and_saveexec_b32 s5, s1
	s_cbranch_execz .LBB34_21
.LBB34_27:                              ;   in Loop: Header=BB34_4 Depth=1
	s_wait_dscnt 0x0
	ds_bpermute_b32 v18, v16, v17
	s_wait_dscnt 0x0
	v_add_f32_e32 v17, v17, v18
	ds_bpermute_b32 v5, v5, v17
	s_wait_dscnt 0x0
	v_add_f32_e32 v5, v17, v5
	;; [unrolled: 3-line block ×5, first 2 shown]
	s_wait_alu 0xfffe
	s_or_b32 exec_lo, exec_lo, s5
                                        ; implicit-def: $vgpr5
	s_and_saveexec_b32 s5, s0
	s_cbranch_execz .LBB34_31
.LBB34_28:                              ;   in Loop: Header=BB34_4 Depth=1
	s_wait_dscnt 0x0
	v_mul_f32_e32 v5, s33, v17
	s_and_not1_b32 vcc_lo, exec_lo, s36
	s_wait_alu 0xfffe
	s_cbranch_vccnz .LBB34_30
; %bb.29:                               ;   in Loop: Header=BB34_4 Depth=1
	s_add_nc_u64 s[30:31], s[28:29], s[20:21]
	global_load_b32 v6, v9, s[30:31]
	s_wait_loadcnt 0x0
	v_fmac_f32_e32 v5, s18, v6
.LBB34_30:                              ;   in Loop: Header=BB34_4 Depth=1
	s_or_b32 s15, s15, exec_lo
.LBB34_31:                              ;   in Loop: Header=BB34_4 Depth=1
	s_wait_alu 0xfffe
	s_or_b32 exec_lo, exec_lo, s5
.LBB34_32:                              ;   in Loop: Header=BB34_4 Depth=1
	s_wait_alu 0xfffe
	s_and_saveexec_b32 s5, s15
	s_cbranch_execz .LBB34_2
; %bb.33:                               ;   in Loop: Header=BB34_4 Depth=1
	s_add_nc_u64 s[28:29], s[28:29], s[20:21]
	global_store_b32 v9, v5, s[28:29]
	s_branch .LBB34_2
.LBB34_34:
	s_endpgm
	.section	.rodata,"a",@progbits
	.p2align	6, 0x0
	.amdhsa_kernel _ZL32rocblas_gemvt_warp_reduce_kernelILb0ELi1024EifffEviiT3_lPKT2_lT1_lS3_lS4_lS0_lPT4_lS4_li
		.amdhsa_group_segment_fixed_size 128
		.amdhsa_private_segment_fixed_size 0
		.amdhsa_kernarg_size 140
		.amdhsa_user_sgpr_count 2
		.amdhsa_user_sgpr_dispatch_ptr 0
		.amdhsa_user_sgpr_queue_ptr 0
		.amdhsa_user_sgpr_kernarg_segment_ptr 1
		.amdhsa_user_sgpr_dispatch_id 0
		.amdhsa_user_sgpr_private_segment_size 0
		.amdhsa_wavefront_size32 1
		.amdhsa_uses_dynamic_stack 0
		.amdhsa_enable_private_segment 0
		.amdhsa_system_sgpr_workgroup_id_x 1
		.amdhsa_system_sgpr_workgroup_id_y 0
		.amdhsa_system_sgpr_workgroup_id_z 1
		.amdhsa_system_sgpr_workgroup_info 0
		.amdhsa_system_vgpr_workitem_id 0
		.amdhsa_next_free_vgpr 21
		.amdhsa_next_free_sgpr 42
		.amdhsa_reserve_vcc 1
		.amdhsa_float_round_mode_32 0
		.amdhsa_float_round_mode_16_64 0
		.amdhsa_float_denorm_mode_32 3
		.amdhsa_float_denorm_mode_16_64 3
		.amdhsa_fp16_overflow 0
		.amdhsa_workgroup_processor_mode 1
		.amdhsa_memory_ordered 1
		.amdhsa_forward_progress 1
		.amdhsa_inst_pref_size 12
		.amdhsa_round_robin_scheduling 0
		.amdhsa_exception_fp_ieee_invalid_op 0
		.amdhsa_exception_fp_denorm_src 0
		.amdhsa_exception_fp_ieee_div_zero 0
		.amdhsa_exception_fp_ieee_overflow 0
		.amdhsa_exception_fp_ieee_underflow 0
		.amdhsa_exception_fp_ieee_inexact 0
		.amdhsa_exception_int_div_zero 0
	.end_amdhsa_kernel
	.section	.text._ZL32rocblas_gemvt_warp_reduce_kernelILb0ELi1024EifffEviiT3_lPKT2_lT1_lS3_lS4_lS0_lPT4_lS4_li,"axG",@progbits,_ZL32rocblas_gemvt_warp_reduce_kernelILb0ELi1024EifffEviiT3_lPKT2_lT1_lS3_lS4_lS0_lPT4_lS4_li,comdat
.Lfunc_end34:
	.size	_ZL32rocblas_gemvt_warp_reduce_kernelILb0ELi1024EifffEviiT3_lPKT2_lT1_lS3_lS4_lS0_lPT4_lS4_li, .Lfunc_end34-_ZL32rocblas_gemvt_warp_reduce_kernelILb0ELi1024EifffEviiT3_lPKT2_lT1_lS3_lS4_lS0_lPT4_lS4_li
                                        ; -- End function
	.set _ZL32rocblas_gemvt_warp_reduce_kernelILb0ELi1024EifffEviiT3_lPKT2_lT1_lS3_lS4_lS0_lPT4_lS4_li.num_vgpr, 21
	.set _ZL32rocblas_gemvt_warp_reduce_kernelILb0ELi1024EifffEviiT3_lPKT2_lT1_lS3_lS4_lS0_lPT4_lS4_li.num_agpr, 0
	.set _ZL32rocblas_gemvt_warp_reduce_kernelILb0ELi1024EifffEviiT3_lPKT2_lT1_lS3_lS4_lS0_lPT4_lS4_li.numbered_sgpr, 42
	.set _ZL32rocblas_gemvt_warp_reduce_kernelILb0ELi1024EifffEviiT3_lPKT2_lT1_lS3_lS4_lS0_lPT4_lS4_li.num_named_barrier, 0
	.set _ZL32rocblas_gemvt_warp_reduce_kernelILb0ELi1024EifffEviiT3_lPKT2_lT1_lS3_lS4_lS0_lPT4_lS4_li.private_seg_size, 0
	.set _ZL32rocblas_gemvt_warp_reduce_kernelILb0ELi1024EifffEviiT3_lPKT2_lT1_lS3_lS4_lS0_lPT4_lS4_li.uses_vcc, 1
	.set _ZL32rocblas_gemvt_warp_reduce_kernelILb0ELi1024EifffEviiT3_lPKT2_lT1_lS3_lS4_lS0_lPT4_lS4_li.uses_flat_scratch, 0
	.set _ZL32rocblas_gemvt_warp_reduce_kernelILb0ELi1024EifffEviiT3_lPKT2_lT1_lS3_lS4_lS0_lPT4_lS4_li.has_dyn_sized_stack, 0
	.set _ZL32rocblas_gemvt_warp_reduce_kernelILb0ELi1024EifffEviiT3_lPKT2_lT1_lS3_lS4_lS0_lPT4_lS4_li.has_recursion, 0
	.set _ZL32rocblas_gemvt_warp_reduce_kernelILb0ELi1024EifffEviiT3_lPKT2_lT1_lS3_lS4_lS0_lPT4_lS4_li.has_indirect_call, 0
	.section	.AMDGPU.csdata,"",@progbits
; Kernel info:
; codeLenInByte = 1536
; TotalNumSgprs: 44
; NumVgprs: 21
; ScratchSize: 0
; MemoryBound: 0
; FloatMode: 240
; IeeeMode: 1
; LDSByteSize: 128 bytes/workgroup (compile time only)
; SGPRBlocks: 0
; VGPRBlocks: 2
; NumSGPRsForWavesPerEU: 44
; NumVGPRsForWavesPerEU: 21
; Occupancy: 16
; WaveLimiterHint : 0
; COMPUTE_PGM_RSRC2:SCRATCH_EN: 0
; COMPUTE_PGM_RSRC2:USER_SGPR: 2
; COMPUTE_PGM_RSRC2:TRAP_HANDLER: 0
; COMPUTE_PGM_RSRC2:TGID_X_EN: 1
; COMPUTE_PGM_RSRC2:TGID_Y_EN: 0
; COMPUTE_PGM_RSRC2:TGID_Z_EN: 1
; COMPUTE_PGM_RSRC2:TIDIG_COMP_CNT: 0
	.section	.text._ZL32rocblas_gemvt_warp_reduce_kernelILb0ELi1024ElfffEviiT3_lPKT2_lT1_lS3_lS4_lS0_lPT4_lS4_li,"axG",@progbits,_ZL32rocblas_gemvt_warp_reduce_kernelILb0ELi1024ElfffEviiT3_lPKT2_lT1_lS3_lS4_lS0_lPT4_lS4_li,comdat
	.globl	_ZL32rocblas_gemvt_warp_reduce_kernelILb0ELi1024ElfffEviiT3_lPKT2_lT1_lS3_lS4_lS0_lPT4_lS4_li ; -- Begin function _ZL32rocblas_gemvt_warp_reduce_kernelILb0ELi1024ElfffEviiT3_lPKT2_lT1_lS3_lS4_lS0_lPT4_lS4_li
	.p2align	8
	.type	_ZL32rocblas_gemvt_warp_reduce_kernelILb0ELi1024ElfffEviiT3_lPKT2_lT1_lS3_lS4_lS0_lPT4_lS4_li,@function
_ZL32rocblas_gemvt_warp_reduce_kernelILb0ELi1024ElfffEviiT3_lPKT2_lT1_lS3_lS4_lS0_lPT4_lS4_li: ; @_ZL32rocblas_gemvt_warp_reduce_kernelILb0ELi1024ElfffEviiT3_lPKT2_lT1_lS3_lS4_lS0_lPT4_lS4_li
; %bb.0:
	s_load_b32 s33, s[0:1], 0x88
	s_lshr_b32 s6, ttmp7, 16
	s_wait_kmcnt 0x0
	s_cmp_ge_u32 s6, s33
	s_cbranch_scc1 .LBB35_34
; %bb.1:
	s_clause 0x4
	s_load_b512 s[8:23], s[0:1], 0x18
	s_load_b256 s[24:31], s[0:1], 0x68
	s_load_b32 s34, s[0:1], 0x8
	s_load_b32 s35, s[0:1], 0x58
	;; [unrolled: 1-line block ×3, first 2 shown]
	s_mov_b32 s2, ttmp9
	v_dual_mov_b32 v11, 0 :: v_dual_and_b32 v4, 31, v0
	v_lshrrev_b32_e32 v7, 3, v0
	v_mbcnt_lo_u32_b32 v16, -1, 0
	v_cmp_eq_u32_e64 s0, 0, v0
	v_cmp_gt_u32_e64 s1, 32, v0
	v_lshlrev_b32_e32 v12, 2, v4
	s_mov_b32 s7, 0
	v_lshl_or_b32 v17, v16, 2, 64
	s_wait_kmcnt 0x0
	s_lshl_b64 s[4:5], s[18:19], 2
	s_lshl_b64 s[18:19], s[26:27], 2
	;; [unrolled: 1-line block ×3, first 2 shown]
	s_cmp_eq_f32 s34, 0
	v_cmp_gt_i32_e32 vcc_lo, s39, v0
	v_mad_co_u64_u32 v[1:2], null, s20, v0, 0
	s_cselect_b32 s36, -1, 0
	s_cmp_neq_f32 s34, 0
	v_cndmask_b32_e32 v3, 0, v0, vcc_lo
	s_add_nc_u64 s[10:11], s[16:17], s[4:5]
	s_add_nc_u64 s[16:17], s[24:25], s[18:19]
	s_cselect_b32 s3, -1, 0
	s_cmp_neq_f32 s35, 1.0
	v_lshlrev_b32_e32 v8, 2, v3
	s_add_nc_u64 s[4:5], s[8:9], s[26:27]
	v_mad_co_u64_u32 v[2:3], null, s21, v0, v[2:3]
	s_cselect_b32 s37, -1, 0
	v_add_co_u32 v3, s4, s4, v8
	s_or_b32 s37, s3, s37
	s_cmp_neq_f32 s35, 0
	s_wait_alu 0xf1ff
	v_add_co_ci_u32_e64 v9, null, s5, 0, s4
	s_cselect_b32 s38, -1, 0
	s_ashr_i32 s3, s39, 31
	s_delay_alu instid0(SALU_CYCLE_1) | instskip(NEXT) | instid1(SALU_CYCLE_1)
	s_lshr_b32 s3, s3, 22
	s_add_co_i32 s3, s39, s3
	s_delay_alu instid0(SALU_CYCLE_1)
	s_and_b32 s18, s3, 0xfffffc00
	s_ashr_i32 s3, ttmp9, 31
	v_or_b32_e32 v10, s18, v0
	s_mul_u64 s[4:5], s[12:13], s[2:3]
	s_ashr_i32 s19, s18, 31
	s_wait_alu 0xfffe
	s_lshl_b64 s[12:13], s[4:5], 2
	s_mul_i32 s4, s20, s19
	v_mul_lo_u32 v15, s21, v10
	v_mad_co_u64_u32 v[5:6], null, s20, v10, 0
	v_add_co_u32 v13, vcc_lo, v3, s12
	s_wait_alu 0xfffd
	v_add_co_ci_u32_e64 v14, null, s13, v9, vcc_lo
	s_add_nc_u64 s[12:13], s[12:13], s[26:27]
	s_mul_u64 s[24:25], s[28:29], s[2:3]
	s_wait_alu 0xfffe
	v_add3_u32 v6, v6, s4, v15
	v_cmp_eq_u32_e64 s4, 0, v4
	v_lshlrev_b64_e32 v[3:4], 2, v[1:2]
	s_add_nc_u64 s[8:9], s[8:9], s[12:13]
	v_cmp_gt_i32_e64 s2, s18, v0
	v_add_co_u32 v1, s5, s8, v8
	v_lshlrev_b64_e32 v[5:6], 2, v[5:6]
	s_delay_alu instid0(VALU_DEP_4)
	v_add_co_u32 v3, vcc_lo, s10, v3
	v_cmp_gt_i32_e64 s3, s39, v10
	v_and_b32_e32 v15, 0x7c, v7
	s_wait_alu 0xf1ff
	v_add_co_ci_u32_e64 v2, null, s9, 0, s5
	s_wait_alu 0xfffd
	v_add_co_ci_u32_e64 v4, null, s11, v4, vcc_lo
	s_lshl_b64 s[8:9], s[14:15], 2
	s_lshl_b64 s[12:13], s[22:23], 2
	;; [unrolled: 1-line block ×5, first 2 shown]
	s_branch .LBB35_4
.LBB35_2:                               ;   in Loop: Header=BB35_4 Depth=1
	s_wait_alu 0xfffe
	s_or_b32 exec_lo, exec_lo, s5
.LBB35_3:                               ;   in Loop: Header=BB35_4 Depth=1
	s_add_co_i32 s6, s6, 0x10000
	s_wait_alu 0xfffe
	s_cmp_lt_u32 s6, s33
	s_cbranch_scc0 .LBB35_34
.LBB35_4:                               ; =>This Loop Header: Depth=1
                                        ;     Child Loop BB35_23 Depth 2
	s_and_not1_b32 vcc_lo, exec_lo, s37
	s_wait_alu 0xfffe
	s_cbranch_vccnz .LBB35_3
; %bb.5:                                ;   in Loop: Header=BB35_4 Depth=1
	s_mul_u64 s[28:29], s[30:31], s[6:7]
	s_and_not1_b32 vcc_lo, exec_lo, s36
	s_lshl_b64 s[28:29], s[28:29], 2
	s_delay_alu instid0(SALU_CYCLE_1)
	s_add_nc_u64 s[28:29], s[16:17], s[28:29]
	s_wait_alu 0xfffe
	s_cbranch_vccnz .LBB35_9
; %bb.6:                                ;   in Loop: Header=BB35_4 Depth=1
	s_mov_b32 s5, 0
	s_mov_b32 s19, 0
                                        ; implicit-def: $vgpr7
	s_and_saveexec_b32 s39, s0
	s_cbranch_execz .LBB35_10
; %bb.7:                                ;   in Loop: Header=BB35_4 Depth=1
	s_and_not1_b32 vcc_lo, exec_lo, s38
	s_wait_alu 0xfffe
	s_cbranch_vccnz .LBB35_11
; %bb.8:                                ;   in Loop: Header=BB35_4 Depth=1
	s_add_nc_u64 s[40:41], s[28:29], s[24:25]
	global_load_b32 v7, v11, s[40:41]
	s_wait_loadcnt 0x0
	v_mul_f32_e32 v7, s35, v7
	s_branch .LBB35_12
.LBB35_9:                               ;   in Loop: Header=BB35_4 Depth=1
	s_mov_b32 s19, 0
                                        ; implicit-def: $vgpr7
	s_cbranch_execnz .LBB35_13
	s_branch .LBB35_32
.LBB35_10:                              ;   in Loop: Header=BB35_4 Depth=1
	s_wait_alu 0xfffe
	s_or_b32 exec_lo, exec_lo, s39
	s_delay_alu instid0(SALU_CYCLE_1)
	s_and_b32 vcc_lo, exec_lo, s5
	s_wait_alu 0xfffe
	s_cbranch_vccnz .LBB35_13
	s_branch .LBB35_32
.LBB35_11:                              ;   in Loop: Header=BB35_4 Depth=1
	v_mov_b32_e32 v7, 0
.LBB35_12:                              ;   in Loop: Header=BB35_4 Depth=1
	s_mov_b32 s19, exec_lo
	s_or_b32 exec_lo, exec_lo, s39
	s_delay_alu instid0(SALU_CYCLE_1)
	s_and_b32 vcc_lo, exec_lo, s5
	s_wait_alu 0xfffe
	s_cbranch_vccz .LBB35_32
.LBB35_13:                              ;   in Loop: Header=BB35_4 Depth=1
	s_wait_dscnt 0x0
	v_mov_b32_e32 v18, 0
	s_and_saveexec_b32 s39, s2
	s_cbranch_execnz .LBB35_22
; %bb.14:                               ;   in Loop: Header=BB35_4 Depth=1
	s_wait_alu 0xfffe
	s_or_b32 exec_lo, exec_lo, s39
	s_and_saveexec_b32 s5, s3
	s_cbranch_execnz .LBB35_25
.LBB35_15:                              ;   in Loop: Header=BB35_4 Depth=1
	s_wait_alu 0xfffe
	s_or_b32 exec_lo, exec_lo, s5
	s_and_saveexec_b32 s5, s1
.LBB35_16:                              ;   in Loop: Header=BB35_4 Depth=1
	ds_store_b32 v12, v11
.LBB35_17:                              ;   in Loop: Header=BB35_4 Depth=1
	s_wait_alu 0xfffe
	s_or_b32 exec_lo, exec_lo, s5
	ds_bpermute_b32 v8, v17, v18
	v_cmp_gt_u32_e32 vcc_lo, 24, v16
	s_wait_dscnt 0x0
	s_barrier_signal -1
	s_barrier_wait -1
	global_inv scope:SCOPE_SE
	s_wait_alu 0xfffd
	v_cndmask_b32_e64 v7, 0, 8, vcc_lo
	v_cmp_gt_u32_e32 vcc_lo, 28, v16
	s_delay_alu instid0(VALU_DEP_2)
	v_add_lshl_u32 v7, v7, v16, 2
	v_add_f32_e32 v9, v18, v8
	s_wait_alu 0xfffd
	v_cndmask_b32_e64 v8, 0, 4, vcc_lo
	v_cmp_gt_u32_e32 vcc_lo, 30, v16
	ds_bpermute_b32 v10, v7, v9
	v_add_lshl_u32 v8, v8, v16, 2
	s_wait_dscnt 0x0
	v_add_f32_e32 v10, v9, v10
	s_wait_alu 0xfffd
	v_cndmask_b32_e64 v9, 0, 2, vcc_lo
	v_cmp_ne_u32_e32 vcc_lo, 31, v16
	ds_bpermute_b32 v18, v8, v10
	v_add_lshl_u32 v9, v9, v16, 2
	s_wait_alu 0xfffd
	v_add_co_ci_u32_e64 v19, null, 0, v16, vcc_lo
	s_wait_dscnt 0x0
	v_add_f32_e32 v10, v10, v18
	ds_bpermute_b32 v18, v9, v10
	s_wait_dscnt 0x0
	v_add_f32_e32 v18, v10, v18
	v_lshlrev_b32_e32 v10, 2, v19
	ds_bpermute_b32 v19, v10, v18
	s_and_saveexec_b32 s5, s4
	s_cbranch_execz .LBB35_19
; %bb.18:                               ;   in Loop: Header=BB35_4 Depth=1
	s_wait_dscnt 0x0
	v_add_f32_e32 v18, v18, v19
	ds_store_b32 v15, v18
.LBB35_19:                              ;   in Loop: Header=BB35_4 Depth=1
	s_wait_alu 0xfffe
	s_or_b32 exec_lo, exec_lo, s5
	v_mov_b32_e32 v18, 0
	s_wait_loadcnt_dscnt 0x0
	s_barrier_signal -1
	s_barrier_wait -1
	global_inv scope:SCOPE_SE
	s_and_saveexec_b32 s5, s1
	s_cbranch_execnz .LBB35_26
; %bb.20:                               ;   in Loop: Header=BB35_4 Depth=1
	s_wait_alu 0xfffe
	s_or_b32 exec_lo, exec_lo, s5
	s_and_saveexec_b32 s5, s1
	s_cbranch_execnz .LBB35_27
.LBB35_21:                              ;   in Loop: Header=BB35_4 Depth=1
	s_wait_alu 0xfffe
	s_or_b32 exec_lo, exec_lo, s5
                                        ; implicit-def: $vgpr7
	s_and_saveexec_b32 s5, s0
	s_cbranch_execnz .LBB35_28
	s_branch .LBB35_31
.LBB35_22:                              ;   in Loop: Header=BB35_4 Depth=1
	v_mad_co_u64_u32 v[7:8], null, s8, s6, v[1:2]
	v_mad_co_u64_u32 v[9:10], null, s12, s6, v[3:4]
	v_mov_b32_e32 v18, 0
	s_mov_b32 s40, 0
	s_delay_alu instid0(VALU_DEP_2) | instskip(NEXT) | instid1(VALU_DEP_3)
	v_mad_co_u64_u32 v[19:20], null, s9, s6, v[8:9]
	v_mad_co_u64_u32 v[20:21], null, s13, s6, v[10:11]
	s_delay_alu instid0(VALU_DEP_2) | instskip(NEXT) | instid1(VALU_DEP_2)
	v_dual_mov_b32 v8, v19 :: v_dual_mov_b32 v19, v0
	v_mov_b32_e32 v10, v20
.LBB35_23:                              ;   Parent Loop BB35_4 Depth=1
                                        ; =>  This Inner Loop Header: Depth=2
	global_load_b32 v20, v[7:8], off
	global_load_b32 v21, v[9:10], off
	v_add_nc_u32_e32 v19, 0x400, v19
	v_add_co_u32 v7, vcc_lo, 0x1000, v7
	s_wait_alu 0xfffd
	v_add_co_ci_u32_e64 v8, null, 0, v8, vcc_lo
	v_add_co_u32 v9, vcc_lo, v9, s20
	s_wait_alu 0xfffd
	v_add_co_ci_u32_e64 v10, null, s21, v10, vcc_lo
	s_wait_loadcnt 0x0
	v_fmac_f32_e32 v18, v20, v21
	v_cmp_le_i32_e64 s5, s18, v19
	s_wait_alu 0xfffe
	s_or_b32 s40, s5, s40
	s_wait_alu 0xfffe
	s_and_not1_b32 exec_lo, exec_lo, s40
	s_cbranch_execnz .LBB35_23
; %bb.24:                               ;   in Loop: Header=BB35_4 Depth=1
	s_or_b32 exec_lo, exec_lo, s40
	s_delay_alu instid0(SALU_CYCLE_1)
	s_or_b32 exec_lo, exec_lo, s39
	s_and_saveexec_b32 s5, s3
	s_cbranch_execz .LBB35_15
.LBB35_25:                              ;   in Loop: Header=BB35_4 Depth=1
	s_mul_u64 s[40:41], s[14:15], s[6:7]
	s_mul_u64 s[42:43], s[22:23], s[6:7]
	s_wait_alu 0xfffe
	s_lshl_b64 s[40:41], s[40:41], 2
	s_lshl_b64 s[42:43], s[42:43], 2
	s_wait_alu 0xfffe
	v_add_co_u32 v7, vcc_lo, v13, s40
	s_wait_alu 0xfffd
	v_add_co_ci_u32_e64 v8, null, s41, v14, vcc_lo
	s_add_nc_u64 s[40:41], s[10:11], s[42:43]
	v_add_co_u32 v7, vcc_lo, v7, s26
	s_wait_alu 0xfffd
	v_add_co_ci_u32_e64 v8, null, s27, v8, vcc_lo
	s_wait_alu 0xfffe
	v_add_co_u32 v9, vcc_lo, s40, v5
	s_wait_alu 0xfffd
	v_add_co_ci_u32_e64 v10, null, s41, v6, vcc_lo
	global_load_b32 v7, v[7:8], off
	global_load_b32 v8, v[9:10], off
	s_wait_loadcnt 0x0
	v_fmac_f32_e32 v18, v7, v8
	s_or_b32 exec_lo, exec_lo, s5
	s_and_saveexec_b32 s5, s1
	s_cbranch_execnz .LBB35_16
	s_branch .LBB35_17
.LBB35_26:                              ;   in Loop: Header=BB35_4 Depth=1
	ds_load_b32 v18, v12
	s_wait_alu 0xfffe
	s_or_b32 exec_lo, exec_lo, s5
	s_and_saveexec_b32 s5, s1
	s_cbranch_execz .LBB35_21
.LBB35_27:                              ;   in Loop: Header=BB35_4 Depth=1
	s_wait_dscnt 0x0
	ds_bpermute_b32 v19, v17, v18
	s_wait_dscnt 0x0
	v_add_f32_e32 v18, v18, v19
	ds_bpermute_b32 v7, v7, v18
	s_wait_dscnt 0x0
	v_add_f32_e32 v7, v18, v7
	;; [unrolled: 3-line block ×5, first 2 shown]
	s_wait_alu 0xfffe
	s_or_b32 exec_lo, exec_lo, s5
                                        ; implicit-def: $vgpr7
	s_and_saveexec_b32 s5, s0
	s_cbranch_execz .LBB35_31
.LBB35_28:                              ;   in Loop: Header=BB35_4 Depth=1
	s_wait_dscnt 0x0
	v_mul_f32_e32 v7, s34, v18
	s_and_not1_b32 vcc_lo, exec_lo, s38
	s_wait_alu 0xfffe
	s_cbranch_vccnz .LBB35_30
; %bb.29:                               ;   in Loop: Header=BB35_4 Depth=1
	s_add_nc_u64 s[40:41], s[28:29], s[24:25]
	global_load_b32 v8, v11, s[40:41]
	s_wait_loadcnt 0x0
	v_fmac_f32_e32 v7, s35, v8
.LBB35_30:                              ;   in Loop: Header=BB35_4 Depth=1
	s_or_b32 s19, s19, exec_lo
.LBB35_31:                              ;   in Loop: Header=BB35_4 Depth=1
	s_wait_alu 0xfffe
	s_or_b32 exec_lo, exec_lo, s5
.LBB35_32:                              ;   in Loop: Header=BB35_4 Depth=1
	s_wait_alu 0xfffe
	s_and_saveexec_b32 s5, s19
	s_cbranch_execz .LBB35_2
; %bb.33:                               ;   in Loop: Header=BB35_4 Depth=1
	s_add_nc_u64 s[28:29], s[28:29], s[24:25]
	global_store_b32 v11, v7, s[28:29]
	s_branch .LBB35_2
.LBB35_34:
	s_endpgm
	.section	.rodata,"a",@progbits
	.p2align	6, 0x0
	.amdhsa_kernel _ZL32rocblas_gemvt_warp_reduce_kernelILb0ELi1024ElfffEviiT3_lPKT2_lT1_lS3_lS4_lS0_lPT4_lS4_li
		.amdhsa_group_segment_fixed_size 128
		.amdhsa_private_segment_fixed_size 0
		.amdhsa_kernarg_size 140
		.amdhsa_user_sgpr_count 2
		.amdhsa_user_sgpr_dispatch_ptr 0
		.amdhsa_user_sgpr_queue_ptr 0
		.amdhsa_user_sgpr_kernarg_segment_ptr 1
		.amdhsa_user_sgpr_dispatch_id 0
		.amdhsa_user_sgpr_private_segment_size 0
		.amdhsa_wavefront_size32 1
		.amdhsa_uses_dynamic_stack 0
		.amdhsa_enable_private_segment 0
		.amdhsa_system_sgpr_workgroup_id_x 1
		.amdhsa_system_sgpr_workgroup_id_y 0
		.amdhsa_system_sgpr_workgroup_id_z 1
		.amdhsa_system_sgpr_workgroup_info 0
		.amdhsa_system_vgpr_workitem_id 0
		.amdhsa_next_free_vgpr 22
		.amdhsa_next_free_sgpr 44
		.amdhsa_reserve_vcc 1
		.amdhsa_float_round_mode_32 0
		.amdhsa_float_round_mode_16_64 0
		.amdhsa_float_denorm_mode_32 3
		.amdhsa_float_denorm_mode_16_64 3
		.amdhsa_fp16_overflow 0
		.amdhsa_workgroup_processor_mode 1
		.amdhsa_memory_ordered 1
		.amdhsa_forward_progress 1
		.amdhsa_inst_pref_size 13
		.amdhsa_round_robin_scheduling 0
		.amdhsa_exception_fp_ieee_invalid_op 0
		.amdhsa_exception_fp_denorm_src 0
		.amdhsa_exception_fp_ieee_div_zero 0
		.amdhsa_exception_fp_ieee_overflow 0
		.amdhsa_exception_fp_ieee_underflow 0
		.amdhsa_exception_fp_ieee_inexact 0
		.amdhsa_exception_int_div_zero 0
	.end_amdhsa_kernel
	.section	.text._ZL32rocblas_gemvt_warp_reduce_kernelILb0ELi1024ElfffEviiT3_lPKT2_lT1_lS3_lS4_lS0_lPT4_lS4_li,"axG",@progbits,_ZL32rocblas_gemvt_warp_reduce_kernelILb0ELi1024ElfffEviiT3_lPKT2_lT1_lS3_lS4_lS0_lPT4_lS4_li,comdat
.Lfunc_end35:
	.size	_ZL32rocblas_gemvt_warp_reduce_kernelILb0ELi1024ElfffEviiT3_lPKT2_lT1_lS3_lS4_lS0_lPT4_lS4_li, .Lfunc_end35-_ZL32rocblas_gemvt_warp_reduce_kernelILb0ELi1024ElfffEviiT3_lPKT2_lT1_lS3_lS4_lS0_lPT4_lS4_li
                                        ; -- End function
	.set _ZL32rocblas_gemvt_warp_reduce_kernelILb0ELi1024ElfffEviiT3_lPKT2_lT1_lS3_lS4_lS0_lPT4_lS4_li.num_vgpr, 22
	.set _ZL32rocblas_gemvt_warp_reduce_kernelILb0ELi1024ElfffEviiT3_lPKT2_lT1_lS3_lS4_lS0_lPT4_lS4_li.num_agpr, 0
	.set _ZL32rocblas_gemvt_warp_reduce_kernelILb0ELi1024ElfffEviiT3_lPKT2_lT1_lS3_lS4_lS0_lPT4_lS4_li.numbered_sgpr, 44
	.set _ZL32rocblas_gemvt_warp_reduce_kernelILb0ELi1024ElfffEviiT3_lPKT2_lT1_lS3_lS4_lS0_lPT4_lS4_li.num_named_barrier, 0
	.set _ZL32rocblas_gemvt_warp_reduce_kernelILb0ELi1024ElfffEviiT3_lPKT2_lT1_lS3_lS4_lS0_lPT4_lS4_li.private_seg_size, 0
	.set _ZL32rocblas_gemvt_warp_reduce_kernelILb0ELi1024ElfffEviiT3_lPKT2_lT1_lS3_lS4_lS0_lPT4_lS4_li.uses_vcc, 1
	.set _ZL32rocblas_gemvt_warp_reduce_kernelILb0ELi1024ElfffEviiT3_lPKT2_lT1_lS3_lS4_lS0_lPT4_lS4_li.uses_flat_scratch, 0
	.set _ZL32rocblas_gemvt_warp_reduce_kernelILb0ELi1024ElfffEviiT3_lPKT2_lT1_lS3_lS4_lS0_lPT4_lS4_li.has_dyn_sized_stack, 0
	.set _ZL32rocblas_gemvt_warp_reduce_kernelILb0ELi1024ElfffEviiT3_lPKT2_lT1_lS3_lS4_lS0_lPT4_lS4_li.has_recursion, 0
	.set _ZL32rocblas_gemvt_warp_reduce_kernelILb0ELi1024ElfffEviiT3_lPKT2_lT1_lS3_lS4_lS0_lPT4_lS4_li.has_indirect_call, 0
	.section	.AMDGPU.csdata,"",@progbits
; Kernel info:
; codeLenInByte = 1552
; TotalNumSgprs: 46
; NumVgprs: 22
; ScratchSize: 0
; MemoryBound: 0
; FloatMode: 240
; IeeeMode: 1
; LDSByteSize: 128 bytes/workgroup (compile time only)
; SGPRBlocks: 0
; VGPRBlocks: 2
; NumSGPRsForWavesPerEU: 46
; NumVGPRsForWavesPerEU: 22
; Occupancy: 16
; WaveLimiterHint : 0
; COMPUTE_PGM_RSRC2:SCRATCH_EN: 0
; COMPUTE_PGM_RSRC2:USER_SGPR: 2
; COMPUTE_PGM_RSRC2:TRAP_HANDLER: 0
; COMPUTE_PGM_RSRC2:TGID_X_EN: 1
; COMPUTE_PGM_RSRC2:TGID_Y_EN: 0
; COMPUTE_PGM_RSRC2:TGID_Z_EN: 1
; COMPUTE_PGM_RSRC2:TIDIG_COMP_CNT: 0
	.section	.text._ZL22rocblas_gemvtsm_kernelILb1ELi256EfPKffEviiT2_lPKT1_lilS5_lilS2_lPT3_lil,"axG",@progbits,_ZL22rocblas_gemvtsm_kernelILb1ELi256EfPKffEviiT2_lPKT1_lilS5_lilS2_lPT3_lil,comdat
	.globl	_ZL22rocblas_gemvtsm_kernelILb1ELi256EfPKffEviiT2_lPKT1_lilS5_lilS2_lPT3_lil ; -- Begin function _ZL22rocblas_gemvtsm_kernelILb1ELi256EfPKffEviiT2_lPKT1_lilS5_lilS2_lPT3_lil
	.p2align	8
	.type	_ZL22rocblas_gemvtsm_kernelILb1ELi256EfPKffEviiT2_lPKT1_lilS5_lilS2_lPT3_lil,@function
_ZL22rocblas_gemvtsm_kernelILb1ELi256EfPKffEviiT2_lPKT1_lilS5_lilS2_lPT3_lil: ; @_ZL22rocblas_gemvtsm_kernelILb1ELi256EfPKffEviiT2_lPKT1_lilS5_lilS2_lPT3_lil
; %bb.0:
	s_clause 0x1
	s_load_b256 s[4:11], s[0:1], 0x8
	s_load_b256 s[12:19], s[0:1], 0x50
	s_mov_b32 s24, ttmp9
	s_mov_b32 s25, 0
	s_wait_kmcnt 0x0
	s_mul_u64 s[2:3], s[6:7], s[24:25]
	s_delay_alu instid0(SALU_CYCLE_1) | instskip(NEXT) | instid1(SALU_CYCLE_1)
	s_lshl_b64 s[2:3], s[2:3], 2
	s_add_nc_u64 s[2:3], s[4:5], s[2:3]
	s_mul_u64 s[4:5], s[16:17], s[24:25]
	s_load_b32 s26, s[2:3], 0x0
	s_lshl_b64 s[2:3], s[4:5], 2
	s_delay_alu instid0(SALU_CYCLE_1)
	s_add_nc_u64 s[2:3], s[14:15], s[2:3]
	s_load_b32 s23, s[2:3], 0x0
	s_wait_kmcnt 0x0
	s_cmp_eq_f32 s26, 0
	s_cselect_b32 s2, -1, 0
	s_cmp_eq_f32 s23, 1.0
	s_cselect_b32 s3, -1, 0
	s_delay_alu instid0(SALU_CYCLE_1) | instskip(NEXT) | instid1(SALU_CYCLE_1)
	s_and_b32 s2, s2, s3
	s_and_b32 vcc_lo, exec_lo, s2
	s_cbranch_vccnz .LBB36_34
; %bb.1:
	s_clause 0x2
	s_load_b64 s[4:5], s[0:1], 0x80
	s_load_b96 s[20:22], s[0:1], 0x70
	s_load_b64 s[2:3], s[0:1], 0x0
	s_cmp_neq_f32 s26, 0
	s_wait_kmcnt 0x0
	s_mul_u64 s[14:15], s[4:5], s[24:25]
	s_cbranch_scc1 .LBB36_9
; %bb.2:
	s_cmp_gt_i32 s3, 0
	s_cselect_b32 s6, -1, 0
	s_cmp_neq_f32 s23, 0
	v_cndmask_b32_e64 v1, 0, 1, s6
	s_delay_alu instid0(VALU_DEP_1)
	v_cmp_ne_u32_e32 vcc_lo, 1, v1
	s_cbranch_scc1 .LBB36_10
; %bb.3:
	s_and_b32 vcc_lo, exec_lo, vcc_lo
	s_cbranch_vccnz .LBB36_8
; %bb.4:
	v_mad_co_i64_i32 v[1:2], null, s22, v0, 0
	s_lshl_b64 s[16:17], s[20:21], 2
	s_lshl_b64 s[28:29], s[14:15], 2
	s_add_nc_u64 s[16:17], s[18:19], s[16:17]
	v_mov_b32_e32 v3, 0
	s_add_nc_u64 s[16:17], s[16:17], s[28:29]
	s_ashr_i32 s5, s22, 31
	v_lshlrev_b64_e32 v[1:2], 2, v[1:2]
	s_mov_b32 s4, s22
	s_mov_b32 s7, 0
	s_lshl_b64 s[4:5], s[4:5], 10
	s_delay_alu instid0(VALU_DEP_1) | instskip(NEXT) | instid1(VALU_DEP_1)
	v_add_co_u32 v1, vcc_lo, s16, v1
	v_add_co_ci_u32_e64 v2, null, s17, v2, vcc_lo
	s_branch .LBB36_6
.LBB36_5:                               ;   in Loop: Header=BB36_6 Depth=1
	s_wait_alu 0xfffe
	s_or_b32 exec_lo, exec_lo, s16
	v_add_co_u32 v1, vcc_lo, v1, s4
	s_wait_alu 0xfffd
	v_add_co_ci_u32_e64 v2, null, s5, v2, vcc_lo
	s_addk_co_i32 s7, 0x100
	s_wait_alu 0xfffe
	s_cmp_ge_i32 s7, s3
	s_cbranch_scc1 .LBB36_8
.LBB36_6:                               ; =>This Inner Loop Header: Depth=1
	s_wait_alu 0xfffe
	v_add_nc_u32_e32 v4, s7, v0
	s_mov_b32 s16, exec_lo
	s_delay_alu instid0(VALU_DEP_1)
	v_cmpx_gt_i32_e64 s3, v4
	s_cbranch_execz .LBB36_5
; %bb.7:                                ;   in Loop: Header=BB36_6 Depth=1
	global_store_b32 v[1:2], v3, off
	s_branch .LBB36_5
.LBB36_8:
	s_cbranch_execz .LBB36_11
	s_branch .LBB36_16
.LBB36_9:
	s_branch .LBB36_17
.LBB36_10:
.LBB36_11:
	s_and_not1_b32 vcc_lo, exec_lo, s6
	s_wait_alu 0xfffe
	s_cbranch_vccnz .LBB36_16
; %bb.12:
	v_mad_co_i64_i32 v[1:2], null, s22, v0, 0
	s_lshl_b64 s[6:7], s[20:21], 2
	s_lshl_b64 s[16:17], s[14:15], 2
	s_wait_alu 0xfffe
	s_add_nc_u64 s[6:7], s[18:19], s[6:7]
	s_ashr_i32 s5, s22, 31
	s_wait_alu 0xfffe
	s_add_nc_u64 s[6:7], s[6:7], s[16:17]
	s_mov_b32 s4, s22
	v_lshlrev_b64_e32 v[1:2], 2, v[1:2]
	s_wait_alu 0xfffe
	s_lshl_b64 s[4:5], s[4:5], 10
	s_delay_alu instid0(VALU_DEP_1) | instskip(SKIP_1) | instid1(VALU_DEP_2)
	v_add_co_u32 v1, vcc_lo, s6, v1
	s_wait_alu 0xfffd
	v_add_co_ci_u32_e64 v2, null, s7, v2, vcc_lo
	s_mov_b32 s6, 0
	s_branch .LBB36_14
.LBB36_13:                              ;   in Loop: Header=BB36_14 Depth=1
	s_wait_alu 0xfffe
	s_or_b32 exec_lo, exec_lo, s7
	v_add_co_u32 v1, vcc_lo, v1, s4
	s_wait_alu 0xfffd
	v_add_co_ci_u32_e64 v2, null, s5, v2, vcc_lo
	s_addk_co_i32 s6, 0x100
	s_wait_alu 0xfffe
	s_cmp_ge_i32 s6, s3
	s_cbranch_scc1 .LBB36_16
.LBB36_14:                              ; =>This Inner Loop Header: Depth=1
	s_wait_alu 0xfffe
	v_add_nc_u32_e32 v3, s6, v0
	s_mov_b32 s7, exec_lo
	s_delay_alu instid0(VALU_DEP_1)
	v_cmpx_gt_i32_e64 s3, v3
	s_cbranch_execz .LBB36_13
; %bb.15:                               ;   in Loop: Header=BB36_14 Depth=1
	global_load_b32 v3, v[1:2], off
	s_wait_loadcnt 0x0
	v_mul_f32_e32 v3, s23, v3
	global_store_b32 v[1:2], v3, off
	s_branch .LBB36_13
.LBB36_16:
	s_cbranch_execnz .LBB36_34
.LBB36_17:
	s_clause 0x1
	s_load_b128 s[4:7], s[0:1], 0x30
	s_load_b64 s[16:17], s[0:1], 0x40
	s_mov_b32 s27, exec_lo
	v_cmpx_gt_i32_e64 s2, v0
	s_cbranch_execz .LBB36_19
; %bb.18:
	s_load_b32 s28, s[0:1], 0x48
	s_mul_u64 s[12:13], s[12:13], s[24:25]
	s_wait_kmcnt 0x0
	s_lshl_b64 s[16:17], s[16:17], 2
	s_lshl_b64 s[12:13], s[12:13], 2
	s_delay_alu instid0(SALU_CYCLE_1) | instskip(SKIP_3) | instid1(VALU_DEP_1)
	s_add_nc_u64 s[6:7], s[6:7], s[12:13]
	s_wait_alu 0xfffe
	s_add_nc_u64 s[6:7], s[6:7], s[16:17]
	v_mad_co_i64_i32 v[1:2], null, s28, v0, 0
	v_lshlrev_b64_e32 v[1:2], 2, v[1:2]
	s_wait_alu 0xfffe
	s_delay_alu instid0(VALU_DEP_1) | instskip(SKIP_1) | instid1(VALU_DEP_2)
	v_add_co_u32 v1, vcc_lo, s6, v1
	s_wait_alu 0xfffd
	v_add_co_ci_u32_e64 v2, null, s7, v2, vcc_lo
	global_load_b32 v1, v[1:2], off
	s_wait_loadcnt 0x0
	v_dual_mul_f32 v1, s26, v1 :: v_dual_lshlrev_b32 v2, 2, v0
	ds_store_b32 v2, v1
.LBB36_19:
	s_or_b32 exec_lo, exec_lo, s27
	s_cmp_lt_i32 s3, 1
	s_wait_storecnt_dscnt 0x0
	s_barrier_signal -1
	s_barrier_wait -1
	global_inv scope:SCOPE_SE
	s_cbranch_scc1 .LBB36_34
; %bb.20:
	s_wait_kmcnt 0x0
	s_load_b32 s6, s[0:1], 0x28
	s_lshl_b64 s[0:1], s[14:15], 2
	s_lshl_b64 s[14:15], s[20:21], 2
	s_ashr_i32 s12, s22, 31
	s_add_nc_u64 s[0:1], s[18:19], s[0:1]
	s_mul_u64 s[4:5], s[4:5], s[24:25]
	s_add_nc_u64 s[0:1], s[0:1], s[14:15]
	s_mov_b32 s13, s22
	s_wait_kmcnt 0x0
	s_ashr_i32 s7, s6, 31
	s_cmp_neq_f32 s23, 0
	v_mad_co_i64_i32 v[1:2], null, s6, v0, 0
	s_cselect_b32 s14, -1, 0
	s_cmp_gt_i32 s2, 0
	s_cselect_b32 s15, -1, 0
	s_and_b32 s16, s2, 7
	s_cmp_gt_u32 s2, 7
	v_lshlrev_b64_e32 v[1:2], 2, v[1:2]
	s_cselect_b32 s17, -1, 0
	s_and_b32 s2, s2, 0x7ffffff8
	s_wait_alu 0xfffe
	s_cmp_lg_u32 s16, 0
	s_cselect_b32 s18, -1, 0
	s_lshl_b64 s[10:11], s[10:11], 2
	s_lshl_b64 s[4:5], s[4:5], 2
	s_add_nc_u64 s[8:9], s[8:9], s[10:11]
	s_lshl_b64 s[6:7], s[6:7], 10
	s_wait_alu 0xfffe
	s_add_nc_u64 s[4:5], s[8:9], s[4:5]
	s_mov_b32 s8, 0
	s_wait_alu 0xfffe
	v_add_co_u32 v7, vcc_lo, s4, v1
	s_wait_alu 0xfffd
	v_add_co_ci_u32_e64 v8, null, s5, v2, vcc_lo
	s_mov_b32 s5, 0
	v_add_co_u32 v1, vcc_lo, v7, 28
	s_wait_alu 0xfffd
	v_add_co_ci_u32_e64 v2, null, 0, v8, vcc_lo
	s_branch .LBB36_23
.LBB36_21:                              ;   in Loop: Header=BB36_23 Depth=1
	v_add_co_u32 v3, vcc_lo, s0, v3
	s_wait_alu 0xfffd
	v_add_co_ci_u32_e64 v4, null, s1, v4, vcc_lo
	global_store_b32 v[3:4], v9, off
.LBB36_22:                              ;   in Loop: Header=BB36_23 Depth=1
	s_wait_alu 0xfffe
	s_or_b32 exec_lo, exec_lo, s9
	v_add_co_u32 v1, vcc_lo, v1, s6
	s_wait_alu 0xfffd
	v_add_co_ci_u32_e64 v2, null, s7, v2, vcc_lo
	v_add_co_u32 v7, vcc_lo, v7, s6
	s_wait_alu 0xfffd
	v_add_co_ci_u32_e64 v8, null, s7, v8, vcc_lo
	s_addk_co_i32 s8, 0x100
	s_wait_alu 0xfffe
	s_cmp_ge_i32 s8, s3
	s_cbranch_scc1 .LBB36_34
.LBB36_23:                              ; =>This Loop Header: Depth=1
                                        ;     Child Loop BB36_29 Depth 2
                                        ;     Child Loop BB36_33 Depth 2
	v_add_nc_u32_e32 v3, s8, v0
	s_mov_b32 s9, exec_lo
	s_delay_alu instid0(VALU_DEP_1)
	v_cmpx_gt_i32_e64 s3, v3
	s_cbranch_execz .LBB36_22
; %bb.24:                               ;   in Loop: Header=BB36_23 Depth=1
	v_mad_co_u64_u32 v[4:5], null, v3, s13, 0
	s_and_not1_b32 vcc_lo, exec_lo, s14
	v_mad_co_u64_u32 v[5:6], null, v3, s12, v[5:6]
	s_delay_alu instid0(VALU_DEP_1)
	v_lshlrev_b64_e32 v[3:4], 2, v[4:5]
	s_wait_alu 0xfffe
	s_cbranch_vccnz .LBB36_26
; %bb.25:                               ;   in Loop: Header=BB36_23 Depth=1
	s_delay_alu instid0(VALU_DEP_1) | instskip(SKIP_1) | instid1(VALU_DEP_2)
	v_add_co_u32 v5, vcc_lo, s0, v3
	s_wait_alu 0xfffd
	v_add_co_ci_u32_e64 v6, null, s1, v4, vcc_lo
	global_load_b32 v5, v[5:6], off
	s_wait_loadcnt 0x0
	v_mul_f32_e32 v9, s23, v5
	s_and_not1_b32 vcc_lo, exec_lo, s15
	s_wait_alu 0xfffe
	s_cbranch_vccz .LBB36_27
	s_branch .LBB36_21
.LBB36_26:                              ;   in Loop: Header=BB36_23 Depth=1
	v_mov_b32_e32 v9, 0
	s_and_not1_b32 vcc_lo, exec_lo, s15
	s_wait_alu 0xfffe
	s_cbranch_vccnz .LBB36_21
.LBB36_27:                              ;   in Loop: Header=BB36_23 Depth=1
	s_and_not1_b32 vcc_lo, exec_lo, s17
	s_mov_b32 s4, 0
	s_wait_alu 0xfffe
	s_cbranch_vccnz .LBB36_31
; %bb.28:                               ;   in Loop: Header=BB36_23 Depth=1
	v_dual_mov_b32 v6, v2 :: v_dual_mov_b32 v5, v1
	s_mov_b32 s10, 0
.LBB36_29:                              ;   Parent Loop BB36_23 Depth=1
                                        ; =>  This Inner Loop Header: Depth=2
	s_clause 0x1
	global_load_b128 v[10:13], v[5:6], off offset:-28
	global_load_b128 v[14:17], v[5:6], off offset:-12
	s_wait_alu 0xfffe
	v_mov_b32_e32 v22, s4
	v_add_co_u32 v5, vcc_lo, v5, 32
	s_wait_alu 0xfffd
	v_add_co_ci_u32_e64 v6, null, 0, v6, vcc_lo
	ds_load_b128 v[18:21], v22
	ds_load_b128 v[22:25], v22 offset:16
	s_add_co_i32 s10, s10, 8
	s_add_co_i32 s4, s4, 32
	s_wait_alu 0xfffe
	s_cmp_eq_u32 s2, s10
	s_wait_loadcnt_dscnt 0x101
	v_fmac_f32_e32 v9, v18, v10
	s_delay_alu instid0(VALU_DEP_1) | instskip(NEXT) | instid1(VALU_DEP_1)
	v_fmac_f32_e32 v9, v19, v11
	v_fmac_f32_e32 v9, v20, v12
	s_delay_alu instid0(VALU_DEP_1) | instskip(SKIP_1) | instid1(VALU_DEP_1)
	v_fmac_f32_e32 v9, v21, v13
	s_wait_loadcnt_dscnt 0x0
	v_fmac_f32_e32 v9, v22, v14
	s_delay_alu instid0(VALU_DEP_1) | instskip(NEXT) | instid1(VALU_DEP_1)
	v_fmac_f32_e32 v9, v23, v15
	v_fmac_f32_e32 v9, v24, v16
	s_delay_alu instid0(VALU_DEP_1)
	v_fmac_f32_e32 v9, v25, v17
	s_cbranch_scc0 .LBB36_29
; %bb.30:                               ;   in Loop: Header=BB36_23 Depth=1
	s_mov_b32 s4, s2
.LBB36_31:                              ;   in Loop: Header=BB36_23 Depth=1
	s_and_not1_b32 vcc_lo, exec_lo, s18
	s_wait_alu 0xfffe
	s_cbranch_vccnz .LBB36_21
; %bb.32:                               ;   in Loop: Header=BB36_23 Depth=1
	s_lshl_b64 s[10:11], s[4:5], 2
	s_lshl_b32 s4, s4, 2
	s_wait_alu 0xfffe
	v_add_co_u32 v5, vcc_lo, v7, s10
	s_wait_alu 0xfffd
	v_add_co_ci_u32_e64 v6, null, s11, v8, vcc_lo
	s_mov_b32 s10, s16
.LBB36_33:                              ;   Parent Loop BB36_23 Depth=1
                                        ; =>  This Inner Loop Header: Depth=2
	global_load_b32 v10, v[5:6], off
	s_wait_alu 0xfffe
	v_mov_b32_e32 v11, s4
	v_add_co_u32 v5, vcc_lo, v5, 4
	s_wait_alu 0xfffd
	v_add_co_ci_u32_e64 v6, null, 0, v6, vcc_lo
	ds_load_b32 v11, v11
	s_add_co_i32 s10, s10, -1
	s_add_co_i32 s4, s4, 4
	s_wait_alu 0xfffe
	s_cmp_lg_u32 s10, 0
	s_wait_loadcnt_dscnt 0x0
	v_fmac_f32_e32 v9, v11, v10
	s_cbranch_scc1 .LBB36_33
	s_branch .LBB36_21
.LBB36_34:
	s_endpgm
	.section	.rodata,"a",@progbits
	.p2align	6, 0x0
	.amdhsa_kernel _ZL22rocblas_gemvtsm_kernelILb1ELi256EfPKffEviiT2_lPKT1_lilS5_lilS2_lPT3_lil
		.amdhsa_group_segment_fixed_size 256
		.amdhsa_private_segment_fixed_size 0
		.amdhsa_kernarg_size 136
		.amdhsa_user_sgpr_count 2
		.amdhsa_user_sgpr_dispatch_ptr 0
		.amdhsa_user_sgpr_queue_ptr 0
		.amdhsa_user_sgpr_kernarg_segment_ptr 1
		.amdhsa_user_sgpr_dispatch_id 0
		.amdhsa_user_sgpr_private_segment_size 0
		.amdhsa_wavefront_size32 1
		.amdhsa_uses_dynamic_stack 0
		.amdhsa_enable_private_segment 0
		.amdhsa_system_sgpr_workgroup_id_x 1
		.amdhsa_system_sgpr_workgroup_id_y 0
		.amdhsa_system_sgpr_workgroup_id_z 0
		.amdhsa_system_sgpr_workgroup_info 0
		.amdhsa_system_vgpr_workitem_id 0
		.amdhsa_next_free_vgpr 26
		.amdhsa_next_free_sgpr 30
		.amdhsa_reserve_vcc 1
		.amdhsa_float_round_mode_32 0
		.amdhsa_float_round_mode_16_64 0
		.amdhsa_float_denorm_mode_32 3
		.amdhsa_float_denorm_mode_16_64 3
		.amdhsa_fp16_overflow 0
		.amdhsa_workgroup_processor_mode 1
		.amdhsa_memory_ordered 1
		.amdhsa_forward_progress 1
		.amdhsa_inst_pref_size 12
		.amdhsa_round_robin_scheduling 0
		.amdhsa_exception_fp_ieee_invalid_op 0
		.amdhsa_exception_fp_denorm_src 0
		.amdhsa_exception_fp_ieee_div_zero 0
		.amdhsa_exception_fp_ieee_overflow 0
		.amdhsa_exception_fp_ieee_underflow 0
		.amdhsa_exception_fp_ieee_inexact 0
		.amdhsa_exception_int_div_zero 0
	.end_amdhsa_kernel
	.section	.text._ZL22rocblas_gemvtsm_kernelILb1ELi256EfPKffEviiT2_lPKT1_lilS5_lilS2_lPT3_lil,"axG",@progbits,_ZL22rocblas_gemvtsm_kernelILb1ELi256EfPKffEviiT2_lPKT1_lilS5_lilS2_lPT3_lil,comdat
.Lfunc_end36:
	.size	_ZL22rocblas_gemvtsm_kernelILb1ELi256EfPKffEviiT2_lPKT1_lilS5_lilS2_lPT3_lil, .Lfunc_end36-_ZL22rocblas_gemvtsm_kernelILb1ELi256EfPKffEviiT2_lPKT1_lilS5_lilS2_lPT3_lil
                                        ; -- End function
	.set _ZL22rocblas_gemvtsm_kernelILb1ELi256EfPKffEviiT2_lPKT1_lilS5_lilS2_lPT3_lil.num_vgpr, 26
	.set _ZL22rocblas_gemvtsm_kernelILb1ELi256EfPKffEviiT2_lPKT1_lilS5_lilS2_lPT3_lil.num_agpr, 0
	.set _ZL22rocblas_gemvtsm_kernelILb1ELi256EfPKffEviiT2_lPKT1_lilS5_lilS2_lPT3_lil.numbered_sgpr, 30
	.set _ZL22rocblas_gemvtsm_kernelILb1ELi256EfPKffEviiT2_lPKT1_lilS5_lilS2_lPT3_lil.num_named_barrier, 0
	.set _ZL22rocblas_gemvtsm_kernelILb1ELi256EfPKffEviiT2_lPKT1_lilS5_lilS2_lPT3_lil.private_seg_size, 0
	.set _ZL22rocblas_gemvtsm_kernelILb1ELi256EfPKffEviiT2_lPKT1_lilS5_lilS2_lPT3_lil.uses_vcc, 1
	.set _ZL22rocblas_gemvtsm_kernelILb1ELi256EfPKffEviiT2_lPKT1_lilS5_lilS2_lPT3_lil.uses_flat_scratch, 0
	.set _ZL22rocblas_gemvtsm_kernelILb1ELi256EfPKffEviiT2_lPKT1_lilS5_lilS2_lPT3_lil.has_dyn_sized_stack, 0
	.set _ZL22rocblas_gemvtsm_kernelILb1ELi256EfPKffEviiT2_lPKT1_lilS5_lilS2_lPT3_lil.has_recursion, 0
	.set _ZL22rocblas_gemvtsm_kernelILb1ELi256EfPKffEviiT2_lPKT1_lilS5_lilS2_lPT3_lil.has_indirect_call, 0
	.section	.AMDGPU.csdata,"",@progbits
; Kernel info:
; codeLenInByte = 1496
; TotalNumSgprs: 32
; NumVgprs: 26
; ScratchSize: 0
; MemoryBound: 0
; FloatMode: 240
; IeeeMode: 1
; LDSByteSize: 256 bytes/workgroup (compile time only)
; SGPRBlocks: 0
; VGPRBlocks: 3
; NumSGPRsForWavesPerEU: 32
; NumVGPRsForWavesPerEU: 26
; Occupancy: 16
; WaveLimiterHint : 1
; COMPUTE_PGM_RSRC2:SCRATCH_EN: 0
; COMPUTE_PGM_RSRC2:USER_SGPR: 2
; COMPUTE_PGM_RSRC2:TRAP_HANDLER: 0
; COMPUTE_PGM_RSRC2:TGID_X_EN: 1
; COMPUTE_PGM_RSRC2:TGID_Y_EN: 0
; COMPUTE_PGM_RSRC2:TGID_Z_EN: 0
; COMPUTE_PGM_RSRC2:TIDIG_COMP_CNT: 0
	.section	.text._ZL22rocblas_gemvtsm_kernelILb1ELi256EfffEviiT2_lPKT1_lilS3_lilS0_lPT3_lil,"axG",@progbits,_ZL22rocblas_gemvtsm_kernelILb1ELi256EfffEviiT2_lPKT1_lilS3_lilS0_lPT3_lil,comdat
	.globl	_ZL22rocblas_gemvtsm_kernelILb1ELi256EfffEviiT2_lPKT1_lilS3_lilS0_lPT3_lil ; -- Begin function _ZL22rocblas_gemvtsm_kernelILb1ELi256EfffEviiT2_lPKT1_lilS3_lilS0_lPT3_lil
	.p2align	8
	.type	_ZL22rocblas_gemvtsm_kernelILb1ELi256EfffEviiT2_lPKT1_lilS3_lilS0_lPT3_lil,@function
_ZL22rocblas_gemvtsm_kernelILb1ELi256EfffEviiT2_lPKT1_lilS3_lilS0_lPT3_lil: ; @_ZL22rocblas_gemvtsm_kernelILb1ELi256EfffEviiT2_lPKT1_lilS3_lilS0_lPT3_lil
; %bb.0:
	s_clause 0x1
	s_load_b96 s[12:14], s[0:1], 0x0
	s_load_b32 s15, s[0:1], 0x58
	s_mov_b32 s19, 0
	s_wait_kmcnt 0x0
	s_cmp_eq_f32 s14, 0
	s_cselect_b32 s2, -1, 0
	s_cmp_eq_f32 s15, 1.0
	s_cselect_b32 s3, -1, 0
	s_delay_alu instid0(SALU_CYCLE_1) | instskip(NEXT) | instid1(SALU_CYCLE_1)
	s_and_b32 s2, s2, s3
	s_and_b32 vcc_lo, exec_lo, s2
	s_cbranch_vccnz .LBB37_34
; %bb.1:
	s_clause 0x2
	s_load_b64 s[2:3], s[0:1], 0x80
	s_load_b128 s[4:7], s[0:1], 0x68
	s_load_b32 s16, s[0:1], 0x78
	s_mov_b32 s18, ttmp9
	s_cmp_neq_f32 s14, 0
	s_wait_kmcnt 0x0
	s_mul_u64 s[20:21], s[2:3], s[18:19]
	s_cbranch_scc1 .LBB37_9
; %bb.2:
	s_cmp_gt_i32 s13, 0
	s_cselect_b32 s8, -1, 0
	s_cmp_neq_f32 s15, 0
	v_cndmask_b32_e64 v1, 0, 1, s8
	s_delay_alu instid0(VALU_DEP_1)
	v_cmp_ne_u32_e32 vcc_lo, 1, v1
	s_cbranch_scc1 .LBB37_10
; %bb.3:
	s_and_b32 vcc_lo, exec_lo, vcc_lo
	s_cbranch_vccnz .LBB37_8
; %bb.4:
	v_mad_co_i64_i32 v[1:2], null, s16, v0, 0
	s_lshl_b64 s[2:3], s[6:7], 2
	s_lshl_b64 s[10:11], s[20:21], 2
	s_add_nc_u64 s[2:3], s[4:5], s[2:3]
	v_mov_b32_e32 v3, 0
	s_add_nc_u64 s[2:3], s[2:3], s[10:11]
	s_ashr_i32 s17, s16, 31
	v_lshlrev_b64_e32 v[1:2], 2, v[1:2]
	s_mov_b32 s9, 0
	s_delay_alu instid0(VALU_DEP_1) | instskip(NEXT) | instid1(VALU_DEP_1)
	v_add_co_u32 v1, vcc_lo, s2, v1
	v_add_co_ci_u32_e64 v2, null, s3, v2, vcc_lo
	s_wait_alu 0xfffe
	s_lshl_b64 s[2:3], s[16:17], 10
	s_branch .LBB37_6
.LBB37_5:                               ;   in Loop: Header=BB37_6 Depth=1
	s_or_b32 exec_lo, exec_lo, s10
	s_wait_alu 0xfffe
	v_add_co_u32 v1, vcc_lo, v1, s2
	s_wait_alu 0xfffd
	v_add_co_ci_u32_e64 v2, null, s3, v2, vcc_lo
	s_addk_co_i32 s9, 0x100
	s_wait_alu 0xfffe
	s_cmp_ge_i32 s9, s13
	s_cbranch_scc1 .LBB37_8
.LBB37_6:                               ; =>This Inner Loop Header: Depth=1
	v_add_nc_u32_e32 v4, s9, v0
	s_mov_b32 s10, exec_lo
	s_delay_alu instid0(VALU_DEP_1)
	v_cmpx_gt_i32_e64 s13, v4
	s_cbranch_execz .LBB37_5
; %bb.7:                                ;   in Loop: Header=BB37_6 Depth=1
	global_store_b32 v[1:2], v3, off
	s_branch .LBB37_5
.LBB37_8:
	s_cbranch_execz .LBB37_11
	s_branch .LBB37_16
.LBB37_9:
	s_branch .LBB37_17
.LBB37_10:
.LBB37_11:
	s_and_not1_b32 vcc_lo, exec_lo, s8
	s_wait_alu 0xfffe
	s_cbranch_vccnz .LBB37_16
; %bb.12:
	v_mad_co_i64_i32 v[1:2], null, s16, v0, 0
	s_lshl_b64 s[2:3], s[6:7], 2
	s_lshl_b64 s[8:9], s[20:21], 2
	s_wait_alu 0xfffe
	s_add_nc_u64 s[2:3], s[4:5], s[2:3]
	s_ashr_i32 s17, s16, 31
	s_wait_alu 0xfffe
	s_add_nc_u64 s[2:3], s[2:3], s[8:9]
	s_mov_b32 s8, 0
	v_lshlrev_b64_e32 v[1:2], 2, v[1:2]
	s_wait_alu 0xfffe
	s_delay_alu instid0(VALU_DEP_1) | instskip(SKIP_1) | instid1(VALU_DEP_2)
	v_add_co_u32 v1, vcc_lo, s2, v1
	s_wait_alu 0xfffd
	v_add_co_ci_u32_e64 v2, null, s3, v2, vcc_lo
	s_lshl_b64 s[2:3], s[16:17], 10
	s_branch .LBB37_14
.LBB37_13:                              ;   in Loop: Header=BB37_14 Depth=1
	s_wait_alu 0xfffe
	s_or_b32 exec_lo, exec_lo, s9
	v_add_co_u32 v1, vcc_lo, v1, s2
	s_wait_alu 0xfffd
	v_add_co_ci_u32_e64 v2, null, s3, v2, vcc_lo
	s_addk_co_i32 s8, 0x100
	s_wait_alu 0xfffe
	s_cmp_ge_i32 s8, s13
	s_cbranch_scc1 .LBB37_16
.LBB37_14:                              ; =>This Inner Loop Header: Depth=1
	v_add_nc_u32_e32 v3, s8, v0
	s_mov_b32 s9, exec_lo
	s_delay_alu instid0(VALU_DEP_1)
	v_cmpx_gt_i32_e64 s13, v3
	s_cbranch_execz .LBB37_13
; %bb.15:                               ;   in Loop: Header=BB37_14 Depth=1
	global_load_b32 v3, v[1:2], off
	s_wait_loadcnt 0x0
	v_mul_f32_e32 v3, s15, v3
	global_store_b32 v[1:2], v3, off
	s_branch .LBB37_13
.LBB37_16:
	s_cbranch_execnz .LBB37_34
.LBB37_17:
	s_clause 0x1
	s_load_b128 s[8:11], s[0:1], 0x30
	s_load_b64 s[2:3], s[0:1], 0x40
	s_mov_b32 s17, exec_lo
	v_cmpx_gt_i32_e64 s12, v0
	s_cbranch_execz .LBB37_19
; %bb.18:
	s_clause 0x1
	s_load_b32 s24, s[0:1], 0x48
	s_load_b64 s[22:23], s[0:1], 0x50
	s_wait_kmcnt 0x0
	s_lshl_b64 s[2:3], s[2:3], 2
	v_mad_co_i64_i32 v[1:2], null, s24, v0, 0
	s_mul_u64 s[22:23], s[22:23], s[18:19]
	s_delay_alu instid0(SALU_CYCLE_1) | instskip(NEXT) | instid1(SALU_CYCLE_1)
	s_lshl_b64 s[22:23], s[22:23], 2
	s_add_nc_u64 s[10:11], s[10:11], s[22:23]
	s_wait_alu 0xfffe
	s_add_nc_u64 s[2:3], s[10:11], s[2:3]
	v_lshlrev_b64_e32 v[1:2], 2, v[1:2]
	s_wait_alu 0xfffe
	s_delay_alu instid0(VALU_DEP_1) | instskip(SKIP_1) | instid1(VALU_DEP_2)
	v_add_co_u32 v1, vcc_lo, s2, v1
	s_wait_alu 0xfffd
	v_add_co_ci_u32_e64 v2, null, s3, v2, vcc_lo
	global_load_b32 v1, v[1:2], off
	s_wait_loadcnt 0x0
	v_dual_mul_f32 v1, s14, v1 :: v_dual_lshlrev_b32 v2, 2, v0
	ds_store_b32 v2, v1
.LBB37_19:
	s_wait_alu 0xfffe
	s_or_b32 exec_lo, exec_lo, s17
	s_cmp_lt_i32 s13, 1
	s_wait_storecnt_dscnt 0x0
	s_barrier_signal -1
	s_barrier_wait -1
	global_inv scope:SCOPE_SE
	s_cbranch_scc1 .LBB37_34
; %bb.20:
	s_load_b32 s22, s[0:1], 0x28
	s_wait_kmcnt 0x0
	s_load_b128 s[0:3], s[0:1], 0x18
	s_lshl_b64 s[10:11], s[20:21], 2
	s_lshl_b64 s[20:21], s[6:7], 2
	s_ashr_i32 s6, s16, 31
	s_mul_u64 s[18:19], s[8:9], s[18:19]
	s_add_nc_u64 s[4:5], s[4:5], s[10:11]
	s_mov_b32 s14, 0
	s_add_nc_u64 s[4:5], s[4:5], s[20:21]
	s_ashr_i32 s23, s22, 31
	s_cmp_neq_f32 s15, 0
	v_mad_co_i64_i32 v[1:2], null, s22, v0, 0
	s_cselect_b32 s7, -1, 0
	s_cmp_gt_i32 s12, 0
	s_cselect_b32 s8, -1, 0
	s_and_b32 s9, s12, 7
	s_cmp_gt_u32 s12, 7
	v_lshlrev_b64_e32 v[1:2], 2, v[1:2]
	s_cselect_b32 s10, -1, 0
	s_and_b32 s11, s12, 0x7ffffff8
	s_wait_alu 0xfffe
	s_cmp_lg_u32 s9, 0
	s_cselect_b32 s12, -1, 0
	s_wait_kmcnt 0x0
	s_lshl_b64 s[2:3], s[2:3], 2
	s_lshl_b64 s[18:19], s[18:19], 2
	s_wait_alu 0xfffe
	s_add_nc_u64 s[0:1], s[0:1], s[2:3]
	s_lshl_b64 s[2:3], s[22:23], 10
	s_add_nc_u64 s[0:1], s[0:1], s[18:19]
	s_delay_alu instid0(SALU_CYCLE_1)
	v_add_co_u32 v7, vcc_lo, s0, v1
	s_wait_alu 0xfffd
	v_add_co_ci_u32_e64 v8, null, s1, v2, vcc_lo
	s_mov_b32 s1, 0
	v_add_co_u32 v1, vcc_lo, v7, 28
	s_wait_alu 0xfffd
	v_add_co_ci_u32_e64 v2, null, 0, v8, vcc_lo
	s_branch .LBB37_23
.LBB37_21:                              ;   in Loop: Header=BB37_23 Depth=1
	v_add_co_u32 v3, vcc_lo, s4, v3
	s_wait_alu 0xfffd
	v_add_co_ci_u32_e64 v4, null, s5, v4, vcc_lo
	global_store_b32 v[3:4], v9, off
.LBB37_22:                              ;   in Loop: Header=BB37_23 Depth=1
	s_wait_alu 0xfffe
	s_or_b32 exec_lo, exec_lo, s17
	v_add_co_u32 v1, vcc_lo, v1, s2
	s_wait_alu 0xfffd
	v_add_co_ci_u32_e64 v2, null, s3, v2, vcc_lo
	v_add_co_u32 v7, vcc_lo, v7, s2
	s_wait_alu 0xfffd
	v_add_co_ci_u32_e64 v8, null, s3, v8, vcc_lo
	s_addk_co_i32 s14, 0x100
	s_wait_alu 0xfffe
	s_cmp_ge_i32 s14, s13
	s_cbranch_scc1 .LBB37_34
.LBB37_23:                              ; =>This Loop Header: Depth=1
                                        ;     Child Loop BB37_29 Depth 2
                                        ;     Child Loop BB37_33 Depth 2
	v_add_nc_u32_e32 v3, s14, v0
	s_mov_b32 s17, exec_lo
	s_delay_alu instid0(VALU_DEP_1)
	v_cmpx_gt_i32_e64 s13, v3
	s_cbranch_execz .LBB37_22
; %bb.24:                               ;   in Loop: Header=BB37_23 Depth=1
	v_mad_co_u64_u32 v[4:5], null, v3, s16, 0
	s_and_not1_b32 vcc_lo, exec_lo, s7
	v_mad_co_u64_u32 v[5:6], null, v3, s6, v[5:6]
	s_delay_alu instid0(VALU_DEP_1)
	v_lshlrev_b64_e32 v[3:4], 2, v[4:5]
	s_wait_alu 0xfffe
	s_cbranch_vccnz .LBB37_26
; %bb.25:                               ;   in Loop: Header=BB37_23 Depth=1
	s_delay_alu instid0(VALU_DEP_1) | instskip(SKIP_1) | instid1(VALU_DEP_2)
	v_add_co_u32 v5, vcc_lo, s4, v3
	s_wait_alu 0xfffd
	v_add_co_ci_u32_e64 v6, null, s5, v4, vcc_lo
	global_load_b32 v5, v[5:6], off
	s_wait_loadcnt 0x0
	v_mul_f32_e32 v9, s15, v5
	s_and_not1_b32 vcc_lo, exec_lo, s8
	s_wait_alu 0xfffe
	s_cbranch_vccz .LBB37_27
	s_branch .LBB37_21
.LBB37_26:                              ;   in Loop: Header=BB37_23 Depth=1
	v_mov_b32_e32 v9, 0
	s_and_not1_b32 vcc_lo, exec_lo, s8
	s_wait_alu 0xfffe
	s_cbranch_vccnz .LBB37_21
.LBB37_27:                              ;   in Loop: Header=BB37_23 Depth=1
	s_and_not1_b32 vcc_lo, exec_lo, s10
	s_mov_b32 s0, 0
	s_wait_alu 0xfffe
	s_cbranch_vccnz .LBB37_31
; %bb.28:                               ;   in Loop: Header=BB37_23 Depth=1
	v_dual_mov_b32 v6, v2 :: v_dual_mov_b32 v5, v1
	s_mov_b32 s18, 0
.LBB37_29:                              ;   Parent Loop BB37_23 Depth=1
                                        ; =>  This Inner Loop Header: Depth=2
	s_clause 0x1
	global_load_b128 v[10:13], v[5:6], off offset:-28
	global_load_b128 v[14:17], v[5:6], off offset:-12
	s_wait_alu 0xfffe
	v_mov_b32_e32 v22, s0
	v_add_co_u32 v5, vcc_lo, v5, 32
	s_wait_alu 0xfffd
	v_add_co_ci_u32_e64 v6, null, 0, v6, vcc_lo
	ds_load_b128 v[18:21], v22
	ds_load_b128 v[22:25], v22 offset:16
	s_add_co_i32 s18, s18, 8
	s_add_co_i32 s0, s0, 32
	s_wait_alu 0xfffe
	s_cmp_eq_u32 s11, s18
	s_wait_loadcnt_dscnt 0x101
	v_fmac_f32_e32 v9, v18, v10
	s_delay_alu instid0(VALU_DEP_1) | instskip(NEXT) | instid1(VALU_DEP_1)
	v_fmac_f32_e32 v9, v19, v11
	v_fmac_f32_e32 v9, v20, v12
	s_delay_alu instid0(VALU_DEP_1) | instskip(SKIP_1) | instid1(VALU_DEP_1)
	v_fmac_f32_e32 v9, v21, v13
	s_wait_loadcnt_dscnt 0x0
	v_fmac_f32_e32 v9, v22, v14
	s_delay_alu instid0(VALU_DEP_1) | instskip(NEXT) | instid1(VALU_DEP_1)
	v_fmac_f32_e32 v9, v23, v15
	v_fmac_f32_e32 v9, v24, v16
	s_delay_alu instid0(VALU_DEP_1)
	v_fmac_f32_e32 v9, v25, v17
	s_cbranch_scc0 .LBB37_29
; %bb.30:                               ;   in Loop: Header=BB37_23 Depth=1
	s_mov_b32 s0, s11
.LBB37_31:                              ;   in Loop: Header=BB37_23 Depth=1
	s_and_not1_b32 vcc_lo, exec_lo, s12
	s_wait_alu 0xfffe
	s_cbranch_vccnz .LBB37_21
; %bb.32:                               ;   in Loop: Header=BB37_23 Depth=1
	s_lshl_b64 s[18:19], s[0:1], 2
	s_lshl_b32 s0, s0, 2
	s_wait_alu 0xfffe
	v_add_co_u32 v5, vcc_lo, v7, s18
	s_wait_alu 0xfffd
	v_add_co_ci_u32_e64 v6, null, s19, v8, vcc_lo
	s_mov_b32 s18, s9
.LBB37_33:                              ;   Parent Loop BB37_23 Depth=1
                                        ; =>  This Inner Loop Header: Depth=2
	global_load_b32 v10, v[5:6], off
	s_wait_alu 0xfffe
	v_mov_b32_e32 v11, s0
	v_add_co_u32 v5, vcc_lo, v5, 4
	s_wait_alu 0xfffd
	v_add_co_ci_u32_e64 v6, null, 0, v6, vcc_lo
	ds_load_b32 v11, v11
	s_add_co_i32 s18, s18, -1
	s_add_co_i32 s0, s0, 4
	s_wait_alu 0xfffe
	s_cmp_lg_u32 s18, 0
	s_wait_loadcnt_dscnt 0x0
	v_fmac_f32_e32 v9, v11, v10
	s_cbranch_scc1 .LBB37_33
	s_branch .LBB37_21
.LBB37_34:
	s_endpgm
	.section	.rodata,"a",@progbits
	.p2align	6, 0x0
	.amdhsa_kernel _ZL22rocblas_gemvtsm_kernelILb1ELi256EfffEviiT2_lPKT1_lilS3_lilS0_lPT3_lil
		.amdhsa_group_segment_fixed_size 256
		.amdhsa_private_segment_fixed_size 0
		.amdhsa_kernarg_size 136
		.amdhsa_user_sgpr_count 2
		.amdhsa_user_sgpr_dispatch_ptr 0
		.amdhsa_user_sgpr_queue_ptr 0
		.amdhsa_user_sgpr_kernarg_segment_ptr 1
		.amdhsa_user_sgpr_dispatch_id 0
		.amdhsa_user_sgpr_private_segment_size 0
		.amdhsa_wavefront_size32 1
		.amdhsa_uses_dynamic_stack 0
		.amdhsa_enable_private_segment 0
		.amdhsa_system_sgpr_workgroup_id_x 1
		.amdhsa_system_sgpr_workgroup_id_y 0
		.amdhsa_system_sgpr_workgroup_id_z 0
		.amdhsa_system_sgpr_workgroup_info 0
		.amdhsa_system_vgpr_workitem_id 0
		.amdhsa_next_free_vgpr 26
		.amdhsa_next_free_sgpr 25
		.amdhsa_reserve_vcc 1
		.amdhsa_float_round_mode_32 0
		.amdhsa_float_round_mode_16_64 0
		.amdhsa_float_denorm_mode_32 3
		.amdhsa_float_denorm_mode_16_64 3
		.amdhsa_fp16_overflow 0
		.amdhsa_workgroup_processor_mode 1
		.amdhsa_memory_ordered 1
		.amdhsa_forward_progress 1
		.amdhsa_inst_pref_size 12
		.amdhsa_round_robin_scheduling 0
		.amdhsa_exception_fp_ieee_invalid_op 0
		.amdhsa_exception_fp_denorm_src 0
		.amdhsa_exception_fp_ieee_div_zero 0
		.amdhsa_exception_fp_ieee_overflow 0
		.amdhsa_exception_fp_ieee_underflow 0
		.amdhsa_exception_fp_ieee_inexact 0
		.amdhsa_exception_int_div_zero 0
	.end_amdhsa_kernel
	.section	.text._ZL22rocblas_gemvtsm_kernelILb1ELi256EfffEviiT2_lPKT1_lilS3_lilS0_lPT3_lil,"axG",@progbits,_ZL22rocblas_gemvtsm_kernelILb1ELi256EfffEviiT2_lPKT1_lilS3_lilS0_lPT3_lil,comdat
.Lfunc_end37:
	.size	_ZL22rocblas_gemvtsm_kernelILb1ELi256EfffEviiT2_lPKT1_lilS3_lilS0_lPT3_lil, .Lfunc_end37-_ZL22rocblas_gemvtsm_kernelILb1ELi256EfffEviiT2_lPKT1_lilS3_lilS0_lPT3_lil
                                        ; -- End function
	.set _ZL22rocblas_gemvtsm_kernelILb1ELi256EfffEviiT2_lPKT1_lilS3_lilS0_lPT3_lil.num_vgpr, 26
	.set _ZL22rocblas_gemvtsm_kernelILb1ELi256EfffEviiT2_lPKT1_lilS3_lilS0_lPT3_lil.num_agpr, 0
	.set _ZL22rocblas_gemvtsm_kernelILb1ELi256EfffEviiT2_lPKT1_lilS3_lilS0_lPT3_lil.numbered_sgpr, 25
	.set _ZL22rocblas_gemvtsm_kernelILb1ELi256EfffEviiT2_lPKT1_lilS3_lilS0_lPT3_lil.num_named_barrier, 0
	.set _ZL22rocblas_gemvtsm_kernelILb1ELi256EfffEviiT2_lPKT1_lilS3_lilS0_lPT3_lil.private_seg_size, 0
	.set _ZL22rocblas_gemvtsm_kernelILb1ELi256EfffEviiT2_lPKT1_lilS3_lilS0_lPT3_lil.uses_vcc, 1
	.set _ZL22rocblas_gemvtsm_kernelILb1ELi256EfffEviiT2_lPKT1_lilS3_lilS0_lPT3_lil.uses_flat_scratch, 0
	.set _ZL22rocblas_gemvtsm_kernelILb1ELi256EfffEviiT2_lPKT1_lilS3_lilS0_lPT3_lil.has_dyn_sized_stack, 0
	.set _ZL22rocblas_gemvtsm_kernelILb1ELi256EfffEviiT2_lPKT1_lilS3_lilS0_lPT3_lil.has_recursion, 0
	.set _ZL22rocblas_gemvtsm_kernelILb1ELi256EfffEviiT2_lPKT1_lilS3_lilS0_lPT3_lil.has_indirect_call, 0
	.section	.AMDGPU.csdata,"",@progbits
; Kernel info:
; codeLenInByte = 1452
; TotalNumSgprs: 27
; NumVgprs: 26
; ScratchSize: 0
; MemoryBound: 0
; FloatMode: 240
; IeeeMode: 1
; LDSByteSize: 256 bytes/workgroup (compile time only)
; SGPRBlocks: 0
; VGPRBlocks: 3
; NumSGPRsForWavesPerEU: 27
; NumVGPRsForWavesPerEU: 26
; Occupancy: 16
; WaveLimiterHint : 1
; COMPUTE_PGM_RSRC2:SCRATCH_EN: 0
; COMPUTE_PGM_RSRC2:USER_SGPR: 2
; COMPUTE_PGM_RSRC2:TRAP_HANDLER: 0
; COMPUTE_PGM_RSRC2:TGID_X_EN: 1
; COMPUTE_PGM_RSRC2:TGID_Y_EN: 0
; COMPUTE_PGM_RSRC2:TGID_Z_EN: 0
; COMPUTE_PGM_RSRC2:TIDIG_COMP_CNT: 0
	.section	.text._ZL23rocblas_gemvt_sn_kernelILb1ELi256ELi4EifPKffEviiT4_lPKT3_lilS5_lilPT5_i,"axG",@progbits,_ZL23rocblas_gemvt_sn_kernelILb1ELi256ELi4EifPKffEviiT4_lPKT3_lilS5_lilPT5_i,comdat
	.globl	_ZL23rocblas_gemvt_sn_kernelILb1ELi256ELi4EifPKffEviiT4_lPKT3_lilS5_lilPT5_i ; -- Begin function _ZL23rocblas_gemvt_sn_kernelILb1ELi256ELi4EifPKffEviiT4_lPKT3_lilS5_lilPT5_i
	.p2align	8
	.type	_ZL23rocblas_gemvt_sn_kernelILb1ELi256ELi4EifPKffEviiT4_lPKT3_lilS5_lilPT5_i,@function
_ZL23rocblas_gemvt_sn_kernelILb1ELi256ELi4EifPKffEviiT4_lPKT3_lilS5_lilPT5_i: ; @_ZL23rocblas_gemvt_sn_kernelILb1ELi256ELi4EifPKffEviiT4_lPKT3_lilS5_lilPT5_i
; %bb.0:
	s_load_b32 s11, s[0:1], 0x60
	s_lshr_b32 s28, ttmp7, 16
	s_wait_kmcnt 0x0
	s_cmp_ge_u32 s28, s11
	s_cbranch_scc1 .LBB38_83
; %bb.1:
	s_clause 0x6
	s_load_b96 s[8:10], s[0:1], 0x40
	s_load_b256 s[12:19], s[0:1], 0x8
	s_load_b64 s[34:35], s[0:1], 0x0
	s_load_b128 s[20:23], s[0:1], 0x30
	s_load_b32 s36, s[0:1], 0x68
	s_load_b32 s38, s[0:1], 0x28
	s_load_b128 s[24:27], s[0:1], 0x50
	v_cmp_eq_u32_e64 s0, 0, v0
	v_mbcnt_lo_u32_b32 v28, -1, 0
	s_mov_b32 s41, 0
	s_mov_b32 s30, ttmp9
	s_mov_b32 s37, s41
	s_mov_b32 s31, s41
	v_lshl_or_b32 v29, v28, 2, 64
	s_mov_b32 s39, s41
	s_mov_b32 s49, s41
	s_wait_kmcnt 0x0
	s_lshl_b64 s[2:3], s[8:9], 2
	s_lshl_b64 s[4:5], s[18:19], 2
	s_ashr_i32 s7, s35, 31
	s_cmp_gt_i32 s35, 0
	s_add_nc_u64 s[18:19], s[22:23], s[2:3]
	s_add_nc_u64 s[2:3], s[16:17], s[4:5]
	s_cselect_b32 s1, -1, 0
	s_lshl_b32 s4, ttmp9, 10
	s_lshr_b32 s5, s7, 30
	v_lshl_or_b32 v1, v0, 2, s4
	s_ashr_i32 s4, s34, 31
	s_and_b32 s33, s0, s1
	s_wait_alu 0xfffe
	s_lshr_b32 s4, s4, 30
	s_add_co_i32 s1, s35, s5
	v_ashrrev_i32_e32 v2, 31, v1
	s_wait_alu 0xfffe
	s_add_co_i32 s4, s34, s4
	s_and_b32 s72, s1, -4
	s_wait_alu 0xfffe
	s_and_b32 s1, s4, -4
	v_mul_lo_u32 v5, s10, v1
	v_lshlrev_b64_e32 v[2:3], 2, v[1:2]
	s_sub_co_i32 s73, s34, s1
	v_add_nc_u32_e32 v4, 4, v1
	v_add_nc_u32_e32 v1, s73, v1
	v_cmp_gt_u32_e64 s5, 8, v0
	s_cmp_gt_i32 s72, 0
	v_add_co_u32 v24, vcc_lo, s2, v2
	s_delay_alu instid0(VALU_DEP_1)
	v_add_co_ci_u32_e64 v25, null, s3, v3, vcc_lo
	v_cmp_ge_i32_e64 s1, s34, v4
	v_and_b32_e32 v2, 31, v0
	v_cmp_gt_u32_e64 s3, 32, v0
	v_lshrrev_b32_e32 v4, 3, v0
	v_mov_b32_e32 v0, 0
	v_cmp_ge_i32_e64 s2, s34, v1
	v_add_nc_u32_e32 v1, s10, v5
	v_cmp_eq_u32_e64 s4, 0, v2
	v_lshlrev_b32_e32 v26, 2, v2
	v_and_b32_e32 v27, 28, v4
	v_ashrrev_i32_e32 v6, 31, v5
	v_add_nc_u32_e32 v3, s10, v1
	v_ashrrev_i32_e32 v2, 31, v1
	s_cselect_b32 s74, -1, 0
	s_cmp_gt_i32 s73, 0
	s_mov_b32 s6, s35
	v_add_nc_u32_e32 v12, s10, v3
	v_ashrrev_i32_e32 v4, 31, v3
	s_cselect_b32 s34, -1, 0
	s_lshl_b32 s40, s38, 1
	v_lshlrev_b64_e32 v[6:7], 2, v[5:6]
	v_ashrrev_i32_e32 v13, 31, v12
	v_lshlrev_b64_e32 v[8:9], 2, v[1:2]
	v_lshlrev_b64_e32 v[10:11], 2, v[3:4]
	s_mul_u64 s[16:17], s[6:7], s[36:37]
	s_lshl_b64 s[22:23], s[30:31], 2
	v_lshlrev_b64_e32 v[12:13], 2, v[12:13]
	s_mov_b64 s[50:51], s[40:41]
	s_mul_i32 s40, s38, 3
	s_add_nc_u64 s[42:43], s[26:27], s[22:23]
	s_lshl_b64 s[44:45], s[16:17], 2
	s_lshl_b64 s[46:47], s[36:37], 2
	s_lshl_b32 s48, s38, 2
	s_mov_b64 s[52:53], s[40:41]
	s_lshl_b64 s[54:55], s[20:21], 2
	s_branch .LBB38_3
.LBB38_2:                               ;   in Loop: Header=BB38_3 Depth=1
	s_add_co_i32 s28, s28, 0x10000
	s_delay_alu instid0(SALU_CYCLE_1)
	s_cmp_lt_u32 s28, s11
	s_cbranch_scc0 .LBB38_83
.LBB38_3:                               ; =>This Loop Header: Depth=1
                                        ;     Child Loop BB38_6 Depth 2
                                        ;     Child Loop BB38_12 Depth 2
                                        ;       Child Loop BB38_43 Depth 3
                                        ;       Child Loop BB38_46 Depth 3
                                        ;     Child Loop BB38_62 Depth 2
                                        ;       Child Loop BB38_75 Depth 3
                                        ;       Child Loop BB38_78 Depth 3
	s_mov_b32 s29, s41
	s_delay_alu instid0(SALU_CYCLE_1)
	s_mul_u64 s[6:7], s[14:15], s[28:29]
	s_wait_alu 0xfffe
	s_lshl_b64 s[6:7], s[6:7], 2
	s_wait_alu 0xfffe
	s_add_nc_u64 s[6:7], s[12:13], s[6:7]
	global_load_b32 v30, v0, s[6:7]
	s_mov_b32 s6, -1
	s_wait_loadcnt 0x0
	v_cmp_neq_f32_e32 vcc_lo, 0, v30
	s_cbranch_vccnz .LBB38_8
; %bb.4:                                ;   in Loop: Header=BB38_3 Depth=1
	s_and_saveexec_b32 s8, s33
	s_cbranch_execz .LBB38_7
; %bb.5:                                ;   in Loop: Header=BB38_3 Depth=1
	s_mul_u64 s[6:7], s[44:45], s[28:29]
	s_mov_b32 s9, s35
	s_wait_alu 0xfffe
	s_add_nc_u64 s[6:7], s[42:43], s[6:7]
.LBB38_6:                               ;   Parent Loop BB38_3 Depth=1
                                        ; =>  This Inner Loop Header: Depth=2
	s_add_co_i32 s9, s9, -1
	global_store_b32 v0, v0, s[6:7]
	s_wait_alu 0xfffe
	s_cmp_eq_u32 s9, 0
	s_add_nc_u64 s[6:7], s[6:7], s[46:47]
	s_cbranch_scc0 .LBB38_6
.LBB38_7:                               ;   in Loop: Header=BB38_3 Depth=1
	s_wait_alu 0xfffe
	s_or_b32 exec_lo, exec_lo, s8
	s_mov_b32 s6, 0
.LBB38_8:                               ;   in Loop: Header=BB38_3 Depth=1
	s_wait_alu 0xfffe
	s_and_not1_b32 vcc_lo, exec_lo, s6
	s_wait_alu 0xfffe
	s_cbranch_vccnz .LBB38_2
; %bb.9:                                ;   in Loop: Header=BB38_3 Depth=1
	s_mul_u64 s[6:7], s[24:25], s[28:29]
	s_mul_u64 s[8:9], s[20:21], s[28:29]
	s_wait_alu 0xfffe
	s_lshl_b64 s[6:7], s[6:7], 2
	s_mul_u64 s[60:61], s[16:17], s[28:29]
	s_wait_alu 0xfffe
	s_add_nc_u64 s[56:57], s[18:19], s[6:7]
	s_lshl_b64 s[6:7], s[8:9], 2
	v_cmp_gt_u32_e64 s9, 24, v28
	s_wait_alu 0xfffe
	v_add_co_u32 v31, vcc_lo, v24, s6
	s_wait_alu 0xfffd
	v_add_co_ci_u32_e64 v32, null, s7, v25, vcc_lo
	v_cmp_gt_u32_e64 s8, 28, v28
	v_cmp_gt_u32_e64 s7, 30, v28
	v_cmp_ne_u32_e64 s6, 31, v28
	s_lshl_b64 s[60:61], s[60:61], 2
	s_mul_u64 s[58:59], s[54:55], s[28:29]
	s_and_not1_b32 vcc_lo, exec_lo, s74
	s_add_nc_u64 s[60:61], s[26:27], s[60:61]
	s_wait_alu 0xfffe
	s_cbranch_vccnz .LBB38_58
; %bb.10:                               ;   in Loop: Header=BB38_3 Depth=1
	s_wait_alu 0xf1ff
	v_cndmask_b32_e64 v2, 0, 4, s8
	v_cndmask_b32_e64 v3, 0, 2, s7
	v_add_co_u32 v14, vcc_lo, s56, v6
	s_wait_alu 0xfffd
	v_add_co_ci_u32_e64 v15, null, s57, v7, vcc_lo
	v_add_co_u32 v16, vcc_lo, s56, v8
	v_cndmask_b32_e64 v1, 0, 8, s9
	v_add_co_ci_u32_e64 v4, null, 0, v28, s6
	v_add_lshl_u32 v34, v2, v28, 2
	v_add_lshl_u32 v35, v3, v28, 2
	s_wait_alu 0xfffd
	v_add_co_ci_u32_e64 v17, null, s57, v9, vcc_lo
	v_add_co_u32 v18, vcc_lo, s56, v10
	v_dual_mov_b32 v2, v0 :: v_dual_mov_b32 v3, v0
	s_wait_alu 0xfffd
	v_add_co_ci_u32_e64 v19, null, s57, v11, vcc_lo
	v_add_co_u32 v20, vcc_lo, s56, v12
	v_add_lshl_u32 v33, v1, v28, 2
	v_dual_mov_b32 v1, v0 :: v_dual_lshlrev_b32 v36, 2, v4
	s_wait_alu 0xfffd
	v_add_co_ci_u32_e64 v21, null, s57, v13, vcc_lo
	v_add_co_u32 v37, vcc_lo, v24, s58
	v_mov_b32_e32 v4, v3
	s_wait_alu 0xfffd
	v_add_co_ci_u32_e64 v38, null, s59, v25, vcc_lo
	v_mov_b32_e32 v3, v2
	v_mov_b32_e32 v2, v1
	;; [unrolled: 1-line block ×3, first 2 shown]
	s_mov_b32 s62, 0
	s_mov_b64 s[64:65], s[52:53]
	s_mov_b64 s[66:67], s[50:51]
	;; [unrolled: 1-line block ×3, first 2 shown]
	s_mov_b32 s29, 0
	s_branch .LBB38_12
.LBB38_11:                              ;   in Loop: Header=BB38_12 Depth=2
	s_wait_alu 0xfffe
	s_or_b32 exec_lo, exec_lo, s6
	s_add_co_i32 s29, s29, 4
	s_add_co_i32 s62, s62, s48
	s_add_nc_u64 s[68:69], s[68:69], s[48:49]
	s_add_nc_u64 s[66:67], s[66:67], s[48:49]
	s_cmp_ge_i32 s29, s72
	s_add_nc_u64 s[64:65], s[64:65], s[48:49]
	s_cbranch_scc1 .LBB38_59
.LBB38_12:                              ;   Parent Loop BB38_3 Depth=1
                                        ; =>  This Loop Header: Depth=2
                                        ;       Child Loop BB38_43 Depth 3
                                        ;       Child Loop BB38_46 Depth 3
                                        ; implicit-def: $vgpr39
                                        ; implicit-def: $vgpr40
                                        ; implicit-def: $vgpr41
                                        ; implicit-def: $vgpr42
	s_and_saveexec_b32 s6, s1
	s_wait_alu 0xfffe
	s_xor_b32 s6, exec_lo, s6
	s_cbranch_execnz .LBB38_39
; %bb.13:                               ;   in Loop: Header=BB38_12 Depth=2
	s_wait_alu 0xfffe
	s_and_not1_saveexec_b32 s31, s6
	s_cbranch_execnz .LBB38_40
.LBB38_14:                              ;   in Loop: Header=BB38_12 Depth=2
	s_or_b32 exec_lo, exec_lo, s31
	s_and_saveexec_b32 s6, s3
.LBB38_15:                              ;   in Loop: Header=BB38_12 Depth=2
	ds_store_b32 v26, v0
.LBB38_16:                              ;   in Loop: Header=BB38_12 Depth=2
	s_wait_alu 0xfffe
	s_or_b32 exec_lo, exec_lo, s6
	s_wait_dscnt 0x0
	ds_bpermute_b32 v22, v29, v42
	s_wait_storecnt_dscnt 0x0
	s_barrier_signal -1
	s_barrier_wait -1
	global_inv scope:SCOPE_SE
	v_add_f32_e32 v22, v42, v22
	ds_bpermute_b32 v23, v33, v22
	s_wait_dscnt 0x0
	v_add_f32_e32 v22, v22, v23
	ds_bpermute_b32 v23, v34, v22
	s_wait_dscnt 0x0
	;; [unrolled: 3-line block ×3, first 2 shown]
	v_add_f32_e32 v22, v22, v23
	ds_bpermute_b32 v23, v36, v22
	s_and_saveexec_b32 s6, s4
	s_cbranch_execz .LBB38_18
; %bb.17:                               ;   in Loop: Header=BB38_12 Depth=2
	s_wait_dscnt 0x0
	v_add_f32_e32 v22, v22, v23
	ds_store_b32 v27, v22
.LBB38_18:                              ;   in Loop: Header=BB38_12 Depth=2
	s_wait_alu 0xfffe
	s_or_b32 exec_lo, exec_lo, s6
	v_mov_b32_e32 v22, 0
	s_wait_loadcnt_dscnt 0x0
	s_barrier_signal -1
	s_barrier_wait -1
	global_inv scope:SCOPE_SE
	s_and_saveexec_b32 s6, s5
	s_cbranch_execnz .LBB38_47
; %bb.19:                               ;   in Loop: Header=BB38_12 Depth=2
	s_wait_alu 0xfffe
	s_or_b32 exec_lo, exec_lo, s6
	s_and_saveexec_b32 s6, s3
	s_cbranch_execnz .LBB38_48
.LBB38_20:                              ;   in Loop: Header=BB38_12 Depth=2
	s_wait_alu 0xfffe
	s_or_b32 exec_lo, exec_lo, s6
	s_and_saveexec_b32 s6, s3
.LBB38_21:                              ;   in Loop: Header=BB38_12 Depth=2
	ds_store_b32 v26, v0
.LBB38_22:                              ;   in Loop: Header=BB38_12 Depth=2
	s_wait_alu 0xfffe
	s_or_b32 exec_lo, exec_lo, s6
	ds_bpermute_b32 v23, v29, v41
	s_wait_loadcnt_dscnt 0x0
	s_barrier_signal -1
	s_barrier_wait -1
	global_inv scope:SCOPE_SE
	v_add_f32_e32 v23, v41, v23
	ds_bpermute_b32 v41, v33, v23
	s_wait_dscnt 0x0
	v_add_f32_e32 v23, v23, v41
	ds_bpermute_b32 v41, v34, v23
	s_wait_dscnt 0x0
	;; [unrolled: 3-line block ×3, first 2 shown]
	v_add_f32_e32 v23, v23, v41
	ds_bpermute_b32 v41, v36, v23
	s_and_saveexec_b32 s6, s4
	s_cbranch_execz .LBB38_24
; %bb.23:                               ;   in Loop: Header=BB38_12 Depth=2
	s_wait_dscnt 0x0
	v_add_f32_e32 v23, v23, v41
	ds_store_b32 v27, v23
.LBB38_24:                              ;   in Loop: Header=BB38_12 Depth=2
	s_wait_alu 0xfffe
	s_or_b32 exec_lo, exec_lo, s6
	v_mov_b32_e32 v23, 0
	s_wait_loadcnt_dscnt 0x0
	s_barrier_signal -1
	s_barrier_wait -1
	global_inv scope:SCOPE_SE
	s_and_saveexec_b32 s6, s5
	s_cbranch_execnz .LBB38_49
; %bb.25:                               ;   in Loop: Header=BB38_12 Depth=2
	s_wait_alu 0xfffe
	s_or_b32 exec_lo, exec_lo, s6
	s_and_saveexec_b32 s6, s3
	s_cbranch_execnz .LBB38_50
.LBB38_26:                              ;   in Loop: Header=BB38_12 Depth=2
	s_wait_alu 0xfffe
	s_or_b32 exec_lo, exec_lo, s6
	s_and_saveexec_b32 s6, s3
.LBB38_27:                              ;   in Loop: Header=BB38_12 Depth=2
	ds_store_b32 v26, v0
.LBB38_28:                              ;   in Loop: Header=BB38_12 Depth=2
	s_wait_alu 0xfffe
	s_or_b32 exec_lo, exec_lo, s6
	ds_bpermute_b32 v41, v29, v40
	s_wait_loadcnt_dscnt 0x0
	s_barrier_signal -1
	s_barrier_wait -1
	global_inv scope:SCOPE_SE
	v_add_f32_e32 v40, v40, v41
	ds_bpermute_b32 v41, v33, v40
	s_wait_dscnt 0x0
	v_add_f32_e32 v40, v40, v41
	ds_bpermute_b32 v41, v34, v40
	s_wait_dscnt 0x0
	;; [unrolled: 3-line block ×3, first 2 shown]
	v_add_f32_e32 v40, v40, v41
	ds_bpermute_b32 v41, v36, v40
	s_and_saveexec_b32 s6, s4
	s_cbranch_execz .LBB38_30
; %bb.29:                               ;   in Loop: Header=BB38_12 Depth=2
	s_wait_dscnt 0x0
	v_add_f32_e32 v40, v40, v41
	ds_store_b32 v27, v40
.LBB38_30:                              ;   in Loop: Header=BB38_12 Depth=2
	s_wait_alu 0xfffe
	s_or_b32 exec_lo, exec_lo, s6
	v_mov_b32_e32 v40, 0
	s_wait_loadcnt_dscnt 0x0
	s_barrier_signal -1
	s_barrier_wait -1
	global_inv scope:SCOPE_SE
	s_and_saveexec_b32 s6, s5
	s_cbranch_execnz .LBB38_51
; %bb.31:                               ;   in Loop: Header=BB38_12 Depth=2
	s_wait_alu 0xfffe
	s_or_b32 exec_lo, exec_lo, s6
	s_and_saveexec_b32 s6, s3
	s_cbranch_execnz .LBB38_52
.LBB38_32:                              ;   in Loop: Header=BB38_12 Depth=2
	s_wait_alu 0xfffe
	s_or_b32 exec_lo, exec_lo, s6
	s_and_saveexec_b32 s6, s3
.LBB38_33:                              ;   in Loop: Header=BB38_12 Depth=2
	ds_store_b32 v26, v0
.LBB38_34:                              ;   in Loop: Header=BB38_12 Depth=2
	s_wait_alu 0xfffe
	s_or_b32 exec_lo, exec_lo, s6
	ds_bpermute_b32 v41, v29, v39
	s_wait_loadcnt_dscnt 0x0
	s_barrier_signal -1
	s_barrier_wait -1
	global_inv scope:SCOPE_SE
	v_add_f32_e32 v39, v39, v41
	ds_bpermute_b32 v41, v33, v39
	s_wait_dscnt 0x0
	v_add_f32_e32 v39, v39, v41
	ds_bpermute_b32 v41, v34, v39
	s_wait_dscnt 0x0
	;; [unrolled: 3-line block ×3, first 2 shown]
	v_add_f32_e32 v39, v39, v41
	ds_bpermute_b32 v41, v36, v39
	s_and_saveexec_b32 s6, s4
	s_cbranch_execz .LBB38_36
; %bb.35:                               ;   in Loop: Header=BB38_12 Depth=2
	s_wait_dscnt 0x0
	v_add_f32_e32 v39, v39, v41
	ds_store_b32 v27, v39
.LBB38_36:                              ;   in Loop: Header=BB38_12 Depth=2
	s_wait_alu 0xfffe
	s_or_b32 exec_lo, exec_lo, s6
	v_mov_b32_e32 v39, 0
	s_wait_loadcnt_dscnt 0x0
	s_barrier_signal -1
	s_barrier_wait -1
	global_inv scope:SCOPE_SE
	s_and_saveexec_b32 s6, s5
	s_cbranch_execnz .LBB38_53
; %bb.37:                               ;   in Loop: Header=BB38_12 Depth=2
	s_wait_alu 0xfffe
	s_or_b32 exec_lo, exec_lo, s6
	s_and_saveexec_b32 s6, s3
	s_cbranch_execnz .LBB38_54
.LBB38_38:                              ;   in Loop: Header=BB38_12 Depth=2
	s_wait_alu 0xfffe
	s_or_b32 exec_lo, exec_lo, s6
	s_and_saveexec_b32 s6, s0
	s_cbranch_execz .LBB38_11
	s_branch .LBB38_55
.LBB38_39:                              ;   in Loop: Header=BB38_12 Depth=2
	s_mul_i32 s8, s29, s38
	s_wait_alu 0xfffe
	s_ashr_i32 s9, s8, 31
	s_add_co_i32 s70, s8, s38
	s_wait_alu 0xfffe
	s_lshl_b64 s[8:9], s[8:9], 2
	s_ashr_i32 s71, s70, 31
	s_wait_alu 0xfffe
	v_add_co_u32 v2, vcc_lo, v31, s8
	s_wait_alu 0xfffd
	v_add_co_ci_u32_e64 v3, null, s9, v32, vcc_lo
	s_lshl_b64 s[8:9], s[70:71], 2
	s_add_co_i32 s70, s70, s38
	s_wait_dscnt 0x0
	s_wait_alu 0xfffe
	v_add_co_u32 v22, vcc_lo, v31, s8
	s_ashr_i32 s71, s70, 31
	s_add_co_i32 s8, s70, s38
	s_wait_alu 0xfffd
	v_add_co_ci_u32_e64 v23, null, s9, v32, vcc_lo
	s_wait_alu 0xfffe
	s_lshl_b64 s[70:71], s[70:71], 2
	s_ashr_i32 s9, s8, 31
	s_wait_alu 0xfffe
	v_add_co_u32 v39, vcc_lo, v31, s70
	s_lshl_b64 s[8:9], s[8:9], 2
	s_wait_alu 0xfffd
	v_add_co_ci_u32_e64 v40, null, s71, v32, vcc_lo
	s_wait_alu 0xfffe
	v_add_co_u32 v54, vcc_lo, v31, s8
	s_wait_alu 0xfffd
	v_add_co_ci_u32_e64 v55, null, s9, v32, vcc_lo
	global_load_b32 v1, v[14:15], off
	s_clause 0x3
	global_load_b128 v[42:45], v[2:3], off
	global_load_b128 v[46:49], v[22:23], off
	;; [unrolled: 1-line block ×4, first 2 shown]
	s_clause 0x2
	global_load_b32 v2, v[16:17], off
	global_load_b32 v3, v[18:19], off
	global_load_b32 v4, v[20:21], off
	s_wait_loadcnt 0x6
	v_fma_f32 v42, v1, v42, 0
	s_wait_loadcnt 0x5
	v_fma_f32 v41, v1, v46, 0
	;; [unrolled: 2-line block ×4, first 2 shown]
	s_wait_loadcnt 0x2
	v_fmac_f32_e32 v41, v2, v47
	v_fmac_f32_e32 v42, v2, v43
	s_delay_alu instid0(VALU_DEP_3) | instskip(SKIP_1) | instid1(VALU_DEP_3)
	v_fmac_f32_e32 v39, v2, v55
	s_wait_loadcnt 0x1
	v_dual_fmac_f32 v40, v2, v51 :: v_dual_fmac_f32 v41, v3, v48
	s_delay_alu instid0(VALU_DEP_3) | instskip(NEXT) | instid1(VALU_DEP_3)
	v_fmac_f32_e32 v42, v3, v44
	v_fmac_f32_e32 v39, v3, v56
	s_wait_loadcnt 0x0
	s_delay_alu instid0(VALU_DEP_3) | instskip(NEXT) | instid1(VALU_DEP_3)
	v_dual_fmac_f32 v40, v3, v52 :: v_dual_fmac_f32 v41, v4, v49
	v_fmac_f32_e32 v42, v4, v45
	s_delay_alu instid0(VALU_DEP_3) | instskip(NEXT) | instid1(VALU_DEP_3)
	v_fmac_f32_e32 v39, v4, v57
	v_fmac_f32_e32 v40, v4, v53
	s_and_not1_saveexec_b32 s31, s6
	s_cbranch_execz .LBB38_14
.LBB38_40:                              ;   in Loop: Header=BB38_12 Depth=2
	s_wait_dscnt 0x0
	v_dual_mov_b32 v39, 0 :: v_dual_mov_b32 v40, 0
	v_dual_mov_b32 v41, 0 :: v_dual_mov_b32 v42, 0
	s_and_saveexec_b32 s40, s2
	s_cbranch_execz .LBB38_57
; %bb.41:                               ;   in Loop: Header=BB38_12 Depth=2
	s_and_not1_b32 vcc_lo, exec_lo, s34
	s_wait_alu 0xfffe
	s_cbranch_vccnz .LBB38_44
; %bb.42:                               ;   in Loop: Header=BB38_12 Depth=2
	v_mov_b32_e32 v22, v5
	s_mov_b64 s[70:71], 0
.LBB38_43:                              ;   Parent Loop BB38_3 Depth=1
                                        ;     Parent Loop BB38_12 Depth=2
                                        ; =>    This Inner Loop Header: Depth=3
	s_delay_alu instid0(VALU_DEP_1) | instskip(SKIP_2) | instid1(VALU_DEP_1)
	v_ashrrev_i32_e32 v23, 31, v22
	s_wait_alu 0xfffe
	s_cmp_eq_u32 s70, 3
	v_lshlrev_b64_e32 v[39:40], 2, v[22:23]
	v_add_nc_u32_e32 v22, s10, v22
	s_delay_alu instid0(VALU_DEP_2) | instskip(SKIP_1) | instid1(VALU_DEP_3)
	v_add_co_u32 v39, vcc_lo, s56, v39
	s_wait_alu 0xfffd
	v_add_co_ci_u32_e64 v40, null, s57, v40, vcc_lo
	s_cselect_b32 vcc_lo, -1, 0
	s_cmp_eq_u32 s70, 2
	s_cselect_b32 s6, -1, 0
	global_load_b32 v23, v[39:40], off
	s_cmp_eq_u32 s70, 1
	s_cselect_b32 s7, -1, 0
	s_cmp_eq_u32 s70, 0
	s_add_nc_u64 s[70:71], s[70:71], 1
	s_cselect_b32 s8, -1, 0
	s_wait_alu 0xfffe
	s_cmp_eq_u32 s73, s70
	s_wait_loadcnt 0x0
	v_cndmask_b32_e32 v4, v4, v23, vcc_lo
	v_cndmask_b32_e64 v3, v3, v23, s6
	v_cndmask_b32_e64 v2, v2, v23, s7
	;; [unrolled: 1-line block ×3, first 2 shown]
	s_cbranch_scc0 .LBB38_43
.LBB38_44:                              ;   in Loop: Header=BB38_12 Depth=2
	s_and_not1_b32 vcc_lo, exec_lo, s34
	s_wait_alu 0xfffe
	s_cbranch_vccnz .LBB38_56
; %bb.45:                               ;   in Loop: Header=BB38_12 Depth=2
	s_ashr_i32 s63, s62, 31
	v_dual_mov_b32 v42, 0 :: v_dual_mov_b32 v41, 0
	s_lshl_b64 s[6:7], s[62:63], 2
	v_dual_mov_b32 v40, 0 :: v_dual_mov_b32 v39, 0
	s_wait_alu 0xfffe
	v_add_co_u32 v22, vcc_lo, v37, s6
	s_wait_alu 0xfffd
	v_add_co_ci_u32_e64 v23, null, s7, v38, vcc_lo
	s_mov_b64 s[8:9], 0
.LBB38_46:                              ;   Parent Loop BB38_3 Depth=1
                                        ;     Parent Loop BB38_12 Depth=2
                                        ; =>    This Inner Loop Header: Depth=3
	s_wait_alu 0xfffe
	s_cmp_eq_u32 s8, 1
	s_cselect_b32 vcc_lo, -1, 0
	s_cmp_eq_u32 s8, 2
	s_wait_alu 0xfffe
	v_cndmask_b32_e32 v43, v1, v2, vcc_lo
	s_cselect_b32 vcc_lo, -1, 0
	s_cmp_eq_u32 s8, 3
	s_wait_alu 0xfffe
	s_delay_alu instid0(VALU_DEP_1)
	v_cndmask_b32_e32 v49, v43, v3, vcc_lo
	s_cselect_b32 vcc_lo, -1, 0
	s_add_co_i32 s6, s68, s8
	s_add_co_i32 s70, s66, s8
	s_wait_alu 0xfffe
	s_ashr_i32 s7, s6, 31
	s_add_co_i32 s76, s64, s8
	s_ashr_i32 s71, s70, 31
	s_wait_alu 0xfffe
	s_lshl_b64 s[6:7], s[6:7], 2
	s_ashr_i32 s77, s76, 31
	s_lshl_b64 s[70:71], s[70:71], 2
	s_wait_alu 0xfffe
	v_add_co_u32 v43, s6, v31, s6
	s_lshl_b64 s[76:77], s[76:77], 2
	v_add_co_ci_u32_e64 v44, null, s7, v32, s6
	v_add_co_u32 v45, s6, v31, s70
	s_wait_alu 0xf1ff
	v_add_co_ci_u32_e64 v46, null, s71, v32, s6
	s_wait_alu 0xfffe
	v_add_co_u32 v47, s6, v31, s76
	s_wait_alu 0xf1ff
	v_add_co_ci_u32_e64 v48, null, s77, v32, s6
	global_load_b32 v50, v[22:23], off
	s_clause 0x2
	global_load_b32 v43, v[43:44], off
	global_load_b32 v44, v[45:46], off
	;; [unrolled: 1-line block ×3, first 2 shown]
	v_cndmask_b32_e32 v46, v49, v4, vcc_lo
	v_add_co_u32 v22, s6, v22, 4
	s_wait_alu 0xf1ff
	v_add_co_ci_u32_e64 v23, null, 0, v23, s6
	s_add_nc_u64 s[8:9], s[8:9], 1
	s_wait_alu 0xfffe
	s_cmp_lg_u32 s73, s8
	s_wait_loadcnt 0x3
	v_fmac_f32_e32 v42, v46, v50
	s_wait_loadcnt 0x2
	v_fmac_f32_e32 v41, v46, v43
	s_wait_loadcnt 0x1
	v_fmac_f32_e32 v40, v46, v44
	s_wait_loadcnt 0x0
	v_fmac_f32_e32 v39, v46, v45
	s_cbranch_scc1 .LBB38_46
	s_branch .LBB38_57
.LBB38_47:                              ;   in Loop: Header=BB38_12 Depth=2
	ds_load_b32 v22, v26
	s_wait_alu 0xfffe
	s_or_b32 exec_lo, exec_lo, s6
	s_and_saveexec_b32 s6, s3
	s_cbranch_execz .LBB38_20
.LBB38_48:                              ;   in Loop: Header=BB38_12 Depth=2
	s_wait_dscnt 0x0
	ds_bpermute_b32 v23, v34, v22
	s_wait_dscnt 0x0
	v_add_f32_e32 v22, v22, v23
	ds_bpermute_b32 v23, v35, v22
	s_wait_dscnt 0x0
	v_add_f32_e32 v22, v22, v23
	;; [unrolled: 3-line block ×3, first 2 shown]
	s_wait_alu 0xfffe
	s_or_b32 exec_lo, exec_lo, s6
	s_and_saveexec_b32 s6, s3
	s_cbranch_execnz .LBB38_21
	s_branch .LBB38_22
.LBB38_49:                              ;   in Loop: Header=BB38_12 Depth=2
	ds_load_b32 v23, v26
	s_wait_alu 0xfffe
	s_or_b32 exec_lo, exec_lo, s6
	s_and_saveexec_b32 s6, s3
	s_cbranch_execz .LBB38_26
.LBB38_50:                              ;   in Loop: Header=BB38_12 Depth=2
	s_wait_dscnt 0x0
	ds_bpermute_b32 v41, v34, v23
	s_wait_dscnt 0x0
	v_add_f32_e32 v23, v23, v41
	ds_bpermute_b32 v41, v35, v23
	s_wait_dscnt 0x0
	v_add_f32_e32 v23, v23, v41
	;; [unrolled: 3-line block ×3, first 2 shown]
	s_wait_alu 0xfffe
	s_or_b32 exec_lo, exec_lo, s6
	s_and_saveexec_b32 s6, s3
	s_cbranch_execnz .LBB38_27
	s_branch .LBB38_28
.LBB38_51:                              ;   in Loop: Header=BB38_12 Depth=2
	ds_load_b32 v40, v26
	s_wait_alu 0xfffe
	s_or_b32 exec_lo, exec_lo, s6
	s_and_saveexec_b32 s6, s3
	s_cbranch_execz .LBB38_32
.LBB38_52:                              ;   in Loop: Header=BB38_12 Depth=2
	s_wait_dscnt 0x0
	ds_bpermute_b32 v41, v34, v40
	s_wait_dscnt 0x0
	v_add_f32_e32 v40, v40, v41
	ds_bpermute_b32 v41, v35, v40
	s_wait_dscnt 0x0
	v_add_f32_e32 v40, v40, v41
	;; [unrolled: 3-line block ×3, first 2 shown]
	s_wait_alu 0xfffe
	s_or_b32 exec_lo, exec_lo, s6
	s_and_saveexec_b32 s6, s3
	s_cbranch_execnz .LBB38_33
	s_branch .LBB38_34
.LBB38_53:                              ;   in Loop: Header=BB38_12 Depth=2
	ds_load_b32 v39, v26
	s_wait_alu 0xfffe
	s_or_b32 exec_lo, exec_lo, s6
	s_and_saveexec_b32 s6, s3
	s_cbranch_execz .LBB38_38
.LBB38_54:                              ;   in Loop: Header=BB38_12 Depth=2
	s_wait_dscnt 0x0
	ds_bpermute_b32 v41, v34, v39
	s_wait_dscnt 0x0
	v_add_f32_e32 v39, v39, v41
	ds_bpermute_b32 v41, v35, v39
	s_wait_dscnt 0x0
	v_add_f32_e32 v39, v39, v41
	;; [unrolled: 3-line block ×3, first 2 shown]
	s_wait_alu 0xfffe
	s_or_b32 exec_lo, exec_lo, s6
	s_and_saveexec_b32 s6, s0
	s_cbranch_execz .LBB38_11
.LBB38_55:                              ;   in Loop: Header=BB38_12 Depth=2
	s_mul_i32 s7, s29, s36
	v_mul_f32_e32 v22, v30, v22
	s_wait_alu 0xfffe
	s_add_co_i32 s40, s7, s30
	v_mul_f32_e32 v23, v30, v23
	s_wait_alu 0xfffe
	s_lshl_b64 s[8:9], s[40:41], 2
	s_add_co_i32 s40, s40, s36
	s_wait_alu 0xfffe
	s_add_nc_u64 s[8:9], s[60:61], s[8:9]
	s_lshl_b64 s[70:71], s[40:41], 2
	s_add_co_i32 s40, s40, s36
	s_wait_alu 0xfffe
	s_add_nc_u64 s[70:71], s[60:61], s[70:71]
	s_clause 0x1
	global_store_b32 v0, v22, s[8:9]
	global_store_b32 v0, v23, s[70:71]
	v_mul_f32_e32 v22, v30, v40
	s_lshl_b64 s[8:9], s[40:41], 2
	s_add_co_i32 s40, s40, s36
	s_wait_dscnt 0x0
	v_mul_f32_e32 v23, v30, v39
	s_wait_alu 0xfffe
	s_lshl_b64 s[70:71], s[40:41], 2
	s_add_nc_u64 s[8:9], s[60:61], s[8:9]
	s_wait_alu 0xfffe
	s_add_nc_u64 s[70:71], s[60:61], s[70:71]
	s_clause 0x1
	global_store_b32 v0, v22, s[8:9]
	global_store_b32 v0, v23, s[70:71]
	s_branch .LBB38_11
.LBB38_56:                              ;   in Loop: Header=BB38_12 Depth=2
	v_dual_mov_b32 v39, 0 :: v_dual_mov_b32 v40, 0
	v_dual_mov_b32 v41, 0 :: v_dual_mov_b32 v42, 0
.LBB38_57:                              ;   in Loop: Header=BB38_12 Depth=2
	s_wait_alu 0xfffe
	s_or_b32 exec_lo, exec_lo, s40
	s_delay_alu instid0(SALU_CYCLE_1)
	s_or_b32 exec_lo, exec_lo, s31
	s_and_saveexec_b32 s6, s3
	s_cbranch_execnz .LBB38_15
	s_branch .LBB38_16
.LBB38_58:                              ;   in Loop: Header=BB38_3 Depth=1
	v_mov_b32_e32 v3, v0
	v_dual_mov_b32 v1, v0 :: v_dual_mov_b32 v2, v0
	s_mov_b32 s29, 0
	s_delay_alu instid0(VALU_DEP_2) | instskip(NEXT) | instid1(VALU_DEP_2)
	v_mov_b32_e32 v4, v3
	v_mov_b32_e32 v3, v2
	s_delay_alu instid0(VALU_DEP_3)
	v_mov_b32_e32 v2, v1
	v_mov_b32_e32 v1, v0
.LBB38_59:                              ;   in Loop: Header=BB38_3 Depth=1
	s_cmp_ge_i32 s29, s35
	s_cbranch_scc1 .LBB38_2
; %bb.60:                               ;   in Loop: Header=BB38_3 Depth=1
	v_cmp_gt_u32_e32 vcc_lo, 24, v28
	s_mov_b32 s40, s29
	s_wait_alu 0xfffd
	v_cndmask_b32_e64 v14, 0, 8, vcc_lo
	v_cmp_gt_u32_e32 vcc_lo, 28, v28
	s_delay_alu instid0(VALU_DEP_2) | instskip(SKIP_3) | instid1(VALU_DEP_2)
	v_add_lshl_u32 v33, v14, v28, 2
	s_wait_alu 0xfffd
	v_cndmask_b32_e64 v15, 0, 4, vcc_lo
	v_cmp_gt_u32_e32 vcc_lo, 30, v28
	v_add_lshl_u32 v34, v15, v28, 2
	s_wait_alu 0xfffd
	v_cndmask_b32_e64 v16, 0, 2, vcc_lo
	v_cmp_ne_u32_e32 vcc_lo, 31, v28
	s_delay_alu instid0(VALU_DEP_2)
	v_add_lshl_u32 v35, v16, v28, 2
	s_wait_alu 0xfffd
	v_add_co_ci_u32_e64 v17, null, 0, v28, vcc_lo
	v_add_co_u32 v14, vcc_lo, s56, v6
	s_wait_alu 0xfffd
	v_add_co_ci_u32_e64 v15, null, s57, v7, vcc_lo
	v_add_co_u32 v16, vcc_lo, s56, v8
	v_lshlrev_b32_e32 v36, 2, v17
	s_wait_alu 0xfffd
	v_add_co_ci_u32_e64 v17, null, s57, v9, vcc_lo
	v_add_co_u32 v18, vcc_lo, s56, v10
	s_wait_alu 0xfffd
	v_add_co_ci_u32_e64 v19, null, s57, v11, vcc_lo
	v_add_co_u32 v20, vcc_lo, s56, v12
	;; [unrolled: 3-line block ×3, first 2 shown]
	s_wait_alu 0xfffd
	v_add_co_ci_u32_e64 v38, null, s59, v25, vcc_lo
	s_add_nc_u64 s[58:59], s[60:61], s[22:23]
	s_mul_i32 s60, s38, s29
	s_branch .LBB38_62
.LBB38_61:                              ;   in Loop: Header=BB38_62 Depth=2
	s_wait_alu 0xfffe
	s_or_b32 exec_lo, exec_lo, s6
	s_add_co_i32 s40, s40, 1
	s_add_co_i32 s60, s60, s38
	s_wait_alu 0xfffe
	s_cmp_ge_i32 s40, s35
	s_cbranch_scc1 .LBB38_2
.LBB38_62:                              ;   Parent Loop BB38_3 Depth=1
                                        ; =>  This Loop Header: Depth=2
                                        ;       Child Loop BB38_75 Depth 3
                                        ;       Child Loop BB38_78 Depth 3
	s_wait_dscnt 0x0
	v_mov_b32_e32 v39, s41
	s_and_saveexec_b32 s6, s1
	s_wait_alu 0xfffe
	s_xor_b32 s6, exec_lo, s6
	s_cbranch_execnz .LBB38_71
; %bb.63:                               ;   in Loop: Header=BB38_62 Depth=2
	s_wait_alu 0xfffe
	s_and_not1_saveexec_b32 s9, s6
	s_cbranch_execnz .LBB38_72
.LBB38_64:                              ;   in Loop: Header=BB38_62 Depth=2
	s_wait_alu 0xfffe
	s_or_b32 exec_lo, exec_lo, s9
	s_and_saveexec_b32 s6, s3
.LBB38_65:                              ;   in Loop: Header=BB38_62 Depth=2
	ds_store_b32 v26, v0
.LBB38_66:                              ;   in Loop: Header=BB38_62 Depth=2
	s_wait_alu 0xfffe
	s_or_b32 exec_lo, exec_lo, s6
	ds_bpermute_b32 v22, v29, v39
	s_wait_storecnt 0x0
	s_wait_loadcnt_dscnt 0x0
	s_barrier_signal -1
	s_barrier_wait -1
	global_inv scope:SCOPE_SE
	v_add_f32_e32 v22, v39, v22
	ds_bpermute_b32 v23, v33, v22
	s_wait_dscnt 0x0
	v_add_f32_e32 v22, v22, v23
	ds_bpermute_b32 v23, v34, v22
	s_wait_dscnt 0x0
	v_add_f32_e32 v22, v22, v23
	ds_bpermute_b32 v23, v35, v22
	s_wait_dscnt 0x0
	v_add_f32_e32 v22, v22, v23
	ds_bpermute_b32 v23, v36, v22
	s_and_saveexec_b32 s6, s4
	s_cbranch_execz .LBB38_68
; %bb.67:                               ;   in Loop: Header=BB38_62 Depth=2
	s_wait_dscnt 0x0
	v_add_f32_e32 v22, v22, v23
	ds_store_b32 v27, v22
.LBB38_68:                              ;   in Loop: Header=BB38_62 Depth=2
	s_wait_alu 0xfffe
	s_or_b32 exec_lo, exec_lo, s6
	v_mov_b32_e32 v22, 0
	s_wait_loadcnt_dscnt 0x0
	s_barrier_signal -1
	s_barrier_wait -1
	global_inv scope:SCOPE_SE
	s_and_saveexec_b32 s6, s5
	s_cbranch_execnz .LBB38_80
; %bb.69:                               ;   in Loop: Header=BB38_62 Depth=2
	s_wait_alu 0xfffe
	s_or_b32 exec_lo, exec_lo, s6
	s_and_saveexec_b32 s6, s3
	s_cbranch_execnz .LBB38_81
.LBB38_70:                              ;   in Loop: Header=BB38_62 Depth=2
	s_wait_alu 0xfffe
	s_or_b32 exec_lo, exec_lo, s6
	s_and_saveexec_b32 s6, s0
	s_cbranch_execz .LBB38_61
	s_branch .LBB38_82
.LBB38_71:                              ;   in Loop: Header=BB38_62 Depth=2
	s_mul_i32 s8, s40, s38
	s_wait_alu 0xfffe
	s_ashr_i32 s9, s8, 31
	s_wait_alu 0xfffe
	s_lshl_b64 s[8:9], s[8:9], 2
	s_wait_alu 0xfffe
	v_add_co_u32 v1, vcc_lo, v31, s8
	s_wait_alu 0xfffd
	v_add_co_ci_u32_e64 v2, null, s9, v32, vcc_lo
	global_load_b128 v[39:42], v[1:2], off
	s_clause 0x3
	global_load_b32 v1, v[14:15], off
	global_load_b32 v2, v[16:17], off
	;; [unrolled: 1-line block ×4, first 2 shown]
	s_wait_loadcnt 0x3
	v_fma_f32 v39, v1, v39, 0
	s_wait_loadcnt 0x2
	s_delay_alu instid0(VALU_DEP_1) | instskip(SKIP_1) | instid1(VALU_DEP_1)
	v_fmac_f32_e32 v39, v2, v40
	s_wait_loadcnt 0x1
	v_fmac_f32_e32 v39, v3, v41
	s_wait_loadcnt 0x0
	s_delay_alu instid0(VALU_DEP_1)
	v_fmac_f32_e32 v39, v4, v42
	s_and_not1_saveexec_b32 s9, s6
	s_cbranch_execz .LBB38_64
.LBB38_72:                              ;   in Loop: Header=BB38_62 Depth=2
	s_and_saveexec_b32 s29, s2
	s_cbranch_execz .LBB38_79
; %bb.73:                               ;   in Loop: Header=BB38_62 Depth=2
	s_and_not1_b32 vcc_lo, exec_lo, s34
	s_wait_alu 0xfffe
	s_cbranch_vccnz .LBB38_76
; %bb.74:                               ;   in Loop: Header=BB38_62 Depth=2
	v_mov_b32_e32 v22, v5
	s_mov_b64 s[62:63], 0
.LBB38_75:                              ;   Parent Loop BB38_3 Depth=1
                                        ;     Parent Loop BB38_62 Depth=2
                                        ; =>    This Inner Loop Header: Depth=3
	s_delay_alu instid0(VALU_DEP_1) | instskip(SKIP_1) | instid1(VALU_DEP_1)
	v_ashrrev_i32_e32 v23, 31, v22
	s_cmp_eq_u32 s62, 3
	v_lshlrev_b64_e32 v[40:41], 2, v[22:23]
	v_add_nc_u32_e32 v22, s10, v22
	s_delay_alu instid0(VALU_DEP_2) | instskip(SKIP_1) | instid1(VALU_DEP_3)
	v_add_co_u32 v40, vcc_lo, s56, v40
	s_wait_alu 0xfffd
	v_add_co_ci_u32_e64 v41, null, s57, v41, vcc_lo
	s_cselect_b32 vcc_lo, -1, 0
	s_cmp_eq_u32 s62, 2
	s_cselect_b32 s6, -1, 0
	global_load_b32 v23, v[40:41], off
	s_cmp_eq_u32 s62, 1
	s_cselect_b32 s7, -1, 0
	s_cmp_eq_u32 s62, 0
	s_add_nc_u64 s[62:63], s[62:63], 1
	s_cselect_b32 s8, -1, 0
	s_cmp_eq_u32 s73, s62
	s_wait_loadcnt 0x0
	s_wait_alu 0xfffe
	v_cndmask_b32_e32 v4, v4, v23, vcc_lo
	v_cndmask_b32_e64 v3, v3, v23, s6
	v_cndmask_b32_e64 v2, v2, v23, s7
	;; [unrolled: 1-line block ×3, first 2 shown]
	s_cbranch_scc0 .LBB38_75
.LBB38_76:                              ;   in Loop: Header=BB38_62 Depth=2
	s_and_not1_b32 vcc_lo, exec_lo, s34
	s_wait_alu 0xfffe
	s_cbranch_vccnz .LBB38_79
; %bb.77:                               ;   in Loop: Header=BB38_62 Depth=2
	s_ashr_i32 s61, s60, 31
	s_delay_alu instid0(SALU_CYCLE_1)
	s_lshl_b64 s[6:7], s[60:61], 2
	s_wait_alu 0xfffe
	v_add_co_u32 v22, vcc_lo, v37, s6
	s_wait_alu 0xfffd
	v_add_co_ci_u32_e64 v23, null, s7, v38, vcc_lo
	s_mov_b64 s[6:7], 0
.LBB38_78:                              ;   Parent Loop BB38_3 Depth=1
                                        ;     Parent Loop BB38_62 Depth=2
                                        ; =>    This Inner Loop Header: Depth=3
	global_load_b32 v40, v[22:23], off
	s_wait_alu 0xfffe
	s_cmp_eq_u32 s6, 1
	s_cselect_b32 vcc_lo, -1, 0
	s_cmp_eq_u32 s6, 2
	s_wait_alu 0xfffe
	v_cndmask_b32_e32 v41, v1, v2, vcc_lo
	s_cselect_b32 vcc_lo, -1, 0
	s_cmp_eq_u32 s6, 3
	s_add_nc_u64 s[6:7], s[6:7], 1
	s_wait_alu 0xfffe
	v_cndmask_b32_e32 v41, v41, v3, vcc_lo
	s_cselect_b32 vcc_lo, -1, 0
	s_cmp_lg_u32 s73, s6
	s_wait_alu 0xfffe
	s_delay_alu instid0(VALU_DEP_1)
	v_cndmask_b32_e32 v41, v41, v4, vcc_lo
	v_add_co_u32 v22, vcc_lo, v22, 4
	s_wait_alu 0xfffd
	v_add_co_ci_u32_e64 v23, null, 0, v23, vcc_lo
	s_wait_loadcnt 0x0
	v_fmac_f32_e32 v39, v41, v40
	s_cbranch_scc1 .LBB38_78
.LBB38_79:                              ;   in Loop: Header=BB38_62 Depth=2
	s_or_b32 exec_lo, exec_lo, s29
	s_wait_alu 0xfffe
	s_or_b32 exec_lo, exec_lo, s9
	s_and_saveexec_b32 s6, s3
	s_cbranch_execnz .LBB38_65
	s_branch .LBB38_66
.LBB38_80:                              ;   in Loop: Header=BB38_62 Depth=2
	ds_load_b32 v22, v26
	s_wait_alu 0xfffe
	s_or_b32 exec_lo, exec_lo, s6
	s_and_saveexec_b32 s6, s3
	s_cbranch_execz .LBB38_70
.LBB38_81:                              ;   in Loop: Header=BB38_62 Depth=2
	s_wait_dscnt 0x0
	ds_bpermute_b32 v23, v34, v22
	s_wait_dscnt 0x0
	v_add_f32_e32 v22, v22, v23
	ds_bpermute_b32 v23, v35, v22
	s_wait_dscnt 0x0
	v_add_f32_e32 v22, v22, v23
	;; [unrolled: 3-line block ×3, first 2 shown]
	s_wait_alu 0xfffe
	s_or_b32 exec_lo, exec_lo, s6
	s_and_saveexec_b32 s6, s0
	s_cbranch_execz .LBB38_61
.LBB38_82:                              ;   in Loop: Header=BB38_62 Depth=2
	s_mul_u64 s[8:9], s[40:41], s[36:37]
	s_wait_dscnt 0x0
	v_mul_f32_e32 v22, v30, v22
	s_wait_alu 0xfffe
	s_lshl_b64 s[8:9], s[8:9], 2
	s_wait_alu 0xfffe
	s_add_nc_u64 s[8:9], s[58:59], s[8:9]
	global_store_b32 v0, v22, s[8:9]
	s_branch .LBB38_61
.LBB38_83:
	s_endpgm
	.section	.rodata,"a",@progbits
	.p2align	6, 0x0
	.amdhsa_kernel _ZL23rocblas_gemvt_sn_kernelILb1ELi256ELi4EifPKffEviiT4_lPKT3_lilS5_lilPT5_i
		.amdhsa_group_segment_fixed_size 128
		.amdhsa_private_segment_fixed_size 0
		.amdhsa_kernarg_size 360
		.amdhsa_user_sgpr_count 2
		.amdhsa_user_sgpr_dispatch_ptr 0
		.amdhsa_user_sgpr_queue_ptr 0
		.amdhsa_user_sgpr_kernarg_segment_ptr 1
		.amdhsa_user_sgpr_dispatch_id 0
		.amdhsa_user_sgpr_private_segment_size 0
		.amdhsa_wavefront_size32 1
		.amdhsa_uses_dynamic_stack 0
		.amdhsa_enable_private_segment 0
		.amdhsa_system_sgpr_workgroup_id_x 1
		.amdhsa_system_sgpr_workgroup_id_y 0
		.amdhsa_system_sgpr_workgroup_id_z 1
		.amdhsa_system_sgpr_workgroup_info 0
		.amdhsa_system_vgpr_workitem_id 0
		.amdhsa_next_free_vgpr 58
		.amdhsa_next_free_sgpr 78
		.amdhsa_reserve_vcc 1
		.amdhsa_float_round_mode_32 0
		.amdhsa_float_round_mode_16_64 0
		.amdhsa_float_denorm_mode_32 3
		.amdhsa_float_denorm_mode_16_64 3
		.amdhsa_fp16_overflow 0
		.amdhsa_workgroup_processor_mode 1
		.amdhsa_memory_ordered 1
		.amdhsa_forward_progress 1
		.amdhsa_inst_pref_size 36
		.amdhsa_round_robin_scheduling 0
		.amdhsa_exception_fp_ieee_invalid_op 0
		.amdhsa_exception_fp_denorm_src 0
		.amdhsa_exception_fp_ieee_div_zero 0
		.amdhsa_exception_fp_ieee_overflow 0
		.amdhsa_exception_fp_ieee_underflow 0
		.amdhsa_exception_fp_ieee_inexact 0
		.amdhsa_exception_int_div_zero 0
	.end_amdhsa_kernel
	.section	.text._ZL23rocblas_gemvt_sn_kernelILb1ELi256ELi4EifPKffEviiT4_lPKT3_lilS5_lilPT5_i,"axG",@progbits,_ZL23rocblas_gemvt_sn_kernelILb1ELi256ELi4EifPKffEviiT4_lPKT3_lilS5_lilPT5_i,comdat
.Lfunc_end38:
	.size	_ZL23rocblas_gemvt_sn_kernelILb1ELi256ELi4EifPKffEviiT4_lPKT3_lilS5_lilPT5_i, .Lfunc_end38-_ZL23rocblas_gemvt_sn_kernelILb1ELi256ELi4EifPKffEviiT4_lPKT3_lilS5_lilPT5_i
                                        ; -- End function
	.set _ZL23rocblas_gemvt_sn_kernelILb1ELi256ELi4EifPKffEviiT4_lPKT3_lilS5_lilPT5_i.num_vgpr, 58
	.set _ZL23rocblas_gemvt_sn_kernelILb1ELi256ELi4EifPKffEviiT4_lPKT3_lilS5_lilPT5_i.num_agpr, 0
	.set _ZL23rocblas_gemvt_sn_kernelILb1ELi256ELi4EifPKffEviiT4_lPKT3_lilS5_lilPT5_i.numbered_sgpr, 78
	.set _ZL23rocblas_gemvt_sn_kernelILb1ELi256ELi4EifPKffEviiT4_lPKT3_lilS5_lilPT5_i.num_named_barrier, 0
	.set _ZL23rocblas_gemvt_sn_kernelILb1ELi256ELi4EifPKffEviiT4_lPKT3_lilS5_lilPT5_i.private_seg_size, 0
	.set _ZL23rocblas_gemvt_sn_kernelILb1ELi256ELi4EifPKffEviiT4_lPKT3_lilS5_lilPT5_i.uses_vcc, 1
	.set _ZL23rocblas_gemvt_sn_kernelILb1ELi256ELi4EifPKffEviiT4_lPKT3_lilS5_lilPT5_i.uses_flat_scratch, 0
	.set _ZL23rocblas_gemvt_sn_kernelILb1ELi256ELi4EifPKffEviiT4_lPKT3_lilS5_lilPT5_i.has_dyn_sized_stack, 0
	.set _ZL23rocblas_gemvt_sn_kernelILb1ELi256ELi4EifPKffEviiT4_lPKT3_lilS5_lilPT5_i.has_recursion, 0
	.set _ZL23rocblas_gemvt_sn_kernelILb1ELi256ELi4EifPKffEviiT4_lPKT3_lilS5_lilPT5_i.has_indirect_call, 0
	.section	.AMDGPU.csdata,"",@progbits
; Kernel info:
; codeLenInByte = 4536
; TotalNumSgprs: 80
; NumVgprs: 58
; ScratchSize: 0
; MemoryBound: 0
; FloatMode: 240
; IeeeMode: 1
; LDSByteSize: 128 bytes/workgroup (compile time only)
; SGPRBlocks: 0
; VGPRBlocks: 7
; NumSGPRsForWavesPerEU: 80
; NumVGPRsForWavesPerEU: 58
; Occupancy: 16
; WaveLimiterHint : 0
; COMPUTE_PGM_RSRC2:SCRATCH_EN: 0
; COMPUTE_PGM_RSRC2:USER_SGPR: 2
; COMPUTE_PGM_RSRC2:TRAP_HANDLER: 0
; COMPUTE_PGM_RSRC2:TGID_X_EN: 1
; COMPUTE_PGM_RSRC2:TGID_Y_EN: 0
; COMPUTE_PGM_RSRC2:TGID_Z_EN: 1
; COMPUTE_PGM_RSRC2:TIDIG_COMP_CNT: 0
	.section	.text._ZL23rocblas_gemvt_sn_kernelILb1ELi256ELi4ElfPKffEviiT4_lPKT3_lilS5_lilPT5_i,"axG",@progbits,_ZL23rocblas_gemvt_sn_kernelILb1ELi256ELi4ElfPKffEviiT4_lPKT3_lilS5_lilPT5_i,comdat
	.globl	_ZL23rocblas_gemvt_sn_kernelILb1ELi256ELi4ElfPKffEviiT4_lPKT3_lilS5_lilPT5_i ; -- Begin function _ZL23rocblas_gemvt_sn_kernelILb1ELi256ELi4ElfPKffEviiT4_lPKT3_lilS5_lilPT5_i
	.p2align	8
	.type	_ZL23rocblas_gemvt_sn_kernelILb1ELi256ELi4ElfPKffEviiT4_lPKT3_lilS5_lilPT5_i,@function
_ZL23rocblas_gemvt_sn_kernelILb1ELi256ELi4ElfPKffEviiT4_lPKT3_lilS5_lilPT5_i: ; @_ZL23rocblas_gemvt_sn_kernelILb1ELi256ELi4ElfPKffEviiT4_lPKT3_lilS5_lilPT5_i
; %bb.0:
	s_load_b32 s33, s[0:1], 0x60
	s_lshr_b32 s10, ttmp7, 16
	s_wait_kmcnt 0x0
	s_cmp_ge_u32 s10, s33
	s_cbranch_scc1 .LBB39_83
; %bb.1:
	s_clause 0x6
	s_load_b32 s30, s[0:1], 0x28
	s_load_b96 s[4:6], s[0:1], 0x40
	s_load_b256 s[12:19], s[0:1], 0x8
	s_load_b64 s[34:35], s[0:1], 0x0
	s_load_b128 s[20:23], s[0:1], 0x30
	s_load_b32 s36, s[0:1], 0x68
	s_load_b128 s[24:27], s[0:1], 0x50
	v_cmp_eq_u32_e64 s0, 0, v0
	v_mbcnt_lo_u32_b32 v33, -1, 0
	s_mov_b32 s29, 0
	s_mov_b32 s28, ttmp9
	s_mov_b32 s37, s29
	s_delay_alu instid0(VALU_DEP_1)
	v_lshl_or_b32 v34, v33, 2, 64
	s_wait_kmcnt 0x0
	s_ashr_i32 s31, s30, 31
	s_ashr_i32 s9, s6, 31
	s_lshl_b64 s[2:3], s[4:5], 2
	s_lshl_b64 s[4:5], s[18:19], 2
	s_ashr_i32 s39, s35, 31
	s_cmp_gt_i32 s35, 0
	s_add_nc_u64 s[18:19], s[22:23], s[2:3]
	s_cselect_b32 s1, -1, 0
	s_lshl_b32 s7, ttmp9, 10
	s_add_nc_u64 s[2:3], s[16:17], s[4:5]
	v_lshl_or_b32 v1, v0, 2, s7
	s_lshr_b32 s4, s39, 30
	s_ashr_i32 s5, s34, 31
	s_and_b32 s66, s0, s1
	s_add_co_i32 s1, s35, s4
	v_ashrrev_i32_e32 v2, 31, v1
	s_lshr_b32 s4, s5, 30
	s_and_b32 s67, s1, -4
	s_add_co_i32 s1, s34, s4
	v_add_nc_u32_e32 v4, 4, v1
	v_lshlrev_b64_e32 v[2:3], 2, v[1:2]
	s_and_b32 s1, s1, -4
	v_cmp_gt_u32_e64 s5, 8, v0
	s_sub_co_i32 s68, s34, s1
	v_cmp_ge_i32_e64 s1, s34, v4
	v_or_b32_e32 v4, 2, v1
	v_add_co_u32 v29, vcc_lo, s2, v2
	v_add_nc_u32_e32 v2, s68, v1
	v_add_co_ci_u32_e64 v30, null, s3, v3, vcc_lo
	v_and_b32_e32 v3, 31, v0
	v_cmp_gt_u32_e64 s3, 32, v0
	s_delay_alu instid0(VALU_DEP_4)
	v_cmp_ge_i32_e64 s2, s34, v2
	v_lshrrev_b32_e32 v2, 3, v0
	v_or_b32_e32 v0, 1, v1
	v_cmp_eq_u32_e64 s4, 0, v3
	v_lshlrev_b32_e32 v31, 2, v3
	v_mad_co_i64_i32 v[11:12], null, s6, v4, 0
	v_and_b32_e32 v32, 28, v2
	v_mad_co_i64_i32 v[2:3], null, s6, v1, 0
	v_mad_co_i64_i32 v[9:10], null, s6, v0, 0
	v_or_b32_e32 v0, 3, v1
	s_cmp_gt_i32 s67, 0
	s_mov_b32 s38, s35
	s_cselect_b32 s69, -1, 0
	s_delay_alu instid0(VALU_DEP_3)
	v_lshlrev_b64_e32 v[5:6], 2, v[2:3]
	v_mad_co_i64_i32 v[1:2], null, s6, v0, 0
	s_cmp_gt_i32 s68, 0
	v_lshlrev_b64_e32 v[9:10], 2, v[9:10]
	v_lshlrev_b64_e32 v[11:12], 2, v[11:12]
	v_add_co_u32 v7, vcc_lo, s18, v5
	s_wait_alu 0xfffd
	v_add_co_ci_u32_e64 v8, null, s19, v6, vcc_lo
	v_lshlrev_b64_e32 v[13:14], 2, v[1:2]
	v_mov_b32_e32 v0, 0
	s_mov_b32 s8, s6
	s_mul_u64 s[16:17], s[38:39], s[36:37]
	s_cselect_b32 s34, -1, 0
	s_lshl_b64 s[22:23], s[28:29], 2
	s_lshl_b64 s[40:41], s[16:17], 2
	s_add_nc_u64 s[38:39], s[26:27], s[22:23]
	s_lshl_b64 s[42:43], s[36:37], 2
	s_lshl_b64 s[44:45], s[24:25], 2
	;; [unrolled: 1-line block ×4, first 2 shown]
	s_mul_u64 s[50:51], s[30:31], 12
	s_lshl_b64 s[52:53], s[30:31], 4
	s_lshl_b64 s[54:55], s[30:31], 2
	s_lshl_b64 s[56:57], s[30:31], 3
	s_branch .LBB39_3
.LBB39_2:                               ;   in Loop: Header=BB39_3 Depth=1
	s_add_co_i32 s10, s10, 0x10000
	s_wait_alu 0xfffe
	s_cmp_lt_u32 s10, s33
	s_cbranch_scc0 .LBB39_83
.LBB39_3:                               ; =>This Loop Header: Depth=1
                                        ;     Child Loop BB39_6 Depth 2
                                        ;     Child Loop BB39_12 Depth 2
                                        ;       Child Loop BB39_43 Depth 3
                                        ;       Child Loop BB39_46 Depth 3
                                        ;     Child Loop BB39_62 Depth 2
                                        ;       Child Loop BB39_75 Depth 3
                                        ;       Child Loop BB39_78 Depth 3
	s_mov_b32 s11, s29
	s_wait_alu 0xfffe
	s_mul_u64 s[6:7], s[14:15], s[10:11]
	s_wait_alu 0xfffe
	s_lshl_b64 s[6:7], s[6:7], 2
	s_wait_alu 0xfffe
	s_add_nc_u64 s[6:7], s[12:13], s[6:7]
	global_load_b32 v35, v0, s[6:7]
	s_mov_b32 s6, -1
	s_wait_loadcnt 0x0
	v_cmp_neq_f32_e32 vcc_lo, 0, v35
	s_cbranch_vccnz .LBB39_8
; %bb.4:                                ;   in Loop: Header=BB39_3 Depth=1
	s_and_saveexec_b32 s8, s66
	s_cbranch_execz .LBB39_7
; %bb.5:                                ;   in Loop: Header=BB39_3 Depth=1
	s_mul_u64 s[6:7], s[40:41], s[10:11]
	s_mov_b32 s9, s35
	s_wait_alu 0xfffe
	s_add_nc_u64 s[6:7], s[38:39], s[6:7]
.LBB39_6:                               ;   Parent Loop BB39_3 Depth=1
                                        ; =>  This Inner Loop Header: Depth=2
	s_add_co_i32 s9, s9, -1
	global_store_b32 v0, v0, s[6:7]
	s_wait_alu 0xfffe
	s_cmp_eq_u32 s9, 0
	s_add_nc_u64 s[6:7], s[6:7], s[42:43]
	s_cbranch_scc0 .LBB39_6
.LBB39_7:                               ;   in Loop: Header=BB39_3 Depth=1
	s_wait_alu 0xfffe
	s_or_b32 exec_lo, exec_lo, s8
	s_mov_b32 s6, 0
.LBB39_8:                               ;   in Loop: Header=BB39_3 Depth=1
	s_wait_alu 0xfffe
	s_and_not1_b32 vcc_lo, exec_lo, s6
	s_wait_alu 0xfffe
	s_cbranch_vccnz .LBB39_2
; %bb.9:                                ;   in Loop: Header=BB39_3 Depth=1
	v_mad_co_u64_u32 v[15:16], null, s44, s10, v[7:8]
	s_mul_u64 s[64:65], s[20:21], s[10:11]
	s_mul_u64 s[58:59], s[24:25], s[10:11]
	s_wait_alu 0xfffe
	s_lshl_b64 s[64:65], s[64:65], 2
	s_mul_u64 s[62:63], s[16:17], s[10:11]
	s_wait_alu 0xfffe
	v_add_co_u32 v36, vcc_lo, v29, s64
	v_mov_b32_e32 v1, v16
	s_lshl_b64 s[58:59], s[58:59], 2
	s_lshl_b64 s[70:71], s[62:63], 2
	v_cmp_gt_u32_e64 s7, 24, v33
	v_cmp_gt_u32_e64 s8, 28, v33
	v_mad_co_u64_u32 v[1:2], null, s45, s10, v[1:2]
	v_cmp_gt_u32_e64 s6, 30, v33
	s_wait_alu 0xfffd
	v_add_co_ci_u32_e64 v37, null, s65, v30, vcc_lo
	v_cmp_ne_u32_e64 s9, 31, v33
	s_add_nc_u64 s[62:63], s[18:19], s[58:59]
	s_add_nc_u64 s[58:59], s[26:27], s[70:71]
	v_mov_b32_e32 v16, v1
	s_mul_u64 s[60:61], s[48:49], s[10:11]
	s_and_not1_b32 vcc_lo, exec_lo, s69
	s_add_nc_u64 s[58:59], s[58:59], s[22:23]
	s_wait_alu 0xfffe
	s_cbranch_vccnz .LBB39_58
; %bb.10:                               ;   in Loop: Header=BB39_3 Depth=1
	v_cndmask_b32_e64 v3, 0, 2, s6
	v_add_co_u32 v17, vcc_lo, v29, s60
	s_wait_alu 0xfffd
	v_add_co_ci_u32_e64 v18, null, s61, v30, vcc_lo
	v_add_co_u32 v19, vcc_lo, s62, v5
	v_cndmask_b32_e64 v1, 0, 8, s7
	v_cndmask_b32_e64 v2, 0, 4, s8
	v_add_co_ci_u32_e64 v4, null, 0, v33, s9
	v_add_lshl_u32 v40, v3, v33, 2
	s_wait_alu 0xfffd
	v_add_co_ci_u32_e64 v20, null, s63, v6, vcc_lo
	v_add_co_u32 v21, vcc_lo, s62, v9
	v_mov_b32_e32 v3, v0
	s_wait_alu 0xfffd
	v_add_co_ci_u32_e64 v22, null, s63, v10, vcc_lo
	v_add_co_u32 v23, vcc_lo, s62, v11
	v_add_lshl_u32 v38, v1, v33, 2
	v_add_lshl_u32 v39, v2, v33, 2
	v_dual_mov_b32 v2, v0 :: v_dual_lshlrev_b32 v41, 2, v4
	s_wait_alu 0xfffd
	v_add_co_ci_u32_e64 v24, null, s63, v12, vcc_lo
	v_mov_b32_e32 v1, v0
	v_add_co_u32 v25, vcc_lo, s62, v13
	v_mov_b32_e32 v4, v3
	s_wait_alu 0xfffd
	v_add_co_ci_u32_e64 v26, null, s63, v14, vcc_lo
	v_mov_b32_e32 v3, v2
	v_mov_b32_e32 v2, v1
	;; [unrolled: 1-line block ×3, first 2 shown]
	s_mov_b32 s28, 0
	s_branch .LBB39_12
.LBB39_11:                              ;   in Loop: Header=BB39_12 Depth=2
	s_wait_alu 0xfffe
	s_or_b32 exec_lo, exec_lo, s6
	v_add_co_u32 v17, vcc_lo, v17, s52
	s_wait_alu 0xfffd
	v_add_co_ci_u32_e64 v18, null, s53, v18, vcc_lo
	s_add_co_i32 s28, s28, 4
	s_wait_alu 0xfffe
	s_cmp_ge_i32 s28, s67
	s_cbranch_scc1 .LBB39_59
.LBB39_12:                              ;   Parent Loop BB39_3 Depth=1
                                        ; =>  This Loop Header: Depth=2
                                        ;       Child Loop BB39_43 Depth 3
                                        ;       Child Loop BB39_46 Depth 3
                                        ; implicit-def: $vgpr42
                                        ; implicit-def: $vgpr43
                                        ; implicit-def: $vgpr44
                                        ; implicit-def: $vgpr45
	s_and_saveexec_b32 s6, s1
	s_wait_alu 0xfffe
	s_xor_b32 s6, exec_lo, s6
	s_cbranch_execnz .LBB39_39
; %bb.13:                               ;   in Loop: Header=BB39_12 Depth=2
	s_wait_alu 0xfffe
	s_and_not1_saveexec_b32 s11, s6
	s_cbranch_execnz .LBB39_40
.LBB39_14:                              ;   in Loop: Header=BB39_12 Depth=2
	s_wait_alu 0xfffe
	s_or_b32 exec_lo, exec_lo, s11
	s_and_saveexec_b32 s6, s3
.LBB39_15:                              ;   in Loop: Header=BB39_12 Depth=2
	ds_store_b32 v31, v0
.LBB39_16:                              ;   in Loop: Header=BB39_12 Depth=2
	s_wait_alu 0xfffe
	s_or_b32 exec_lo, exec_lo, s6
	s_wait_dscnt 0x0
	ds_bpermute_b32 v27, v34, v45
	s_wait_storecnt_dscnt 0x0
	s_barrier_signal -1
	s_barrier_wait -1
	global_inv scope:SCOPE_SE
	v_add_f32_e32 v27, v45, v27
	ds_bpermute_b32 v28, v38, v27
	s_wait_dscnt 0x0
	v_add_f32_e32 v27, v27, v28
	ds_bpermute_b32 v28, v39, v27
	s_wait_dscnt 0x0
	v_add_f32_e32 v27, v27, v28
	ds_bpermute_b32 v28, v40, v27
	s_wait_dscnt 0x0
	v_add_f32_e32 v27, v27, v28
	ds_bpermute_b32 v28, v41, v27
	s_and_saveexec_b32 s6, s4
	s_cbranch_execz .LBB39_18
; %bb.17:                               ;   in Loop: Header=BB39_12 Depth=2
	s_wait_dscnt 0x0
	v_add_f32_e32 v27, v27, v28
	ds_store_b32 v32, v27
.LBB39_18:                              ;   in Loop: Header=BB39_12 Depth=2
	s_wait_alu 0xfffe
	s_or_b32 exec_lo, exec_lo, s6
	v_mov_b32_e32 v27, 0
	s_wait_loadcnt_dscnt 0x0
	s_barrier_signal -1
	s_barrier_wait -1
	global_inv scope:SCOPE_SE
	s_and_saveexec_b32 s6, s5
	s_cbranch_execnz .LBB39_47
; %bb.19:                               ;   in Loop: Header=BB39_12 Depth=2
	s_wait_alu 0xfffe
	s_or_b32 exec_lo, exec_lo, s6
	s_and_saveexec_b32 s6, s3
	s_cbranch_execnz .LBB39_48
.LBB39_20:                              ;   in Loop: Header=BB39_12 Depth=2
	s_wait_alu 0xfffe
	s_or_b32 exec_lo, exec_lo, s6
	s_and_saveexec_b32 s6, s3
.LBB39_21:                              ;   in Loop: Header=BB39_12 Depth=2
	ds_store_b32 v31, v0
.LBB39_22:                              ;   in Loop: Header=BB39_12 Depth=2
	s_wait_alu 0xfffe
	s_or_b32 exec_lo, exec_lo, s6
	ds_bpermute_b32 v28, v34, v44
	s_wait_loadcnt_dscnt 0x0
	s_barrier_signal -1
	s_barrier_wait -1
	global_inv scope:SCOPE_SE
	v_add_f32_e32 v28, v44, v28
	ds_bpermute_b32 v44, v38, v28
	s_wait_dscnt 0x0
	v_add_f32_e32 v28, v28, v44
	ds_bpermute_b32 v44, v39, v28
	s_wait_dscnt 0x0
	;; [unrolled: 3-line block ×3, first 2 shown]
	v_add_f32_e32 v28, v28, v44
	ds_bpermute_b32 v44, v41, v28
	s_and_saveexec_b32 s6, s4
	s_cbranch_execz .LBB39_24
; %bb.23:                               ;   in Loop: Header=BB39_12 Depth=2
	s_wait_dscnt 0x0
	v_add_f32_e32 v28, v28, v44
	ds_store_b32 v32, v28
.LBB39_24:                              ;   in Loop: Header=BB39_12 Depth=2
	s_wait_alu 0xfffe
	s_or_b32 exec_lo, exec_lo, s6
	v_mov_b32_e32 v28, 0
	s_wait_loadcnt_dscnt 0x0
	s_barrier_signal -1
	s_barrier_wait -1
	global_inv scope:SCOPE_SE
	s_and_saveexec_b32 s6, s5
	s_cbranch_execnz .LBB39_49
; %bb.25:                               ;   in Loop: Header=BB39_12 Depth=2
	s_wait_alu 0xfffe
	s_or_b32 exec_lo, exec_lo, s6
	s_and_saveexec_b32 s6, s3
	s_cbranch_execnz .LBB39_50
.LBB39_26:                              ;   in Loop: Header=BB39_12 Depth=2
	s_wait_alu 0xfffe
	s_or_b32 exec_lo, exec_lo, s6
	s_and_saveexec_b32 s6, s3
.LBB39_27:                              ;   in Loop: Header=BB39_12 Depth=2
	ds_store_b32 v31, v0
.LBB39_28:                              ;   in Loop: Header=BB39_12 Depth=2
	s_wait_alu 0xfffe
	s_or_b32 exec_lo, exec_lo, s6
	ds_bpermute_b32 v44, v34, v43
	s_wait_loadcnt_dscnt 0x0
	s_barrier_signal -1
	s_barrier_wait -1
	global_inv scope:SCOPE_SE
	v_add_f32_e32 v43, v43, v44
	ds_bpermute_b32 v44, v38, v43
	s_wait_dscnt 0x0
	v_add_f32_e32 v43, v43, v44
	ds_bpermute_b32 v44, v39, v43
	s_wait_dscnt 0x0
	;; [unrolled: 3-line block ×3, first 2 shown]
	v_add_f32_e32 v43, v43, v44
	ds_bpermute_b32 v44, v41, v43
	s_and_saveexec_b32 s6, s4
	s_cbranch_execz .LBB39_30
; %bb.29:                               ;   in Loop: Header=BB39_12 Depth=2
	s_wait_dscnt 0x0
	v_add_f32_e32 v43, v43, v44
	ds_store_b32 v32, v43
.LBB39_30:                              ;   in Loop: Header=BB39_12 Depth=2
	s_wait_alu 0xfffe
	s_or_b32 exec_lo, exec_lo, s6
	v_mov_b32_e32 v43, 0
	s_wait_loadcnt_dscnt 0x0
	s_barrier_signal -1
	s_barrier_wait -1
	global_inv scope:SCOPE_SE
	s_and_saveexec_b32 s6, s5
	s_cbranch_execnz .LBB39_51
; %bb.31:                               ;   in Loop: Header=BB39_12 Depth=2
	s_wait_alu 0xfffe
	s_or_b32 exec_lo, exec_lo, s6
	s_and_saveexec_b32 s6, s3
	s_cbranch_execnz .LBB39_52
.LBB39_32:                              ;   in Loop: Header=BB39_12 Depth=2
	s_wait_alu 0xfffe
	s_or_b32 exec_lo, exec_lo, s6
	s_and_saveexec_b32 s6, s3
.LBB39_33:                              ;   in Loop: Header=BB39_12 Depth=2
	ds_store_b32 v31, v0
.LBB39_34:                              ;   in Loop: Header=BB39_12 Depth=2
	s_wait_alu 0xfffe
	s_or_b32 exec_lo, exec_lo, s6
	ds_bpermute_b32 v44, v34, v42
	s_wait_loadcnt_dscnt 0x0
	s_barrier_signal -1
	s_barrier_wait -1
	global_inv scope:SCOPE_SE
	v_add_f32_e32 v42, v42, v44
	ds_bpermute_b32 v44, v38, v42
	s_wait_dscnt 0x0
	v_add_f32_e32 v42, v42, v44
	ds_bpermute_b32 v44, v39, v42
	s_wait_dscnt 0x0
	;; [unrolled: 3-line block ×3, first 2 shown]
	v_add_f32_e32 v42, v42, v44
	ds_bpermute_b32 v44, v41, v42
	s_and_saveexec_b32 s6, s4
	s_cbranch_execz .LBB39_36
; %bb.35:                               ;   in Loop: Header=BB39_12 Depth=2
	s_wait_dscnt 0x0
	v_add_f32_e32 v42, v42, v44
	ds_store_b32 v32, v42
.LBB39_36:                              ;   in Loop: Header=BB39_12 Depth=2
	s_wait_alu 0xfffe
	s_or_b32 exec_lo, exec_lo, s6
	v_mov_b32_e32 v42, 0
	s_wait_loadcnt_dscnt 0x0
	s_barrier_signal -1
	s_barrier_wait -1
	global_inv scope:SCOPE_SE
	s_and_saveexec_b32 s6, s5
	s_cbranch_execnz .LBB39_53
; %bb.37:                               ;   in Loop: Header=BB39_12 Depth=2
	s_wait_alu 0xfffe
	s_or_b32 exec_lo, exec_lo, s6
	s_and_saveexec_b32 s6, s3
	s_cbranch_execnz .LBB39_54
.LBB39_38:                              ;   in Loop: Header=BB39_12 Depth=2
	s_wait_alu 0xfffe
	s_or_b32 exec_lo, exec_lo, s6
	s_and_saveexec_b32 s6, s0
	s_cbranch_execz .LBB39_11
	s_branch .LBB39_55
.LBB39_39:                              ;   in Loop: Header=BB39_12 Depth=2
	s_mul_u64 s[8:9], s[28:29], s[30:31]
	s_or_b32 s64, s28, 1
	s_mov_b32 s65, s29
	s_wait_alu 0xfffe
	s_lshl_b64 s[8:9], s[8:9], 2
	s_mul_u64 s[64:65], s[64:65], s[30:31]
	s_wait_alu 0xfffe
	v_add_co_u32 v2, vcc_lo, v36, s8
	s_wait_alu 0xfffd
	v_add_co_ci_u32_e64 v3, null, s9, v37, vcc_lo
	s_lshl_b64 s[8:9], s[64:65], 2
	s_or_b32 s64, s28, 2
	s_mov_b32 s65, s29
	s_wait_dscnt 0x0
	s_wait_alu 0xfffe
	v_add_co_u32 v27, vcc_lo, v36, s8
	s_wait_alu 0xfffd
	v_add_co_ci_u32_e64 v28, null, s9, v37, vcc_lo
	s_mul_u64 s[8:9], s[64:65], s[30:31]
	s_or_b32 s64, s28, 3
	s_wait_alu 0xfffe
	s_lshl_b64 s[8:9], s[8:9], 2
	s_mul_u64 s[64:65], s[64:65], s[30:31]
	s_wait_alu 0xfffe
	v_add_co_u32 v42, vcc_lo, v36, s8
	s_wait_alu 0xfffd
	v_add_co_ci_u32_e64 v43, null, s9, v37, vcc_lo
	s_lshl_b64 s[8:9], s[64:65], 2
	s_wait_alu 0xfffe
	v_add_co_u32 v57, vcc_lo, v36, s8
	s_wait_alu 0xfffd
	v_add_co_ci_u32_e64 v58, null, s9, v37, vcc_lo
	global_load_b32 v1, v[19:20], off
	s_clause 0x3
	global_load_b128 v[45:48], v[2:3], off
	global_load_b128 v[49:52], v[27:28], off
	;; [unrolled: 1-line block ×4, first 2 shown]
	s_clause 0x2
	global_load_b32 v2, v[21:22], off
	global_load_b32 v3, v[23:24], off
	;; [unrolled: 1-line block ×3, first 2 shown]
	s_wait_loadcnt 0x6
	v_fma_f32 v45, v1, v45, 0
	s_wait_loadcnt 0x5
	v_fma_f32 v44, v1, v49, 0
	;; [unrolled: 2-line block ×4, first 2 shown]
	s_wait_loadcnt 0x2
	v_fmac_f32_e32 v44, v2, v50
	v_fmac_f32_e32 v45, v2, v46
	s_delay_alu instid0(VALU_DEP_3) | instskip(SKIP_1) | instid1(VALU_DEP_3)
	v_fmac_f32_e32 v42, v2, v58
	s_wait_loadcnt 0x1
	v_dual_fmac_f32 v43, v2, v54 :: v_dual_fmac_f32 v44, v3, v51
	s_delay_alu instid0(VALU_DEP_3) | instskip(NEXT) | instid1(VALU_DEP_3)
	v_fmac_f32_e32 v45, v3, v47
	v_fmac_f32_e32 v42, v3, v59
	s_wait_loadcnt 0x0
	s_delay_alu instid0(VALU_DEP_3) | instskip(NEXT) | instid1(VALU_DEP_3)
	v_dual_fmac_f32 v43, v3, v55 :: v_dual_fmac_f32 v44, v4, v52
	v_fmac_f32_e32 v45, v4, v48
	s_delay_alu instid0(VALU_DEP_3) | instskip(NEXT) | instid1(VALU_DEP_3)
	v_fmac_f32_e32 v42, v4, v60
	v_fmac_f32_e32 v43, v4, v56
	s_and_not1_saveexec_b32 s11, s6
	s_cbranch_execz .LBB39_14
.LBB39_40:                              ;   in Loop: Header=BB39_12 Depth=2
	s_wait_dscnt 0x0
	v_dual_mov_b32 v42, 0 :: v_dual_mov_b32 v43, 0
	v_dual_mov_b32 v44, 0 :: v_dual_mov_b32 v45, 0
	s_and_saveexec_b32 s70, s2
	s_cbranch_execz .LBB39_57
; %bb.41:                               ;   in Loop: Header=BB39_12 Depth=2
	s_and_not1_b32 vcc_lo, exec_lo, s34
	s_wait_alu 0xfffe
	s_cbranch_vccnz .LBB39_44
; %bb.42:                               ;   in Loop: Header=BB39_12 Depth=2
	v_dual_mov_b32 v28, v16 :: v_dual_mov_b32 v27, v15
	s_mov_b64 s[64:65], 0
.LBB39_43:                              ;   Parent Loop BB39_3 Depth=1
                                        ;     Parent Loop BB39_12 Depth=2
                                        ; =>    This Inner Loop Header: Depth=3
	global_load_b32 v42, v[27:28], off
	s_wait_alu 0xfffe
	s_cmp_eq_u32 s64, 3
	v_add_co_u32 v27, vcc_lo, v27, s46
	s_wait_alu 0xfffd
	v_add_co_ci_u32_e64 v28, null, s47, v28, vcc_lo
	s_cselect_b32 vcc_lo, -1, 0
	s_cmp_eq_u32 s64, 2
	s_cselect_b32 s6, -1, 0
	s_cmp_eq_u32 s64, 1
	s_cselect_b32 s7, -1, 0
	s_cmp_eq_u32 s64, 0
	s_add_nc_u64 s[64:65], s[64:65], 1
	s_cselect_b32 s8, -1, 0
	s_wait_alu 0xfffe
	s_cmp_eq_u32 s68, s64
	s_wait_loadcnt 0x0
	v_cndmask_b32_e32 v4, v4, v42, vcc_lo
	v_cndmask_b32_e64 v3, v3, v42, s6
	v_cndmask_b32_e64 v2, v2, v42, s7
	;; [unrolled: 1-line block ×3, first 2 shown]
	s_cbranch_scc0 .LBB39_43
.LBB39_44:                              ;   in Loop: Header=BB39_12 Depth=2
	s_and_not1_b32 vcc_lo, exec_lo, s34
	s_wait_alu 0xfffe
	s_cbranch_vccnz .LBB39_56
; %bb.45:                               ;   in Loop: Header=BB39_12 Depth=2
	v_dual_mov_b32 v45, 0 :: v_dual_mov_b32 v28, v18
	v_dual_mov_b32 v27, v17 :: v_dual_mov_b32 v44, 0
	;; [unrolled: 1-line block ×3, first 2 shown]
	s_mov_b64 s[8:9], 0
.LBB39_46:                              ;   Parent Loop BB39_3 Depth=1
                                        ;     Parent Loop BB39_12 Depth=2
                                        ; =>    This Inner Loop Header: Depth=3
	s_delay_alu instid0(VALU_DEP_2)
	v_add_co_u32 v46, vcc_lo, v27, s54
	s_wait_alu 0xfffd
	v_add_co_ci_u32_e64 v47, null, s55, v28, vcc_lo
	v_add_co_u32 v48, vcc_lo, v27, s56
	s_wait_alu 0xfffd
	v_add_co_ci_u32_e64 v49, null, s57, v28, vcc_lo
	;; [unrolled: 3-line block ×3, first 2 shown]
	s_clause 0x3
	global_load_b32 v52, v[27:28], off
	global_load_b32 v46, v[46:47], off
	;; [unrolled: 1-line block ×4, first 2 shown]
	s_wait_alu 0xfffe
	s_cmp_eq_u32 s8, 1
	v_add_co_u32 v27, s6, v27, 4
	s_cselect_b32 vcc_lo, -1, 0
	s_cmp_eq_u32 s8, 2
	s_wait_alu 0xfffe
	v_cndmask_b32_e32 v49, v1, v2, vcc_lo
	s_cselect_b32 vcc_lo, -1, 0
	s_cmp_eq_u32 s8, 3
	v_add_co_ci_u32_e64 v28, null, 0, v28, s6
	s_wait_alu 0xfffe
	v_cndmask_b32_e32 v49, v49, v3, vcc_lo
	s_cselect_b32 vcc_lo, -1, 0
	s_add_nc_u64 s[8:9], s[8:9], 1
	s_wait_alu 0xfffe
	s_cmp_lg_u32 s68, s8
	v_cndmask_b32_e32 v49, v49, v4, vcc_lo
	s_wait_loadcnt 0x3
	s_delay_alu instid0(VALU_DEP_1)
	v_fmac_f32_e32 v45, v49, v52
	s_wait_loadcnt 0x2
	v_fmac_f32_e32 v44, v49, v46
	s_wait_loadcnt 0x1
	;; [unrolled: 2-line block ×3, first 2 shown]
	v_fmac_f32_e32 v42, v49, v48
	s_cbranch_scc1 .LBB39_46
	s_branch .LBB39_57
.LBB39_47:                              ;   in Loop: Header=BB39_12 Depth=2
	ds_load_b32 v27, v31
	s_wait_alu 0xfffe
	s_or_b32 exec_lo, exec_lo, s6
	s_and_saveexec_b32 s6, s3
	s_cbranch_execz .LBB39_20
.LBB39_48:                              ;   in Loop: Header=BB39_12 Depth=2
	s_wait_dscnt 0x0
	ds_bpermute_b32 v28, v39, v27
	s_wait_dscnt 0x0
	v_add_f32_e32 v27, v27, v28
	ds_bpermute_b32 v28, v40, v27
	s_wait_dscnt 0x0
	v_add_f32_e32 v27, v27, v28
	;; [unrolled: 3-line block ×3, first 2 shown]
	s_wait_alu 0xfffe
	s_or_b32 exec_lo, exec_lo, s6
	s_and_saveexec_b32 s6, s3
	s_cbranch_execnz .LBB39_21
	s_branch .LBB39_22
.LBB39_49:                              ;   in Loop: Header=BB39_12 Depth=2
	ds_load_b32 v28, v31
	s_wait_alu 0xfffe
	s_or_b32 exec_lo, exec_lo, s6
	s_and_saveexec_b32 s6, s3
	s_cbranch_execz .LBB39_26
.LBB39_50:                              ;   in Loop: Header=BB39_12 Depth=2
	s_wait_dscnt 0x0
	ds_bpermute_b32 v44, v39, v28
	s_wait_dscnt 0x0
	v_add_f32_e32 v28, v28, v44
	ds_bpermute_b32 v44, v40, v28
	s_wait_dscnt 0x0
	v_add_f32_e32 v28, v28, v44
	;; [unrolled: 3-line block ×3, first 2 shown]
	s_wait_alu 0xfffe
	s_or_b32 exec_lo, exec_lo, s6
	s_and_saveexec_b32 s6, s3
	s_cbranch_execnz .LBB39_27
	s_branch .LBB39_28
.LBB39_51:                              ;   in Loop: Header=BB39_12 Depth=2
	ds_load_b32 v43, v31
	s_wait_alu 0xfffe
	s_or_b32 exec_lo, exec_lo, s6
	s_and_saveexec_b32 s6, s3
	s_cbranch_execz .LBB39_32
.LBB39_52:                              ;   in Loop: Header=BB39_12 Depth=2
	s_wait_dscnt 0x0
	ds_bpermute_b32 v44, v39, v43
	s_wait_dscnt 0x0
	v_add_f32_e32 v43, v43, v44
	ds_bpermute_b32 v44, v40, v43
	s_wait_dscnt 0x0
	v_add_f32_e32 v43, v43, v44
	;; [unrolled: 3-line block ×3, first 2 shown]
	s_wait_alu 0xfffe
	s_or_b32 exec_lo, exec_lo, s6
	s_and_saveexec_b32 s6, s3
	s_cbranch_execnz .LBB39_33
	s_branch .LBB39_34
.LBB39_53:                              ;   in Loop: Header=BB39_12 Depth=2
	ds_load_b32 v42, v31
	s_wait_alu 0xfffe
	s_or_b32 exec_lo, exec_lo, s6
	s_and_saveexec_b32 s6, s3
	s_cbranch_execz .LBB39_38
.LBB39_54:                              ;   in Loop: Header=BB39_12 Depth=2
	s_wait_dscnt 0x0
	ds_bpermute_b32 v44, v39, v42
	s_wait_dscnt 0x0
	v_add_f32_e32 v42, v42, v44
	ds_bpermute_b32 v44, v40, v42
	s_wait_dscnt 0x0
	v_add_f32_e32 v42, v42, v44
	;; [unrolled: 3-line block ×3, first 2 shown]
	s_wait_alu 0xfffe
	s_or_b32 exec_lo, exec_lo, s6
	s_and_saveexec_b32 s6, s0
	s_cbranch_execz .LBB39_11
.LBB39_55:                              ;   in Loop: Header=BB39_12 Depth=2
	s_mul_u64 s[8:9], s[28:29], s[36:37]
	v_mul_f32_e32 v27, v35, v27
	s_or_b32 s64, s28, 1
	s_mov_b32 s65, s29
	s_wait_alu 0xfffe
	s_lshl_b64 s[8:9], s[8:9], 2
	s_mul_u64 s[64:65], s[64:65], s[36:37]
	s_wait_alu 0xfffe
	s_add_nc_u64 s[8:9], s[58:59], s[8:9]
	v_mul_f32_e32 v28, v35, v28
	s_or_b32 s70, s28, 2
	s_mov_b32 s71, s29
	global_store_b32 v0, v27, s[8:9]
	s_lshl_b64 s[8:9], s[64:65], 2
	s_mul_u64 s[64:65], s[70:71], s[36:37]
	s_or_b32 s70, s28, 3
	s_wait_alu 0xfffe
	s_add_nc_u64 s[8:9], s[58:59], s[8:9]
	s_mul_u64 s[70:71], s[70:71], s[36:37]
	v_mul_f32_e32 v27, v35, v43
	global_store_b32 v0, v28, s[8:9]
	s_lshl_b64 s[8:9], s[64:65], 2
	s_wait_dscnt 0x0
	v_mul_f32_e32 v28, v35, v42
	s_lshl_b64 s[64:65], s[70:71], 2
	s_wait_alu 0xfffe
	s_add_nc_u64 s[8:9], s[58:59], s[8:9]
	s_add_nc_u64 s[64:65], s[58:59], s[64:65]
	s_clause 0x1
	global_store_b32 v0, v27, s[8:9]
	global_store_b32 v0, v28, s[64:65]
	s_branch .LBB39_11
.LBB39_56:                              ;   in Loop: Header=BB39_12 Depth=2
	v_dual_mov_b32 v42, 0 :: v_dual_mov_b32 v43, 0
	v_dual_mov_b32 v44, 0 :: v_dual_mov_b32 v45, 0
.LBB39_57:                              ;   in Loop: Header=BB39_12 Depth=2
	s_or_b32 exec_lo, exec_lo, s70
	s_wait_alu 0xfffe
	s_or_b32 exec_lo, exec_lo, s11
	s_and_saveexec_b32 s6, s3
	s_cbranch_execnz .LBB39_15
	s_branch .LBB39_16
.LBB39_58:                              ;   in Loop: Header=BB39_3 Depth=1
	v_mov_b32_e32 v3, v0
	v_dual_mov_b32 v1, v0 :: v_dual_mov_b32 v2, v0
	s_mov_b32 s28, 0
	s_delay_alu instid0(VALU_DEP_2) | instskip(NEXT) | instid1(VALU_DEP_2)
	v_mov_b32_e32 v4, v3
	v_mov_b32_e32 v3, v2
	s_delay_alu instid0(VALU_DEP_3)
	v_mov_b32_e32 v2, v1
	v_mov_b32_e32 v1, v0
.LBB39_59:                              ;   in Loop: Header=BB39_3 Depth=1
	s_wait_alu 0xfffe
	s_cmp_ge_i32 s28, s35
	s_cbranch_scc1 .LBB39_2
; %bb.60:                               ;   in Loop: Header=BB39_3 Depth=1
	v_cmp_gt_u32_e32 vcc_lo, 24, v33
	s_mul_u64 s[6:7], s[54:55], s[28:29]
	s_wait_alu 0xfffe
	s_add_nc_u64 s[6:7], s[6:7], s[60:61]
	s_wait_alu 0xfffd
	v_cndmask_b32_e64 v17, 0, 8, vcc_lo
	v_cmp_gt_u32_e32 vcc_lo, 28, v33
	s_delay_alu instid0(VALU_DEP_2) | instskip(SKIP_3) | instid1(VALU_DEP_2)
	v_add_lshl_u32 v38, v17, v33, 2
	s_wait_alu 0xfffd
	v_cndmask_b32_e64 v18, 0, 4, vcc_lo
	v_cmp_gt_u32_e32 vcc_lo, 30, v33
	v_add_lshl_u32 v39, v18, v33, 2
	s_wait_alu 0xfffd
	v_cndmask_b32_e64 v19, 0, 2, vcc_lo
	v_cmp_ne_u32_e32 vcc_lo, 31, v33
	s_delay_alu instid0(VALU_DEP_2)
	v_add_lshl_u32 v40, v19, v33, 2
	s_wait_alu 0xfffd
	v_add_co_ci_u32_e64 v20, null, 0, v33, vcc_lo
	v_add_co_u32 v17, vcc_lo, s62, v5
	s_wait_alu 0xfffd
	v_add_co_ci_u32_e64 v18, null, s63, v6, vcc_lo
	v_add_co_u32 v19, vcc_lo, s62, v9
	v_lshlrev_b32_e32 v41, 2, v20
	s_wait_alu 0xfffd
	v_add_co_ci_u32_e64 v20, null, s63, v10, vcc_lo
	v_add_co_u32 v21, vcc_lo, s62, v11
	s_wait_alu 0xfffd
	v_add_co_ci_u32_e64 v22, null, s63, v12, vcc_lo
	v_add_co_u32 v23, vcc_lo, s62, v13
	s_wait_alu 0xfffd
	v_add_co_ci_u32_e64 v24, null, s63, v14, vcc_lo
	s_wait_alu 0xfffe
	v_add_co_u32 v25, vcc_lo, v29, s6
	s_wait_alu 0xfffd
	v_add_co_ci_u32_e64 v26, null, s7, v30, vcc_lo
	s_branch .LBB39_62
.LBB39_61:                              ;   in Loop: Header=BB39_62 Depth=2
	s_wait_alu 0xfffe
	s_or_b32 exec_lo, exec_lo, s6
	v_add_co_u32 v25, vcc_lo, v25, s54
	s_wait_alu 0xfffd
	v_add_co_ci_u32_e64 v26, null, s55, v26, vcc_lo
	s_add_co_i32 s28, s28, 1
	s_wait_alu 0xfffe
	s_cmp_ge_i32 s28, s35
	s_cbranch_scc1 .LBB39_2
.LBB39_62:                              ;   Parent Loop BB39_3 Depth=1
                                        ; =>  This Loop Header: Depth=2
                                        ;       Child Loop BB39_75 Depth 3
                                        ;       Child Loop BB39_78 Depth 3
	s_wait_dscnt 0x0
	v_mov_b32_e32 v42, s29
	s_and_saveexec_b32 s6, s1
	s_wait_alu 0xfffe
	s_xor_b32 s6, exec_lo, s6
	s_cbranch_execnz .LBB39_71
; %bb.63:                               ;   in Loop: Header=BB39_62 Depth=2
	s_wait_alu 0xfffe
	s_and_not1_saveexec_b32 s9, s6
	s_cbranch_execnz .LBB39_72
.LBB39_64:                              ;   in Loop: Header=BB39_62 Depth=2
	s_wait_alu 0xfffe
	s_or_b32 exec_lo, exec_lo, s9
	s_and_saveexec_b32 s6, s3
.LBB39_65:                              ;   in Loop: Header=BB39_62 Depth=2
	ds_store_b32 v31, v0
.LBB39_66:                              ;   in Loop: Header=BB39_62 Depth=2
	s_wait_alu 0xfffe
	s_or_b32 exec_lo, exec_lo, s6
	ds_bpermute_b32 v27, v34, v42
	s_wait_storecnt 0x0
	s_wait_loadcnt_dscnt 0x0
	s_barrier_signal -1
	s_barrier_wait -1
	global_inv scope:SCOPE_SE
	v_add_f32_e32 v27, v42, v27
	ds_bpermute_b32 v28, v38, v27
	s_wait_dscnt 0x0
	v_add_f32_e32 v27, v27, v28
	ds_bpermute_b32 v28, v39, v27
	s_wait_dscnt 0x0
	;; [unrolled: 3-line block ×3, first 2 shown]
	v_add_f32_e32 v27, v27, v28
	ds_bpermute_b32 v28, v41, v27
	s_and_saveexec_b32 s6, s4
	s_cbranch_execz .LBB39_68
; %bb.67:                               ;   in Loop: Header=BB39_62 Depth=2
	s_wait_dscnt 0x0
	v_add_f32_e32 v27, v27, v28
	ds_store_b32 v32, v27
.LBB39_68:                              ;   in Loop: Header=BB39_62 Depth=2
	s_wait_alu 0xfffe
	s_or_b32 exec_lo, exec_lo, s6
	v_mov_b32_e32 v27, 0
	s_wait_loadcnt_dscnt 0x0
	s_barrier_signal -1
	s_barrier_wait -1
	global_inv scope:SCOPE_SE
	s_and_saveexec_b32 s6, s5
	s_cbranch_execnz .LBB39_80
; %bb.69:                               ;   in Loop: Header=BB39_62 Depth=2
	s_wait_alu 0xfffe
	s_or_b32 exec_lo, exec_lo, s6
	s_and_saveexec_b32 s6, s3
	s_cbranch_execnz .LBB39_81
.LBB39_70:                              ;   in Loop: Header=BB39_62 Depth=2
	s_wait_alu 0xfffe
	s_or_b32 exec_lo, exec_lo, s6
	s_and_saveexec_b32 s6, s0
	s_cbranch_execz .LBB39_61
	s_branch .LBB39_82
.LBB39_71:                              ;   in Loop: Header=BB39_62 Depth=2
	s_mul_u64 s[8:9], s[28:29], s[30:31]
	s_wait_alu 0xfffe
	s_lshl_b64 s[8:9], s[8:9], 2
	s_wait_alu 0xfffe
	v_add_co_u32 v1, vcc_lo, v36, s8
	s_wait_alu 0xfffd
	v_add_co_ci_u32_e64 v2, null, s9, v37, vcc_lo
	global_load_b128 v[42:45], v[1:2], off
	s_clause 0x3
	global_load_b32 v1, v[17:18], off
	global_load_b32 v2, v[19:20], off
	;; [unrolled: 1-line block ×4, first 2 shown]
	s_wait_loadcnt 0x3
	v_fma_f32 v42, v1, v42, 0
	s_wait_loadcnt 0x2
	s_delay_alu instid0(VALU_DEP_1) | instskip(SKIP_1) | instid1(VALU_DEP_1)
	v_fmac_f32_e32 v42, v2, v43
	s_wait_loadcnt 0x1
	v_fmac_f32_e32 v42, v3, v44
	s_wait_loadcnt 0x0
	s_delay_alu instid0(VALU_DEP_1)
	v_fmac_f32_e32 v42, v4, v45
	s_and_not1_saveexec_b32 s9, s6
	s_cbranch_execz .LBB39_64
.LBB39_72:                              ;   in Loop: Header=BB39_62 Depth=2
	s_and_saveexec_b32 s11, s2
	s_cbranch_execz .LBB39_79
; %bb.73:                               ;   in Loop: Header=BB39_62 Depth=2
	s_and_not1_b32 vcc_lo, exec_lo, s34
	s_wait_alu 0xfffe
	s_cbranch_vccnz .LBB39_76
; %bb.74:                               ;   in Loop: Header=BB39_62 Depth=2
	v_dual_mov_b32 v28, v16 :: v_dual_mov_b32 v27, v15
	s_mov_b64 s[60:61], 0
.LBB39_75:                              ;   Parent Loop BB39_3 Depth=1
                                        ;     Parent Loop BB39_62 Depth=2
                                        ; =>    This Inner Loop Header: Depth=3
	global_load_b32 v43, v[27:28], off
	s_wait_alu 0xfffe
	s_cmp_eq_u32 s60, 3
	v_add_co_u32 v27, vcc_lo, v27, s46
	s_wait_alu 0xfffd
	v_add_co_ci_u32_e64 v28, null, s47, v28, vcc_lo
	s_cselect_b32 vcc_lo, -1, 0
	s_cmp_eq_u32 s60, 2
	s_cselect_b32 s6, -1, 0
	s_cmp_eq_u32 s60, 1
	s_cselect_b32 s7, -1, 0
	s_cmp_eq_u32 s60, 0
	s_add_nc_u64 s[60:61], s[60:61], 1
	s_cselect_b32 s8, -1, 0
	s_wait_alu 0xfffe
	s_cmp_eq_u32 s68, s60
	s_wait_loadcnt 0x0
	v_cndmask_b32_e32 v4, v4, v43, vcc_lo
	v_cndmask_b32_e64 v3, v3, v43, s6
	v_cndmask_b32_e64 v2, v2, v43, s7
	;; [unrolled: 1-line block ×3, first 2 shown]
	s_cbranch_scc0 .LBB39_75
.LBB39_76:                              ;   in Loop: Header=BB39_62 Depth=2
	s_and_not1_b32 vcc_lo, exec_lo, s34
	s_wait_alu 0xfffe
	s_cbranch_vccnz .LBB39_79
; %bb.77:                               ;   in Loop: Header=BB39_62 Depth=2
	v_dual_mov_b32 v28, v26 :: v_dual_mov_b32 v27, v25
	s_mov_b64 s[6:7], 0
.LBB39_78:                              ;   Parent Loop BB39_3 Depth=1
                                        ;     Parent Loop BB39_62 Depth=2
                                        ; =>    This Inner Loop Header: Depth=3
	global_load_b32 v43, v[27:28], off
	s_wait_alu 0xfffe
	s_cmp_eq_u32 s6, 1
	s_cselect_b32 vcc_lo, -1, 0
	s_cmp_eq_u32 s6, 2
	s_wait_alu 0xfffe
	v_cndmask_b32_e32 v44, v1, v2, vcc_lo
	s_cselect_b32 vcc_lo, -1, 0
	s_cmp_eq_u32 s6, 3
	s_add_nc_u64 s[6:7], s[6:7], 1
	s_wait_alu 0xfffe
	v_cndmask_b32_e32 v44, v44, v3, vcc_lo
	s_cselect_b32 vcc_lo, -1, 0
	s_cmp_lg_u32 s68, s6
	s_wait_alu 0xfffe
	s_delay_alu instid0(VALU_DEP_1)
	v_cndmask_b32_e32 v44, v44, v4, vcc_lo
	v_add_co_u32 v27, vcc_lo, v27, 4
	s_wait_alu 0xfffd
	v_add_co_ci_u32_e64 v28, null, 0, v28, vcc_lo
	s_wait_loadcnt 0x0
	v_fmac_f32_e32 v42, v44, v43
	s_cbranch_scc1 .LBB39_78
.LBB39_79:                              ;   in Loop: Header=BB39_62 Depth=2
	s_wait_alu 0xfffe
	s_or_b32 exec_lo, exec_lo, s11
	s_delay_alu instid0(SALU_CYCLE_1)
	s_or_b32 exec_lo, exec_lo, s9
	s_and_saveexec_b32 s6, s3
	s_cbranch_execnz .LBB39_65
	s_branch .LBB39_66
.LBB39_80:                              ;   in Loop: Header=BB39_62 Depth=2
	ds_load_b32 v27, v31
	s_wait_alu 0xfffe
	s_or_b32 exec_lo, exec_lo, s6
	s_and_saveexec_b32 s6, s3
	s_cbranch_execz .LBB39_70
.LBB39_81:                              ;   in Loop: Header=BB39_62 Depth=2
	s_wait_dscnt 0x0
	ds_bpermute_b32 v28, v39, v27
	s_wait_dscnt 0x0
	v_add_f32_e32 v27, v27, v28
	ds_bpermute_b32 v28, v40, v27
	s_wait_dscnt 0x0
	v_add_f32_e32 v27, v27, v28
	;; [unrolled: 3-line block ×3, first 2 shown]
	s_wait_alu 0xfffe
	s_or_b32 exec_lo, exec_lo, s6
	s_and_saveexec_b32 s6, s0
	s_cbranch_execz .LBB39_61
.LBB39_82:                              ;   in Loop: Header=BB39_62 Depth=2
	s_mul_u64 s[8:9], s[28:29], s[36:37]
	s_wait_dscnt 0x0
	v_mul_f32_e32 v27, v35, v27
	s_wait_alu 0xfffe
	s_lshl_b64 s[8:9], s[8:9], 2
	s_wait_alu 0xfffe
	s_add_nc_u64 s[8:9], s[58:59], s[8:9]
	global_store_b32 v0, v27, s[8:9]
	s_branch .LBB39_61
.LBB39_83:
	s_endpgm
	.section	.rodata,"a",@progbits
	.p2align	6, 0x0
	.amdhsa_kernel _ZL23rocblas_gemvt_sn_kernelILb1ELi256ELi4ElfPKffEviiT4_lPKT3_lilS5_lilPT5_i
		.amdhsa_group_segment_fixed_size 128
		.amdhsa_private_segment_fixed_size 0
		.amdhsa_kernarg_size 360
		.amdhsa_user_sgpr_count 2
		.amdhsa_user_sgpr_dispatch_ptr 0
		.amdhsa_user_sgpr_queue_ptr 0
		.amdhsa_user_sgpr_kernarg_segment_ptr 1
		.amdhsa_user_sgpr_dispatch_id 0
		.amdhsa_user_sgpr_private_segment_size 0
		.amdhsa_wavefront_size32 1
		.amdhsa_uses_dynamic_stack 0
		.amdhsa_enable_private_segment 0
		.amdhsa_system_sgpr_workgroup_id_x 1
		.amdhsa_system_sgpr_workgroup_id_y 0
		.amdhsa_system_sgpr_workgroup_id_z 1
		.amdhsa_system_sgpr_workgroup_info 0
		.amdhsa_system_vgpr_workitem_id 0
		.amdhsa_next_free_vgpr 61
		.amdhsa_next_free_sgpr 72
		.amdhsa_reserve_vcc 1
		.amdhsa_float_round_mode_32 0
		.amdhsa_float_round_mode_16_64 0
		.amdhsa_float_denorm_mode_32 3
		.amdhsa_float_denorm_mode_16_64 3
		.amdhsa_fp16_overflow 0
		.amdhsa_workgroup_processor_mode 1
		.amdhsa_memory_ordered 1
		.amdhsa_forward_progress 1
		.amdhsa_inst_pref_size 35
		.amdhsa_round_robin_scheduling 0
		.amdhsa_exception_fp_ieee_invalid_op 0
		.amdhsa_exception_fp_denorm_src 0
		.amdhsa_exception_fp_ieee_div_zero 0
		.amdhsa_exception_fp_ieee_overflow 0
		.amdhsa_exception_fp_ieee_underflow 0
		.amdhsa_exception_fp_ieee_inexact 0
		.amdhsa_exception_int_div_zero 0
	.end_amdhsa_kernel
	.section	.text._ZL23rocblas_gemvt_sn_kernelILb1ELi256ELi4ElfPKffEviiT4_lPKT3_lilS5_lilPT5_i,"axG",@progbits,_ZL23rocblas_gemvt_sn_kernelILb1ELi256ELi4ElfPKffEviiT4_lPKT3_lilS5_lilPT5_i,comdat
.Lfunc_end39:
	.size	_ZL23rocblas_gemvt_sn_kernelILb1ELi256ELi4ElfPKffEviiT4_lPKT3_lilS5_lilPT5_i, .Lfunc_end39-_ZL23rocblas_gemvt_sn_kernelILb1ELi256ELi4ElfPKffEviiT4_lPKT3_lilS5_lilPT5_i
                                        ; -- End function
	.set _ZL23rocblas_gemvt_sn_kernelILb1ELi256ELi4ElfPKffEviiT4_lPKT3_lilS5_lilPT5_i.num_vgpr, 61
	.set _ZL23rocblas_gemvt_sn_kernelILb1ELi256ELi4ElfPKffEviiT4_lPKT3_lilS5_lilPT5_i.num_agpr, 0
	.set _ZL23rocblas_gemvt_sn_kernelILb1ELi256ELi4ElfPKffEviiT4_lPKT3_lilS5_lilPT5_i.numbered_sgpr, 72
	.set _ZL23rocblas_gemvt_sn_kernelILb1ELi256ELi4ElfPKffEviiT4_lPKT3_lilS5_lilPT5_i.num_named_barrier, 0
	.set _ZL23rocblas_gemvt_sn_kernelILb1ELi256ELi4ElfPKffEviiT4_lPKT3_lilS5_lilPT5_i.private_seg_size, 0
	.set _ZL23rocblas_gemvt_sn_kernelILb1ELi256ELi4ElfPKffEviiT4_lPKT3_lilS5_lilPT5_i.uses_vcc, 1
	.set _ZL23rocblas_gemvt_sn_kernelILb1ELi256ELi4ElfPKffEviiT4_lPKT3_lilS5_lilPT5_i.uses_flat_scratch, 0
	.set _ZL23rocblas_gemvt_sn_kernelILb1ELi256ELi4ElfPKffEviiT4_lPKT3_lilS5_lilPT5_i.has_dyn_sized_stack, 0
	.set _ZL23rocblas_gemvt_sn_kernelILb1ELi256ELi4ElfPKffEviiT4_lPKT3_lilS5_lilPT5_i.has_recursion, 0
	.set _ZL23rocblas_gemvt_sn_kernelILb1ELi256ELi4ElfPKffEviiT4_lPKT3_lilS5_lilPT5_i.has_indirect_call, 0
	.section	.AMDGPU.csdata,"",@progbits
; Kernel info:
; codeLenInByte = 4472
; TotalNumSgprs: 74
; NumVgprs: 61
; ScratchSize: 0
; MemoryBound: 0
; FloatMode: 240
; IeeeMode: 1
; LDSByteSize: 128 bytes/workgroup (compile time only)
; SGPRBlocks: 0
; VGPRBlocks: 7
; NumSGPRsForWavesPerEU: 74
; NumVGPRsForWavesPerEU: 61
; Occupancy: 16
; WaveLimiterHint : 0
; COMPUTE_PGM_RSRC2:SCRATCH_EN: 0
; COMPUTE_PGM_RSRC2:USER_SGPR: 2
; COMPUTE_PGM_RSRC2:TRAP_HANDLER: 0
; COMPUTE_PGM_RSRC2:TGID_X_EN: 1
; COMPUTE_PGM_RSRC2:TGID_Y_EN: 0
; COMPUTE_PGM_RSRC2:TGID_Z_EN: 1
; COMPUTE_PGM_RSRC2:TIDIG_COMP_CNT: 0
	.section	.text._ZL23rocblas_gemvt_sn_kernelILb1ELi256ELi4EifffEviiT4_lPKT3_lilS3_lilPT5_i,"axG",@progbits,_ZL23rocblas_gemvt_sn_kernelILb1ELi256ELi4EifffEviiT4_lPKT3_lilS3_lilPT5_i,comdat
	.globl	_ZL23rocblas_gemvt_sn_kernelILb1ELi256ELi4EifffEviiT4_lPKT3_lilS3_lilPT5_i ; -- Begin function _ZL23rocblas_gemvt_sn_kernelILb1ELi256ELi4EifffEviiT4_lPKT3_lilS3_lilPT5_i
	.p2align	8
	.type	_ZL23rocblas_gemvt_sn_kernelILb1ELi256ELi4EifffEviiT4_lPKT3_lilS3_lilPT5_i,@function
_ZL23rocblas_gemvt_sn_kernelILb1ELi256ELi4EifffEviiT4_lPKT3_lilS3_lilPT5_i: ; @_ZL23rocblas_gemvt_sn_kernelILb1ELi256ELi4EifffEviiT4_lPKT3_lilS3_lilPT5_i
; %bb.0:
	s_load_b32 s11, s[0:1], 0x60
	s_lshr_b32 s24, ttmp7, 16
	s_wait_kmcnt 0x0
	s_cmp_ge_u32 s24, s11
	s_cbranch_scc1 .LBB40_83
; %bb.1:
	s_clause 0x6
	s_load_b96 s[8:10], s[0:1], 0x40
	s_load_b128 s[4:7], s[0:1], 0x18
	s_load_b96 s[20:22], s[0:1], 0x0
	s_load_b128 s[12:15], s[0:1], 0x30
	s_load_b32 s28, s[0:1], 0x68
	s_load_b32 s30, s[0:1], 0x28
	s_load_b128 s[16:19], s[0:1], 0x50
	v_cmp_eq_u32_e64 s0, 0, v0
	v_mbcnt_lo_u32_b32 v28, -1, 0
	s_mov_b32 s35, 0
	s_mov_b32 s26, ttmp9
	s_mov_b32 s29, s35
	s_mov_b32 s27, s35
	v_lshl_or_b32 v29, v28, 2, 64
	s_mov_b32 s31, s35
	s_mov_b32 s47, s35
	s_wait_kmcnt 0x0
	s_lshl_b64 s[2:3], s[8:9], 2
	s_lshl_b64 s[6:7], s[6:7], 2
	s_ashr_i32 s9, s21, 31
	s_cmp_eq_f32 s22, 0
	s_add_nc_u64 s[14:15], s[14:15], s[2:3]
	s_add_nc_u64 s[2:3], s[4:5], s[6:7]
	s_mov_b32 s8, s21
	s_cselect_b32 s23, -1, 0
	s_cmp_gt_i32 s21, 0
	s_mul_u64 s[36:37], s[8:9], s[28:29]
	s_cselect_b32 s1, -1, 0
	s_lshl_b32 s4, ttmp9, 10
	s_lshr_b32 s5, s9, 30
	v_lshl_or_b32 v1, v0, 2, s4
	s_ashr_i32 s6, s20, 31
	s_and_b32 s33, s0, s1
	s_add_co_i32 s1, s21, s5
	s_lshr_b32 s4, s6, 30
	v_ashrrev_i32_e32 v2, 31, v1
	s_and_b32 s70, s1, -4
	s_wait_alu 0xfffe
	s_add_co_i32 s1, s20, s4
	v_mul_lo_u32 v5, s10, v1
	s_and_b32 s1, s1, -4
	v_lshlrev_b64_e32 v[2:3], 2, v[1:2]
	s_sub_co_i32 s71, s20, s1
	v_add_nc_u32_e32 v4, 4, v1
	v_add_nc_u32_e32 v1, s71, v1
	v_cmp_gt_u32_e64 s5, 8, v0
	s_cmp_gt_i32 s70, 0
	v_add_co_u32 v24, vcc_lo, s2, v2
	v_cmp_ge_i32_e64 s1, s20, v4
	v_add_co_ci_u32_e64 v25, null, s3, v3, vcc_lo
	v_and_b32_e32 v2, 31, v0
	v_cmp_gt_u32_e64 s3, 32, v0
	v_lshrrev_b32_e32 v4, 3, v0
	v_mov_b32_e32 v0, 0
	v_cmp_ge_i32_e64 s2, s20, v1
	v_add_nc_u32_e32 v1, s10, v5
	v_cmp_eq_u32_e64 s4, 0, v2
	v_lshlrev_b32_e32 v26, 2, v2
	v_and_b32_e32 v27, 28, v4
	v_ashrrev_i32_e32 v6, 31, v5
	v_add_nc_u32_e32 v3, s10, v1
	v_ashrrev_i32_e32 v2, 31, v1
	s_cselect_b32 s72, -1, 0
	s_cmp_gt_i32 s71, 0
	v_lshlrev_b64_e32 v[6:7], 2, v[5:6]
	v_add_nc_u32_e32 v12, s10, v3
	v_ashrrev_i32_e32 v4, 31, v3
	s_cselect_b32 s20, -1, 0
	s_lshl_b32 s34, s30, 1
	v_lshlrev_b64_e32 v[8:9], 2, v[1:2]
	v_ashrrev_i32_e32 v13, 31, v12
	v_lshlrev_b64_e32 v[10:11], 2, v[3:4]
	s_lshl_b64 s[38:39], s[26:27], 2
	s_mov_b64 s[48:49], s[34:35]
	s_mul_i32 s34, s30, 3
	v_lshlrev_b64_e32 v[12:13], 2, v[12:13]
	s_add_nc_u64 s[40:41], s[18:19], s[38:39]
	s_lshl_b64 s[42:43], s[36:37], 2
	s_lshl_b64 s[44:45], s[28:29], 2
	s_lshl_b32 s46, s30, 2
	s_mov_b64 s[50:51], s[34:35]
	s_lshl_b64 s[52:53], s[12:13], 2
	s_branch .LBB40_3
.LBB40_2:                               ;   in Loop: Header=BB40_3 Depth=1
	s_add_co_i32 s24, s24, 0x10000
	s_delay_alu instid0(SALU_CYCLE_1)
	s_cmp_lt_u32 s24, s11
	s_cbranch_scc0 .LBB40_83
.LBB40_3:                               ; =>This Loop Header: Depth=1
                                        ;     Child Loop BB40_6 Depth 2
                                        ;     Child Loop BB40_12 Depth 2
                                        ;       Child Loop BB40_43 Depth 3
                                        ;       Child Loop BB40_46 Depth 3
                                        ;     Child Loop BB40_62 Depth 2
                                        ;       Child Loop BB40_75 Depth 3
                                        ;       Child Loop BB40_78 Depth 3
	s_mov_b32 s25, s35
	s_and_not1_b32 vcc_lo, exec_lo, s23
	s_mov_b32 s6, -1
	s_wait_alu 0xfffe
	s_cbranch_vccnz .LBB40_8
; %bb.4:                                ;   in Loop: Header=BB40_3 Depth=1
	s_and_saveexec_b32 s8, s33
	s_cbranch_execz .LBB40_7
; %bb.5:                                ;   in Loop: Header=BB40_3 Depth=1
	s_mul_u64 s[6:7], s[42:43], s[24:25]
	s_mov_b32 s9, s21
	s_wait_alu 0xfffe
	s_add_nc_u64 s[6:7], s[40:41], s[6:7]
.LBB40_6:                               ;   Parent Loop BB40_3 Depth=1
                                        ; =>  This Inner Loop Header: Depth=2
	s_add_co_i32 s9, s9, -1
	global_store_b32 v0, v0, s[6:7]
	s_wait_alu 0xfffe
	s_cmp_eq_u32 s9, 0
	s_add_nc_u64 s[6:7], s[6:7], s[44:45]
	s_cbranch_scc0 .LBB40_6
.LBB40_7:                               ;   in Loop: Header=BB40_3 Depth=1
	s_wait_alu 0xfffe
	s_or_b32 exec_lo, exec_lo, s8
	s_mov_b32 s6, 0
.LBB40_8:                               ;   in Loop: Header=BB40_3 Depth=1
	s_wait_alu 0xfffe
	s_and_not1_b32 vcc_lo, exec_lo, s6
	s_wait_alu 0xfffe
	s_cbranch_vccnz .LBB40_2
; %bb.9:                                ;   in Loop: Header=BB40_3 Depth=1
	s_mul_u64 s[6:7], s[16:17], s[24:25]
	s_mul_u64 s[8:9], s[12:13], s[24:25]
	s_wait_alu 0xfffe
	s_lshl_b64 s[6:7], s[6:7], 2
	s_mul_u64 s[58:59], s[36:37], s[24:25]
	s_wait_alu 0xfffe
	s_add_nc_u64 s[54:55], s[14:15], s[6:7]
	s_lshl_b64 s[6:7], s[8:9], 2
	v_cmp_gt_u32_e64 s9, 24, v28
	s_wait_alu 0xfffe
	v_add_co_u32 v30, vcc_lo, v24, s6
	s_wait_alu 0xfffd
	v_add_co_ci_u32_e64 v31, null, s7, v25, vcc_lo
	v_cmp_gt_u32_e64 s8, 28, v28
	v_cmp_gt_u32_e64 s7, 30, v28
	v_cmp_ne_u32_e64 s6, 31, v28
	s_lshl_b64 s[58:59], s[58:59], 2
	s_mul_u64 s[56:57], s[52:53], s[24:25]
	s_and_not1_b32 vcc_lo, exec_lo, s72
	s_add_nc_u64 s[58:59], s[18:19], s[58:59]
	s_wait_alu 0xfffe
	s_cbranch_vccnz .LBB40_58
; %bb.10:                               ;   in Loop: Header=BB40_3 Depth=1
	s_wait_alu 0xf1ff
	v_cndmask_b32_e64 v3, 0, 2, s7
	v_add_co_u32 v14, vcc_lo, s54, v6
	s_wait_alu 0xfffd
	v_add_co_ci_u32_e64 v15, null, s55, v7, vcc_lo
	v_add_co_u32 v16, vcc_lo, s54, v8
	v_cndmask_b32_e64 v1, 0, 8, s9
	v_cndmask_b32_e64 v2, 0, 4, s8
	v_add_co_ci_u32_e64 v4, null, 0, v28, s6
	v_add_lshl_u32 v34, v3, v28, 2
	s_wait_alu 0xfffd
	v_add_co_ci_u32_e64 v17, null, s55, v9, vcc_lo
	v_add_co_u32 v18, vcc_lo, s54, v10
	v_mov_b32_e32 v3, v0
	s_wait_alu 0xfffd
	v_add_co_ci_u32_e64 v19, null, s55, v11, vcc_lo
	v_add_co_u32 v20, vcc_lo, s54, v12
	v_add_lshl_u32 v32, v1, v28, 2
	v_add_lshl_u32 v33, v2, v28, 2
	v_dual_mov_b32 v2, v0 :: v_dual_lshlrev_b32 v35, 2, v4
	s_wait_alu 0xfffd
	v_add_co_ci_u32_e64 v21, null, s55, v13, vcc_lo
	v_mov_b32_e32 v1, v0
	v_add_co_u32 v36, vcc_lo, v24, s56
	v_mov_b32_e32 v4, v3
	s_wait_alu 0xfffd
	v_add_co_ci_u32_e64 v37, null, s57, v25, vcc_lo
	v_mov_b32_e32 v3, v2
	v_mov_b32_e32 v2, v1
	;; [unrolled: 1-line block ×3, first 2 shown]
	s_mov_b32 s60, 0
	s_mov_b64 s[62:63], s[50:51]
	s_mov_b64 s[64:65], s[48:49]
	;; [unrolled: 1-line block ×3, first 2 shown]
	s_mov_b32 s25, 0
	s_branch .LBB40_12
.LBB40_11:                              ;   in Loop: Header=BB40_12 Depth=2
	s_wait_alu 0xfffe
	s_or_b32 exec_lo, exec_lo, s6
	s_add_co_i32 s25, s25, 4
	s_add_co_i32 s60, s60, s46
	s_add_nc_u64 s[66:67], s[66:67], s[46:47]
	s_add_nc_u64 s[64:65], s[64:65], s[46:47]
	s_cmp_ge_i32 s25, s70
	s_add_nc_u64 s[62:63], s[62:63], s[46:47]
	s_cbranch_scc1 .LBB40_59
.LBB40_12:                              ;   Parent Loop BB40_3 Depth=1
                                        ; =>  This Loop Header: Depth=2
                                        ;       Child Loop BB40_43 Depth 3
                                        ;       Child Loop BB40_46 Depth 3
                                        ; implicit-def: $vgpr38
                                        ; implicit-def: $vgpr39
                                        ; implicit-def: $vgpr40
                                        ; implicit-def: $vgpr41
	s_and_saveexec_b32 s6, s1
	s_wait_alu 0xfffe
	s_xor_b32 s6, exec_lo, s6
	s_cbranch_execnz .LBB40_39
; %bb.13:                               ;   in Loop: Header=BB40_12 Depth=2
	s_wait_alu 0xfffe
	s_and_not1_saveexec_b32 s27, s6
	s_cbranch_execnz .LBB40_40
.LBB40_14:                              ;   in Loop: Header=BB40_12 Depth=2
	s_or_b32 exec_lo, exec_lo, s27
	s_and_saveexec_b32 s6, s3
.LBB40_15:                              ;   in Loop: Header=BB40_12 Depth=2
	ds_store_b32 v26, v0
.LBB40_16:                              ;   in Loop: Header=BB40_12 Depth=2
	s_wait_alu 0xfffe
	s_or_b32 exec_lo, exec_lo, s6
	s_wait_dscnt 0x0
	ds_bpermute_b32 v22, v29, v41
	s_wait_storecnt_dscnt 0x0
	s_barrier_signal -1
	s_barrier_wait -1
	global_inv scope:SCOPE_SE
	v_add_f32_e32 v22, v41, v22
	ds_bpermute_b32 v23, v32, v22
	s_wait_dscnt 0x0
	v_add_f32_e32 v22, v22, v23
	ds_bpermute_b32 v23, v33, v22
	s_wait_dscnt 0x0
	;; [unrolled: 3-line block ×3, first 2 shown]
	v_add_f32_e32 v22, v22, v23
	ds_bpermute_b32 v23, v35, v22
	s_and_saveexec_b32 s6, s4
	s_cbranch_execz .LBB40_18
; %bb.17:                               ;   in Loop: Header=BB40_12 Depth=2
	s_wait_dscnt 0x0
	v_add_f32_e32 v22, v22, v23
	ds_store_b32 v27, v22
.LBB40_18:                              ;   in Loop: Header=BB40_12 Depth=2
	s_wait_alu 0xfffe
	s_or_b32 exec_lo, exec_lo, s6
	v_mov_b32_e32 v22, 0
	s_wait_loadcnt_dscnt 0x0
	s_barrier_signal -1
	s_barrier_wait -1
	global_inv scope:SCOPE_SE
	s_and_saveexec_b32 s6, s5
	s_cbranch_execnz .LBB40_47
; %bb.19:                               ;   in Loop: Header=BB40_12 Depth=2
	s_wait_alu 0xfffe
	s_or_b32 exec_lo, exec_lo, s6
	s_and_saveexec_b32 s6, s3
	s_cbranch_execnz .LBB40_48
.LBB40_20:                              ;   in Loop: Header=BB40_12 Depth=2
	s_wait_alu 0xfffe
	s_or_b32 exec_lo, exec_lo, s6
	s_and_saveexec_b32 s6, s3
.LBB40_21:                              ;   in Loop: Header=BB40_12 Depth=2
	ds_store_b32 v26, v0
.LBB40_22:                              ;   in Loop: Header=BB40_12 Depth=2
	s_wait_alu 0xfffe
	s_or_b32 exec_lo, exec_lo, s6
	ds_bpermute_b32 v23, v29, v40
	s_wait_loadcnt_dscnt 0x0
	s_barrier_signal -1
	s_barrier_wait -1
	global_inv scope:SCOPE_SE
	v_add_f32_e32 v23, v40, v23
	ds_bpermute_b32 v40, v32, v23
	s_wait_dscnt 0x0
	v_add_f32_e32 v23, v23, v40
	ds_bpermute_b32 v40, v33, v23
	s_wait_dscnt 0x0
	v_add_f32_e32 v23, v23, v40
	ds_bpermute_b32 v40, v34, v23
	s_wait_dscnt 0x0
	v_add_f32_e32 v23, v23, v40
	ds_bpermute_b32 v40, v35, v23
	s_and_saveexec_b32 s6, s4
	s_cbranch_execz .LBB40_24
; %bb.23:                               ;   in Loop: Header=BB40_12 Depth=2
	s_wait_dscnt 0x0
	v_add_f32_e32 v23, v23, v40
	ds_store_b32 v27, v23
.LBB40_24:                              ;   in Loop: Header=BB40_12 Depth=2
	s_wait_alu 0xfffe
	s_or_b32 exec_lo, exec_lo, s6
	v_mov_b32_e32 v23, 0
	s_wait_loadcnt_dscnt 0x0
	s_barrier_signal -1
	s_barrier_wait -1
	global_inv scope:SCOPE_SE
	s_and_saveexec_b32 s6, s5
	s_cbranch_execnz .LBB40_49
; %bb.25:                               ;   in Loop: Header=BB40_12 Depth=2
	s_wait_alu 0xfffe
	s_or_b32 exec_lo, exec_lo, s6
	s_and_saveexec_b32 s6, s3
	s_cbranch_execnz .LBB40_50
.LBB40_26:                              ;   in Loop: Header=BB40_12 Depth=2
	s_wait_alu 0xfffe
	s_or_b32 exec_lo, exec_lo, s6
	s_and_saveexec_b32 s6, s3
.LBB40_27:                              ;   in Loop: Header=BB40_12 Depth=2
	ds_store_b32 v26, v0
.LBB40_28:                              ;   in Loop: Header=BB40_12 Depth=2
	s_wait_alu 0xfffe
	s_or_b32 exec_lo, exec_lo, s6
	ds_bpermute_b32 v40, v29, v39
	s_wait_loadcnt_dscnt 0x0
	s_barrier_signal -1
	s_barrier_wait -1
	global_inv scope:SCOPE_SE
	v_add_f32_e32 v39, v39, v40
	ds_bpermute_b32 v40, v32, v39
	s_wait_dscnt 0x0
	v_add_f32_e32 v39, v39, v40
	ds_bpermute_b32 v40, v33, v39
	s_wait_dscnt 0x0
	;; [unrolled: 3-line block ×3, first 2 shown]
	v_add_f32_e32 v39, v39, v40
	ds_bpermute_b32 v40, v35, v39
	s_and_saveexec_b32 s6, s4
	s_cbranch_execz .LBB40_30
; %bb.29:                               ;   in Loop: Header=BB40_12 Depth=2
	s_wait_dscnt 0x0
	v_add_f32_e32 v39, v39, v40
	ds_store_b32 v27, v39
.LBB40_30:                              ;   in Loop: Header=BB40_12 Depth=2
	s_wait_alu 0xfffe
	s_or_b32 exec_lo, exec_lo, s6
	v_mov_b32_e32 v39, 0
	s_wait_loadcnt_dscnt 0x0
	s_barrier_signal -1
	s_barrier_wait -1
	global_inv scope:SCOPE_SE
	s_and_saveexec_b32 s6, s5
	s_cbranch_execnz .LBB40_51
; %bb.31:                               ;   in Loop: Header=BB40_12 Depth=2
	s_wait_alu 0xfffe
	s_or_b32 exec_lo, exec_lo, s6
	s_and_saveexec_b32 s6, s3
	s_cbranch_execnz .LBB40_52
.LBB40_32:                              ;   in Loop: Header=BB40_12 Depth=2
	s_wait_alu 0xfffe
	s_or_b32 exec_lo, exec_lo, s6
	s_and_saveexec_b32 s6, s3
.LBB40_33:                              ;   in Loop: Header=BB40_12 Depth=2
	ds_store_b32 v26, v0
.LBB40_34:                              ;   in Loop: Header=BB40_12 Depth=2
	s_wait_alu 0xfffe
	s_or_b32 exec_lo, exec_lo, s6
	ds_bpermute_b32 v40, v29, v38
	s_wait_loadcnt_dscnt 0x0
	s_barrier_signal -1
	s_barrier_wait -1
	global_inv scope:SCOPE_SE
	v_add_f32_e32 v38, v38, v40
	ds_bpermute_b32 v40, v32, v38
	s_wait_dscnt 0x0
	v_add_f32_e32 v38, v38, v40
	ds_bpermute_b32 v40, v33, v38
	s_wait_dscnt 0x0
	;; [unrolled: 3-line block ×3, first 2 shown]
	v_add_f32_e32 v38, v38, v40
	ds_bpermute_b32 v40, v35, v38
	s_and_saveexec_b32 s6, s4
	s_cbranch_execz .LBB40_36
; %bb.35:                               ;   in Loop: Header=BB40_12 Depth=2
	s_wait_dscnt 0x0
	v_add_f32_e32 v38, v38, v40
	ds_store_b32 v27, v38
.LBB40_36:                              ;   in Loop: Header=BB40_12 Depth=2
	s_wait_alu 0xfffe
	s_or_b32 exec_lo, exec_lo, s6
	v_mov_b32_e32 v38, 0
	s_wait_loadcnt_dscnt 0x0
	s_barrier_signal -1
	s_barrier_wait -1
	global_inv scope:SCOPE_SE
	s_and_saveexec_b32 s6, s5
	s_cbranch_execnz .LBB40_53
; %bb.37:                               ;   in Loop: Header=BB40_12 Depth=2
	s_wait_alu 0xfffe
	s_or_b32 exec_lo, exec_lo, s6
	s_and_saveexec_b32 s6, s3
	s_cbranch_execnz .LBB40_54
.LBB40_38:                              ;   in Loop: Header=BB40_12 Depth=2
	s_wait_alu 0xfffe
	s_or_b32 exec_lo, exec_lo, s6
	s_and_saveexec_b32 s6, s0
	s_cbranch_execz .LBB40_11
	s_branch .LBB40_55
.LBB40_39:                              ;   in Loop: Header=BB40_12 Depth=2
	s_mul_i32 s8, s25, s30
	s_wait_alu 0xfffe
	s_ashr_i32 s9, s8, 31
	s_add_co_i32 s68, s8, s30
	s_wait_alu 0xfffe
	s_lshl_b64 s[8:9], s[8:9], 2
	s_ashr_i32 s69, s68, 31
	s_wait_alu 0xfffe
	v_add_co_u32 v2, vcc_lo, v30, s8
	s_wait_alu 0xfffd
	v_add_co_ci_u32_e64 v3, null, s9, v31, vcc_lo
	s_lshl_b64 s[8:9], s[68:69], 2
	s_add_co_i32 s68, s68, s30
	s_wait_dscnt 0x0
	s_wait_alu 0xfffe
	v_add_co_u32 v22, vcc_lo, v30, s8
	s_ashr_i32 s69, s68, 31
	s_add_co_i32 s8, s68, s30
	s_wait_alu 0xfffd
	v_add_co_ci_u32_e64 v23, null, s9, v31, vcc_lo
	s_wait_alu 0xfffe
	s_lshl_b64 s[68:69], s[68:69], 2
	s_ashr_i32 s9, s8, 31
	s_wait_alu 0xfffe
	v_add_co_u32 v38, vcc_lo, v30, s68
	s_lshl_b64 s[8:9], s[8:9], 2
	s_wait_alu 0xfffd
	v_add_co_ci_u32_e64 v39, null, s69, v31, vcc_lo
	s_wait_alu 0xfffe
	v_add_co_u32 v53, vcc_lo, v30, s8
	s_wait_alu 0xfffd
	v_add_co_ci_u32_e64 v54, null, s9, v31, vcc_lo
	global_load_b32 v1, v[14:15], off
	s_clause 0x3
	global_load_b128 v[41:44], v[2:3], off
	global_load_b128 v[45:48], v[22:23], off
	;; [unrolled: 1-line block ×4, first 2 shown]
	s_clause 0x2
	global_load_b32 v2, v[16:17], off
	global_load_b32 v3, v[18:19], off
	;; [unrolled: 1-line block ×3, first 2 shown]
	s_wait_loadcnt 0x6
	v_fma_f32 v41, v1, v41, 0
	s_wait_loadcnt 0x5
	v_fma_f32 v40, v1, v45, 0
	;; [unrolled: 2-line block ×4, first 2 shown]
	s_wait_loadcnt 0x2
	v_fmac_f32_e32 v40, v2, v46
	v_fmac_f32_e32 v41, v2, v42
	s_delay_alu instid0(VALU_DEP_3) | instskip(SKIP_1) | instid1(VALU_DEP_3)
	v_fmac_f32_e32 v38, v2, v54
	s_wait_loadcnt 0x1
	v_dual_fmac_f32 v39, v2, v50 :: v_dual_fmac_f32 v40, v3, v47
	s_delay_alu instid0(VALU_DEP_3) | instskip(NEXT) | instid1(VALU_DEP_3)
	v_fmac_f32_e32 v41, v3, v43
	v_fmac_f32_e32 v38, v3, v55
	s_wait_loadcnt 0x0
	s_delay_alu instid0(VALU_DEP_3) | instskip(NEXT) | instid1(VALU_DEP_3)
	v_dual_fmac_f32 v39, v3, v51 :: v_dual_fmac_f32 v40, v4, v48
	v_fmac_f32_e32 v41, v4, v44
	s_delay_alu instid0(VALU_DEP_3) | instskip(NEXT) | instid1(VALU_DEP_3)
	v_fmac_f32_e32 v38, v4, v56
	v_fmac_f32_e32 v39, v4, v52
	s_and_not1_saveexec_b32 s27, s6
	s_cbranch_execz .LBB40_14
.LBB40_40:                              ;   in Loop: Header=BB40_12 Depth=2
	s_wait_dscnt 0x0
	v_dual_mov_b32 v38, 0 :: v_dual_mov_b32 v39, 0
	v_dual_mov_b32 v40, 0 :: v_dual_mov_b32 v41, 0
	s_and_saveexec_b32 s34, s2
	s_cbranch_execz .LBB40_57
; %bb.41:                               ;   in Loop: Header=BB40_12 Depth=2
	s_and_not1_b32 vcc_lo, exec_lo, s20
	s_wait_alu 0xfffe
	s_cbranch_vccnz .LBB40_44
; %bb.42:                               ;   in Loop: Header=BB40_12 Depth=2
	v_mov_b32_e32 v22, v5
	s_mov_b64 s[68:69], 0
.LBB40_43:                              ;   Parent Loop BB40_3 Depth=1
                                        ;     Parent Loop BB40_12 Depth=2
                                        ; =>    This Inner Loop Header: Depth=3
	s_delay_alu instid0(VALU_DEP_1) | instskip(SKIP_2) | instid1(VALU_DEP_1)
	v_ashrrev_i32_e32 v23, 31, v22
	s_wait_alu 0xfffe
	s_cmp_eq_u32 s68, 3
	v_lshlrev_b64_e32 v[38:39], 2, v[22:23]
	v_add_nc_u32_e32 v22, s10, v22
	s_delay_alu instid0(VALU_DEP_2) | instskip(SKIP_1) | instid1(VALU_DEP_3)
	v_add_co_u32 v38, vcc_lo, s54, v38
	s_wait_alu 0xfffd
	v_add_co_ci_u32_e64 v39, null, s55, v39, vcc_lo
	s_cselect_b32 vcc_lo, -1, 0
	s_cmp_eq_u32 s68, 2
	s_cselect_b32 s6, -1, 0
	global_load_b32 v23, v[38:39], off
	s_cmp_eq_u32 s68, 1
	s_cselect_b32 s7, -1, 0
	s_cmp_eq_u32 s68, 0
	s_add_nc_u64 s[68:69], s[68:69], 1
	s_cselect_b32 s8, -1, 0
	s_wait_alu 0xfffe
	s_cmp_eq_u32 s71, s68
	s_wait_loadcnt 0x0
	v_cndmask_b32_e32 v4, v4, v23, vcc_lo
	v_cndmask_b32_e64 v3, v3, v23, s6
	v_cndmask_b32_e64 v2, v2, v23, s7
	;; [unrolled: 1-line block ×3, first 2 shown]
	s_cbranch_scc0 .LBB40_43
.LBB40_44:                              ;   in Loop: Header=BB40_12 Depth=2
	s_and_not1_b32 vcc_lo, exec_lo, s20
	s_wait_alu 0xfffe
	s_cbranch_vccnz .LBB40_56
; %bb.45:                               ;   in Loop: Header=BB40_12 Depth=2
	s_ashr_i32 s61, s60, 31
	v_dual_mov_b32 v41, 0 :: v_dual_mov_b32 v40, 0
	s_lshl_b64 s[6:7], s[60:61], 2
	v_dual_mov_b32 v39, 0 :: v_dual_mov_b32 v38, 0
	s_wait_alu 0xfffe
	v_add_co_u32 v22, vcc_lo, v36, s6
	s_wait_alu 0xfffd
	v_add_co_ci_u32_e64 v23, null, s7, v37, vcc_lo
	s_mov_b64 s[8:9], 0
.LBB40_46:                              ;   Parent Loop BB40_3 Depth=1
                                        ;     Parent Loop BB40_12 Depth=2
                                        ; =>    This Inner Loop Header: Depth=3
	s_wait_alu 0xfffe
	s_cmp_eq_u32 s8, 1
	s_cselect_b32 vcc_lo, -1, 0
	s_cmp_eq_u32 s8, 2
	s_wait_alu 0xfffe
	v_cndmask_b32_e32 v42, v1, v2, vcc_lo
	s_cselect_b32 vcc_lo, -1, 0
	s_cmp_eq_u32 s8, 3
	s_wait_alu 0xfffe
	s_delay_alu instid0(VALU_DEP_1)
	v_cndmask_b32_e32 v48, v42, v3, vcc_lo
	s_cselect_b32 vcc_lo, -1, 0
	s_add_co_i32 s6, s66, s8
	s_add_co_i32 s68, s64, s8
	s_wait_alu 0xfffe
	s_ashr_i32 s7, s6, 31
	s_add_co_i32 s74, s62, s8
	s_ashr_i32 s69, s68, 31
	s_wait_alu 0xfffe
	s_lshl_b64 s[6:7], s[6:7], 2
	s_ashr_i32 s75, s74, 31
	s_lshl_b64 s[68:69], s[68:69], 2
	s_wait_alu 0xfffe
	v_add_co_u32 v42, s6, v30, s6
	s_lshl_b64 s[74:75], s[74:75], 2
	v_add_co_ci_u32_e64 v43, null, s7, v31, s6
	v_add_co_u32 v44, s6, v30, s68
	s_wait_alu 0xf1ff
	v_add_co_ci_u32_e64 v45, null, s69, v31, s6
	s_wait_alu 0xfffe
	v_add_co_u32 v46, s6, v30, s74
	s_wait_alu 0xf1ff
	v_add_co_ci_u32_e64 v47, null, s75, v31, s6
	global_load_b32 v49, v[22:23], off
	s_clause 0x2
	global_load_b32 v42, v[42:43], off
	global_load_b32 v43, v[44:45], off
	;; [unrolled: 1-line block ×3, first 2 shown]
	v_cndmask_b32_e32 v45, v48, v4, vcc_lo
	v_add_co_u32 v22, s6, v22, 4
	s_wait_alu 0xf1ff
	v_add_co_ci_u32_e64 v23, null, 0, v23, s6
	s_add_nc_u64 s[8:9], s[8:9], 1
	s_wait_alu 0xfffe
	s_cmp_lg_u32 s71, s8
	s_wait_loadcnt 0x3
	v_fmac_f32_e32 v41, v45, v49
	s_wait_loadcnt 0x2
	v_fmac_f32_e32 v40, v45, v42
	s_wait_loadcnt 0x1
	v_fmac_f32_e32 v39, v45, v43
	s_wait_loadcnt 0x0
	v_fmac_f32_e32 v38, v45, v44
	s_cbranch_scc1 .LBB40_46
	s_branch .LBB40_57
.LBB40_47:                              ;   in Loop: Header=BB40_12 Depth=2
	ds_load_b32 v22, v26
	s_wait_alu 0xfffe
	s_or_b32 exec_lo, exec_lo, s6
	s_and_saveexec_b32 s6, s3
	s_cbranch_execz .LBB40_20
.LBB40_48:                              ;   in Loop: Header=BB40_12 Depth=2
	s_wait_dscnt 0x0
	ds_bpermute_b32 v23, v33, v22
	s_wait_dscnt 0x0
	v_add_f32_e32 v22, v22, v23
	ds_bpermute_b32 v23, v34, v22
	s_wait_dscnt 0x0
	v_add_f32_e32 v22, v22, v23
	;; [unrolled: 3-line block ×3, first 2 shown]
	s_wait_alu 0xfffe
	s_or_b32 exec_lo, exec_lo, s6
	s_and_saveexec_b32 s6, s3
	s_cbranch_execnz .LBB40_21
	s_branch .LBB40_22
.LBB40_49:                              ;   in Loop: Header=BB40_12 Depth=2
	ds_load_b32 v23, v26
	s_wait_alu 0xfffe
	s_or_b32 exec_lo, exec_lo, s6
	s_and_saveexec_b32 s6, s3
	s_cbranch_execz .LBB40_26
.LBB40_50:                              ;   in Loop: Header=BB40_12 Depth=2
	s_wait_dscnt 0x0
	ds_bpermute_b32 v40, v33, v23
	s_wait_dscnt 0x0
	v_add_f32_e32 v23, v23, v40
	ds_bpermute_b32 v40, v34, v23
	s_wait_dscnt 0x0
	v_add_f32_e32 v23, v23, v40
	;; [unrolled: 3-line block ×3, first 2 shown]
	s_wait_alu 0xfffe
	s_or_b32 exec_lo, exec_lo, s6
	s_and_saveexec_b32 s6, s3
	s_cbranch_execnz .LBB40_27
	s_branch .LBB40_28
.LBB40_51:                              ;   in Loop: Header=BB40_12 Depth=2
	ds_load_b32 v39, v26
	s_wait_alu 0xfffe
	s_or_b32 exec_lo, exec_lo, s6
	s_and_saveexec_b32 s6, s3
	s_cbranch_execz .LBB40_32
.LBB40_52:                              ;   in Loop: Header=BB40_12 Depth=2
	s_wait_dscnt 0x0
	ds_bpermute_b32 v40, v33, v39
	s_wait_dscnt 0x0
	v_add_f32_e32 v39, v39, v40
	ds_bpermute_b32 v40, v34, v39
	s_wait_dscnt 0x0
	v_add_f32_e32 v39, v39, v40
	;; [unrolled: 3-line block ×3, first 2 shown]
	s_wait_alu 0xfffe
	s_or_b32 exec_lo, exec_lo, s6
	s_and_saveexec_b32 s6, s3
	s_cbranch_execnz .LBB40_33
	s_branch .LBB40_34
.LBB40_53:                              ;   in Loop: Header=BB40_12 Depth=2
	ds_load_b32 v38, v26
	s_wait_alu 0xfffe
	s_or_b32 exec_lo, exec_lo, s6
	s_and_saveexec_b32 s6, s3
	s_cbranch_execz .LBB40_38
.LBB40_54:                              ;   in Loop: Header=BB40_12 Depth=2
	s_wait_dscnt 0x0
	ds_bpermute_b32 v40, v33, v38
	s_wait_dscnt 0x0
	v_add_f32_e32 v38, v38, v40
	ds_bpermute_b32 v40, v34, v38
	s_wait_dscnt 0x0
	v_add_f32_e32 v38, v38, v40
	ds_bpermute_b32 v40, v35, v38
	s_wait_dscnt 0x0
	v_add_f32_e32 v38, v38, v40
	s_wait_alu 0xfffe
	s_or_b32 exec_lo, exec_lo, s6
	s_and_saveexec_b32 s6, s0
	s_cbranch_execz .LBB40_11
.LBB40_55:                              ;   in Loop: Header=BB40_12 Depth=2
	s_mul_i32 s7, s25, s28
	v_dual_mul_f32 v22, s22, v22 :: v_dual_mul_f32 v23, s22, v23
	s_wait_alu 0xfffe
	s_add_co_i32 s34, s7, s26
	s_wait_alu 0xfffe
	s_lshl_b64 s[8:9], s[34:35], 2
	s_add_co_i32 s34, s34, s28
	s_wait_alu 0xfffe
	s_add_nc_u64 s[8:9], s[58:59], s[8:9]
	s_lshl_b64 s[68:69], s[34:35], 2
	s_add_co_i32 s34, s34, s28
	s_wait_alu 0xfffe
	s_add_nc_u64 s[68:69], s[58:59], s[68:69]
	s_clause 0x1
	global_store_b32 v0, v22, s[8:9]
	global_store_b32 v0, v23, s[68:69]
	s_wait_dscnt 0x0
	v_dual_mul_f32 v22, s22, v39 :: v_dual_mul_f32 v23, s22, v38
	s_lshl_b64 s[8:9], s[34:35], 2
	s_add_co_i32 s34, s34, s28
	s_wait_alu 0xfffe
	s_add_nc_u64 s[8:9], s[58:59], s[8:9]
	s_lshl_b64 s[68:69], s[34:35], 2
	s_wait_alu 0xfffe
	s_add_nc_u64 s[68:69], s[58:59], s[68:69]
	s_clause 0x1
	global_store_b32 v0, v22, s[8:9]
	global_store_b32 v0, v23, s[68:69]
	s_branch .LBB40_11
.LBB40_56:                              ;   in Loop: Header=BB40_12 Depth=2
	v_dual_mov_b32 v38, 0 :: v_dual_mov_b32 v39, 0
	v_dual_mov_b32 v40, 0 :: v_dual_mov_b32 v41, 0
.LBB40_57:                              ;   in Loop: Header=BB40_12 Depth=2
	s_wait_alu 0xfffe
	s_or_b32 exec_lo, exec_lo, s34
	s_delay_alu instid0(SALU_CYCLE_1)
	s_or_b32 exec_lo, exec_lo, s27
	s_and_saveexec_b32 s6, s3
	s_cbranch_execnz .LBB40_15
	s_branch .LBB40_16
.LBB40_58:                              ;   in Loop: Header=BB40_3 Depth=1
	v_mov_b32_e32 v3, v0
	v_dual_mov_b32 v1, v0 :: v_dual_mov_b32 v2, v0
	s_mov_b32 s25, 0
	s_delay_alu instid0(VALU_DEP_2) | instskip(NEXT) | instid1(VALU_DEP_2)
	v_mov_b32_e32 v4, v3
	v_mov_b32_e32 v3, v2
	s_delay_alu instid0(VALU_DEP_3)
	v_mov_b32_e32 v2, v1
	v_mov_b32_e32 v1, v0
.LBB40_59:                              ;   in Loop: Header=BB40_3 Depth=1
	s_cmp_ge_i32 s25, s21
	s_cbranch_scc1 .LBB40_2
; %bb.60:                               ;   in Loop: Header=BB40_3 Depth=1
	v_cmp_gt_u32_e32 vcc_lo, 24, v28
	s_mov_b32 s34, s25
	s_wait_alu 0xfffd
	v_cndmask_b32_e64 v14, 0, 8, vcc_lo
	v_cmp_gt_u32_e32 vcc_lo, 28, v28
	s_delay_alu instid0(VALU_DEP_2) | instskip(SKIP_3) | instid1(VALU_DEP_2)
	v_add_lshl_u32 v32, v14, v28, 2
	s_wait_alu 0xfffd
	v_cndmask_b32_e64 v15, 0, 4, vcc_lo
	v_cmp_gt_u32_e32 vcc_lo, 30, v28
	v_add_lshl_u32 v33, v15, v28, 2
	s_wait_alu 0xfffd
	v_cndmask_b32_e64 v16, 0, 2, vcc_lo
	v_cmp_ne_u32_e32 vcc_lo, 31, v28
	s_delay_alu instid0(VALU_DEP_2)
	v_add_lshl_u32 v34, v16, v28, 2
	s_wait_alu 0xfffd
	v_add_co_ci_u32_e64 v17, null, 0, v28, vcc_lo
	v_add_co_u32 v14, vcc_lo, s54, v6
	s_wait_alu 0xfffd
	v_add_co_ci_u32_e64 v15, null, s55, v7, vcc_lo
	v_add_co_u32 v16, vcc_lo, s54, v8
	v_lshlrev_b32_e32 v35, 2, v17
	s_wait_alu 0xfffd
	v_add_co_ci_u32_e64 v17, null, s55, v9, vcc_lo
	v_add_co_u32 v18, vcc_lo, s54, v10
	s_wait_alu 0xfffd
	v_add_co_ci_u32_e64 v19, null, s55, v11, vcc_lo
	v_add_co_u32 v20, vcc_lo, s54, v12
	;; [unrolled: 3-line block ×3, first 2 shown]
	s_wait_alu 0xfffd
	v_add_co_ci_u32_e64 v37, null, s57, v25, vcc_lo
	s_add_nc_u64 s[56:57], s[58:59], s[38:39]
	s_mul_i32 s58, s30, s25
	s_branch .LBB40_62
.LBB40_61:                              ;   in Loop: Header=BB40_62 Depth=2
	s_wait_alu 0xfffe
	s_or_b32 exec_lo, exec_lo, s6
	s_add_co_i32 s34, s34, 1
	s_add_co_i32 s58, s58, s30
	s_wait_alu 0xfffe
	s_cmp_ge_i32 s34, s21
	s_cbranch_scc1 .LBB40_2
.LBB40_62:                              ;   Parent Loop BB40_3 Depth=1
                                        ; =>  This Loop Header: Depth=2
                                        ;       Child Loop BB40_75 Depth 3
                                        ;       Child Loop BB40_78 Depth 3
	s_wait_dscnt 0x0
	v_mov_b32_e32 v38, s35
	s_and_saveexec_b32 s6, s1
	s_wait_alu 0xfffe
	s_xor_b32 s6, exec_lo, s6
	s_cbranch_execnz .LBB40_71
; %bb.63:                               ;   in Loop: Header=BB40_62 Depth=2
	s_wait_alu 0xfffe
	s_and_not1_saveexec_b32 s9, s6
	s_cbranch_execnz .LBB40_72
.LBB40_64:                              ;   in Loop: Header=BB40_62 Depth=2
	s_wait_alu 0xfffe
	s_or_b32 exec_lo, exec_lo, s9
	s_and_saveexec_b32 s6, s3
.LBB40_65:                              ;   in Loop: Header=BB40_62 Depth=2
	ds_store_b32 v26, v0
.LBB40_66:                              ;   in Loop: Header=BB40_62 Depth=2
	s_wait_alu 0xfffe
	s_or_b32 exec_lo, exec_lo, s6
	ds_bpermute_b32 v22, v29, v38
	s_wait_storecnt 0x0
	s_wait_loadcnt_dscnt 0x0
	s_barrier_signal -1
	s_barrier_wait -1
	global_inv scope:SCOPE_SE
	v_add_f32_e32 v22, v38, v22
	ds_bpermute_b32 v23, v32, v22
	s_wait_dscnt 0x0
	v_add_f32_e32 v22, v22, v23
	ds_bpermute_b32 v23, v33, v22
	s_wait_dscnt 0x0
	;; [unrolled: 3-line block ×3, first 2 shown]
	v_add_f32_e32 v22, v22, v23
	ds_bpermute_b32 v23, v35, v22
	s_and_saveexec_b32 s6, s4
	s_cbranch_execz .LBB40_68
; %bb.67:                               ;   in Loop: Header=BB40_62 Depth=2
	s_wait_dscnt 0x0
	v_add_f32_e32 v22, v22, v23
	ds_store_b32 v27, v22
.LBB40_68:                              ;   in Loop: Header=BB40_62 Depth=2
	s_wait_alu 0xfffe
	s_or_b32 exec_lo, exec_lo, s6
	v_mov_b32_e32 v22, 0
	s_wait_loadcnt_dscnt 0x0
	s_barrier_signal -1
	s_barrier_wait -1
	global_inv scope:SCOPE_SE
	s_and_saveexec_b32 s6, s5
	s_cbranch_execnz .LBB40_80
; %bb.69:                               ;   in Loop: Header=BB40_62 Depth=2
	s_wait_alu 0xfffe
	s_or_b32 exec_lo, exec_lo, s6
	s_and_saveexec_b32 s6, s3
	s_cbranch_execnz .LBB40_81
.LBB40_70:                              ;   in Loop: Header=BB40_62 Depth=2
	s_wait_alu 0xfffe
	s_or_b32 exec_lo, exec_lo, s6
	s_and_saveexec_b32 s6, s0
	s_cbranch_execz .LBB40_61
	s_branch .LBB40_82
.LBB40_71:                              ;   in Loop: Header=BB40_62 Depth=2
	s_mul_i32 s8, s34, s30
	s_wait_alu 0xfffe
	s_ashr_i32 s9, s8, 31
	s_wait_alu 0xfffe
	s_lshl_b64 s[8:9], s[8:9], 2
	s_wait_alu 0xfffe
	v_add_co_u32 v1, vcc_lo, v30, s8
	s_wait_alu 0xfffd
	v_add_co_ci_u32_e64 v2, null, s9, v31, vcc_lo
	global_load_b128 v[38:41], v[1:2], off
	s_clause 0x3
	global_load_b32 v1, v[14:15], off
	global_load_b32 v2, v[16:17], off
	;; [unrolled: 1-line block ×4, first 2 shown]
	s_wait_loadcnt 0x3
	v_fma_f32 v38, v1, v38, 0
	s_wait_loadcnt 0x2
	s_delay_alu instid0(VALU_DEP_1) | instskip(SKIP_1) | instid1(VALU_DEP_1)
	v_fmac_f32_e32 v38, v2, v39
	s_wait_loadcnt 0x1
	v_fmac_f32_e32 v38, v3, v40
	s_wait_loadcnt 0x0
	s_delay_alu instid0(VALU_DEP_1)
	v_fmac_f32_e32 v38, v4, v41
	s_and_not1_saveexec_b32 s9, s6
	s_cbranch_execz .LBB40_64
.LBB40_72:                              ;   in Loop: Header=BB40_62 Depth=2
	s_and_saveexec_b32 s25, s2
	s_cbranch_execz .LBB40_79
; %bb.73:                               ;   in Loop: Header=BB40_62 Depth=2
	s_and_not1_b32 vcc_lo, exec_lo, s20
	s_wait_alu 0xfffe
	s_cbranch_vccnz .LBB40_76
; %bb.74:                               ;   in Loop: Header=BB40_62 Depth=2
	v_mov_b32_e32 v22, v5
	s_mov_b64 s[60:61], 0
.LBB40_75:                              ;   Parent Loop BB40_3 Depth=1
                                        ;     Parent Loop BB40_62 Depth=2
                                        ; =>    This Inner Loop Header: Depth=3
	s_delay_alu instid0(VALU_DEP_1) | instskip(SKIP_1) | instid1(VALU_DEP_1)
	v_ashrrev_i32_e32 v23, 31, v22
	s_cmp_eq_u32 s60, 3
	v_lshlrev_b64_e32 v[39:40], 2, v[22:23]
	v_add_nc_u32_e32 v22, s10, v22
	s_delay_alu instid0(VALU_DEP_2) | instskip(SKIP_1) | instid1(VALU_DEP_3)
	v_add_co_u32 v39, vcc_lo, s54, v39
	s_wait_alu 0xfffd
	v_add_co_ci_u32_e64 v40, null, s55, v40, vcc_lo
	s_cselect_b32 vcc_lo, -1, 0
	s_cmp_eq_u32 s60, 2
	s_cselect_b32 s6, -1, 0
	global_load_b32 v23, v[39:40], off
	s_cmp_eq_u32 s60, 1
	s_cselect_b32 s7, -1, 0
	s_cmp_eq_u32 s60, 0
	s_add_nc_u64 s[60:61], s[60:61], 1
	s_cselect_b32 s8, -1, 0
	s_cmp_eq_u32 s71, s60
	s_wait_loadcnt 0x0
	s_wait_alu 0xfffe
	v_cndmask_b32_e32 v4, v4, v23, vcc_lo
	v_cndmask_b32_e64 v3, v3, v23, s6
	v_cndmask_b32_e64 v2, v2, v23, s7
	;; [unrolled: 1-line block ×3, first 2 shown]
	s_cbranch_scc0 .LBB40_75
.LBB40_76:                              ;   in Loop: Header=BB40_62 Depth=2
	s_and_not1_b32 vcc_lo, exec_lo, s20
	s_wait_alu 0xfffe
	s_cbranch_vccnz .LBB40_79
; %bb.77:                               ;   in Loop: Header=BB40_62 Depth=2
	s_ashr_i32 s59, s58, 31
	s_delay_alu instid0(SALU_CYCLE_1)
	s_lshl_b64 s[6:7], s[58:59], 2
	s_wait_alu 0xfffe
	v_add_co_u32 v22, vcc_lo, v36, s6
	s_wait_alu 0xfffd
	v_add_co_ci_u32_e64 v23, null, s7, v37, vcc_lo
	s_mov_b64 s[6:7], 0
.LBB40_78:                              ;   Parent Loop BB40_3 Depth=1
                                        ;     Parent Loop BB40_62 Depth=2
                                        ; =>    This Inner Loop Header: Depth=3
	global_load_b32 v39, v[22:23], off
	s_wait_alu 0xfffe
	s_cmp_eq_u32 s6, 1
	s_cselect_b32 vcc_lo, -1, 0
	s_cmp_eq_u32 s6, 2
	s_wait_alu 0xfffe
	v_cndmask_b32_e32 v40, v1, v2, vcc_lo
	s_cselect_b32 vcc_lo, -1, 0
	s_cmp_eq_u32 s6, 3
	s_add_nc_u64 s[6:7], s[6:7], 1
	s_wait_alu 0xfffe
	v_cndmask_b32_e32 v40, v40, v3, vcc_lo
	s_cselect_b32 vcc_lo, -1, 0
	s_cmp_lg_u32 s71, s6
	s_wait_alu 0xfffe
	s_delay_alu instid0(VALU_DEP_1)
	v_cndmask_b32_e32 v40, v40, v4, vcc_lo
	v_add_co_u32 v22, vcc_lo, v22, 4
	s_wait_alu 0xfffd
	v_add_co_ci_u32_e64 v23, null, 0, v23, vcc_lo
	s_wait_loadcnt 0x0
	v_fmac_f32_e32 v38, v40, v39
	s_cbranch_scc1 .LBB40_78
.LBB40_79:                              ;   in Loop: Header=BB40_62 Depth=2
	s_or_b32 exec_lo, exec_lo, s25
	s_wait_alu 0xfffe
	s_or_b32 exec_lo, exec_lo, s9
	s_and_saveexec_b32 s6, s3
	s_cbranch_execnz .LBB40_65
	s_branch .LBB40_66
.LBB40_80:                              ;   in Loop: Header=BB40_62 Depth=2
	ds_load_b32 v22, v26
	s_wait_alu 0xfffe
	s_or_b32 exec_lo, exec_lo, s6
	s_and_saveexec_b32 s6, s3
	s_cbranch_execz .LBB40_70
.LBB40_81:                              ;   in Loop: Header=BB40_62 Depth=2
	s_wait_dscnt 0x0
	ds_bpermute_b32 v23, v33, v22
	s_wait_dscnt 0x0
	v_add_f32_e32 v22, v22, v23
	ds_bpermute_b32 v23, v34, v22
	s_wait_dscnt 0x0
	v_add_f32_e32 v22, v22, v23
	;; [unrolled: 3-line block ×3, first 2 shown]
	s_wait_alu 0xfffe
	s_or_b32 exec_lo, exec_lo, s6
	s_and_saveexec_b32 s6, s0
	s_cbranch_execz .LBB40_61
.LBB40_82:                              ;   in Loop: Header=BB40_62 Depth=2
	s_mul_u64 s[8:9], s[34:35], s[28:29]
	s_wait_dscnt 0x0
	v_mul_f32_e32 v22, s22, v22
	s_wait_alu 0xfffe
	s_lshl_b64 s[8:9], s[8:9], 2
	s_wait_alu 0xfffe
	s_add_nc_u64 s[8:9], s[56:57], s[8:9]
	global_store_b32 v0, v22, s[8:9]
	s_branch .LBB40_61
.LBB40_83:
	s_endpgm
	.section	.rodata,"a",@progbits
	.p2align	6, 0x0
	.amdhsa_kernel _ZL23rocblas_gemvt_sn_kernelILb1ELi256ELi4EifffEviiT4_lPKT3_lilS3_lilPT5_i
		.amdhsa_group_segment_fixed_size 128
		.amdhsa_private_segment_fixed_size 0
		.amdhsa_kernarg_size 360
		.amdhsa_user_sgpr_count 2
		.amdhsa_user_sgpr_dispatch_ptr 0
		.amdhsa_user_sgpr_queue_ptr 0
		.amdhsa_user_sgpr_kernarg_segment_ptr 1
		.amdhsa_user_sgpr_dispatch_id 0
		.amdhsa_user_sgpr_private_segment_size 0
		.amdhsa_wavefront_size32 1
		.amdhsa_uses_dynamic_stack 0
		.amdhsa_enable_private_segment 0
		.amdhsa_system_sgpr_workgroup_id_x 1
		.amdhsa_system_sgpr_workgroup_id_y 0
		.amdhsa_system_sgpr_workgroup_id_z 1
		.amdhsa_system_sgpr_workgroup_info 0
		.amdhsa_system_vgpr_workitem_id 0
		.amdhsa_next_free_vgpr 57
		.amdhsa_next_free_sgpr 76
		.amdhsa_reserve_vcc 1
		.amdhsa_float_round_mode_32 0
		.amdhsa_float_round_mode_16_64 0
		.amdhsa_float_denorm_mode_32 3
		.amdhsa_float_denorm_mode_16_64 3
		.amdhsa_fp16_overflow 0
		.amdhsa_workgroup_processor_mode 1
		.amdhsa_memory_ordered 1
		.amdhsa_forward_progress 1
		.amdhsa_inst_pref_size 36
		.amdhsa_round_robin_scheduling 0
		.amdhsa_exception_fp_ieee_invalid_op 0
		.amdhsa_exception_fp_denorm_src 0
		.amdhsa_exception_fp_ieee_div_zero 0
		.amdhsa_exception_fp_ieee_overflow 0
		.amdhsa_exception_fp_ieee_underflow 0
		.amdhsa_exception_fp_ieee_inexact 0
		.amdhsa_exception_int_div_zero 0
	.end_amdhsa_kernel
	.section	.text._ZL23rocblas_gemvt_sn_kernelILb1ELi256ELi4EifffEviiT4_lPKT3_lilS3_lilPT5_i,"axG",@progbits,_ZL23rocblas_gemvt_sn_kernelILb1ELi256ELi4EifffEviiT4_lPKT3_lilS3_lilPT5_i,comdat
.Lfunc_end40:
	.size	_ZL23rocblas_gemvt_sn_kernelILb1ELi256ELi4EifffEviiT4_lPKT3_lilS3_lilPT5_i, .Lfunc_end40-_ZL23rocblas_gemvt_sn_kernelILb1ELi256ELi4EifffEviiT4_lPKT3_lilS3_lilPT5_i
                                        ; -- End function
	.set _ZL23rocblas_gemvt_sn_kernelILb1ELi256ELi4EifffEviiT4_lPKT3_lilS3_lilPT5_i.num_vgpr, 57
	.set _ZL23rocblas_gemvt_sn_kernelILb1ELi256ELi4EifffEviiT4_lPKT3_lilS3_lilPT5_i.num_agpr, 0
	.set _ZL23rocblas_gemvt_sn_kernelILb1ELi256ELi4EifffEviiT4_lPKT3_lilS3_lilPT5_i.numbered_sgpr, 76
	.set _ZL23rocblas_gemvt_sn_kernelILb1ELi256ELi4EifffEviiT4_lPKT3_lilS3_lilPT5_i.num_named_barrier, 0
	.set _ZL23rocblas_gemvt_sn_kernelILb1ELi256ELi4EifffEviiT4_lPKT3_lilS3_lilPT5_i.private_seg_size, 0
	.set _ZL23rocblas_gemvt_sn_kernelILb1ELi256ELi4EifffEviiT4_lPKT3_lilS3_lilPT5_i.uses_vcc, 1
	.set _ZL23rocblas_gemvt_sn_kernelILb1ELi256ELi4EifffEviiT4_lPKT3_lilS3_lilPT5_i.uses_flat_scratch, 0
	.set _ZL23rocblas_gemvt_sn_kernelILb1ELi256ELi4EifffEviiT4_lPKT3_lilS3_lilPT5_i.has_dyn_sized_stack, 0
	.set _ZL23rocblas_gemvt_sn_kernelILb1ELi256ELi4EifffEviiT4_lPKT3_lilS3_lilPT5_i.has_recursion, 0
	.set _ZL23rocblas_gemvt_sn_kernelILb1ELi256ELi4EifffEviiT4_lPKT3_lilS3_lilPT5_i.has_indirect_call, 0
	.section	.AMDGPU.csdata,"",@progbits
; Kernel info:
; codeLenInByte = 4496
; TotalNumSgprs: 78
; NumVgprs: 57
; ScratchSize: 0
; MemoryBound: 0
; FloatMode: 240
; IeeeMode: 1
; LDSByteSize: 128 bytes/workgroup (compile time only)
; SGPRBlocks: 0
; VGPRBlocks: 7
; NumSGPRsForWavesPerEU: 78
; NumVGPRsForWavesPerEU: 57
; Occupancy: 16
; WaveLimiterHint : 0
; COMPUTE_PGM_RSRC2:SCRATCH_EN: 0
; COMPUTE_PGM_RSRC2:USER_SGPR: 2
; COMPUTE_PGM_RSRC2:TRAP_HANDLER: 0
; COMPUTE_PGM_RSRC2:TGID_X_EN: 1
; COMPUTE_PGM_RSRC2:TGID_Y_EN: 0
; COMPUTE_PGM_RSRC2:TGID_Z_EN: 1
; COMPUTE_PGM_RSRC2:TIDIG_COMP_CNT: 0
	.section	.text._ZL23rocblas_gemvt_sn_kernelILb1ELi256ELi4ElfffEviiT4_lPKT3_lilS3_lilPT5_i,"axG",@progbits,_ZL23rocblas_gemvt_sn_kernelILb1ELi256ELi4ElfffEviiT4_lPKT3_lilS3_lilPT5_i,comdat
	.globl	_ZL23rocblas_gemvt_sn_kernelILb1ELi256ELi4ElfffEviiT4_lPKT3_lilS3_lilPT5_i ; -- Begin function _ZL23rocblas_gemvt_sn_kernelILb1ELi256ELi4ElfffEviiT4_lPKT3_lilS3_lilPT5_i
	.p2align	8
	.type	_ZL23rocblas_gemvt_sn_kernelILb1ELi256ELi4ElfffEviiT4_lPKT3_lilS3_lilPT5_i,@function
_ZL23rocblas_gemvt_sn_kernelILb1ELi256ELi4ElfffEviiT4_lPKT3_lilS3_lilPT5_i: ; @_ZL23rocblas_gemvt_sn_kernelILb1ELi256ELi4ElfffEviiT4_lPKT3_lilS3_lilPT5_i
; %bb.0:
	s_load_b32 s23, s[0:1], 0x60
	s_lshr_b32 s10, ttmp7, 16
	s_wait_kmcnt 0x0
	s_cmp_ge_u32 s10, s23
	s_cbranch_scc1 .LBB41_83
; %bb.1:
	s_clause 0x6
	s_load_b32 s26, s[0:1], 0x28
	s_load_b96 s[4:6], s[0:1], 0x40
	s_load_b128 s[36:39], s[0:1], 0x18
	s_load_b96 s[20:22], s[0:1], 0x0
	s_load_b128 s[12:15], s[0:1], 0x30
	s_load_b32 s28, s[0:1], 0x68
	s_load_b128 s[16:19], s[0:1], 0x50
	v_cmp_eq_u32_e64 s0, 0, v0
	v_mbcnt_lo_u32_b32 v33, -1, 0
	s_mov_b32 s25, 0
	s_mov_b32 s24, ttmp9
	s_mov_b32 s29, s25
	s_delay_alu instid0(VALU_DEP_1)
	v_lshl_or_b32 v34, v33, 2, 64
	s_wait_kmcnt 0x0
	s_ashr_i32 s27, s26, 31
	s_ashr_i32 s9, s6, 31
	s_lshl_b64 s[2:3], s[4:5], 2
	s_lshl_b64 s[4:5], s[38:39], 2
	s_ashr_i32 s35, s21, 31
	s_cmp_eq_f32 s22, 0
	s_add_nc_u64 s[14:15], s[14:15], s[2:3]
	s_add_nc_u64 s[2:3], s[36:37], s[4:5]
	s_mov_b32 s34, s21
	s_cselect_b32 s33, -1, 0
	s_cmp_gt_i32 s21, 0
	s_mov_b32 s8, s6
	s_cselect_b32 s1, -1, 0
	s_lshl_b32 s4, ttmp9, 10
	s_lshr_b32 s5, s35, 30
	v_lshl_or_b32 v1, v0, 2, s4
	s_ashr_i32 s4, s20, 31
	s_and_b32 s64, s0, s1
	s_wait_alu 0xfffe
	s_lshr_b32 s4, s4, 30
	s_add_co_i32 s1, s21, s5
	v_ashrrev_i32_e32 v2, 31, v1
	s_wait_alu 0xfffe
	s_add_co_i32 s4, s20, s4
	v_add_nc_u32_e32 v4, 4, v1
	v_cmp_gt_u32_e64 s5, 8, v0
	s_and_b32 s65, s1, -4
	v_lshlrev_b64_e32 v[2:3], 2, v[1:2]
	s_wait_alu 0xfffe
	s_and_b32 s1, s4, -4
	s_mul_u64 s[30:31], s[34:35], s[28:29]
	s_sub_co_i32 s66, s20, s1
	v_cmp_ge_i32_e64 s1, s20, v4
	v_add_nc_u32_e32 v5, s66, v1
	v_add_co_u32 v29, vcc_lo, s2, v2
	s_delay_alu instid0(VALU_DEP_1)
	v_add_co_ci_u32_e64 v30, null, s3, v3, vcc_lo
	v_and_b32_e32 v2, 31, v0
	v_lshrrev_b32_e32 v3, 3, v0
	v_cmp_gt_u32_e64 s3, 32, v0
	v_or_b32_e32 v0, 1, v1
	v_or_b32_e32 v4, 2, v1
	v_cmp_eq_u32_e64 s4, 0, v2
	v_lshlrev_b32_e32 v31, 2, v2
	v_and_b32_e32 v32, 28, v3
	v_mad_co_i64_i32 v[2:3], null, s6, v1, 0
	v_mad_co_i64_i32 v[9:10], null, s6, v0, 0
	v_or_b32_e32 v0, 3, v1
	v_cmp_ge_i32_e64 s2, s20, v5
	v_mad_co_i64_i32 v[11:12], null, s6, v4, 0
	v_lshlrev_b64_e32 v[5:6], 2, v[2:3]
	s_delay_alu instid0(VALU_DEP_4)
	v_mad_co_i64_i32 v[1:2], null, s6, v0, 0
	s_cmp_gt_i32 s65, 0
	v_lshlrev_b64_e32 v[9:10], 2, v[9:10]
	s_cselect_b32 s67, -1, 0
	v_add_co_u32 v7, vcc_lo, s14, v5
	s_cmp_gt_i32 s66, 0
	v_lshlrev_b64_e32 v[11:12], 2, v[11:12]
	v_lshlrev_b64_e32 v[13:14], 2, v[1:2]
	s_wait_alu 0xfffd
	v_add_co_ci_u32_e64 v8, null, s15, v6, vcc_lo
	v_mov_b32_e32 v0, 0
	s_cselect_b32 s20, -1, 0
	s_lshl_b64 s[34:35], s[24:25], 2
	s_lshl_b64 s[38:39], s[30:31], 2
	s_add_nc_u64 s[36:37], s[18:19], s[34:35]
	s_lshl_b64 s[40:41], s[28:29], 2
	s_lshl_b64 s[42:43], s[16:17], 2
	;; [unrolled: 1-line block ×4, first 2 shown]
	s_mul_u64 s[48:49], s[26:27], 12
	s_lshl_b64 s[50:51], s[26:27], 4
	s_lshl_b64 s[52:53], s[26:27], 2
	;; [unrolled: 1-line block ×3, first 2 shown]
	s_branch .LBB41_3
.LBB41_2:                               ;   in Loop: Header=BB41_3 Depth=1
	s_add_co_i32 s10, s10, 0x10000
	s_wait_alu 0xfffe
	s_cmp_lt_u32 s10, s23
	s_cbranch_scc0 .LBB41_83
.LBB41_3:                               ; =>This Loop Header: Depth=1
                                        ;     Child Loop BB41_6 Depth 2
                                        ;     Child Loop BB41_12 Depth 2
                                        ;       Child Loop BB41_43 Depth 3
                                        ;       Child Loop BB41_46 Depth 3
                                        ;     Child Loop BB41_62 Depth 2
                                        ;       Child Loop BB41_75 Depth 3
                                        ;       Child Loop BB41_78 Depth 3
	s_mov_b32 s11, s25
	s_and_not1_b32 vcc_lo, exec_lo, s33
	s_mov_b32 s6, -1
	s_wait_alu 0xfffe
	s_cbranch_vccnz .LBB41_8
; %bb.4:                                ;   in Loop: Header=BB41_3 Depth=1
	s_and_saveexec_b32 s8, s64
	s_cbranch_execz .LBB41_7
; %bb.5:                                ;   in Loop: Header=BB41_3 Depth=1
	s_mul_u64 s[6:7], s[38:39], s[10:11]
	s_mov_b32 s9, s21
	s_wait_alu 0xfffe
	s_add_nc_u64 s[6:7], s[36:37], s[6:7]
.LBB41_6:                               ;   Parent Loop BB41_3 Depth=1
                                        ; =>  This Inner Loop Header: Depth=2
	s_add_co_i32 s9, s9, -1
	global_store_b32 v0, v0, s[6:7]
	s_wait_alu 0xfffe
	s_cmp_eq_u32 s9, 0
	s_add_nc_u64 s[6:7], s[6:7], s[40:41]
	s_cbranch_scc0 .LBB41_6
.LBB41_7:                               ;   in Loop: Header=BB41_3 Depth=1
	s_wait_alu 0xfffe
	s_or_b32 exec_lo, exec_lo, s8
	s_mov_b32 s6, 0
.LBB41_8:                               ;   in Loop: Header=BB41_3 Depth=1
	s_wait_alu 0xfffe
	s_and_not1_b32 vcc_lo, exec_lo, s6
	s_wait_alu 0xfffe
	s_cbranch_vccnz .LBB41_2
; %bb.9:                                ;   in Loop: Header=BB41_3 Depth=1
	v_mad_co_u64_u32 v[15:16], null, s42, s10, v[7:8]
	s_mul_u64 s[62:63], s[12:13], s[10:11]
	s_mul_u64 s[56:57], s[16:17], s[10:11]
	s_wait_alu 0xfffe
	s_lshl_b64 s[62:63], s[62:63], 2
	s_mul_u64 s[60:61], s[30:31], s[10:11]
	s_wait_alu 0xfffe
	v_add_co_u32 v35, vcc_lo, v29, s62
	v_mov_b32_e32 v1, v16
	s_lshl_b64 s[56:57], s[56:57], 2
	s_lshl_b64 s[68:69], s[60:61], 2
	v_cmp_gt_u32_e64 s7, 24, v33
	v_cmp_gt_u32_e64 s8, 28, v33
	v_mad_co_u64_u32 v[1:2], null, s43, s10, v[1:2]
	v_cmp_gt_u32_e64 s6, 30, v33
	s_wait_alu 0xfffd
	v_add_co_ci_u32_e64 v36, null, s63, v30, vcc_lo
	v_cmp_ne_u32_e64 s9, 31, v33
	s_add_nc_u64 s[60:61], s[14:15], s[56:57]
	s_add_nc_u64 s[56:57], s[18:19], s[68:69]
	v_mov_b32_e32 v16, v1
	s_mul_u64 s[58:59], s[46:47], s[10:11]
	s_and_not1_b32 vcc_lo, exec_lo, s67
	s_add_nc_u64 s[56:57], s[56:57], s[34:35]
	s_wait_alu 0xfffe
	s_cbranch_vccnz .LBB41_58
; %bb.10:                               ;   in Loop: Header=BB41_3 Depth=1
	v_cndmask_b32_e64 v2, 0, 4, s8
	v_cndmask_b32_e64 v3, 0, 2, s6
	v_add_co_u32 v17, vcc_lo, v29, s58
	s_wait_alu 0xfffd
	v_add_co_ci_u32_e64 v18, null, s59, v30, vcc_lo
	v_add_co_u32 v19, vcc_lo, s60, v5
	v_cndmask_b32_e64 v1, 0, 8, s7
	v_add_co_ci_u32_e64 v4, null, 0, v33, s9
	v_add_lshl_u32 v38, v2, v33, 2
	v_add_lshl_u32 v39, v3, v33, 2
	s_wait_alu 0xfffd
	v_add_co_ci_u32_e64 v20, null, s61, v6, vcc_lo
	v_add_co_u32 v21, vcc_lo, s60, v9
	v_dual_mov_b32 v2, v0 :: v_dual_mov_b32 v3, v0
	s_wait_alu 0xfffd
	v_add_co_ci_u32_e64 v22, null, s61, v10, vcc_lo
	v_add_co_u32 v23, vcc_lo, s60, v11
	v_add_lshl_u32 v37, v1, v33, 2
	v_dual_mov_b32 v1, v0 :: v_dual_lshlrev_b32 v40, 2, v4
	s_wait_alu 0xfffd
	v_add_co_ci_u32_e64 v24, null, s61, v12, vcc_lo
	v_add_co_u32 v25, vcc_lo, s60, v13
	v_mov_b32_e32 v4, v3
	s_wait_alu 0xfffd
	v_add_co_ci_u32_e64 v26, null, s61, v14, vcc_lo
	v_mov_b32_e32 v3, v2
	v_mov_b32_e32 v2, v1
	;; [unrolled: 1-line block ×3, first 2 shown]
	s_mov_b32 s24, 0
	s_branch .LBB41_12
.LBB41_11:                              ;   in Loop: Header=BB41_12 Depth=2
	s_wait_alu 0xfffe
	s_or_b32 exec_lo, exec_lo, s6
	v_add_co_u32 v17, vcc_lo, v17, s50
	s_wait_alu 0xfffd
	v_add_co_ci_u32_e64 v18, null, s51, v18, vcc_lo
	s_add_co_i32 s24, s24, 4
	s_wait_alu 0xfffe
	s_cmp_ge_i32 s24, s65
	s_cbranch_scc1 .LBB41_59
.LBB41_12:                              ;   Parent Loop BB41_3 Depth=1
                                        ; =>  This Loop Header: Depth=2
                                        ;       Child Loop BB41_43 Depth 3
                                        ;       Child Loop BB41_46 Depth 3
                                        ; implicit-def: $vgpr41
                                        ; implicit-def: $vgpr42
                                        ; implicit-def: $vgpr43
                                        ; implicit-def: $vgpr44
	s_and_saveexec_b32 s6, s1
	s_wait_alu 0xfffe
	s_xor_b32 s6, exec_lo, s6
	s_cbranch_execnz .LBB41_39
; %bb.13:                               ;   in Loop: Header=BB41_12 Depth=2
	s_wait_alu 0xfffe
	s_and_not1_saveexec_b32 s11, s6
	s_cbranch_execnz .LBB41_40
.LBB41_14:                              ;   in Loop: Header=BB41_12 Depth=2
	s_wait_alu 0xfffe
	s_or_b32 exec_lo, exec_lo, s11
	s_and_saveexec_b32 s6, s3
.LBB41_15:                              ;   in Loop: Header=BB41_12 Depth=2
	ds_store_b32 v31, v0
.LBB41_16:                              ;   in Loop: Header=BB41_12 Depth=2
	s_wait_alu 0xfffe
	s_or_b32 exec_lo, exec_lo, s6
	s_wait_dscnt 0x0
	ds_bpermute_b32 v27, v34, v44
	s_wait_storecnt_dscnt 0x0
	s_barrier_signal -1
	s_barrier_wait -1
	global_inv scope:SCOPE_SE
	v_add_f32_e32 v27, v44, v27
	ds_bpermute_b32 v28, v37, v27
	s_wait_dscnt 0x0
	v_add_f32_e32 v27, v27, v28
	ds_bpermute_b32 v28, v38, v27
	s_wait_dscnt 0x0
	;; [unrolled: 3-line block ×3, first 2 shown]
	v_add_f32_e32 v27, v27, v28
	ds_bpermute_b32 v28, v40, v27
	s_and_saveexec_b32 s6, s4
	s_cbranch_execz .LBB41_18
; %bb.17:                               ;   in Loop: Header=BB41_12 Depth=2
	s_wait_dscnt 0x0
	v_add_f32_e32 v27, v27, v28
	ds_store_b32 v32, v27
.LBB41_18:                              ;   in Loop: Header=BB41_12 Depth=2
	s_wait_alu 0xfffe
	s_or_b32 exec_lo, exec_lo, s6
	v_mov_b32_e32 v27, 0
	s_wait_loadcnt_dscnt 0x0
	s_barrier_signal -1
	s_barrier_wait -1
	global_inv scope:SCOPE_SE
	s_and_saveexec_b32 s6, s5
	s_cbranch_execnz .LBB41_47
; %bb.19:                               ;   in Loop: Header=BB41_12 Depth=2
	s_wait_alu 0xfffe
	s_or_b32 exec_lo, exec_lo, s6
	s_and_saveexec_b32 s6, s3
	s_cbranch_execnz .LBB41_48
.LBB41_20:                              ;   in Loop: Header=BB41_12 Depth=2
	s_wait_alu 0xfffe
	s_or_b32 exec_lo, exec_lo, s6
	s_and_saveexec_b32 s6, s3
.LBB41_21:                              ;   in Loop: Header=BB41_12 Depth=2
	ds_store_b32 v31, v0
.LBB41_22:                              ;   in Loop: Header=BB41_12 Depth=2
	s_wait_alu 0xfffe
	s_or_b32 exec_lo, exec_lo, s6
	ds_bpermute_b32 v28, v34, v43
	s_wait_loadcnt_dscnt 0x0
	s_barrier_signal -1
	s_barrier_wait -1
	global_inv scope:SCOPE_SE
	v_add_f32_e32 v28, v43, v28
	ds_bpermute_b32 v43, v37, v28
	s_wait_dscnt 0x0
	v_add_f32_e32 v28, v28, v43
	ds_bpermute_b32 v43, v38, v28
	s_wait_dscnt 0x0
	v_add_f32_e32 v28, v28, v43
	ds_bpermute_b32 v43, v39, v28
	s_wait_dscnt 0x0
	v_add_f32_e32 v28, v28, v43
	ds_bpermute_b32 v43, v40, v28
	s_and_saveexec_b32 s6, s4
	s_cbranch_execz .LBB41_24
; %bb.23:                               ;   in Loop: Header=BB41_12 Depth=2
	s_wait_dscnt 0x0
	v_add_f32_e32 v28, v28, v43
	ds_store_b32 v32, v28
.LBB41_24:                              ;   in Loop: Header=BB41_12 Depth=2
	s_wait_alu 0xfffe
	s_or_b32 exec_lo, exec_lo, s6
	v_mov_b32_e32 v28, 0
	s_wait_loadcnt_dscnt 0x0
	s_barrier_signal -1
	s_barrier_wait -1
	global_inv scope:SCOPE_SE
	s_and_saveexec_b32 s6, s5
	s_cbranch_execnz .LBB41_49
; %bb.25:                               ;   in Loop: Header=BB41_12 Depth=2
	s_wait_alu 0xfffe
	s_or_b32 exec_lo, exec_lo, s6
	s_and_saveexec_b32 s6, s3
	s_cbranch_execnz .LBB41_50
.LBB41_26:                              ;   in Loop: Header=BB41_12 Depth=2
	s_wait_alu 0xfffe
	s_or_b32 exec_lo, exec_lo, s6
	s_and_saveexec_b32 s6, s3
.LBB41_27:                              ;   in Loop: Header=BB41_12 Depth=2
	ds_store_b32 v31, v0
.LBB41_28:                              ;   in Loop: Header=BB41_12 Depth=2
	s_wait_alu 0xfffe
	s_or_b32 exec_lo, exec_lo, s6
	ds_bpermute_b32 v43, v34, v42
	s_wait_loadcnt_dscnt 0x0
	s_barrier_signal -1
	s_barrier_wait -1
	global_inv scope:SCOPE_SE
	v_add_f32_e32 v42, v42, v43
	ds_bpermute_b32 v43, v37, v42
	s_wait_dscnt 0x0
	v_add_f32_e32 v42, v42, v43
	ds_bpermute_b32 v43, v38, v42
	s_wait_dscnt 0x0
	;; [unrolled: 3-line block ×3, first 2 shown]
	v_add_f32_e32 v42, v42, v43
	ds_bpermute_b32 v43, v40, v42
	s_and_saveexec_b32 s6, s4
	s_cbranch_execz .LBB41_30
; %bb.29:                               ;   in Loop: Header=BB41_12 Depth=2
	s_wait_dscnt 0x0
	v_add_f32_e32 v42, v42, v43
	ds_store_b32 v32, v42
.LBB41_30:                              ;   in Loop: Header=BB41_12 Depth=2
	s_wait_alu 0xfffe
	s_or_b32 exec_lo, exec_lo, s6
	v_mov_b32_e32 v42, 0
	s_wait_loadcnt_dscnt 0x0
	s_barrier_signal -1
	s_barrier_wait -1
	global_inv scope:SCOPE_SE
	s_and_saveexec_b32 s6, s5
	s_cbranch_execnz .LBB41_51
; %bb.31:                               ;   in Loop: Header=BB41_12 Depth=2
	s_wait_alu 0xfffe
	s_or_b32 exec_lo, exec_lo, s6
	s_and_saveexec_b32 s6, s3
	s_cbranch_execnz .LBB41_52
.LBB41_32:                              ;   in Loop: Header=BB41_12 Depth=2
	s_wait_alu 0xfffe
	s_or_b32 exec_lo, exec_lo, s6
	s_and_saveexec_b32 s6, s3
.LBB41_33:                              ;   in Loop: Header=BB41_12 Depth=2
	ds_store_b32 v31, v0
.LBB41_34:                              ;   in Loop: Header=BB41_12 Depth=2
	s_wait_alu 0xfffe
	s_or_b32 exec_lo, exec_lo, s6
	ds_bpermute_b32 v43, v34, v41
	s_wait_loadcnt_dscnt 0x0
	s_barrier_signal -1
	s_barrier_wait -1
	global_inv scope:SCOPE_SE
	v_add_f32_e32 v41, v41, v43
	ds_bpermute_b32 v43, v37, v41
	s_wait_dscnt 0x0
	v_add_f32_e32 v41, v41, v43
	ds_bpermute_b32 v43, v38, v41
	s_wait_dscnt 0x0
	v_add_f32_e32 v41, v41, v43
	ds_bpermute_b32 v43, v39, v41
	s_wait_dscnt 0x0
	v_add_f32_e32 v41, v41, v43
	ds_bpermute_b32 v43, v40, v41
	s_and_saveexec_b32 s6, s4
	s_cbranch_execz .LBB41_36
; %bb.35:                               ;   in Loop: Header=BB41_12 Depth=2
	s_wait_dscnt 0x0
	v_add_f32_e32 v41, v41, v43
	ds_store_b32 v32, v41
.LBB41_36:                              ;   in Loop: Header=BB41_12 Depth=2
	s_wait_alu 0xfffe
	s_or_b32 exec_lo, exec_lo, s6
	v_mov_b32_e32 v41, 0
	s_wait_loadcnt_dscnt 0x0
	s_barrier_signal -1
	s_barrier_wait -1
	global_inv scope:SCOPE_SE
	s_and_saveexec_b32 s6, s5
	s_cbranch_execnz .LBB41_53
; %bb.37:                               ;   in Loop: Header=BB41_12 Depth=2
	s_wait_alu 0xfffe
	s_or_b32 exec_lo, exec_lo, s6
	s_and_saveexec_b32 s6, s3
	s_cbranch_execnz .LBB41_54
.LBB41_38:                              ;   in Loop: Header=BB41_12 Depth=2
	s_wait_alu 0xfffe
	s_or_b32 exec_lo, exec_lo, s6
	s_and_saveexec_b32 s6, s0
	s_cbranch_execz .LBB41_11
	s_branch .LBB41_55
.LBB41_39:                              ;   in Loop: Header=BB41_12 Depth=2
	s_mul_u64 s[8:9], s[24:25], s[26:27]
	s_or_b32 s62, s24, 1
	s_mov_b32 s63, s25
	s_wait_alu 0xfffe
	s_lshl_b64 s[8:9], s[8:9], 2
	s_mul_u64 s[62:63], s[62:63], s[26:27]
	s_wait_alu 0xfffe
	v_add_co_u32 v2, vcc_lo, v35, s8
	s_wait_alu 0xfffd
	v_add_co_ci_u32_e64 v3, null, s9, v36, vcc_lo
	s_lshl_b64 s[8:9], s[62:63], 2
	s_or_b32 s62, s24, 2
	s_mov_b32 s63, s25
	s_wait_dscnt 0x0
	s_wait_alu 0xfffe
	v_add_co_u32 v27, vcc_lo, v35, s8
	s_wait_alu 0xfffd
	v_add_co_ci_u32_e64 v28, null, s9, v36, vcc_lo
	s_mul_u64 s[8:9], s[62:63], s[26:27]
	s_or_b32 s62, s24, 3
	s_wait_alu 0xfffe
	s_lshl_b64 s[8:9], s[8:9], 2
	s_mul_u64 s[62:63], s[62:63], s[26:27]
	s_wait_alu 0xfffe
	v_add_co_u32 v41, vcc_lo, v35, s8
	s_wait_alu 0xfffd
	v_add_co_ci_u32_e64 v42, null, s9, v36, vcc_lo
	s_lshl_b64 s[8:9], s[62:63], 2
	s_wait_alu 0xfffe
	v_add_co_u32 v56, vcc_lo, v35, s8
	s_wait_alu 0xfffd
	v_add_co_ci_u32_e64 v57, null, s9, v36, vcc_lo
	global_load_b32 v1, v[19:20], off
	s_clause 0x3
	global_load_b128 v[44:47], v[2:3], off
	global_load_b128 v[48:51], v[27:28], off
	;; [unrolled: 1-line block ×4, first 2 shown]
	s_clause 0x2
	global_load_b32 v2, v[21:22], off
	global_load_b32 v3, v[23:24], off
	;; [unrolled: 1-line block ×3, first 2 shown]
	s_wait_loadcnt 0x6
	v_fma_f32 v44, v1, v44, 0
	s_wait_loadcnt 0x5
	v_fma_f32 v43, v1, v48, 0
	;; [unrolled: 2-line block ×4, first 2 shown]
	s_wait_loadcnt 0x2
	v_fmac_f32_e32 v43, v2, v49
	v_fmac_f32_e32 v44, v2, v45
	s_delay_alu instid0(VALU_DEP_3) | instskip(SKIP_1) | instid1(VALU_DEP_3)
	v_fmac_f32_e32 v41, v2, v57
	s_wait_loadcnt 0x1
	v_dual_fmac_f32 v42, v2, v53 :: v_dual_fmac_f32 v43, v3, v50
	s_delay_alu instid0(VALU_DEP_3) | instskip(NEXT) | instid1(VALU_DEP_3)
	v_fmac_f32_e32 v44, v3, v46
	v_fmac_f32_e32 v41, v3, v58
	s_wait_loadcnt 0x0
	s_delay_alu instid0(VALU_DEP_3) | instskip(NEXT) | instid1(VALU_DEP_3)
	v_dual_fmac_f32 v42, v3, v54 :: v_dual_fmac_f32 v43, v4, v51
	v_fmac_f32_e32 v44, v4, v47
	s_delay_alu instid0(VALU_DEP_3) | instskip(NEXT) | instid1(VALU_DEP_3)
	v_fmac_f32_e32 v41, v4, v59
	v_fmac_f32_e32 v42, v4, v55
	s_and_not1_saveexec_b32 s11, s6
	s_cbranch_execz .LBB41_14
.LBB41_40:                              ;   in Loop: Header=BB41_12 Depth=2
	s_wait_dscnt 0x0
	v_dual_mov_b32 v41, 0 :: v_dual_mov_b32 v42, 0
	v_dual_mov_b32 v43, 0 :: v_dual_mov_b32 v44, 0
	s_and_saveexec_b32 s68, s2
	s_cbranch_execz .LBB41_57
; %bb.41:                               ;   in Loop: Header=BB41_12 Depth=2
	s_and_not1_b32 vcc_lo, exec_lo, s20
	s_wait_alu 0xfffe
	s_cbranch_vccnz .LBB41_44
; %bb.42:                               ;   in Loop: Header=BB41_12 Depth=2
	v_dual_mov_b32 v28, v16 :: v_dual_mov_b32 v27, v15
	s_mov_b64 s[62:63], 0
.LBB41_43:                              ;   Parent Loop BB41_3 Depth=1
                                        ;     Parent Loop BB41_12 Depth=2
                                        ; =>    This Inner Loop Header: Depth=3
	global_load_b32 v41, v[27:28], off
	s_wait_alu 0xfffe
	s_cmp_eq_u32 s62, 3
	v_add_co_u32 v27, vcc_lo, v27, s44
	s_wait_alu 0xfffd
	v_add_co_ci_u32_e64 v28, null, s45, v28, vcc_lo
	s_cselect_b32 vcc_lo, -1, 0
	s_cmp_eq_u32 s62, 2
	s_cselect_b32 s6, -1, 0
	s_cmp_eq_u32 s62, 1
	s_cselect_b32 s7, -1, 0
	s_cmp_eq_u32 s62, 0
	s_add_nc_u64 s[62:63], s[62:63], 1
	s_cselect_b32 s8, -1, 0
	s_wait_alu 0xfffe
	s_cmp_eq_u32 s66, s62
	s_wait_loadcnt 0x0
	v_cndmask_b32_e32 v4, v4, v41, vcc_lo
	v_cndmask_b32_e64 v3, v3, v41, s6
	v_cndmask_b32_e64 v2, v2, v41, s7
	;; [unrolled: 1-line block ×3, first 2 shown]
	s_cbranch_scc0 .LBB41_43
.LBB41_44:                              ;   in Loop: Header=BB41_12 Depth=2
	s_and_not1_b32 vcc_lo, exec_lo, s20
	s_wait_alu 0xfffe
	s_cbranch_vccnz .LBB41_56
; %bb.45:                               ;   in Loop: Header=BB41_12 Depth=2
	v_dual_mov_b32 v28, v18 :: v_dual_mov_b32 v43, 0
	v_dual_mov_b32 v44, 0 :: v_dual_mov_b32 v27, v17
	;; [unrolled: 1-line block ×3, first 2 shown]
	s_mov_b64 s[8:9], 0
.LBB41_46:                              ;   Parent Loop BB41_3 Depth=1
                                        ;     Parent Loop BB41_12 Depth=2
                                        ; =>    This Inner Loop Header: Depth=3
	s_delay_alu instid0(VALU_DEP_2)
	v_add_co_u32 v45, vcc_lo, v27, s52
	s_wait_alu 0xfffd
	v_add_co_ci_u32_e64 v46, null, s53, v28, vcc_lo
	v_add_co_u32 v47, vcc_lo, v27, s54
	s_wait_alu 0xfffd
	v_add_co_ci_u32_e64 v48, null, s55, v28, vcc_lo
	;; [unrolled: 3-line block ×3, first 2 shown]
	s_clause 0x3
	global_load_b32 v51, v[27:28], off
	global_load_b32 v45, v[45:46], off
	;; [unrolled: 1-line block ×4, first 2 shown]
	s_wait_alu 0xfffe
	s_cmp_eq_u32 s8, 1
	v_add_co_u32 v27, s6, v27, 4
	s_cselect_b32 vcc_lo, -1, 0
	s_cmp_eq_u32 s8, 2
	s_wait_alu 0xfffe
	v_cndmask_b32_e32 v48, v1, v2, vcc_lo
	s_cselect_b32 vcc_lo, -1, 0
	s_cmp_eq_u32 s8, 3
	v_add_co_ci_u32_e64 v28, null, 0, v28, s6
	s_wait_alu 0xfffe
	v_cndmask_b32_e32 v48, v48, v3, vcc_lo
	s_cselect_b32 vcc_lo, -1, 0
	s_add_nc_u64 s[8:9], s[8:9], 1
	s_wait_alu 0xfffe
	s_cmp_lg_u32 s66, s8
	v_cndmask_b32_e32 v48, v48, v4, vcc_lo
	s_wait_loadcnt 0x3
	s_delay_alu instid0(VALU_DEP_1)
	v_fmac_f32_e32 v44, v48, v51
	s_wait_loadcnt 0x2
	v_fmac_f32_e32 v43, v48, v45
	s_wait_loadcnt 0x1
	;; [unrolled: 2-line block ×3, first 2 shown]
	v_fmac_f32_e32 v41, v48, v47
	s_cbranch_scc1 .LBB41_46
	s_branch .LBB41_57
.LBB41_47:                              ;   in Loop: Header=BB41_12 Depth=2
	ds_load_b32 v27, v31
	s_wait_alu 0xfffe
	s_or_b32 exec_lo, exec_lo, s6
	s_and_saveexec_b32 s6, s3
	s_cbranch_execz .LBB41_20
.LBB41_48:                              ;   in Loop: Header=BB41_12 Depth=2
	s_wait_dscnt 0x0
	ds_bpermute_b32 v28, v38, v27
	s_wait_dscnt 0x0
	v_add_f32_e32 v27, v27, v28
	ds_bpermute_b32 v28, v39, v27
	s_wait_dscnt 0x0
	v_add_f32_e32 v27, v27, v28
	;; [unrolled: 3-line block ×3, first 2 shown]
	s_wait_alu 0xfffe
	s_or_b32 exec_lo, exec_lo, s6
	s_and_saveexec_b32 s6, s3
	s_cbranch_execnz .LBB41_21
	s_branch .LBB41_22
.LBB41_49:                              ;   in Loop: Header=BB41_12 Depth=2
	ds_load_b32 v28, v31
	s_wait_alu 0xfffe
	s_or_b32 exec_lo, exec_lo, s6
	s_and_saveexec_b32 s6, s3
	s_cbranch_execz .LBB41_26
.LBB41_50:                              ;   in Loop: Header=BB41_12 Depth=2
	s_wait_dscnt 0x0
	ds_bpermute_b32 v43, v38, v28
	s_wait_dscnt 0x0
	v_add_f32_e32 v28, v28, v43
	ds_bpermute_b32 v43, v39, v28
	s_wait_dscnt 0x0
	v_add_f32_e32 v28, v28, v43
	;; [unrolled: 3-line block ×3, first 2 shown]
	s_wait_alu 0xfffe
	s_or_b32 exec_lo, exec_lo, s6
	s_and_saveexec_b32 s6, s3
	s_cbranch_execnz .LBB41_27
	s_branch .LBB41_28
.LBB41_51:                              ;   in Loop: Header=BB41_12 Depth=2
	ds_load_b32 v42, v31
	s_wait_alu 0xfffe
	s_or_b32 exec_lo, exec_lo, s6
	s_and_saveexec_b32 s6, s3
	s_cbranch_execz .LBB41_32
.LBB41_52:                              ;   in Loop: Header=BB41_12 Depth=2
	s_wait_dscnt 0x0
	ds_bpermute_b32 v43, v38, v42
	s_wait_dscnt 0x0
	v_add_f32_e32 v42, v42, v43
	ds_bpermute_b32 v43, v39, v42
	s_wait_dscnt 0x0
	v_add_f32_e32 v42, v42, v43
	;; [unrolled: 3-line block ×3, first 2 shown]
	s_wait_alu 0xfffe
	s_or_b32 exec_lo, exec_lo, s6
	s_and_saveexec_b32 s6, s3
	s_cbranch_execnz .LBB41_33
	s_branch .LBB41_34
.LBB41_53:                              ;   in Loop: Header=BB41_12 Depth=2
	ds_load_b32 v41, v31
	s_wait_alu 0xfffe
	s_or_b32 exec_lo, exec_lo, s6
	s_and_saveexec_b32 s6, s3
	s_cbranch_execz .LBB41_38
.LBB41_54:                              ;   in Loop: Header=BB41_12 Depth=2
	s_wait_dscnt 0x0
	ds_bpermute_b32 v43, v38, v41
	s_wait_dscnt 0x0
	v_add_f32_e32 v41, v41, v43
	ds_bpermute_b32 v43, v39, v41
	s_wait_dscnt 0x0
	v_add_f32_e32 v41, v41, v43
	;; [unrolled: 3-line block ×3, first 2 shown]
	s_wait_alu 0xfffe
	s_or_b32 exec_lo, exec_lo, s6
	s_and_saveexec_b32 s6, s0
	s_cbranch_execz .LBB41_11
.LBB41_55:                              ;   in Loop: Header=BB41_12 Depth=2
	s_mul_u64 s[8:9], s[24:25], s[28:29]
	v_dual_mul_f32 v27, s22, v27 :: v_dual_mul_f32 v28, s22, v28
	s_or_b32 s62, s24, 1
	s_mov_b32 s63, s25
	s_wait_alu 0xfffe
	s_lshl_b64 s[8:9], s[8:9], 2
	s_mul_u64 s[62:63], s[62:63], s[28:29]
	s_wait_alu 0xfffe
	s_add_nc_u64 s[8:9], s[56:57], s[8:9]
	s_or_b32 s68, s24, 2
	s_mov_b32 s69, s25
	global_store_b32 v0, v27, s[8:9]
	s_lshl_b64 s[8:9], s[62:63], 2
	s_mul_u64 s[62:63], s[68:69], s[28:29]
	s_or_b32 s68, s24, 3
	s_wait_alu 0xfffe
	s_add_nc_u64 s[8:9], s[56:57], s[8:9]
	s_mul_u64 s[68:69], s[68:69], s[28:29]
	v_mul_f32_e32 v27, s22, v42
	global_store_b32 v0, v28, s[8:9]
	s_lshl_b64 s[8:9], s[62:63], 2
	s_wait_dscnt 0x0
	v_mul_f32_e32 v28, s22, v41
	s_lshl_b64 s[62:63], s[68:69], 2
	s_wait_alu 0xfffe
	s_add_nc_u64 s[8:9], s[56:57], s[8:9]
	s_add_nc_u64 s[62:63], s[56:57], s[62:63]
	s_clause 0x1
	global_store_b32 v0, v27, s[8:9]
	global_store_b32 v0, v28, s[62:63]
	s_branch .LBB41_11
.LBB41_56:                              ;   in Loop: Header=BB41_12 Depth=2
	v_dual_mov_b32 v41, 0 :: v_dual_mov_b32 v42, 0
	v_dual_mov_b32 v43, 0 :: v_dual_mov_b32 v44, 0
.LBB41_57:                              ;   in Loop: Header=BB41_12 Depth=2
	s_or_b32 exec_lo, exec_lo, s68
	s_wait_alu 0xfffe
	s_or_b32 exec_lo, exec_lo, s11
	s_and_saveexec_b32 s6, s3
	s_cbranch_execnz .LBB41_15
	s_branch .LBB41_16
.LBB41_58:                              ;   in Loop: Header=BB41_3 Depth=1
	v_mov_b32_e32 v3, v0
	v_dual_mov_b32 v1, v0 :: v_dual_mov_b32 v2, v0
	s_mov_b32 s24, 0
	s_delay_alu instid0(VALU_DEP_2) | instskip(NEXT) | instid1(VALU_DEP_2)
	v_mov_b32_e32 v4, v3
	v_mov_b32_e32 v3, v2
	s_delay_alu instid0(VALU_DEP_3)
	v_mov_b32_e32 v2, v1
	v_mov_b32_e32 v1, v0
.LBB41_59:                              ;   in Loop: Header=BB41_3 Depth=1
	s_wait_alu 0xfffe
	s_cmp_ge_i32 s24, s21
	s_cbranch_scc1 .LBB41_2
; %bb.60:                               ;   in Loop: Header=BB41_3 Depth=1
	v_cmp_gt_u32_e32 vcc_lo, 24, v33
	s_mul_u64 s[6:7], s[52:53], s[24:25]
	s_wait_alu 0xfffe
	s_add_nc_u64 s[6:7], s[6:7], s[58:59]
	s_wait_alu 0xfffd
	v_cndmask_b32_e64 v17, 0, 8, vcc_lo
	v_cmp_gt_u32_e32 vcc_lo, 28, v33
	s_delay_alu instid0(VALU_DEP_2) | instskip(SKIP_3) | instid1(VALU_DEP_2)
	v_add_lshl_u32 v37, v17, v33, 2
	s_wait_alu 0xfffd
	v_cndmask_b32_e64 v18, 0, 4, vcc_lo
	v_cmp_gt_u32_e32 vcc_lo, 30, v33
	v_add_lshl_u32 v38, v18, v33, 2
	s_wait_alu 0xfffd
	v_cndmask_b32_e64 v19, 0, 2, vcc_lo
	v_cmp_ne_u32_e32 vcc_lo, 31, v33
	s_delay_alu instid0(VALU_DEP_2)
	v_add_lshl_u32 v39, v19, v33, 2
	s_wait_alu 0xfffd
	v_add_co_ci_u32_e64 v20, null, 0, v33, vcc_lo
	v_add_co_u32 v17, vcc_lo, s60, v5
	s_wait_alu 0xfffd
	v_add_co_ci_u32_e64 v18, null, s61, v6, vcc_lo
	v_add_co_u32 v19, vcc_lo, s60, v9
	v_lshlrev_b32_e32 v40, 2, v20
	s_wait_alu 0xfffd
	v_add_co_ci_u32_e64 v20, null, s61, v10, vcc_lo
	v_add_co_u32 v21, vcc_lo, s60, v11
	s_wait_alu 0xfffd
	v_add_co_ci_u32_e64 v22, null, s61, v12, vcc_lo
	v_add_co_u32 v23, vcc_lo, s60, v13
	s_wait_alu 0xfffd
	v_add_co_ci_u32_e64 v24, null, s61, v14, vcc_lo
	s_wait_alu 0xfffe
	v_add_co_u32 v25, vcc_lo, v29, s6
	s_wait_alu 0xfffd
	v_add_co_ci_u32_e64 v26, null, s7, v30, vcc_lo
	s_branch .LBB41_62
.LBB41_61:                              ;   in Loop: Header=BB41_62 Depth=2
	s_wait_alu 0xfffe
	s_or_b32 exec_lo, exec_lo, s6
	v_add_co_u32 v25, vcc_lo, v25, s52
	s_wait_alu 0xfffd
	v_add_co_ci_u32_e64 v26, null, s53, v26, vcc_lo
	s_add_co_i32 s24, s24, 1
	s_wait_alu 0xfffe
	s_cmp_ge_i32 s24, s21
	s_cbranch_scc1 .LBB41_2
.LBB41_62:                              ;   Parent Loop BB41_3 Depth=1
                                        ; =>  This Loop Header: Depth=2
                                        ;       Child Loop BB41_75 Depth 3
                                        ;       Child Loop BB41_78 Depth 3
	s_wait_dscnt 0x0
	v_mov_b32_e32 v41, s25
	s_and_saveexec_b32 s6, s1
	s_wait_alu 0xfffe
	s_xor_b32 s6, exec_lo, s6
	s_cbranch_execnz .LBB41_71
; %bb.63:                               ;   in Loop: Header=BB41_62 Depth=2
	s_wait_alu 0xfffe
	s_and_not1_saveexec_b32 s9, s6
	s_cbranch_execnz .LBB41_72
.LBB41_64:                              ;   in Loop: Header=BB41_62 Depth=2
	s_wait_alu 0xfffe
	s_or_b32 exec_lo, exec_lo, s9
	s_and_saveexec_b32 s6, s3
.LBB41_65:                              ;   in Loop: Header=BB41_62 Depth=2
	ds_store_b32 v31, v0
.LBB41_66:                              ;   in Loop: Header=BB41_62 Depth=2
	s_wait_alu 0xfffe
	s_or_b32 exec_lo, exec_lo, s6
	ds_bpermute_b32 v27, v34, v41
	s_wait_storecnt 0x0
	s_wait_loadcnt_dscnt 0x0
	s_barrier_signal -1
	s_barrier_wait -1
	global_inv scope:SCOPE_SE
	v_add_f32_e32 v27, v41, v27
	ds_bpermute_b32 v28, v37, v27
	s_wait_dscnt 0x0
	v_add_f32_e32 v27, v27, v28
	ds_bpermute_b32 v28, v38, v27
	s_wait_dscnt 0x0
	;; [unrolled: 3-line block ×3, first 2 shown]
	v_add_f32_e32 v27, v27, v28
	ds_bpermute_b32 v28, v40, v27
	s_and_saveexec_b32 s6, s4
	s_cbranch_execz .LBB41_68
; %bb.67:                               ;   in Loop: Header=BB41_62 Depth=2
	s_wait_dscnt 0x0
	v_add_f32_e32 v27, v27, v28
	ds_store_b32 v32, v27
.LBB41_68:                              ;   in Loop: Header=BB41_62 Depth=2
	s_wait_alu 0xfffe
	s_or_b32 exec_lo, exec_lo, s6
	v_mov_b32_e32 v27, 0
	s_wait_loadcnt_dscnt 0x0
	s_barrier_signal -1
	s_barrier_wait -1
	global_inv scope:SCOPE_SE
	s_and_saveexec_b32 s6, s5
	s_cbranch_execnz .LBB41_80
; %bb.69:                               ;   in Loop: Header=BB41_62 Depth=2
	s_wait_alu 0xfffe
	s_or_b32 exec_lo, exec_lo, s6
	s_and_saveexec_b32 s6, s3
	s_cbranch_execnz .LBB41_81
.LBB41_70:                              ;   in Loop: Header=BB41_62 Depth=2
	s_wait_alu 0xfffe
	s_or_b32 exec_lo, exec_lo, s6
	s_and_saveexec_b32 s6, s0
	s_cbranch_execz .LBB41_61
	s_branch .LBB41_82
.LBB41_71:                              ;   in Loop: Header=BB41_62 Depth=2
	s_mul_u64 s[8:9], s[24:25], s[26:27]
	s_wait_alu 0xfffe
	s_lshl_b64 s[8:9], s[8:9], 2
	s_wait_alu 0xfffe
	v_add_co_u32 v1, vcc_lo, v35, s8
	s_wait_alu 0xfffd
	v_add_co_ci_u32_e64 v2, null, s9, v36, vcc_lo
	global_load_b128 v[41:44], v[1:2], off
	s_clause 0x3
	global_load_b32 v1, v[17:18], off
	global_load_b32 v2, v[19:20], off
	;; [unrolled: 1-line block ×4, first 2 shown]
	s_wait_loadcnt 0x3
	v_fma_f32 v41, v1, v41, 0
	s_wait_loadcnt 0x2
	s_delay_alu instid0(VALU_DEP_1) | instskip(SKIP_1) | instid1(VALU_DEP_1)
	v_fmac_f32_e32 v41, v2, v42
	s_wait_loadcnt 0x1
	v_fmac_f32_e32 v41, v3, v43
	s_wait_loadcnt 0x0
	s_delay_alu instid0(VALU_DEP_1)
	v_fmac_f32_e32 v41, v4, v44
	s_and_not1_saveexec_b32 s9, s6
	s_cbranch_execz .LBB41_64
.LBB41_72:                              ;   in Loop: Header=BB41_62 Depth=2
	s_and_saveexec_b32 s11, s2
	s_cbranch_execz .LBB41_79
; %bb.73:                               ;   in Loop: Header=BB41_62 Depth=2
	s_and_not1_b32 vcc_lo, exec_lo, s20
	s_wait_alu 0xfffe
	s_cbranch_vccnz .LBB41_76
; %bb.74:                               ;   in Loop: Header=BB41_62 Depth=2
	v_dual_mov_b32 v28, v16 :: v_dual_mov_b32 v27, v15
	s_mov_b64 s[58:59], 0
.LBB41_75:                              ;   Parent Loop BB41_3 Depth=1
                                        ;     Parent Loop BB41_62 Depth=2
                                        ; =>    This Inner Loop Header: Depth=3
	global_load_b32 v42, v[27:28], off
	s_wait_alu 0xfffe
	s_cmp_eq_u32 s58, 3
	v_add_co_u32 v27, vcc_lo, v27, s44
	s_wait_alu 0xfffd
	v_add_co_ci_u32_e64 v28, null, s45, v28, vcc_lo
	s_cselect_b32 vcc_lo, -1, 0
	s_cmp_eq_u32 s58, 2
	s_cselect_b32 s6, -1, 0
	s_cmp_eq_u32 s58, 1
	s_cselect_b32 s7, -1, 0
	s_cmp_eq_u32 s58, 0
	s_add_nc_u64 s[58:59], s[58:59], 1
	s_cselect_b32 s8, -1, 0
	s_wait_alu 0xfffe
	s_cmp_eq_u32 s66, s58
	s_wait_loadcnt 0x0
	v_cndmask_b32_e32 v4, v4, v42, vcc_lo
	v_cndmask_b32_e64 v3, v3, v42, s6
	v_cndmask_b32_e64 v2, v2, v42, s7
	;; [unrolled: 1-line block ×3, first 2 shown]
	s_cbranch_scc0 .LBB41_75
.LBB41_76:                              ;   in Loop: Header=BB41_62 Depth=2
	s_and_not1_b32 vcc_lo, exec_lo, s20
	s_wait_alu 0xfffe
	s_cbranch_vccnz .LBB41_79
; %bb.77:                               ;   in Loop: Header=BB41_62 Depth=2
	v_dual_mov_b32 v28, v26 :: v_dual_mov_b32 v27, v25
	s_mov_b64 s[6:7], 0
.LBB41_78:                              ;   Parent Loop BB41_3 Depth=1
                                        ;     Parent Loop BB41_62 Depth=2
                                        ; =>    This Inner Loop Header: Depth=3
	global_load_b32 v42, v[27:28], off
	s_wait_alu 0xfffe
	s_cmp_eq_u32 s6, 1
	s_cselect_b32 vcc_lo, -1, 0
	s_cmp_eq_u32 s6, 2
	s_wait_alu 0xfffe
	v_cndmask_b32_e32 v43, v1, v2, vcc_lo
	s_cselect_b32 vcc_lo, -1, 0
	s_cmp_eq_u32 s6, 3
	s_add_nc_u64 s[6:7], s[6:7], 1
	s_wait_alu 0xfffe
	v_cndmask_b32_e32 v43, v43, v3, vcc_lo
	s_cselect_b32 vcc_lo, -1, 0
	s_cmp_lg_u32 s66, s6
	s_wait_alu 0xfffe
	s_delay_alu instid0(VALU_DEP_1)
	v_cndmask_b32_e32 v43, v43, v4, vcc_lo
	v_add_co_u32 v27, vcc_lo, v27, 4
	s_wait_alu 0xfffd
	v_add_co_ci_u32_e64 v28, null, 0, v28, vcc_lo
	s_wait_loadcnt 0x0
	v_fmac_f32_e32 v41, v43, v42
	s_cbranch_scc1 .LBB41_78
.LBB41_79:                              ;   in Loop: Header=BB41_62 Depth=2
	s_wait_alu 0xfffe
	s_or_b32 exec_lo, exec_lo, s11
	s_delay_alu instid0(SALU_CYCLE_1)
	s_or_b32 exec_lo, exec_lo, s9
	s_and_saveexec_b32 s6, s3
	s_cbranch_execnz .LBB41_65
	s_branch .LBB41_66
.LBB41_80:                              ;   in Loop: Header=BB41_62 Depth=2
	ds_load_b32 v27, v31
	s_wait_alu 0xfffe
	s_or_b32 exec_lo, exec_lo, s6
	s_and_saveexec_b32 s6, s3
	s_cbranch_execz .LBB41_70
.LBB41_81:                              ;   in Loop: Header=BB41_62 Depth=2
	s_wait_dscnt 0x0
	ds_bpermute_b32 v28, v38, v27
	s_wait_dscnt 0x0
	v_add_f32_e32 v27, v27, v28
	ds_bpermute_b32 v28, v39, v27
	s_wait_dscnt 0x0
	v_add_f32_e32 v27, v27, v28
	;; [unrolled: 3-line block ×3, first 2 shown]
	s_wait_alu 0xfffe
	s_or_b32 exec_lo, exec_lo, s6
	s_and_saveexec_b32 s6, s0
	s_cbranch_execz .LBB41_61
.LBB41_82:                              ;   in Loop: Header=BB41_62 Depth=2
	s_mul_u64 s[8:9], s[24:25], s[28:29]
	s_wait_dscnt 0x0
	v_mul_f32_e32 v27, s22, v27
	s_wait_alu 0xfffe
	s_lshl_b64 s[8:9], s[8:9], 2
	s_wait_alu 0xfffe
	s_add_nc_u64 s[8:9], s[56:57], s[8:9]
	global_store_b32 v0, v27, s[8:9]
	s_branch .LBB41_61
.LBB41_83:
	s_endpgm
	.section	.rodata,"a",@progbits
	.p2align	6, 0x0
	.amdhsa_kernel _ZL23rocblas_gemvt_sn_kernelILb1ELi256ELi4ElfffEviiT4_lPKT3_lilS3_lilPT5_i
		.amdhsa_group_segment_fixed_size 128
		.amdhsa_private_segment_fixed_size 0
		.amdhsa_kernarg_size 360
		.amdhsa_user_sgpr_count 2
		.amdhsa_user_sgpr_dispatch_ptr 0
		.amdhsa_user_sgpr_queue_ptr 0
		.amdhsa_user_sgpr_kernarg_segment_ptr 1
		.amdhsa_user_sgpr_dispatch_id 0
		.amdhsa_user_sgpr_private_segment_size 0
		.amdhsa_wavefront_size32 1
		.amdhsa_uses_dynamic_stack 0
		.amdhsa_enable_private_segment 0
		.amdhsa_system_sgpr_workgroup_id_x 1
		.amdhsa_system_sgpr_workgroup_id_y 0
		.amdhsa_system_sgpr_workgroup_id_z 1
		.amdhsa_system_sgpr_workgroup_info 0
		.amdhsa_system_vgpr_workitem_id 0
		.amdhsa_next_free_vgpr 60
		.amdhsa_next_free_sgpr 70
		.amdhsa_reserve_vcc 1
		.amdhsa_float_round_mode_32 0
		.amdhsa_float_round_mode_16_64 0
		.amdhsa_float_denorm_mode_32 3
		.amdhsa_float_denorm_mode_16_64 3
		.amdhsa_fp16_overflow 0
		.amdhsa_workgroup_processor_mode 1
		.amdhsa_memory_ordered 1
		.amdhsa_forward_progress 1
		.amdhsa_inst_pref_size 35
		.amdhsa_round_robin_scheduling 0
		.amdhsa_exception_fp_ieee_invalid_op 0
		.amdhsa_exception_fp_denorm_src 0
		.amdhsa_exception_fp_ieee_div_zero 0
		.amdhsa_exception_fp_ieee_overflow 0
		.amdhsa_exception_fp_ieee_underflow 0
		.amdhsa_exception_fp_ieee_inexact 0
		.amdhsa_exception_int_div_zero 0
	.end_amdhsa_kernel
	.section	.text._ZL23rocblas_gemvt_sn_kernelILb1ELi256ELi4ElfffEviiT4_lPKT3_lilS3_lilPT5_i,"axG",@progbits,_ZL23rocblas_gemvt_sn_kernelILb1ELi256ELi4ElfffEviiT4_lPKT3_lilS3_lilPT5_i,comdat
.Lfunc_end41:
	.size	_ZL23rocblas_gemvt_sn_kernelILb1ELi256ELi4ElfffEviiT4_lPKT3_lilS3_lilPT5_i, .Lfunc_end41-_ZL23rocblas_gemvt_sn_kernelILb1ELi256ELi4ElfffEviiT4_lPKT3_lilS3_lilPT5_i
                                        ; -- End function
	.set _ZL23rocblas_gemvt_sn_kernelILb1ELi256ELi4ElfffEviiT4_lPKT3_lilS3_lilPT5_i.num_vgpr, 60
	.set _ZL23rocblas_gemvt_sn_kernelILb1ELi256ELi4ElfffEviiT4_lPKT3_lilS3_lilPT5_i.num_agpr, 0
	.set _ZL23rocblas_gemvt_sn_kernelILb1ELi256ELi4ElfffEviiT4_lPKT3_lilS3_lilPT5_i.numbered_sgpr, 70
	.set _ZL23rocblas_gemvt_sn_kernelILb1ELi256ELi4ElfffEviiT4_lPKT3_lilS3_lilPT5_i.num_named_barrier, 0
	.set _ZL23rocblas_gemvt_sn_kernelILb1ELi256ELi4ElfffEviiT4_lPKT3_lilS3_lilPT5_i.private_seg_size, 0
	.set _ZL23rocblas_gemvt_sn_kernelILb1ELi256ELi4ElfffEviiT4_lPKT3_lilS3_lilPT5_i.uses_vcc, 1
	.set _ZL23rocblas_gemvt_sn_kernelILb1ELi256ELi4ElfffEviiT4_lPKT3_lilS3_lilPT5_i.uses_flat_scratch, 0
	.set _ZL23rocblas_gemvt_sn_kernelILb1ELi256ELi4ElfffEviiT4_lPKT3_lilS3_lilPT5_i.has_dyn_sized_stack, 0
	.set _ZL23rocblas_gemvt_sn_kernelILb1ELi256ELi4ElfffEviiT4_lPKT3_lilS3_lilPT5_i.has_recursion, 0
	.set _ZL23rocblas_gemvt_sn_kernelILb1ELi256ELi4ElfffEviiT4_lPKT3_lilS3_lilPT5_i.has_indirect_call, 0
	.section	.AMDGPU.csdata,"",@progbits
; Kernel info:
; codeLenInByte = 4456
; TotalNumSgprs: 72
; NumVgprs: 60
; ScratchSize: 0
; MemoryBound: 0
; FloatMode: 240
; IeeeMode: 1
; LDSByteSize: 128 bytes/workgroup (compile time only)
; SGPRBlocks: 0
; VGPRBlocks: 7
; NumSGPRsForWavesPerEU: 72
; NumVGPRsForWavesPerEU: 60
; Occupancy: 16
; WaveLimiterHint : 0
; COMPUTE_PGM_RSRC2:SCRATCH_EN: 0
; COMPUTE_PGM_RSRC2:USER_SGPR: 2
; COMPUTE_PGM_RSRC2:TRAP_HANDLER: 0
; COMPUTE_PGM_RSRC2:TGID_X_EN: 1
; COMPUTE_PGM_RSRC2:TGID_Y_EN: 0
; COMPUTE_PGM_RSRC2:TGID_Z_EN: 1
; COMPUTE_PGM_RSRC2:TIDIG_COMP_CNT: 0
	.section	.text._ZL36rocblas_gemvt_double_buffered_kernelILb1ELi128ELi8ELi8EfPKffEviiT4_lPKT3_lilS5_lilPT5_lili,"axG",@progbits,_ZL36rocblas_gemvt_double_buffered_kernelILb1ELi128ELi8ELi8EfPKffEviiT4_lPKT3_lilS5_lilPT5_lili,comdat
	.globl	_ZL36rocblas_gemvt_double_buffered_kernelILb1ELi128ELi8ELi8EfPKffEviiT4_lPKT3_lilS5_lilPT5_lili ; -- Begin function _ZL36rocblas_gemvt_double_buffered_kernelILb1ELi128ELi8ELi8EfPKffEviiT4_lPKT3_lilS5_lilPT5_lili
	.p2align	8
	.type	_ZL36rocblas_gemvt_double_buffered_kernelILb1ELi128ELi8ELi8EfPKffEviiT4_lPKT3_lilS5_lilPT5_lili,@function
_ZL36rocblas_gemvt_double_buffered_kernelILb1ELi128ELi8ELi8EfPKffEviiT4_lPKT3_lilS5_lilPT5_lili: ; @_ZL36rocblas_gemvt_double_buffered_kernelILb1ELi128ELi8ELi8EfPKffEviiT4_lPKT3_lilS5_lilPT5_lili
; %bb.0:
	s_load_b32 s33, s[0:1], 0x78
	s_lshr_b32 s2, ttmp7, 16
	s_wait_kmcnt 0x0
	s_cmp_ge_u32 s2, s33
	s_cbranch_scc1 .LBB42_15
; %bb.1:
	s_clause 0x7
	s_load_b32 s30, s[0:1], 0x28
	s_load_b96 s[20:22], s[0:1], 0x40
	s_load_b96 s[24:26], s[0:1], 0x60
	s_load_b256 s[4:11], s[0:1], 0x8
	s_load_b32 s3, s[0:1], 0x0
	s_load_b128 s[16:19], s[0:1], 0x50
	s_load_b128 s[12:15], s[0:1], 0x30
	s_load_b64 s[28:29], s[0:1], 0x70
	v_and_b32_e32 v7, 0x3ff, v0
	s_lshl_b32 s36, ttmp9, 7
	v_dual_mov_b32 v2, 0 :: v_dual_and_b32 v1, 63, v0
	s_ashr_i32 s37, s36, 31
	v_bfe_u32 v0, v0, 10, 10
	v_add_nc_u32_e32 v12, 1, v7
	v_lshlrev_b32_e32 v10, 8, v7
	v_add_nc_u32_e32 v16, 5, v7
	v_add_nc_u32_e32 v17, 6, v7
	v_lshl_add_u32 v11, v0, 7, v7
	v_and_b32_e32 v12, 63, v12
	v_add_nc_u32_e32 v20, 9, v7
	v_and_b32_e32 v18, 63, v16
	s_wait_kmcnt 0x0
	s_ashr_i32 s39, s26, 31
	s_mov_b32 s38, s26
	s_lshl_b64 s[10:11], s[10:11], 2
	s_lshl_b64 s[24:25], s[24:25], 2
	s_add_nc_u64 s[34:35], s[8:9], s[10:11]
	s_add_nc_u64 s[10:11], s[0:1], 0x80
	s_mul_u64 s[0:1], s[38:39], s[36:37]
	s_add_nc_u64 s[24:25], s[18:19], s[24:25]
	s_lshl_b64 s[0:1], s[0:1], 2
	v_lshl_or_b32 v14, v12, 2, v10
	s_add_nc_u64 s[38:39], s[24:25], s[0:1]
	v_cmp_eq_u32_e64 s0, 0, v0
	v_add_nc_u32_e32 v0, 3, v7
	v_add_nc_u32_e32 v12, 4, v7
	v_and_b32_e32 v19, 63, v17
	v_add_nc_u32_e32 v21, 10, v7
	v_add_nc_u32_e32 v22, 11, v7
	v_and_b32_e32 v0, 63, v0
	v_and_b32_e32 v12, 63, v12
	;; [unrolled: 1-line block ×3, first 2 shown]
	v_add_nc_u32_e32 v25, 14, v7
	v_and_b32_e32 v24, 63, v22
	v_lshl_or_b32 v16, v0, 2, v10
	v_add_nc_u32_e32 v0, 7, v7
	v_lshl_or_b32 v17, v12, 2, v10
	v_add_nc_u32_e32 v12, 8, v7
	v_lshl_or_b32 v22, v23, 2, v10
	v_add_nc_u32_e32 v26, 15, v7
	v_and_b32_e32 v0, 63, v0
	v_add_nc_u32_e32 v27, 16, v7
	v_and_b32_e32 v12, 63, v12
	v_and_b32_e32 v28, 63, v25
	v_add_nc_u32_e32 v30, 19, v7
	v_lshl_or_b32 v20, v0, 2, v10
	v_and_b32_e32 v0, 63, v21
	v_lshl_or_b32 v21, v12, 2, v10
	v_add_nc_u32_e32 v12, 12, v7
	v_and_b32_e32 v29, 63, v27
	v_lshl_or_b32 v27, v28, 2, v10
	v_lshl_or_b32 v23, v0, 2, v10
	v_add_nc_u32_e32 v0, 13, v7
	v_and_b32_e32 v12, 63, v12
	v_add_nc_u32_e32 v31, 20, v7
	v_add_nc_u32_e32 v32, 21, v7
	v_and_b32_e32 v33, 63, v30
	v_and_b32_e32 v0, 63, v0
	v_lshl_or_b32 v25, v12, 2, v10
	v_and_b32_e32 v12, 63, v26
	v_and_b32_e32 v34, 63, v32
	v_lshl_or_b32 v32, v33, 2, v10
	v_lshl_or_b32 v26, v0, 2, v10
	v_add_nc_u32_e32 v0, 17, v7
	v_lshl_or_b32 v28, v12, 2, v10
	v_add_nc_u32_e32 v12, 18, v7
	v_add_nc_u32_e32 v35, 24, v7
	;; [unrolled: 1-line block ×3, first 2 shown]
	v_and_b32_e32 v0, 63, v0
	v_add_nc_u32_e32 v37, 26, v7
	v_and_b32_e32 v12, 63, v12
	v_and_b32_e32 v38, 63, v35
	v_add_nc_u32_e32 v40, 29, v7
	v_lshl_or_b32 v30, v0, 2, v10
	v_and_b32_e32 v0, 63, v31
	v_lshl_or_b32 v31, v12, 2, v10
	v_add_nc_u32_e32 v12, 22, v7
	v_add_nc_u32_e32 v41, 30, v7
	v_lshrrev_b32_e32 v9, 3, v11
	v_lshl_or_b32 v33, v0, 2, v10
	v_add_nc_u32_e32 v0, 23, v7
	v_and_b32_e32 v12, 63, v12
	v_and_b32_e32 v39, 63, v37
	v_lshl_or_b32 v37, v38, 2, v10
	v_add_nc_u32_e32 v42, 31, v7
	v_and_b32_e32 v0, 63, v0
	v_lshl_or_b32 v35, v12, 2, v10
	v_and_b32_e32 v12, 63, v36
	v_and_b32_e32 v43, 63, v40
	;; [unrolled: 1-line block ×3, first 2 shown]
	v_lshl_or_b32 v36, v0, 2, v10
	v_add_nc_u32_e32 v0, 27, v7
	v_lshl_or_b32 v38, v12, 2, v10
	v_add_nc_u32_e32 v12, 28, v7
	v_and_b32_e32 v44, 63, v42
	v_lshl_or_b32 v42, v43, 2, v10
	v_and_b32_e32 v0, 63, v0
	v_mad_co_i64_i32 v[5:6], null, s30, v8, v[1:2]
	v_and_b32_e32 v12, 63, v12
	v_lshlrev_b32_e32 v13, 2, v1
	s_delay_alu instid0(VALU_DEP_4)
	v_lshl_or_b32 v40, v0, 2, v10
	v_and_b32_e32 v0, 63, v41
	v_xor_b32_e32 v1, 32, v1
	v_lshl_or_b32 v41, v12, 2, v10
	v_add_nc_u32_e32 v12, 33, v7
	v_add_nc_u32_e32 v47, 35, v7
	v_lshl_or_b32 v43, v0, 2, v10
	v_add_nc_u32_e32 v0, 34, v7
	v_add_nc_u32_e32 v48, 36, v7
	v_and_b32_e32 v12, 63, v12
	v_lshl_or_b32 v45, v1, 2, v10
	v_and_b32_e32 v1, 63, v47
	v_and_b32_e32 v0, 63, v0
	v_add_nc_u32_e32 v50, 38, v7
	v_lshl_or_b32 v46, v12, 2, v10
	v_and_b32_e32 v12, 63, v48
	v_lshl_or_b32 v48, v1, 2, v10
	v_lshl_or_b32 v47, v0, 2, v10
	v_add_nc_u32_e32 v0, 37, v7
	v_add_nc_u32_e32 v1, 39, v7
	;; [unrolled: 1-line block ×3, first 2 shown]
	v_lshl_or_b32 v49, v12, 2, v10
	v_and_b32_e32 v12, 63, v50
	v_and_b32_e32 v0, 63, v0
	v_add_nc_u32_e32 v53, 41, v7
	v_and_b32_e32 v1, 63, v1
	v_add_nc_u32_e32 v55, 43, v7
	v_lshl_or_b32 v51, v12, 2, v10
	v_lshl_or_b32 v50, v0, 2, v10
	v_and_b32_e32 v0, 63, v52
	v_and_b32_e32 v12, 63, v53
	v_lshl_or_b32 v52, v1, 2, v10
	v_add_nc_u32_e32 v1, 42, v7
	v_add_nc_u32_e32 v57, 45, v7
	v_lshl_or_b32 v53, v0, 2, v10
	v_add_nc_u32_e32 v0, 44, v7
	v_lshl_or_b32 v54, v12, 2, v10
	v_and_b32_e32 v1, 63, v1
	v_and_b32_e32 v12, 63, v55
	v_add_nc_u32_e32 v58, 46, v7
	v_and_b32_e32 v0, 63, v0
	s_and_b32 s40, ttmp7, 0xffff
	v_lshl_or_b32 v55, v1, 2, v10
	v_and_b32_e32 v1, 63, v57
	v_cvt_f64_i32_e32 v[3:4], s40
	v_lshl_or_b32 v57, v0, 2, v10
	v_add_nc_u32_e32 v0, 47, v7
	v_lshl_or_b32 v56, v12, 2, v10
	v_and_b32_e32 v12, 63, v58
	v_add_nc_u32_e32 v60, 48, v7
	v_lshl_or_b32 v58, v1, 2, v10
	v_add_nc_u32_e32 v1, 49, v7
	v_and_b32_e32 v0, 63, v0
	v_add_nc_u32_e32 v62, 50, v7
	v_lshl_or_b32 v59, v12, 2, v10
	v_and_b32_e32 v12, 63, v60
	v_add_nc_u32_e32 v63, 51, v7
	v_and_b32_e32 v1, 63, v1
	v_lshl_or_b32 v60, v0, 2, v10
	v_and_b32_e32 v0, 63, v62
	v_lshl_or_b32 v61, v12, 2, v10
	;; [unrolled: 2-line block ×3, first 2 shown]
	v_add_nc_u32_e32 v1, 52, v7
	v_add_nc_u32_e32 v65, 53, v7
	v_lshl_or_b32 v63, v0, 2, v10
	v_add_nc_u32_e32 v0, 54, v7
	v_lshl_or_b32 v64, v12, 2, v10
	v_and_b32_e32 v1, 63, v1
	v_and_b32_e32 v12, 63, v65
	v_add_nc_u32_e32 v67, 55, v7
	v_add_nc_u32_e32 v68, 56, v7
	v_and_b32_e32 v0, 63, v0
	v_lshrrev_b32_e32 v11, 1, v11
	v_lshl_or_b32 v65, v1, 2, v10
	v_lshl_or_b32 v66, v12, 2, v10
	v_and_b32_e32 v1, 63, v67
	v_and_b32_e32 v12, 63, v68
	v_lshl_or_b32 v67, v0, 2, v10
	v_add_nc_u32_e32 v0, 57, v7
	v_and_b32_e32 v11, 0x1ffe0, v11
	s_ashr_i32 s27, s3, 31
	v_lshl_or_b32 v68, v1, 2, v10
	s_lshr_b32 s18, s27, 25
	v_lshl_or_b32 v69, v12, 2, v10
	v_and_b32_e32 v12, 63, v0
	v_mad_co_i64_i32 v[0:1], null, s26, v7, 0
	s_lshl_b64 s[26:27], s[36:37], 2
	v_add_nc_u32_e32 v70, 58, v7
	s_wait_alu 0xfffe
	v_add_co_u32 v74, s1, v11, s26
	s_delay_alu instid0(VALU_DEP_1)
	v_add_co_ci_u32_e64 v73, null, 0, s27, s1
	s_ashr_i32 s31, s30, 31
	v_or_b32_e32 v75, 4, v74
	v_max_num_f64_e32 v[3:4], v[3:4], v[3:4]
	v_mul_lo_u32 v77, v73, s30
	v_and_b32_e32 v71, 63, v70
	v_lshl_or_b32 v70, v12, 2, v10
	v_mad_co_u64_u32 v[80:81], null, v75, s30, s[34:35]
	s_wait_alu 0xfffe
	v_mul_lo_u32 v75, v75, s31
	v_lshlrev_b64_e32 v[11:12], 2, v[0:1]
	v_mad_co_u64_u32 v[0:1], null, v74, s30, s[34:35]
	v_mul_lo_u32 v76, v74, s31
	v_add_nc_u32_e32 v72, 59, v7
	v_or_b32_e32 v79, 8, v74
	v_or_b32_e32 v82, 20, v74
	v_add3_u32 v81, v77, v81, v75
	v_or_b32_e32 v75, 12, v74
	v_and_b32_e32 v78, 63, v72
	v_add_co_u32 v72, vcc_lo, s38, v11
	s_delay_alu instid0(VALU_DEP_1)
	v_add_co_ci_u32_e64 v73, null, s39, v12, vcc_lo
	v_add3_u32 v1, v77, v1, v76
	v_mad_co_u64_u32 v[11:12], null, v79, s30, s[34:35]
	v_mul_lo_u32 v76, v79, s31
	v_or_b32_e32 v79, 16, v74
	v_or_b32_e32 v83, 24, v74
	;; [unrolled: 1-line block ×3, first 2 shown]
	v_mad_co_u64_u32 v[84:85], null, v75, s30, s[34:35]
	v_mul_lo_u32 v75, v75, s31
	v_mad_co_u64_u32 v[88:89], null, v82, s30, s[34:35]
	v_mul_lo_u32 v82, v82, s31
	;; [unrolled: 2-line block ×5, first 2 shown]
	v_add3_u32 v12, v77, v12, v76
	v_add_co_u32 v80, vcc_lo, 0x200, v80
	v_add3_u32 v85, v77, v85, v75
	v_add3_u32 v89, v77, v89, v82
	s_wait_alu 0xfffd
	v_add_co_ci_u32_e64 v81, null, 0, v81, vcc_lo
	v_add_co_u32 v82, vcc_lo, 0x200, v11
	v_add3_u32 v87, v77, v87, v79
	v_add_nc_u32_e32 v15, 2, v7
	v_add_nc_u32_e32 v75, 60, v7
	v_add3_u32 v91, v77, v91, v83
	v_add_nc_u32_e32 v76, 61, v7
	v_add3_u32 v93, v77, v93, v74
	v_add_nc_u32_e32 v74, 62, v7
	v_add_nc_u32_e32 v7, -1, v7
	s_wait_alu 0xfffd
	v_add_co_ci_u32_e64 v83, null, 0, v12, vcc_lo
	v_add_co_u32 v84, vcc_lo, 0x200, v84
	s_wait_alu 0xfffd
	v_add_co_ci_u32_e64 v85, null, 0, v85, vcc_lo
	v_add_co_u32 v86, vcc_lo, 0x200, v86
	;; [unrolled: 3-line block ×3, first 2 shown]
	v_lshlrev_b32_e32 v8, 8, v8
	v_lshl_or_b32 v9, v9, 8, 0x700
	v_and_b32_e32 v15, 63, v15
	v_and_b32_e32 v75, 63, v75
	v_and_b32_e32 v76, 63, v76
	v_and_b32_e32 v77, 63, v74
	v_and_b32_e32 v7, 63, v7
	s_wait_alu 0xfffd
	v_add_co_ci_u32_e64 v89, null, 0, v89, vcc_lo
	v_add_co_u32 v90, vcc_lo, 0x200, v90
	s_wait_alu 0xfffd
	v_add_co_ci_u32_e64 v91, null, 0, v91, vcc_lo
	v_add_co_u32 v92, vcc_lo, 0x200, v92
	s_add_co_i32 s3, s3, s18
	s_mul_u64 s[18:19], s[30:31], s[36:37]
	v_lshlrev_b64_e32 v[5:6], 2, v[5:6]
	v_lshl_or_b32 v15, v15, 2, v10
	v_lshl_or_b32 v18, v18, 2, v10
	;; [unrolled: 1-line block ×14, first 2 shown]
	v_or_b32_e32 v79, v10, v13
	s_wait_alu 0xfffd
	v_add_co_ci_u32_e64 v93, null, 0, v93, vcc_lo
	v_or_b32_e32 v94, 0x100, v13
	v_add_nc_u32_e32 v95, v13, v8
	v_add_nc_u32_e32 v96, v13, v9
	s_ashr_i32 s23, s22, 31
	s_ashr_i32 s8, s3, 7
	s_lshl_b64 s[18:19], s[18:19], 2
	s_mov_b32 s3, 0
	s_lshl_b64 s[26:27], s[30:31], 2
	s_lshl_b64 s[30:31], s[20:21], 2
	s_add_nc_u64 s[18:19], s[34:35], s[18:19]
	s_lshl_b64 s[24:25], s[22:23], 9
	s_mov_b32 s9, s3
	s_lshl_b64 s[20:21], s[12:13], 2
	s_wait_alu 0xfffe
	s_add_nc_u64 s[14:15], s[14:15], s[30:31]
	s_lshl_b64 s[16:17], s[16:17], 2
	s_branch .LBB42_4
.LBB42_2:                               ;   in Loop: Header=BB42_4 Depth=1
	s_wait_alu 0xfffe
	s_or_b32 exec_lo, exec_lo, s1
.LBB42_3:                               ;   in Loop: Header=BB42_4 Depth=1
	s_add_co_i32 s2, s2, 0x10000
	s_delay_alu instid0(SALU_CYCLE_1)
	s_cmp_lt_u32 s2, s33
	s_cbranch_scc0 .LBB42_15
.LBB42_4:                               ; =>This Loop Header: Depth=1
                                        ;     Child Loop BB42_8 Depth 2
	s_mul_u64 s[30:31], s[6:7], s[2:3]
	s_wait_alu 0xfffe
	s_lshl_b64 s[30:31], s[30:31], 2
	s_wait_alu 0xfffe
	s_add_nc_u64 s[30:31], s[4:5], s[30:31]
	global_load_b32 v97, v2, s[30:31]
	s_wait_loadcnt 0x0
	v_cmp_eq_f32_e32 vcc_lo, 0, v97
	s_cbranch_vccnz .LBB42_3
; %bb.5:                                ;   in Loop: Header=BB42_4 Depth=1
	s_load_b32 s34, s[10:11], 0x4
	s_mov_b32 s31, s3
	s_wait_kmcnt 0x0
	s_cvt_f32_u32 s1, s34
	s_sub_co_i32 s30, 0, s34
	s_wait_alu 0xfffe
	s_delay_alu instid0(SALU_CYCLE_1) | instskip(NEXT) | instid1(TRANS32_DEP_1)
	v_rcp_iflag_f32_e32 v7, s1
	v_readfirstlane_b32 s1, v7
	s_mul_f32 s1, s1, 0x4f7ffffe
	s_wait_alu 0xfffe
	s_delay_alu instid0(SALU_CYCLE_2) | instskip(SKIP_1) | instid1(SALU_CYCLE_2)
	s_cvt_u32_f32 s1, s1
	s_wait_alu 0xfffe
	s_mul_i32 s30, s30, s1
	s_wait_alu 0xfffe
	s_mul_hi_u32 s30, s1, s30
	s_wait_alu 0xfffe
	s_add_co_i32 s30, s1, s30
	s_wait_alu 0xfffe
	s_mul_u64 s[30:31], s[8:9], s[30:31]
	s_wait_alu 0xfffe
	s_mul_i32 s1, s31, s34
	s_add_co_i32 s30, s31, 1
	s_wait_alu 0xfffe
	s_sub_co_i32 s1, s8, s1
	s_wait_alu 0xfffe
	s_sub_co_i32 s35, s1, s34
	s_cmp_ge_u32 s1, s34
	s_cselect_b32 s30, s30, s31
	s_wait_alu 0xfffe
	s_cselect_b32 s1, s35, s1
	s_add_co_i32 s31, s30, 1
	s_wait_alu 0xfffe
	s_cmp_ge_u32 s1, s34
	s_cselect_b32 s1, s31, s30
	s_wait_alu 0xfffe
	s_mul_i32 s30, s1, s34
	s_wait_alu 0xfffe
	s_sub_co_i32 s30, s8, s30
	s_wait_alu 0xfffe
	s_cmp_lt_u32 s40, s30
	s_cselect_b32 s31, -1, 0
	s_wait_alu 0xfffe
	s_cmp_lg_u32 s31, 0
	s_add_co_ci_u32 s34, s1, 0
	s_wait_alu 0xfffe
	s_cmp_eq_u32 s34, 0
	s_cbranch_scc1 .LBB42_3
; %bb.6:                                ;   in Loop: Header=BB42_4 Depth=1
	s_cmp_lt_i32 s34, 1
	s_cbranch_scc1 .LBB42_12
; %bb.7:                                ;   in Loop: Header=BB42_4 Depth=1
	v_cvt_f64_u32_e32 v[7:8], s30
	s_mul_i32 s1, s1, s40
	s_mul_u64 s[30:31], s[12:13], s[2:3]
	s_wait_alu 0xfffe
	v_cvt_f64_u32_e32 v[9:10], s1
	s_lshl_b64 s[30:31], s[30:31], 2
	v_dual_mov_b32 v108, 0 :: v_dual_mov_b32 v117, 0
	s_wait_alu 0xfffe
	s_add_nc_u64 s[30:31], s[18:19], s[30:31]
	v_dual_mov_b32 v115, 0 :: v_dual_mov_b32 v116, 0
	v_dual_mov_b32 v113, 0 :: v_dual_mov_b32 v114, 0
	s_mul_u64 s[38:39], s[16:17], s[2:3]
	s_add_co_i32 s35, s34, -1
	v_min_num_f64_e32 v[7:8], v[3:4], v[7:8]
	s_delay_alu instid0(VALU_DEP_1) | instskip(NEXT) | instid1(VALU_DEP_1)
	v_add_f64_e32 v[7:8], v[7:8], v[9:10]
	v_cvt_i32_f64_e32 v7, v[7:8]
	s_delay_alu instid0(VALU_DEP_1)
	v_readfirstlane_b32 s1, v7
	s_lshl_b32 s36, s1, 7
	s_wait_alu 0xfffe
	s_ashr_i32 s37, s36, 31
	s_wait_alu 0xfffe
	s_lshl_b64 s[36:37], s[36:37], 2
	s_wait_alu 0xfffe
	s_add_nc_u64 s[30:31], s[30:31], s[36:37]
	s_mul_i32 s1, s22, s37
	s_wait_alu 0xfffe
	v_add_co_u32 v7, vcc_lo, s30, v5
	s_wait_alu 0xfffd
	v_add_co_ci_u32_e64 v8, null, s31, v6, vcc_lo
	s_mul_u64 s[30:31], s[20:21], s[2:3]
	v_add_co_u32 v9, vcc_lo, v7, s26
	s_wait_alu 0xfffd
	v_add_co_ci_u32_e64 v10, null, s27, v8, vcc_lo
	s_wait_alu 0xfffe
	s_add_nc_u64 s[30:31], s[30:31], s[36:37]
	v_add_co_u32 v11, vcc_lo, v9, s26
	s_wait_alu 0xfffd
	v_add_co_ci_u32_e64 v12, null, s27, v10, vcc_lo
	s_delay_alu instid0(VALU_DEP_2) | instskip(SKIP_1) | instid1(VALU_DEP_2)
	v_add_co_u32 v98, vcc_lo, v11, s26
	s_wait_alu 0xfffd
	v_add_co_ci_u32_e64 v99, null, s27, v12, vcc_lo
	s_delay_alu instid0(VALU_DEP_2) | instskip(SKIP_1) | instid1(VALU_DEP_2)
	;; [unrolled: 4-line block ×5, first 2 shown]
	v_add_co_u32 v106, vcc_lo, v104, s26
	s_wait_alu 0xfffd
	v_add_co_ci_u32_e64 v107, null, s27, v105, vcc_lo
	s_clause 0x5
	global_load_b32 v122, v[7:8], off
	global_load_b32 v123, v[9:10], off
	;; [unrolled: 1-line block ×8, first 2 shown]
	s_wait_alu 0xfffe
	v_add_co_u32 v98, vcc_lo, v0, s30
	s_wait_alu 0xfffd
	v_add_co_ci_u32_e64 v99, null, s31, v1, vcc_lo
	v_add_co_u32 v100, vcc_lo, v80, s30
	v_or_b32_e32 v7, s36, v13
	v_or_b32_e32 v9, s36, v94
	s_wait_alu 0xfffd
	v_add_co_ci_u32_e64 v101, null, s31, v81, vcc_lo
	v_add_co_u32 v102, vcc_lo, v82, s30
	s_wait_alu 0xfffd
	v_add_co_ci_u32_e64 v103, null, s31, v83, vcc_lo
	v_add_co_u32 v104, vcc_lo, v84, s30
	;; [unrolled: 3-line block ×3, first 2 shown]
	v_mul_lo_u32 v11, s23, v7
	v_mad_co_u64_u32 v[7:8], null, s22, v7, 0
	v_mul_lo_u32 v12, s23, v9
	v_mad_co_u64_u32 v[9:10], null, s22, v9, 0
	s_wait_alu 0xfffd
	v_add_co_ci_u32_e64 v107, null, s31, v87, vcc_lo
	v_add_co_u32 v110, vcc_lo, v88, s30
	s_wait_alu 0xfffd
	v_add_co_ci_u32_e64 v112, null, s31, v89, vcc_lo
	v_add_co_u32 v118, vcc_lo, v90, s30
	s_wait_alu 0xfffd
	v_add_co_ci_u32_e64 v119, null, s31, v91, vcc_lo
	v_add_co_u32 v120, vcc_lo, v92, s30
	s_wait_alu 0xfffd
	v_add_co_ci_u32_e64 v121, null, s31, v93, vcc_lo
	v_add3_u32 v8, v8, s1, v11
	v_add3_u32 v10, v10, s1, v12
	v_mov_b32_e32 v111, 0
	v_mov_b32_e32 v109, 0
	s_add_nc_u64 s[30:31], s[14:15], s[38:39]
	s_mov_b32 s36, 0
	s_wait_loadcnt 0x6
	v_dual_mov_b32 v130, v122 :: v_dual_mov_b32 v131, v123
	s_wait_loadcnt 0x4
	v_dual_mov_b32 v132, v124 :: v_dual_mov_b32 v133, v125
	;; [unrolled: 2-line block ×4, first 2 shown]
.LBB42_8:                               ;   Parent Loop BB42_4 Depth=1
                                        ; =>  This Inner Loop Header: Depth=2
	v_add_co_u32 v11, vcc_lo, v98, v13
	s_wait_alu 0xfffd
	v_add_co_ci_u32_e64 v12, null, 0, v99, vcc_lo
	s_wait_alu 0xfffe
	s_cmp_lg_u32 s35, s36
	v_add_co_u32 v138, vcc_lo, 0x100, v11
	s_wait_alu 0xfffd
	v_add_co_ci_u32_e64 v140, null, 0, v12, vcc_lo
	s_delay_alu instid0(VALU_DEP_2) | instskip(SKIP_1) | instid1(VALU_DEP_2)
	v_add_co_u32 v139, vcc_lo, v138, s26
	s_wait_alu 0xfffd
	v_add_co_ci_u32_e64 v140, null, s27, v140, vcc_lo
	global_load_b32 v138, v[11:12], off offset:256
	v_add_co_u32 v141, vcc_lo, v139, s26
	s_wait_alu 0xfffd
	v_add_co_ci_u32_e64 v142, null, s27, v140, vcc_lo
	v_add_co_u32 v146, vcc_lo, s30, v7
	s_delay_alu instid0(VALU_DEP_3) | instskip(SKIP_1) | instid1(VALU_DEP_3)
	v_add_co_u32 v143, s1, v141, s26
	s_wait_alu 0xf1ff
	v_add_co_ci_u32_e64 v144, null, s27, v142, s1
	s_wait_alu 0xfffd
	v_add_co_ci_u32_e64 v147, null, s31, v8, vcc_lo
	v_add_co_u32 v148, vcc_lo, v143, s26
	s_wait_alu 0xfffd
	v_add_co_ci_u32_e64 v149, null, s27, v144, vcc_lo
	global_load_b32 v139, v[139:140], off
	v_add_co_u32 v150, vcc_lo, v148, s26
	s_wait_alu 0xfffd
	v_add_co_ci_u32_e64 v151, null, s27, v149, vcc_lo
	global_load_b32 v140, v[141:142], off
	v_add_co_u32 v152, vcc_lo, v150, s26
	s_wait_alu 0xfffd
	v_add_co_ci_u32_e64 v153, null, s27, v151, vcc_lo
	s_delay_alu instid0(VALU_DEP_2) | instskip(SKIP_1) | instid1(VALU_DEP_2)
	v_add_co_u32 v154, vcc_lo, v152, s26
	s_wait_alu 0xfffd
	v_add_co_ci_u32_e64 v155, null, s27, v153, vcc_lo
	s_clause 0x4
	global_load_b32 v141, v[143:144], off
	global_load_b32 v142, v[148:149], off
	;; [unrolled: 1-line block ×6, first 2 shown]
	s_cbranch_scc0 .LBB42_10
; %bb.9:                                ;   in Loop: Header=BB42_8 Depth=2
	v_add_co_u32 v131, vcc_lo, v100, v13
	s_wait_alu 0xfffd
	v_add_co_ci_u32_e64 v132, null, 0, v101, vcc_lo
	v_add_co_u32 v133, vcc_lo, v102, v13
	s_wait_alu 0xfffd
	v_add_co_ci_u32_e64 v134, null, 0, v103, vcc_lo
	global_load_b32 v130, v[11:12], off offset:512
	global_load_b32 v131, v[131:132], off
	global_load_b32 v132, v[133:134], off
	v_add_co_u32 v11, vcc_lo, v104, v13
	s_wait_alu 0xfffd
	v_add_co_ci_u32_e64 v12, null, 0, v105, vcc_lo
	v_add_co_u32 v134, vcc_lo, v106, v13
	s_wait_alu 0xfffd
	v_add_co_ci_u32_e64 v135, null, 0, v107, vcc_lo
	;; [unrolled: 3-line block ×5, first 2 shown]
	global_load_b32 v133, v[11:12], off
	global_load_b32 v134, v[134:135], off
	;; [unrolled: 1-line block ×5, first 2 shown]
.LBB42_10:                              ;   in Loop: Header=BB42_8 Depth=2
	v_add_co_u32 v11, vcc_lo, s30, v9
	s_wait_alu 0xfffd
	v_add_co_ci_u32_e64 v12, null, s31, v10, vcc_lo
	v_add_co_u32 v98, vcc_lo, 0x200, v98
	s_wait_alu 0xfffd
	v_add_co_ci_u32_e64 v99, null, 0, v99, vcc_lo
	global_load_b32 v11, v[11:12], off
	v_add_co_u32 v100, vcc_lo, 0x200, v100
	s_wait_alu 0xfffd
	v_add_co_ci_u32_e64 v101, null, 0, v101, vcc_lo
	v_add_co_u32 v102, vcc_lo, 0x200, v102
	s_wait_alu 0xfffd
	v_add_co_ci_u32_e64 v103, null, 0, v103, vcc_lo
	v_add_co_u32 v104, vcc_lo, 0x200, v104
	s_wait_alu 0xfffd
	v_add_co_ci_u32_e64 v105, null, 0, v105, vcc_lo
	v_add_co_u32 v106, vcc_lo, 0x200, v106
	s_wait_alu 0xfffd
	v_add_co_ci_u32_e64 v107, null, 0, v107, vcc_lo
	v_add_co_u32 v110, vcc_lo, 0x200, v110
	s_wait_loadcnt 0x1
	v_fmac_f32_e32 v117, v123, v146
	v_fmac_f32_e32 v108, v122, v146
	;; [unrolled: 1-line block ×8, first 2 shown]
	s_wait_alu 0xfffd
	v_add_co_ci_u32_e64 v112, null, 0, v112, vcc_lo
	v_add_co_u32 v118, vcc_lo, 0x200, v118
	s_wait_alu 0xfffd
	v_add_co_ci_u32_e64 v119, null, 0, v119, vcc_lo
	v_add_co_u32 v120, vcc_lo, 0x200, v120
	s_wait_alu 0xfffd
	v_add_co_ci_u32_e64 v121, null, 0, v121, vcc_lo
	s_add_co_i32 s36, s36, 1
	s_add_nc_u64 s[30:31], s[30:31], s[24:25]
	s_wait_alu 0xfffe
	s_cmp_ge_i32 s36, s34
	s_wait_loadcnt 0x0
	v_fmac_f32_e32 v117, v139, v11
	v_fmac_f32_e32 v108, v138, v11
	;; [unrolled: 1-line block ×8, first 2 shown]
	s_cbranch_scc1 .LBB42_13
; %bb.11:                               ;   in Loop: Header=BB42_8 Depth=2
	v_dual_mov_b32 v122, v130 :: v_dual_mov_b32 v123, v131
	v_dual_mov_b32 v124, v132 :: v_dual_mov_b32 v125, v133
	;; [unrolled: 1-line block ×4, first 2 shown]
	s_branch .LBB42_8
.LBB42_12:                              ;   in Loop: Header=BB42_4 Depth=1
	v_dual_mov_b32 v109, 0 :: v_dual_mov_b32 v114, 0
	v_dual_mov_b32 v111, 0 :: v_dual_mov_b32 v116, 0
	v_dual_mov_b32 v113, 0 :: v_dual_mov_b32 v108, 0
	v_mov_b32_e32 v115, 0
	v_mov_b32_e32 v117, 0
.LBB42_13:                              ;   in Loop: Header=BB42_4 Depth=1
	ds_store_2addr_stride64_b32 v95, v108, v117 offset1:1
	ds_store_2addr_stride64_b32 v95, v115, v116 offset0:2 offset1:3
	ds_store_2addr_stride64_b32 v95, v113, v114 offset0:4 offset1:5
	ds_store_b32 v95, v111 offset:1536
	ds_store_b32 v96, v109
	s_wait_dscnt 0x0
	s_barrier_signal -1
	s_barrier_wait -1
	global_inv scope:SCOPE_SE
	s_and_saveexec_b32 s1, s0
	s_cbranch_execz .LBB42_2
; %bb.14:                               ;   in Loop: Header=BB42_4 Depth=1
	ds_load_b32 v7, v79
	ds_load_b32 v8, v14
	;; [unrolled: 1-line block ×8, first 2 shown]
	s_mul_u64 s[30:31], s[28:29], s[2:3]
	s_wait_alu 0xfffe
	s_lshl_b64 s[30:31], s[30:31], 2
	s_wait_dscnt 0x7
	v_add_f32_e32 v7, 0, v7
	s_wait_dscnt 0x6
	s_delay_alu instid0(VALU_DEP_1)
	v_add_f32_e32 v7, v7, v8
	ds_load_b32 v8, v21
	s_wait_dscnt 0x6
	v_add_f32_e32 v7, v7, v9
	ds_load_b32 v9, v22
	s_wait_dscnt 0x6
	v_add_f32_e32 v7, v7, v10
	ds_load_b32 v10, v23
	s_wait_dscnt 0x6
	v_add_f32_e32 v7, v7, v11
	s_wait_dscnt 0x5
	s_delay_alu instid0(VALU_DEP_1) | instskip(SKIP_1) | instid1(VALU_DEP_1)
	v_add_f32_e32 v7, v7, v12
	s_wait_dscnt 0x4
	v_add_f32_e32 v7, v7, v98
	s_wait_dscnt 0x3
	s_delay_alu instid0(VALU_DEP_1)
	v_add_f32_e32 v7, v7, v99
	ds_load_b32 v11, v24
	ds_load_b32 v12, v25
	ds_load_b32 v98, v26
	ds_load_b32 v99, v27
	ds_load_b32 v100, v28
	s_wait_dscnt 0x7
	v_add_f32_e32 v7, v7, v8
	ds_load_b32 v8, v29
	s_wait_dscnt 0x7
	v_add_f32_e32 v7, v7, v9
	ds_load_b32 v9, v30
	s_wait_dscnt 0x7
	v_add_f32_e32 v7, v7, v10
	ds_load_b32 v10, v31
	s_wait_dscnt 0x7
	v_add_f32_e32 v7, v7, v11
	s_wait_dscnt 0x6
	s_delay_alu instid0(VALU_DEP_1) | instskip(SKIP_1) | instid1(VALU_DEP_1)
	v_add_f32_e32 v7, v7, v12
	s_wait_dscnt 0x5
	v_add_f32_e32 v7, v7, v98
	s_wait_dscnt 0x4
	s_delay_alu instid0(VALU_DEP_1) | instskip(SKIP_1) | instid1(VALU_DEP_1)
	v_add_f32_e32 v7, v7, v99
	s_wait_dscnt 0x3
	v_add_f32_e32 v7, v7, v100
	ds_load_b32 v11, v32
	ds_load_b32 v12, v33
	ds_load_b32 v98, v34
	ds_load_b32 v99, v35
	ds_load_b32 v100, v36
	s_wait_dscnt 0x7
	v_add_f32_e32 v7, v7, v8
	ds_load_b32 v8, v37
	s_wait_dscnt 0x7
	v_add_f32_e32 v7, v7, v9
	ds_load_b32 v9, v38
	s_wait_dscnt 0x7
	v_add_f32_e32 v7, v7, v10
	ds_load_b32 v10, v39
	s_wait_dscnt 0x7
	v_add_f32_e32 v7, v7, v11
	s_wait_dscnt 0x6
	s_delay_alu instid0(VALU_DEP_1) | instskip(SKIP_1) | instid1(VALU_DEP_1)
	v_add_f32_e32 v7, v7, v12
	s_wait_dscnt 0x5
	v_add_f32_e32 v7, v7, v98
	s_wait_dscnt 0x4
	s_delay_alu instid0(VALU_DEP_1) | instskip(SKIP_1) | instid1(VALU_DEP_1)
	v_add_f32_e32 v7, v7, v99
	s_wait_dscnt 0x3
	;; [unrolled: 26-line block ×6, first 2 shown]
	v_add_f32_e32 v7, v7, v100
	ds_load_b32 v11, v74
	ds_load_b32 v12, v75
	;; [unrolled: 1-line block ×5, first 2 shown]
	s_wait_dscnt 0x7
	v_add_f32_e32 v7, v7, v8
	s_wait_dscnt 0x6
	s_delay_alu instid0(VALU_DEP_1) | instskip(SKIP_1) | instid1(VALU_DEP_1)
	v_add_f32_e32 v7, v7, v9
	s_wait_dscnt 0x5
	v_add_f32_e32 v7, v7, v10
	s_wait_dscnt 0x4
	s_delay_alu instid0(VALU_DEP_1) | instskip(SKIP_1) | instid1(VALU_DEP_1)
	v_add_f32_e32 v7, v7, v11
	;; [unrolled: 5-line block ×3, first 2 shown]
	s_wait_dscnt 0x1
	v_add_f32_e32 v7, v7, v99
	s_wait_dscnt 0x0
	s_delay_alu instid0(VALU_DEP_1)
	v_add_f32_e32 v9, v7, v100
	s_wait_alu 0xfffe
	v_add_co_u32 v7, vcc_lo, v72, s30
	s_wait_alu 0xfffd
	v_add_co_ci_u32_e64 v8, null, s31, v73, vcc_lo
	v_mul_f32_e32 v9, v97, v9
	global_atomic_add_f32 v[7:8], v9, off scope:SCOPE_DEV
	s_branch .LBB42_2
.LBB42_15:
	s_nop 0
	s_sendmsg sendmsg(MSG_DEALLOC_VGPRS)
	s_endpgm
	.section	.rodata,"a",@progbits
	.p2align	6, 0x0
	.amdhsa_kernel _ZL36rocblas_gemvt_double_buffered_kernelILb1ELi128ELi8ELi8EfPKffEviiT4_lPKT3_lilS5_lilPT5_lili
		.amdhsa_group_segment_fixed_size 32768
		.amdhsa_private_segment_fixed_size 0
		.amdhsa_kernarg_size 384
		.amdhsa_user_sgpr_count 2
		.amdhsa_user_sgpr_dispatch_ptr 0
		.amdhsa_user_sgpr_queue_ptr 0
		.amdhsa_user_sgpr_kernarg_segment_ptr 1
		.amdhsa_user_sgpr_dispatch_id 0
		.amdhsa_user_sgpr_private_segment_size 0
		.amdhsa_wavefront_size32 1
		.amdhsa_uses_dynamic_stack 0
		.amdhsa_enable_private_segment 0
		.amdhsa_system_sgpr_workgroup_id_x 1
		.amdhsa_system_sgpr_workgroup_id_y 1
		.amdhsa_system_sgpr_workgroup_id_z 1
		.amdhsa_system_sgpr_workgroup_info 0
		.amdhsa_system_vgpr_workitem_id 1
		.amdhsa_next_free_vgpr 156
		.amdhsa_next_free_sgpr 41
		.amdhsa_reserve_vcc 1
		.amdhsa_float_round_mode_32 0
		.amdhsa_float_round_mode_16_64 0
		.amdhsa_float_denorm_mode_32 3
		.amdhsa_float_denorm_mode_16_64 3
		.amdhsa_fp16_overflow 0
		.amdhsa_workgroup_processor_mode 1
		.amdhsa_memory_ordered 1
		.amdhsa_forward_progress 1
		.amdhsa_inst_pref_size 40
		.amdhsa_round_robin_scheduling 0
		.amdhsa_exception_fp_ieee_invalid_op 0
		.amdhsa_exception_fp_denorm_src 0
		.amdhsa_exception_fp_ieee_div_zero 0
		.amdhsa_exception_fp_ieee_overflow 0
		.amdhsa_exception_fp_ieee_underflow 0
		.amdhsa_exception_fp_ieee_inexact 0
		.amdhsa_exception_int_div_zero 0
	.end_amdhsa_kernel
	.section	.text._ZL36rocblas_gemvt_double_buffered_kernelILb1ELi128ELi8ELi8EfPKffEviiT4_lPKT3_lilS5_lilPT5_lili,"axG",@progbits,_ZL36rocblas_gemvt_double_buffered_kernelILb1ELi128ELi8ELi8EfPKffEviiT4_lPKT3_lilS5_lilPT5_lili,comdat
.Lfunc_end42:
	.size	_ZL36rocblas_gemvt_double_buffered_kernelILb1ELi128ELi8ELi8EfPKffEviiT4_lPKT3_lilS5_lilPT5_lili, .Lfunc_end42-_ZL36rocblas_gemvt_double_buffered_kernelILb1ELi128ELi8ELi8EfPKffEviiT4_lPKT3_lilS5_lilPT5_lili
                                        ; -- End function
	.set _ZL36rocblas_gemvt_double_buffered_kernelILb1ELi128ELi8ELi8EfPKffEviiT4_lPKT3_lilS5_lilPT5_lili.num_vgpr, 156
	.set _ZL36rocblas_gemvt_double_buffered_kernelILb1ELi128ELi8ELi8EfPKffEviiT4_lPKT3_lilS5_lilPT5_lili.num_agpr, 0
	.set _ZL36rocblas_gemvt_double_buffered_kernelILb1ELi128ELi8ELi8EfPKffEviiT4_lPKT3_lilS5_lilPT5_lili.numbered_sgpr, 41
	.set _ZL36rocblas_gemvt_double_buffered_kernelILb1ELi128ELi8ELi8EfPKffEviiT4_lPKT3_lilS5_lilPT5_lili.num_named_barrier, 0
	.set _ZL36rocblas_gemvt_double_buffered_kernelILb1ELi128ELi8ELi8EfPKffEviiT4_lPKT3_lilS5_lilPT5_lili.private_seg_size, 0
	.set _ZL36rocblas_gemvt_double_buffered_kernelILb1ELi128ELi8ELi8EfPKffEviiT4_lPKT3_lilS5_lilPT5_lili.uses_vcc, 1
	.set _ZL36rocblas_gemvt_double_buffered_kernelILb1ELi128ELi8ELi8EfPKffEviiT4_lPKT3_lilS5_lilPT5_lili.uses_flat_scratch, 0
	.set _ZL36rocblas_gemvt_double_buffered_kernelILb1ELi128ELi8ELi8EfPKffEviiT4_lPKT3_lilS5_lilPT5_lili.has_dyn_sized_stack, 0
	.set _ZL36rocblas_gemvt_double_buffered_kernelILb1ELi128ELi8ELi8EfPKffEviiT4_lPKT3_lilS5_lilPT5_lili.has_recursion, 0
	.set _ZL36rocblas_gemvt_double_buffered_kernelILb1ELi128ELi8ELi8EfPKffEviiT4_lPKT3_lilS5_lilPT5_lili.has_indirect_call, 0
	.section	.AMDGPU.csdata,"",@progbits
; Kernel info:
; codeLenInByte = 5012
; TotalNumSgprs: 43
; NumVgprs: 156
; ScratchSize: 0
; MemoryBound: 0
; FloatMode: 240
; IeeeMode: 1
; LDSByteSize: 32768 bytes/workgroup (compile time only)
; SGPRBlocks: 0
; VGPRBlocks: 19
; NumSGPRsForWavesPerEU: 43
; NumVGPRsForWavesPerEU: 156
; Occupancy: 9
; WaveLimiterHint : 0
; COMPUTE_PGM_RSRC2:SCRATCH_EN: 0
; COMPUTE_PGM_RSRC2:USER_SGPR: 2
; COMPUTE_PGM_RSRC2:TRAP_HANDLER: 0
; COMPUTE_PGM_RSRC2:TGID_X_EN: 1
; COMPUTE_PGM_RSRC2:TGID_Y_EN: 1
; COMPUTE_PGM_RSRC2:TGID_Z_EN: 1
; COMPUTE_PGM_RSRC2:TIDIG_COMP_CNT: 1
	.section	.text._ZL36rocblas_gemvt_double_buffered_kernelILb1ELi128ELi8ELi8EfffEviiT4_lPKT3_lilS3_lilPT5_lili,"axG",@progbits,_ZL36rocblas_gemvt_double_buffered_kernelILb1ELi128ELi8ELi8EfffEviiT4_lPKT3_lilS3_lilPT5_lili,comdat
	.globl	_ZL36rocblas_gemvt_double_buffered_kernelILb1ELi128ELi8ELi8EfffEviiT4_lPKT3_lilS3_lilPT5_lili ; -- Begin function _ZL36rocblas_gemvt_double_buffered_kernelILb1ELi128ELi8ELi8EfffEviiT4_lPKT3_lilS3_lilPT5_lili
	.p2align	8
	.type	_ZL36rocblas_gemvt_double_buffered_kernelILb1ELi128ELi8ELi8EfffEviiT4_lPKT3_lilS3_lilPT5_lili,@function
_ZL36rocblas_gemvt_double_buffered_kernelILb1ELi128ELi8ELi8EfffEviiT4_lPKT3_lilS3_lilPT5_lili: ; @_ZL36rocblas_gemvt_double_buffered_kernelILb1ELi128ELi8ELi8EfffEviiT4_lPKT3_lilS3_lilPT5_lili
; %bb.0:
	s_load_b32 s33, s[0:1], 0x78
	s_lshr_b32 s2, ttmp7, 16
	s_wait_kmcnt 0x0
	s_cmp_ge_u32 s2, s33
	s_cbranch_scc1 .LBB43_15
; %bb.1:
	v_dual_mov_b32 v1, 0 :: v_dual_and_b32 v8, 0x3ff, v0
	v_bfe_u32 v9, v0, 10, 10
	s_clause 0x6
	s_load_b32 s26, s[0:1], 0x28
	s_load_b96 s[16:18], s[0:1], 0x40
	s_load_b96 s[20:22], s[0:1], 0x60
	s_load_b128 s[12:15], s[0:1], 0x18
	s_load_b32 s36, s[0:1], 0x8
	s_load_b128 s[8:11], s[0:1], 0x50
	s_load_b32 s23, s[0:1], 0x0
	v_and_b32_e32 v0, 63, v0
	v_add_nc_u32_e32 v11, 1, v8
	v_lshlrev_b32_e32 v76, 8, v8
	v_lshl_add_u32 v10, v9, 7, v8
	v_add_nc_u32_e32 v15, 5, v8
	s_clause 0x1
	s_load_b128 s[4:7], s[0:1], 0x30
	s_load_b64 s[24:25], s[0:1], 0x70
	v_add_nc_u32_e32 v16, 6, v8
	v_add_nc_u32_e32 v20, 10, v8
	v_lshrrev_b32_e32 v7, 3, v10
	v_and_b32_e32 v18, 63, v15
	v_add_nc_u32_e32 v21, 11, v8
	v_and_b32_e32 v19, 63, v16
	v_and_b32_e32 v23, 63, v20
	;; [unrolled: 1-line block ×3, first 2 shown]
	s_wait_kmcnt 0x0
	s_ashr_i32 s27, s26, 31
	s_ashr_i32 s19, s18, 31
	;; [unrolled: 1-line block ×3, first 2 shown]
	s_lshl_b64 s[20:21], s[20:21], 2
	v_mad_co_i64_i32 v[4:5], null, s26, v6, v[0:1]
	v_and_b32_e32 v1, 63, v11
	s_lshl_b64 s[14:15], s[14:15], 2
	s_cmp_neq_f32 s36, 0
	v_add_nc_u32_e32 v11, 4, v8
	s_add_nc_u64 s[28:29], s[12:13], s[14:15]
	v_lshl_or_b32 v14, v1, 2, v76
	v_add_nc_u32_e32 v1, 2, v8
	s_cselect_b32 s37, -1, 0
	s_lshl_b32 s34, ttmp9, 7
	v_and_b32_e32 v11, 63, v11
	s_ashr_i32 s35, s34, 31
	v_and_b32_e32 v1, 63, v1
	s_mul_u64 s[14:15], s[26:27], s[34:35]
	s_add_nc_u64 s[12:13], s[0:1], 0x80
	s_lshl_b64 s[0:1], s[14:15], 2
	v_lshl_or_b32 v17, v11, 2, v76
	s_add_nc_u64 s[14:15], s[28:29], s[0:1]
	v_cmp_eq_u32_e64 s0, 0, v9
	v_add_nc_u32_e32 v9, 3, v8
	v_lshl_or_b32 v15, v1, 2, v76
	v_add_nc_u32_e32 v1, 7, v8
	v_add_nc_u32_e32 v11, 9, v8
	;; [unrolled: 1-line block ×3, first 2 shown]
	v_and_b32_e32 v9, 63, v9
	v_and_b32_e32 v24, 63, v21
	;; [unrolled: 1-line block ×5, first 2 shown]
	v_lshl_or_b32 v16, v9, 2, v76
	v_add_nc_u32_e32 v9, 8, v8
	v_lshl_or_b32 v20, v1, 2, v76
	v_lshl_or_b32 v22, v11, 2, v76
	v_add_nc_u32_e32 v1, 12, v8
	v_add_nc_u32_e32 v11, 14, v8
	v_and_b32_e32 v9, 63, v9
	v_add_nc_u32_e32 v26, 16, v8
	v_add_nc_u32_e32 v30, 20, v8
	v_and_b32_e32 v1, 63, v1
	v_and_b32_e32 v11, 63, v11
	v_lshl_or_b32 v21, v9, 2, v76
	v_add_nc_u32_e32 v9, 13, v8
	v_and_b32_e32 v29, 63, v26
	v_lshl_or_b32 v25, v1, 2, v76
	v_lshl_or_b32 v27, v11, 2, v76
	v_add_nc_u32_e32 v1, 17, v8
	v_add_nc_u32_e32 v11, 19, v8
	v_and_b32_e32 v9, 63, v9
	v_and_b32_e32 v33, 63, v30
	v_add_nc_u32_e32 v31, 21, v8
	v_and_b32_e32 v1, 63, v1
	v_and_b32_e32 v11, 63, v11
	v_lshl_or_b32 v26, v9, 2, v76
	v_add_nc_u32_e32 v9, 18, v8
	v_add_nc_u32_e32 v35, 25, v8
	v_lshl_or_b32 v30, v1, 2, v76
	v_lshl_or_b32 v32, v11, 2, v76
	v_add_nc_u32_e32 v1, 22, v8
	v_add_nc_u32_e32 v11, 24, v8
	v_and_b32_e32 v9, 63, v9
	v_and_b32_e32 v34, 63, v31
	;; [unrolled: 1-line block ×5, first 2 shown]
	v_lshl_or_b32 v31, v9, 2, v76
	v_add_nc_u32_e32 v9, 23, v8
	v_add_nc_u32_e32 v36, 26, v8
	v_lshl_or_b32 v35, v1, 2, v76
	v_lshl_or_b32 v37, v11, 2, v76
	v_add_nc_u32_e32 v1, 27, v8
	v_add_nc_u32_e32 v11, 29, v8
	v_and_b32_e32 v9, 63, v9
	v_add_nc_u32_e32 v40, 30, v8
	v_lshlrev_b32_e32 v12, 2, v0
	v_and_b32_e32 v1, 63, v1
	v_and_b32_e32 v11, 63, v11
	;; [unrolled: 1-line block ×3, first 2 shown]
	v_lshl_or_b32 v36, v9, 2, v76
	v_add_nc_u32_e32 v9, 28, v8
	v_and_b32_e32 v43, 63, v40
	v_lshl_or_b32 v40, v1, 2, v76
	v_lshl_or_b32 v42, v11, 2, v76
	v_add_nc_u32_e32 v1, 33, v8
	v_xor_b32_e32 v0, 32, v0
	v_add_nc_u32_e32 v11, 35, v8
	v_add_nc_u32_e32 v41, 31, v8
	v_and_b32_e32 v9, 63, v9
	v_add_nc_u32_e32 v46, 36, v8
	v_and_b32_e32 v1, 63, v1
	v_lshl_or_b32 v45, v0, 2, v76
	v_and_b32_e32 v0, 63, v11
	v_and_b32_e32 v44, 63, v41
	v_lshl_or_b32 v41, v9, 2, v76
	v_add_nc_u32_e32 v9, 34, v8
	v_and_b32_e32 v11, 63, v46
	v_lshl_or_b32 v46, v1, 2, v76
	v_add_nc_u32_e32 v1, 37, v8
	v_lshl_or_b32 v48, v0, 2, v76
	v_add_nc_u32_e32 v0, 38, v8
	v_and_b32_e32 v9, 63, v9
	v_lshl_or_b32 v49, v11, 2, v76
	v_and_b32_e32 v1, 63, v1
	v_add_nc_u32_e32 v11, 40, v8
	v_add_nc_u32_e32 v51, 41, v8
	v_and_b32_e32 v0, 63, v0
	v_lshl_or_b32 v47, v9, 2, v76
	v_add_nc_u32_e32 v9, 39, v8
	v_lshl_or_b32 v50, v1, 2, v76
	v_and_b32_e32 v1, 63, v11
	v_and_b32_e32 v11, 63, v51
	v_lshl_or_b32 v51, v0, 2, v76
	v_add_nc_u32_e32 v0, 42, v8
	v_and_b32_e32 v9, 63, v9
	v_lshl_or_b32 v53, v1, 2, v76
	v_lshl_or_b32 v54, v11, 2, v76
	v_add_nc_u32_e32 v1, 43, v8
	v_and_b32_e32 v0, 63, v0
	v_add_nc_u32_e32 v11, 45, v8
	v_lshl_or_b32 v52, v9, 2, v76
	v_add_nc_u32_e32 v9, 44, v8
	v_add_nc_u32_e32 v56, 46, v8
	v_and_b32_e32 v1, 63, v1
	v_lshl_or_b32 v55, v0, 2, v76
	v_and_b32_e32 v0, 63, v11
	v_and_b32_e32 v9, 63, v9
	;; [unrolled: 1-line block ×3, first 2 shown]
	v_lshl_or_b32 v56, v1, 2, v76
	v_add_nc_u32_e32 v1, 47, v8
	v_lshl_or_b32 v58, v0, 2, v76
	v_add_nc_u32_e32 v0, 48, v8
	v_lshl_or_b32 v57, v9, 2, v76
	v_lshl_or_b32 v59, v11, 2, v76
	v_add_nc_u32_e32 v9, 49, v8
	v_and_b32_e32 v1, 63, v1
	v_add_nc_u32_e32 v11, 50, v8
	v_add_nc_u32_e32 v61, 51, v8
	v_and_b32_e32 v0, 63, v0
	v_and_b32_e32 v9, 63, v9
	v_lshl_or_b32 v60, v1, 2, v76
	v_and_b32_e32 v1, 63, v11
	v_and_b32_e32 v11, 63, v61
	v_lshl_or_b32 v61, v0, 2, v76
	v_add_nc_u32_e32 v0, 52, v8
	v_lshl_or_b32 v62, v9, 2, v76
	v_lshl_or_b32 v63, v1, 2, v76
	;; [unrolled: 1-line block ×3, first 2 shown]
	v_add_nc_u32_e32 v1, 53, v8
	v_add_nc_u32_e32 v9, 54, v8
	v_and_b32_e32 v0, 63, v0
	v_add_nc_u32_e32 v11, 55, v8
	v_add_nc_u32_e32 v66, 56, v8
	v_and_b32_e32 v1, 63, v1
	v_and_b32_e32 v9, 63, v9
	v_lshl_or_b32 v65, v0, 2, v76
	v_and_b32_e32 v0, 63, v11
	s_and_b32 s38, ttmp7, 0xffff
	v_and_b32_e32 v11, 63, v66
	v_cvt_f64_i32_e32 v[2:3], s38
	v_lshl_or_b32 v66, v1, 2, v76
	v_lshl_or_b32 v67, v9, 2, v76
	v_add_nc_u32_e32 v1, 57, v8
	v_lshl_or_b32 v68, v0, 2, v76
	v_add_nc_u32_e32 v0, 58, v8
	v_add_nc_u32_e32 v9, 59, v8
	v_lshl_or_b32 v69, v11, 2, v76
	v_and_b32_e32 v1, 63, v1
	v_add_nc_u32_e32 v11, 60, v8
	v_add_nc_u32_e32 v71, 61, v8
	v_and_b32_e32 v0, 63, v0
	v_and_b32_e32 v9, 63, v9
	v_lshl_or_b32 v70, v1, 2, v76
	v_and_b32_e32 v1, 63, v11
	v_and_b32_e32 v11, 63, v71
	v_lshl_or_b32 v71, v0, 2, v76
	v_lshl_or_b32 v72, v9, 2, v76
	v_add_nc_u32_e32 v0, 62, v8
	v_lshrrev_b32_e32 v9, 1, v10
	s_add_nc_u64 s[20:21], s[10:11], s[20:21]
	s_ashr_i32 s10, s23, 31
	v_lshl_or_b32 v73, v1, 2, v76
	s_lshr_b32 s10, s10, 25
	v_lshl_or_b32 v74, v11, 2, v76
	v_add_nc_u32_e32 v10, -1, v8
	v_and_b32_e32 v11, 63, v0
	v_mad_co_i64_i32 v[0:1], null, s22, v8, 0
	v_and_b32_e32 v8, 0x1ffe0, v9
	s_add_co_i32 s23, s23, s10
	s_mov_b32 s30, s22
	s_wait_alu 0xfffe
	s_ashr_i32 s10, s23, 7
	s_lshl_b64 s[22:23], s[34:35], 2
	v_and_b32_e32 v9, 63, v10
	s_wait_alu 0xfffe
	v_add_co_u32 v83, s1, v8, s22
	s_delay_alu instid0(VALU_DEP_1)
	v_add_co_ci_u32_e64 v10, null, 0, s23, s1
	s_mul_u64 s[30:31], s[30:31], s[34:35]
	v_or_b32_e32 v77, 4, v83
	v_or_b32_e32 v13, v76, v12
	v_lshl_or_b32 v18, v18, 2, v76
	v_lshl_or_b32 v19, v19, 2, v76
	;; [unrolled: 1-line block ×14, first 2 shown]
	v_lshlrev_b64_e32 v[8:9], 2, v[0:1]
	s_lshl_b64 s[30:31], s[30:31], 2
	v_mul_lo_u32 v89, v10, s26
	v_mad_co_u64_u32 v[10:11], null, v77, s26, s[28:29]
	v_mul_lo_u32 v80, v77, s27
	v_or_b32_e32 v81, 8, v83
	s_add_nc_u64 s[30:31], s[20:21], s[30:31]
	v_mad_co_u64_u32 v[0:1], null, v83, s26, s[28:29]
	v_mul_lo_u32 v79, v83, s27
	v_add_co_u32 v77, vcc_lo, s30, v8
	s_delay_alu instid0(VALU_DEP_1)
	v_add_co_ci_u32_e64 v78, null, s31, v9, vcc_lo
	v_mad_co_u64_u32 v[8:9], null, v81, s26, s[28:29]
	v_mul_lo_u32 v81, v81, s27
	v_add3_u32 v11, v89, v11, v80
	v_or_b32_e32 v82, 12, v83
	v_max_num_f64_e32 v[2:3], v[2:3], v[2:3]
	v_add3_u32 v1, v89, v1, v79
	v_add_co_u32 v79, vcc_lo, 0x200, v10
	s_wait_alu 0xfffd
	v_add_co_ci_u32_e64 v80, null, 0, v11, vcc_lo
	v_add3_u32 v11, v89, v9, v81
	v_or_b32_e32 v81, 16, v83
	v_mad_co_u64_u32 v[9:10], null, v82, s26, s[28:29]
	v_mul_lo_u32 v84, v82, s27
	v_or_b32_e32 v82, 20, v83
	s_delay_alu instid0(VALU_DEP_4) | instskip(SKIP_2) | instid1(VALU_DEP_4)
	v_mad_co_u64_u32 v[85:86], null, v81, s26, s[28:29]
	v_mul_lo_u32 v90, v81, s27
	v_add_co_u32 v81, vcc_lo, 0x200, v8
	v_mad_co_u64_u32 v[87:88], null, v82, s26, s[28:29]
	v_mul_lo_u32 v91, v82, s27
	v_add3_u32 v8, v89, v10, v84
	v_or_b32_e32 v84, 24, v83
	v_or_b32_e32 v83, 28, v83
	s_wait_alu 0xfffd
	v_add_co_ci_u32_e64 v82, null, 0, v11, vcc_lo
	v_add3_u32 v86, v89, v86, v90
	v_mad_co_u64_u32 v[10:11], null, v84, s26, s[28:29]
	v_mul_lo_u32 v90, v84, s27
	v_add3_u32 v88, v89, v88, v91
	v_mad_co_u64_u32 v[91:92], null, v83, s26, s[28:29]
	v_mul_lo_u32 v93, v83, s27
	v_add_co_u32 v83, vcc_lo, 0x200, v9
	s_wait_alu 0xfffd
	v_add_co_ci_u32_e64 v84, null, 0, v8, vcc_lo
	v_add_co_u32 v85, vcc_lo, 0x200, v85
	v_add3_u32 v8, v89, v11, v90
	s_wait_alu 0xfffd
	v_add_co_ci_u32_e64 v86, null, 0, v86, vcc_lo
	v_add_co_u32 v87, vcc_lo, 0x200, v87
	v_lshlrev_b32_e32 v6, 8, v6
	v_lshl_or_b32 v7, v7, 8, 0x700
	v_add3_u32 v9, v89, v92, v93
	s_wait_alu 0xfffd
	v_add_co_ci_u32_e64 v88, null, 0, v88, vcc_lo
	v_add_co_u32 v89, vcc_lo, 0x200, v10
	s_wait_alu 0xfffd
	v_add_co_ci_u32_e64 v90, null, 0, v8, vcc_lo
	v_add_co_u32 v91, vcc_lo, 0x200, v91
	v_lshlrev_b64_e32 v[4:5], 2, v[4:5]
	s_wait_alu 0xfffd
	v_add_co_ci_u32_e64 v92, null, 0, v9, vcc_lo
	v_or_b32_e32 v93, 0x100, v12
	v_add_nc_u32_e32 v94, v12, v6
	v_add_nc_u32_e32 v95, v12, v7
	s_mov_b32 s3, 0
	s_lshl_b64 s[22:23], s[26:27], 2
	s_lshl_b64 s[26:27], s[16:17], 2
	s_lshl_b64 s[20:21], s[18:19], 9
	s_mov_b32 s11, s3
	s_lshl_b64 s[16:17], s[4:5], 2
	s_wait_alu 0xfffe
	s_add_nc_u64 s[6:7], s[6:7], s[26:27]
	s_lshl_b64 s[8:9], s[8:9], 2
	s_branch .LBB43_4
.LBB43_2:                               ;   in Loop: Header=BB43_4 Depth=1
	s_wait_alu 0xfffe
	s_or_b32 exec_lo, exec_lo, s1
.LBB43_3:                               ;   in Loop: Header=BB43_4 Depth=1
	s_add_co_i32 s2, s2, 0x10000
	s_delay_alu instid0(SALU_CYCLE_1)
	s_cmp_lt_u32 s2, s33
	s_cbranch_scc0 .LBB43_15
.LBB43_4:                               ; =>This Loop Header: Depth=1
                                        ;     Child Loop BB43_8 Depth 2
	s_and_not1_b32 vcc_lo, exec_lo, s37
	s_wait_alu 0xfffe
	s_cbranch_vccnz .LBB43_3
; %bb.5:                                ;   in Loop: Header=BB43_4 Depth=1
	s_load_b32 s28, s[12:13], 0x4
	s_mov_b32 s27, s3
	s_wait_kmcnt 0x0
	s_cvt_f32_u32 s1, s28
	s_sub_co_i32 s26, 0, s28
	s_wait_alu 0xfffe
	s_delay_alu instid0(SALU_CYCLE_1) | instskip(NEXT) | instid1(TRANS32_DEP_1)
	v_rcp_iflag_f32_e32 v6, s1
	v_readfirstlane_b32 s1, v6
	s_mul_f32 s1, s1, 0x4f7ffffe
	s_wait_alu 0xfffe
	s_delay_alu instid0(SALU_CYCLE_2) | instskip(SKIP_1) | instid1(SALU_CYCLE_2)
	s_cvt_u32_f32 s1, s1
	s_wait_alu 0xfffe
	s_mul_i32 s26, s26, s1
	s_wait_alu 0xfffe
	s_mul_hi_u32 s26, s1, s26
	s_wait_alu 0xfffe
	s_add_co_i32 s26, s1, s26
	s_wait_alu 0xfffe
	s_mul_u64 s[26:27], s[10:11], s[26:27]
	s_wait_alu 0xfffe
	s_mul_i32 s1, s27, s28
	s_add_co_i32 s26, s27, 1
	s_wait_alu 0xfffe
	s_sub_co_i32 s1, s10, s1
	s_wait_alu 0xfffe
	s_sub_co_i32 s29, s1, s28
	s_cmp_ge_u32 s1, s28
	s_cselect_b32 s26, s26, s27
	s_wait_alu 0xfffe
	s_cselect_b32 s1, s29, s1
	s_add_co_i32 s27, s26, 1
	s_wait_alu 0xfffe
	s_cmp_ge_u32 s1, s28
	s_cselect_b32 s1, s27, s26
	s_wait_alu 0xfffe
	s_mul_i32 s26, s1, s28
	s_wait_alu 0xfffe
	s_sub_co_i32 s26, s10, s26
	s_wait_alu 0xfffe
	s_cmp_lt_u32 s38, s26
	s_cselect_b32 s27, -1, 0
	s_wait_alu 0xfffe
	s_cmp_lg_u32 s27, 0
	s_add_co_ci_u32 s28, s1, 0
	s_wait_alu 0xfffe
	s_cmp_eq_u32 s28, 0
	s_cbranch_scc1 .LBB43_3
; %bb.6:                                ;   in Loop: Header=BB43_4 Depth=1
	s_cmp_lt_i32 s28, 1
	s_cbranch_scc1 .LBB43_12
; %bb.7:                                ;   in Loop: Header=BB43_4 Depth=1
	v_cvt_f64_u32_e32 v[6:7], s26
	s_mul_i32 s1, s1, s38
	s_mul_u64 s[26:27], s[4:5], s[2:3]
	s_wait_alu 0xfffe
	v_cvt_f64_u32_e32 v[8:9], s1
	s_lshl_b64 s[26:27], s[26:27], 2
	v_dual_mov_b32 v106, 0 :: v_dual_mov_b32 v115, 0
	s_wait_alu 0xfffe
	s_add_nc_u64 s[26:27], s[14:15], s[26:27]
	v_dual_mov_b32 v113, 0 :: v_dual_mov_b32 v114, 0
	v_dual_mov_b32 v111, 0 :: v_dual_mov_b32 v112, 0
	s_mul_u64 s[34:35], s[8:9], s[2:3]
	s_add_co_i32 s29, s28, -1
	v_min_num_f64_e32 v[6:7], v[2:3], v[6:7]
	s_delay_alu instid0(VALU_DEP_1) | instskip(NEXT) | instid1(VALU_DEP_1)
	v_add_f64_e32 v[6:7], v[6:7], v[8:9]
	v_cvt_i32_f64_e32 v6, v[6:7]
	s_delay_alu instid0(VALU_DEP_1)
	v_readfirstlane_b32 s1, v6
	s_lshl_b32 s30, s1, 7
	s_wait_alu 0xfffe
	s_ashr_i32 s31, s30, 31
	s_wait_alu 0xfffe
	s_lshl_b64 s[30:31], s[30:31], 2
	s_wait_alu 0xfffe
	s_add_nc_u64 s[26:27], s[26:27], s[30:31]
	s_mul_i32 s1, s18, s31
	s_wait_alu 0xfffe
	v_add_co_u32 v6, vcc_lo, s26, v4
	s_wait_alu 0xfffd
	v_add_co_ci_u32_e64 v7, null, s27, v5, vcc_lo
	s_mul_u64 s[26:27], s[16:17], s[2:3]
	v_add_co_u32 v8, vcc_lo, v6, s22
	s_wait_alu 0xfffd
	v_add_co_ci_u32_e64 v9, null, s23, v7, vcc_lo
	s_wait_alu 0xfffe
	s_add_nc_u64 s[26:27], s[26:27], s[30:31]
	v_add_co_u32 v10, vcc_lo, v8, s22
	s_wait_alu 0xfffd
	v_add_co_ci_u32_e64 v11, null, s23, v9, vcc_lo
	s_delay_alu instid0(VALU_DEP_2) | instskip(SKIP_1) | instid1(VALU_DEP_2)
	v_add_co_u32 v96, vcc_lo, v10, s22
	s_wait_alu 0xfffd
	v_add_co_ci_u32_e64 v97, null, s23, v11, vcc_lo
	s_delay_alu instid0(VALU_DEP_2) | instskip(SKIP_1) | instid1(VALU_DEP_2)
	v_add_co_u32 v98, vcc_lo, v96, s22
	s_wait_alu 0xfffd
	v_add_co_ci_u32_e64 v99, null, s23, v97, vcc_lo
	s_delay_alu instid0(VALU_DEP_2) | instskip(SKIP_1) | instid1(VALU_DEP_2)
	v_add_co_u32 v100, vcc_lo, v98, s22
	s_wait_alu 0xfffd
	v_add_co_ci_u32_e64 v101, null, s23, v99, vcc_lo
	s_delay_alu instid0(VALU_DEP_2) | instskip(SKIP_1) | instid1(VALU_DEP_2)
	v_add_co_u32 v102, vcc_lo, v100, s22
	s_wait_alu 0xfffd
	v_add_co_ci_u32_e64 v103, null, s23, v101, vcc_lo
	s_delay_alu instid0(VALU_DEP_2) | instskip(SKIP_1) | instid1(VALU_DEP_2)
	v_add_co_u32 v104, vcc_lo, v102, s22
	s_wait_alu 0xfffd
	v_add_co_ci_u32_e64 v105, null, s23, v103, vcc_lo
	s_clause 0x5
	global_load_b32 v120, v[6:7], off
	global_load_b32 v121, v[8:9], off
	;; [unrolled: 1-line block ×8, first 2 shown]
	s_wait_alu 0xfffe
	v_add_co_u32 v96, vcc_lo, v0, s26
	s_wait_alu 0xfffd
	v_add_co_ci_u32_e64 v97, null, s27, v1, vcc_lo
	v_add_co_u32 v98, vcc_lo, v79, s26
	v_or_b32_e32 v6, s30, v12
	v_or_b32_e32 v8, s30, v93
	s_wait_alu 0xfffd
	v_add_co_ci_u32_e64 v99, null, s27, v80, vcc_lo
	v_add_co_u32 v100, vcc_lo, v81, s26
	s_wait_alu 0xfffd
	v_add_co_ci_u32_e64 v101, null, s27, v82, vcc_lo
	v_add_co_u32 v102, vcc_lo, v83, s26
	;; [unrolled: 3-line block ×3, first 2 shown]
	v_mul_lo_u32 v10, s19, v6
	v_mad_co_u64_u32 v[6:7], null, s18, v6, 0
	v_mul_lo_u32 v11, s19, v8
	v_mad_co_u64_u32 v[8:9], null, s18, v8, 0
	s_wait_alu 0xfffd
	v_add_co_ci_u32_e64 v105, null, s27, v86, vcc_lo
	v_add_co_u32 v108, vcc_lo, v87, s26
	s_wait_alu 0xfffd
	v_add_co_ci_u32_e64 v110, null, s27, v88, vcc_lo
	v_add_co_u32 v116, vcc_lo, v89, s26
	;; [unrolled: 3-line block ×3, first 2 shown]
	s_wait_alu 0xfffd
	v_add_co_ci_u32_e64 v119, null, s27, v92, vcc_lo
	v_add3_u32 v7, v7, s1, v10
	v_add3_u32 v9, v9, s1, v11
	v_mov_b32_e32 v109, 0
	v_mov_b32_e32 v107, 0
	s_add_nc_u64 s[26:27], s[6:7], s[34:35]
	s_mov_b32 s30, 0
	s_wait_loadcnt 0x6
	v_dual_mov_b32 v128, v120 :: v_dual_mov_b32 v129, v121
	s_wait_loadcnt 0x4
	v_dual_mov_b32 v130, v122 :: v_dual_mov_b32 v131, v123
	;; [unrolled: 2-line block ×4, first 2 shown]
.LBB43_8:                               ;   Parent Loop BB43_4 Depth=1
                                        ; =>  This Inner Loop Header: Depth=2
	v_add_co_u32 v10, vcc_lo, v96, v12
	s_wait_alu 0xfffd
	v_add_co_ci_u32_e64 v11, null, 0, v97, vcc_lo
	s_wait_alu 0xfffe
	s_cmp_lg_u32 s29, s30
	v_add_co_u32 v136, vcc_lo, 0x100, v10
	s_wait_alu 0xfffd
	v_add_co_ci_u32_e64 v138, null, 0, v11, vcc_lo
	s_delay_alu instid0(VALU_DEP_2) | instskip(SKIP_1) | instid1(VALU_DEP_2)
	v_add_co_u32 v137, vcc_lo, v136, s22
	s_wait_alu 0xfffd
	v_add_co_ci_u32_e64 v138, null, s23, v138, vcc_lo
	global_load_b32 v136, v[10:11], off offset:256
	v_add_co_u32 v139, vcc_lo, v137, s22
	s_wait_alu 0xfffd
	v_add_co_ci_u32_e64 v140, null, s23, v138, vcc_lo
	v_add_co_u32 v144, vcc_lo, s26, v6
	s_delay_alu instid0(VALU_DEP_3) | instskip(SKIP_1) | instid1(VALU_DEP_3)
	v_add_co_u32 v141, s1, v139, s22
	s_wait_alu 0xf1ff
	v_add_co_ci_u32_e64 v142, null, s23, v140, s1
	s_wait_alu 0xfffd
	v_add_co_ci_u32_e64 v145, null, s27, v7, vcc_lo
	v_add_co_u32 v146, vcc_lo, v141, s22
	s_wait_alu 0xfffd
	v_add_co_ci_u32_e64 v147, null, s23, v142, vcc_lo
	global_load_b32 v137, v[137:138], off
	v_add_co_u32 v148, vcc_lo, v146, s22
	s_wait_alu 0xfffd
	v_add_co_ci_u32_e64 v149, null, s23, v147, vcc_lo
	global_load_b32 v138, v[139:140], off
	v_add_co_u32 v150, vcc_lo, v148, s22
	s_wait_alu 0xfffd
	v_add_co_ci_u32_e64 v151, null, s23, v149, vcc_lo
	s_delay_alu instid0(VALU_DEP_2) | instskip(SKIP_1) | instid1(VALU_DEP_2)
	v_add_co_u32 v152, vcc_lo, v150, s22
	s_wait_alu 0xfffd
	v_add_co_ci_u32_e64 v153, null, s23, v151, vcc_lo
	s_clause 0x4
	global_load_b32 v139, v[141:142], off
	global_load_b32 v140, v[146:147], off
	;; [unrolled: 1-line block ×6, first 2 shown]
	s_cbranch_scc0 .LBB43_10
; %bb.9:                                ;   in Loop: Header=BB43_8 Depth=2
	v_add_co_u32 v129, vcc_lo, v98, v12
	s_wait_alu 0xfffd
	v_add_co_ci_u32_e64 v130, null, 0, v99, vcc_lo
	v_add_co_u32 v131, vcc_lo, v100, v12
	s_wait_alu 0xfffd
	v_add_co_ci_u32_e64 v132, null, 0, v101, vcc_lo
	global_load_b32 v128, v[10:11], off offset:512
	global_load_b32 v129, v[129:130], off
	global_load_b32 v130, v[131:132], off
	v_add_co_u32 v10, vcc_lo, v102, v12
	s_wait_alu 0xfffd
	v_add_co_ci_u32_e64 v11, null, 0, v103, vcc_lo
	v_add_co_u32 v132, vcc_lo, v104, v12
	s_wait_alu 0xfffd
	v_add_co_ci_u32_e64 v133, null, 0, v105, vcc_lo
	;; [unrolled: 3-line block ×5, first 2 shown]
	global_load_b32 v131, v[10:11], off
	global_load_b32 v132, v[132:133], off
	;; [unrolled: 1-line block ×5, first 2 shown]
.LBB43_10:                              ;   in Loop: Header=BB43_8 Depth=2
	v_add_co_u32 v10, vcc_lo, s26, v8
	s_wait_alu 0xfffd
	v_add_co_ci_u32_e64 v11, null, s27, v9, vcc_lo
	v_add_co_u32 v96, vcc_lo, 0x200, v96
	s_wait_alu 0xfffd
	v_add_co_ci_u32_e64 v97, null, 0, v97, vcc_lo
	global_load_b32 v10, v[10:11], off
	v_add_co_u32 v98, vcc_lo, 0x200, v98
	s_wait_alu 0xfffd
	v_add_co_ci_u32_e64 v99, null, 0, v99, vcc_lo
	v_add_co_u32 v100, vcc_lo, 0x200, v100
	s_wait_alu 0xfffd
	v_add_co_ci_u32_e64 v101, null, 0, v101, vcc_lo
	;; [unrolled: 3-line block ×4, first 2 shown]
	v_add_co_u32 v108, vcc_lo, 0x200, v108
	s_wait_loadcnt 0x1
	v_fmac_f32_e32 v115, v121, v144
	v_fmac_f32_e32 v106, v120, v144
	;; [unrolled: 1-line block ×8, first 2 shown]
	s_wait_alu 0xfffd
	v_add_co_ci_u32_e64 v110, null, 0, v110, vcc_lo
	v_add_co_u32 v116, vcc_lo, 0x200, v116
	s_wait_alu 0xfffd
	v_add_co_ci_u32_e64 v117, null, 0, v117, vcc_lo
	v_add_co_u32 v118, vcc_lo, 0x200, v118
	s_wait_alu 0xfffd
	v_add_co_ci_u32_e64 v119, null, 0, v119, vcc_lo
	s_add_co_i32 s30, s30, 1
	s_add_nc_u64 s[26:27], s[26:27], s[20:21]
	s_wait_alu 0xfffe
	s_cmp_ge_i32 s30, s28
	s_wait_loadcnt 0x0
	v_fmac_f32_e32 v115, v137, v10
	v_fmac_f32_e32 v106, v136, v10
	;; [unrolled: 1-line block ×8, first 2 shown]
	s_cbranch_scc1 .LBB43_13
; %bb.11:                               ;   in Loop: Header=BB43_8 Depth=2
	v_dual_mov_b32 v120, v128 :: v_dual_mov_b32 v121, v129
	v_dual_mov_b32 v122, v130 :: v_dual_mov_b32 v123, v131
	;; [unrolled: 1-line block ×4, first 2 shown]
	s_branch .LBB43_8
.LBB43_12:                              ;   in Loop: Header=BB43_4 Depth=1
	v_dual_mov_b32 v107, 0 :: v_dual_mov_b32 v112, 0
	v_dual_mov_b32 v109, 0 :: v_dual_mov_b32 v114, 0
	;; [unrolled: 1-line block ×3, first 2 shown]
	v_mov_b32_e32 v113, 0
	v_mov_b32_e32 v115, 0
.LBB43_13:                              ;   in Loop: Header=BB43_4 Depth=1
	ds_store_2addr_stride64_b32 v94, v106, v115 offset1:1
	ds_store_2addr_stride64_b32 v94, v113, v114 offset0:2 offset1:3
	ds_store_2addr_stride64_b32 v94, v111, v112 offset0:4 offset1:5
	ds_store_b32 v94, v109 offset:1536
	ds_store_b32 v95, v107
	s_wait_dscnt 0x0
	s_barrier_signal -1
	s_barrier_wait -1
	global_inv scope:SCOPE_SE
	s_and_saveexec_b32 s1, s0
	s_cbranch_execz .LBB43_2
; %bb.14:                               ;   in Loop: Header=BB43_4 Depth=1
	ds_load_b32 v6, v13
	ds_load_b32 v7, v14
	;; [unrolled: 1-line block ×8, first 2 shown]
	s_mul_u64 s[26:27], s[24:25], s[2:3]
	s_wait_alu 0xfffe
	s_lshl_b64 s[26:27], s[26:27], 2
	s_wait_dscnt 0x7
	v_add_f32_e32 v6, 0, v6
	s_wait_dscnt 0x6
	s_delay_alu instid0(VALU_DEP_1)
	v_add_f32_e32 v6, v6, v7
	ds_load_b32 v7, v21
	s_wait_dscnt 0x6
	v_add_f32_e32 v6, v6, v8
	ds_load_b32 v8, v22
	s_wait_dscnt 0x6
	;; [unrolled: 3-line block ×3, first 2 shown]
	v_add_f32_e32 v6, v6, v10
	s_wait_dscnt 0x5
	s_delay_alu instid0(VALU_DEP_1) | instskip(SKIP_1) | instid1(VALU_DEP_1)
	v_add_f32_e32 v6, v6, v11
	s_wait_dscnt 0x4
	v_add_f32_e32 v6, v6, v96
	s_wait_dscnt 0x3
	s_delay_alu instid0(VALU_DEP_1)
	v_add_f32_e32 v6, v6, v97
	ds_load_b32 v10, v24
	ds_load_b32 v11, v25
	ds_load_b32 v96, v26
	ds_load_b32 v97, v27
	ds_load_b32 v98, v28
	s_wait_dscnt 0x7
	v_add_f32_e32 v6, v6, v7
	ds_load_b32 v7, v29
	s_wait_dscnt 0x7
	v_add_f32_e32 v6, v6, v8
	ds_load_b32 v8, v30
	s_wait_dscnt 0x7
	v_add_f32_e32 v6, v6, v9
	ds_load_b32 v9, v31
	s_wait_dscnt 0x7
	v_add_f32_e32 v6, v6, v10
	s_wait_dscnt 0x6
	s_delay_alu instid0(VALU_DEP_1) | instskip(SKIP_1) | instid1(VALU_DEP_1)
	v_add_f32_e32 v6, v6, v11
	s_wait_dscnt 0x5
	v_add_f32_e32 v6, v6, v96
	s_wait_dscnt 0x4
	s_delay_alu instid0(VALU_DEP_1) | instskip(SKIP_1) | instid1(VALU_DEP_1)
	v_add_f32_e32 v6, v6, v97
	s_wait_dscnt 0x3
	v_add_f32_e32 v6, v6, v98
	ds_load_b32 v10, v32
	ds_load_b32 v11, v33
	ds_load_b32 v96, v34
	ds_load_b32 v97, v35
	ds_load_b32 v98, v36
	s_wait_dscnt 0x7
	v_add_f32_e32 v6, v6, v7
	ds_load_b32 v7, v37
	s_wait_dscnt 0x7
	v_add_f32_e32 v6, v6, v8
	ds_load_b32 v8, v38
	s_wait_dscnt 0x7
	v_add_f32_e32 v6, v6, v9
	ds_load_b32 v9, v39
	s_wait_dscnt 0x7
	v_add_f32_e32 v6, v6, v10
	s_wait_dscnt 0x6
	s_delay_alu instid0(VALU_DEP_1) | instskip(SKIP_1) | instid1(VALU_DEP_1)
	v_add_f32_e32 v6, v6, v11
	s_wait_dscnt 0x5
	v_add_f32_e32 v6, v6, v96
	s_wait_dscnt 0x4
	s_delay_alu instid0(VALU_DEP_1) | instskip(SKIP_1) | instid1(VALU_DEP_1)
	v_add_f32_e32 v6, v6, v97
	s_wait_dscnt 0x3
	;; [unrolled: 26-line block ×6, first 2 shown]
	v_add_f32_e32 v6, v6, v98
	ds_load_b32 v10, v72
	ds_load_b32 v11, v73
	;; [unrolled: 1-line block ×5, first 2 shown]
	s_wait_dscnt 0x7
	v_add_f32_e32 v6, v6, v7
	s_wait_dscnt 0x6
	s_delay_alu instid0(VALU_DEP_1) | instskip(SKIP_1) | instid1(VALU_DEP_1)
	v_add_f32_e32 v6, v6, v8
	s_wait_dscnt 0x5
	v_add_f32_e32 v6, v6, v9
	s_wait_dscnt 0x4
	s_delay_alu instid0(VALU_DEP_1) | instskip(SKIP_1) | instid1(VALU_DEP_1)
	v_add_f32_e32 v6, v6, v10
	;; [unrolled: 5-line block ×3, first 2 shown]
	s_wait_dscnt 0x1
	v_add_f32_e32 v6, v6, v97
	s_wait_dscnt 0x0
	s_delay_alu instid0(VALU_DEP_1)
	v_add_f32_e32 v8, v6, v98
	s_wait_alu 0xfffe
	v_add_co_u32 v6, vcc_lo, v77, s26
	s_wait_alu 0xfffd
	v_add_co_ci_u32_e64 v7, null, s27, v78, vcc_lo
	v_mul_f32_e32 v8, s36, v8
	global_atomic_add_f32 v[6:7], v8, off scope:SCOPE_DEV
	s_branch .LBB43_2
.LBB43_15:
	s_nop 0
	s_sendmsg sendmsg(MSG_DEALLOC_VGPRS)
	s_endpgm
	.section	.rodata,"a",@progbits
	.p2align	6, 0x0
	.amdhsa_kernel _ZL36rocblas_gemvt_double_buffered_kernelILb1ELi128ELi8ELi8EfffEviiT4_lPKT3_lilS3_lilPT5_lili
		.amdhsa_group_segment_fixed_size 32768
		.amdhsa_private_segment_fixed_size 0
		.amdhsa_kernarg_size 384
		.amdhsa_user_sgpr_count 2
		.amdhsa_user_sgpr_dispatch_ptr 0
		.amdhsa_user_sgpr_queue_ptr 0
		.amdhsa_user_sgpr_kernarg_segment_ptr 1
		.amdhsa_user_sgpr_dispatch_id 0
		.amdhsa_user_sgpr_private_segment_size 0
		.amdhsa_wavefront_size32 1
		.amdhsa_uses_dynamic_stack 0
		.amdhsa_enable_private_segment 0
		.amdhsa_system_sgpr_workgroup_id_x 1
		.amdhsa_system_sgpr_workgroup_id_y 1
		.amdhsa_system_sgpr_workgroup_id_z 1
		.amdhsa_system_sgpr_workgroup_info 0
		.amdhsa_system_vgpr_workitem_id 1
		.amdhsa_next_free_vgpr 154
		.amdhsa_next_free_sgpr 39
		.amdhsa_reserve_vcc 1
		.amdhsa_float_round_mode_32 0
		.amdhsa_float_round_mode_16_64 0
		.amdhsa_float_denorm_mode_32 3
		.amdhsa_float_denorm_mode_16_64 3
		.amdhsa_fp16_overflow 0
		.amdhsa_workgroup_processor_mode 1
		.amdhsa_memory_ordered 1
		.amdhsa_forward_progress 1
		.amdhsa_inst_pref_size 40
		.amdhsa_round_robin_scheduling 0
		.amdhsa_exception_fp_ieee_invalid_op 0
		.amdhsa_exception_fp_denorm_src 0
		.amdhsa_exception_fp_ieee_div_zero 0
		.amdhsa_exception_fp_ieee_overflow 0
		.amdhsa_exception_fp_ieee_underflow 0
		.amdhsa_exception_fp_ieee_inexact 0
		.amdhsa_exception_int_div_zero 0
	.end_amdhsa_kernel
	.section	.text._ZL36rocblas_gemvt_double_buffered_kernelILb1ELi128ELi8ELi8EfffEviiT4_lPKT3_lilS3_lilPT5_lili,"axG",@progbits,_ZL36rocblas_gemvt_double_buffered_kernelILb1ELi128ELi8ELi8EfffEviiT4_lPKT3_lilS3_lilPT5_lili,comdat
.Lfunc_end43:
	.size	_ZL36rocblas_gemvt_double_buffered_kernelILb1ELi128ELi8ELi8EfffEviiT4_lPKT3_lilS3_lilPT5_lili, .Lfunc_end43-_ZL36rocblas_gemvt_double_buffered_kernelILb1ELi128ELi8ELi8EfffEviiT4_lPKT3_lilS3_lilPT5_lili
                                        ; -- End function
	.set _ZL36rocblas_gemvt_double_buffered_kernelILb1ELi128ELi8ELi8EfffEviiT4_lPKT3_lilS3_lilPT5_lili.num_vgpr, 154
	.set _ZL36rocblas_gemvt_double_buffered_kernelILb1ELi128ELi8ELi8EfffEviiT4_lPKT3_lilS3_lilPT5_lili.num_agpr, 0
	.set _ZL36rocblas_gemvt_double_buffered_kernelILb1ELi128ELi8ELi8EfffEviiT4_lPKT3_lilS3_lilPT5_lili.numbered_sgpr, 39
	.set _ZL36rocblas_gemvt_double_buffered_kernelILb1ELi128ELi8ELi8EfffEviiT4_lPKT3_lilS3_lilPT5_lili.num_named_barrier, 0
	.set _ZL36rocblas_gemvt_double_buffered_kernelILb1ELi128ELi8ELi8EfffEviiT4_lPKT3_lilS3_lilPT5_lili.private_seg_size, 0
	.set _ZL36rocblas_gemvt_double_buffered_kernelILb1ELi128ELi8ELi8EfffEviiT4_lPKT3_lilS3_lilPT5_lili.uses_vcc, 1
	.set _ZL36rocblas_gemvt_double_buffered_kernelILb1ELi128ELi8ELi8EfffEviiT4_lPKT3_lilS3_lilPT5_lili.uses_flat_scratch, 0
	.set _ZL36rocblas_gemvt_double_buffered_kernelILb1ELi128ELi8ELi8EfffEviiT4_lPKT3_lilS3_lilPT5_lili.has_dyn_sized_stack, 0
	.set _ZL36rocblas_gemvt_double_buffered_kernelILb1ELi128ELi8ELi8EfffEviiT4_lPKT3_lilS3_lilPT5_lili.has_recursion, 0
	.set _ZL36rocblas_gemvt_double_buffered_kernelILb1ELi128ELi8ELi8EfffEviiT4_lPKT3_lilS3_lilPT5_lili.has_indirect_call, 0
	.section	.AMDGPU.csdata,"",@progbits
; Kernel info:
; codeLenInByte = 5000
; TotalNumSgprs: 41
; NumVgprs: 154
; ScratchSize: 0
; MemoryBound: 0
; FloatMode: 240
; IeeeMode: 1
; LDSByteSize: 32768 bytes/workgroup (compile time only)
; SGPRBlocks: 0
; VGPRBlocks: 19
; NumSGPRsForWavesPerEU: 41
; NumVGPRsForWavesPerEU: 154
; Occupancy: 9
; WaveLimiterHint : 0
; COMPUTE_PGM_RSRC2:SCRATCH_EN: 0
; COMPUTE_PGM_RSRC2:USER_SGPR: 2
; COMPUTE_PGM_RSRC2:TRAP_HANDLER: 0
; COMPUTE_PGM_RSRC2:TGID_X_EN: 1
; COMPUTE_PGM_RSRC2:TGID_Y_EN: 1
; COMPUTE_PGM_RSRC2:TGID_Z_EN: 1
; COMPUTE_PGM_RSRC2:TIDIG_COMP_CNT: 1
	.section	.text._ZL20rocblas_gemvt_kernelILb1ELi256EfPKffEviiT2_lPKT1_lilS5_lilS2_lPT3_lili,"axG",@progbits,_ZL20rocblas_gemvt_kernelILb1ELi256EfPKffEviiT2_lPKT1_lilS5_lilS2_lPT3_lili,comdat
	.globl	_ZL20rocblas_gemvt_kernelILb1ELi256EfPKffEviiT2_lPKT1_lilS5_lilS2_lPT3_lili ; -- Begin function _ZL20rocblas_gemvt_kernelILb1ELi256EfPKffEviiT2_lPKT1_lilS5_lilS2_lPT3_lili
	.p2align	8
	.type	_ZL20rocblas_gemvt_kernelILb1ELi256EfPKffEviiT2_lPKT1_lilS5_lilS2_lPT3_lili,@function
_ZL20rocblas_gemvt_kernelILb1ELi256EfPKffEviiT2_lPKT1_lilS5_lilS2_lPT3_lili: ; @_ZL20rocblas_gemvt_kernelILb1ELi256EfPKffEviiT2_lPKT1_lilS5_lilS2_lPT3_lili
; %bb.0:
	s_load_b32 s33, s[0:1], 0x88
	s_lshr_b32 s10, ttmp7, 16
	s_wait_kmcnt 0x0
	s_cmp_ge_u32 s10, s33
	s_cbranch_scc1 .LBB44_41
; %bb.1:
	s_clause 0x7
	s_load_b32 s8, s[0:1], 0x28
	s_load_b96 s[4:6], s[0:1], 0x40
	s_load_b96 s[36:38], s[0:1], 0x70
	s_load_b256 s[12:19], s[0:1], 0x8
	s_load_b32 s7, s[0:1], 0x0
	s_load_b128 s[28:31], s[0:1], 0x30
	s_load_b256 s[20:27], s[0:1], 0x50
	s_load_b64 s[34:35], s[0:1], 0x80
	s_mov_b32 s2, ttmp9
	s_ashr_i32 s3, ttmp9, 31
	v_lshlrev_b32_e32 v13, 2, v0
	s_mov_b32 s11, 0
	v_mov_b32_e32 v10, 0
	s_wait_kmcnt 0x0
	s_ashr_i32 s9, s8, 31
	s_lshl_b64 s[0:1], s[4:5], 2
	s_lshl_b64 s[4:5], s[36:37], 2
	;; [unrolled: 1-line block ×3, first 2 shown]
	v_cmp_gt_i32_e32 vcc_lo, s7, v0
	s_ashr_i32 s39, s38, 31
	s_add_nc_u64 s[26:27], s[26:27], s[4:5]
	s_add_nc_u64 s[4:5], s[16:17], s[42:43]
	s_mul_u64 s[44:45], s[38:39], s[2:3]
	v_cndmask_b32_e32 v1, 0, v0, vcc_lo
	s_mul_u64 s[2:3], s[8:9], s[2:3]
	s_add_nc_u64 s[18:19], s[30:31], s[0:1]
	s_ashr_i32 s1, s7, 31
	s_lshl_b64 s[38:39], s[2:3], 2
	v_lshlrev_b32_e32 v3, 2, v1
	s_lshr_b32 s1, s1, 24
	s_add_nc_u64 s[42:43], s[38:39], s[42:43]
	s_add_co_i32 s1, s7, s1
	s_ashr_i32 s41, s6, 31
	v_add_co_u32 v1, s4, s4, v3
	s_wait_alu 0xf1ff
	v_add_co_ci_u32_e64 v2, null, s5, 0, s4
	s_and_b32 s30, s1, 0xffffff00
	v_add_co_u32 v11, vcc_lo, v1, s38
	s_wait_alu 0xfffd
	v_add_co_ci_u32_e64 v12, null, s39, v2, vcc_lo
	v_mad_co_i64_i32 v[1:2], null, s6, v0, 0
	v_or_b32_e32 v4, s30, v0
	s_mov_b32 s40, s6
	v_cmp_eq_u32_e64 s0, 0, v0
	s_cmp_gt_i32 s7, 0xff
	v_cmp_gt_u32_e64 s2, 0x80, v0
	v_cmp_gt_i32_e64 s1, s7, v4
	v_lshlrev_b64_e32 v[1:2], 2, v[1:2]
	v_mad_co_i64_i32 v[4:5], null, s6, v4, 0
	v_cmp_gt_u32_e64 s3, 64, v0
	v_cmp_gt_u32_e64 s4, 32, v0
	;; [unrolled: 1-line block ×6, first 2 shown]
	v_add_co_u32 v0, vcc_lo, s18, v1
	s_add_nc_u64 s[16:17], s[16:17], s[42:43]
	s_wait_alu 0xfffd
	v_add_co_ci_u32_e64 v1, null, s19, v2, vcc_lo
	v_add_co_u32 v2, s9, s16, v3
	v_lshlrev_b64_e32 v[4:5], 2, v[4:5]
	v_add_co_ci_u32_e64 v3, null, s17, 0, s9
	s_cselect_b32 s46, -1, 0
	s_ashr_i32 s31, s30, 31
	s_lshl_b64 s[36:37], s[20:21], 2
	s_lshl_b64 s[38:39], s[40:41], 10
	;; [unrolled: 1-line block ×4, first 2 shown]
	s_wait_alu 0xfffe
	s_lshl_b64 s[42:43], s[30:31], 2
	s_branch .LBB44_4
.LBB44_2:                               ;   in Loop: Header=BB44_4 Depth=1
	s_wait_alu 0xfffe
	s_or_b32 exec_lo, exec_lo, s31
.LBB44_3:                               ;   in Loop: Header=BB44_4 Depth=1
	s_add_co_i32 s10, s10, 0x10000
	s_wait_alu 0xfffe
	s_cmp_lt_u32 s10, s33
	s_cbranch_scc0 .LBB44_41
.LBB44_4:                               ; =>This Loop Header: Depth=1
                                        ;     Child Loop BB44_15 Depth 2
	s_mul_u64 s[44:45], s[14:15], s[10:11]
	s_mul_u64 s[48:49], s[24:25], s[10:11]
	s_lshl_b64 s[44:45], s[44:45], 2
	s_wait_alu 0xfffe
	s_lshl_b64 s[48:49], s[48:49], 2
	s_add_nc_u64 s[44:45], s[12:13], s[44:45]
	s_wait_alu 0xfffe
	s_add_nc_u64 s[48:49], s[22:23], s[48:49]
	s_clause 0x1
	global_load_b32 v15, v10, s[44:45]
	global_load_b32 v14, v10, s[48:49]
	s_wait_loadcnt 0x1
	v_cmp_eq_f32_e32 vcc_lo, 0, v15
	s_wait_loadcnt 0x0
	v_cmp_eq_f32_e64 s9, 1.0, v14
	s_and_b32 s9, vcc_lo, s9
	s_wait_alu 0xfffe
	s_and_b32 vcc_lo, exec_lo, s9
	s_wait_alu 0xfffe
	s_cbranch_vccnz .LBB44_3
; %bb.5:                                ;   in Loop: Header=BB44_4 Depth=1
	v_cmp_neq_f32_e32 vcc_lo, 0, v15
	s_mul_u64 s[44:45], s[34:35], s[10:11]
	s_delay_alu instid0(SALU_CYCLE_1) | instskip(NEXT) | instid1(SALU_CYCLE_1)
	s_lshl_b64 s[44:45], s[44:45], 2
	s_add_nc_u64 s[44:45], s[26:27], s[44:45]
	s_cbranch_vccnz .LBB44_9
; %bb.6:                                ;   in Loop: Header=BB44_4 Depth=1
	s_mov_b32 s31, 0
	s_mov_b32 s9, 0
                                        ; implicit-def: $vgpr6
	s_and_saveexec_b32 s47, s0
	s_cbranch_execz .LBB44_10
; %bb.7:                                ;   in Loop: Header=BB44_4 Depth=1
	v_cmp_eq_f32_e32 vcc_lo, 0, v14
	s_cbranch_vccnz .LBB44_11
; %bb.8:                                ;   in Loop: Header=BB44_4 Depth=1
	s_add_nc_u64 s[48:49], s[44:45], s[40:41]
	global_load_b32 v6, v10, s[48:49]
	s_wait_loadcnt 0x0
	v_mul_f32_e32 v6, v14, v6
	s_branch .LBB44_12
.LBB44_9:                               ;   in Loop: Header=BB44_4 Depth=1
	s_mov_b32 s9, 0
                                        ; implicit-def: $vgpr6
	s_cbranch_execnz .LBB44_13
	s_branch .LBB44_39
.LBB44_10:                              ;   in Loop: Header=BB44_4 Depth=1
	s_or_b32 exec_lo, exec_lo, s47
	s_wait_alu 0xfffe
	s_and_b32 vcc_lo, exec_lo, s31
	s_wait_alu 0xfffe
	s_cbranch_vccnz .LBB44_13
	s_branch .LBB44_39
.LBB44_11:                              ;   in Loop: Header=BB44_4 Depth=1
	v_mov_b32_e32 v6, 0
.LBB44_12:                              ;   in Loop: Header=BB44_4 Depth=1
	s_mov_b32 s9, exec_lo
	s_or_b32 exec_lo, exec_lo, s47
	s_wait_alu 0xfffe
	s_and_b32 vcc_lo, exec_lo, s31
	s_wait_alu 0xfffe
	s_cbranch_vccz .LBB44_39
.LBB44_13:                              ;   in Loop: Header=BB44_4 Depth=1
	v_mov_b32_e32 v16, 0
	s_and_not1_b32 vcc_lo, exec_lo, s46
	s_wait_alu 0xfffe
	s_cbranch_vccnz .LBB44_16
; %bb.14:                               ;   in Loop: Header=BB44_4 Depth=1
	v_mad_co_u64_u32 v[6:7], null, s36, s10, v[0:1]
	v_mad_co_u64_u32 v[8:9], null, s16, s10, v[2:3]
	s_mov_b32 s31, 0
	v_mad_co_u64_u32 v[16:17], null, s37, s10, v[7:8]
	v_mad_co_u64_u32 v[17:18], null, s17, s10, v[9:10]
	s_delay_alu instid0(VALU_DEP_2) | instskip(NEXT) | instid1(VALU_DEP_2)
	v_dual_mov_b32 v7, v16 :: v_dual_mov_b32 v16, 0
	v_mov_b32_e32 v9, v17
.LBB44_15:                              ;   Parent Loop BB44_4 Depth=1
                                        ; =>  This Inner Loop Header: Depth=2
	global_load_b32 v17, v[8:9], off
	global_load_b32 v18, v[6:7], off
	v_add_co_u32 v6, vcc_lo, v6, s38
	s_wait_alu 0xfffd
	v_add_co_ci_u32_e64 v7, null, s39, v7, vcc_lo
	v_add_co_u32 v8, vcc_lo, 0x400, v8
	s_wait_alu 0xfffd
	v_add_co_ci_u32_e64 v9, null, 0, v9, vcc_lo
	s_wait_alu 0xfffe
	s_addk_co_i32 s31, 0x100
	s_wait_alu 0xfffe
	s_cmp_ge_i32 s31, s30
	s_wait_loadcnt 0x0
	v_fmac_f32_e32 v16, v17, v18
	s_cbranch_scc0 .LBB44_15
.LBB44_16:                              ;   in Loop: Header=BB44_4 Depth=1
	s_and_saveexec_b32 s31, s1
	s_cbranch_execz .LBB44_18
; %bb.17:                               ;   in Loop: Header=BB44_4 Depth=1
	s_mul_u64 s[48:49], s[28:29], s[10:11]
	s_mul_u64 s[50:51], s[20:21], s[10:11]
	s_wait_alu 0xfffe
	s_lshl_b64 s[48:49], s[48:49], 2
	s_lshl_b64 s[50:51], s[50:51], 2
	s_wait_alu 0xfffe
	v_add_co_u32 v6, vcc_lo, v11, s48
	s_wait_alu 0xfffd
	v_add_co_ci_u32_e64 v7, null, s49, v12, vcc_lo
	s_add_nc_u64 s[48:49], s[18:19], s[50:51]
	v_add_co_u32 v6, vcc_lo, v6, s42
	s_wait_alu 0xfffd
	v_add_co_ci_u32_e64 v7, null, s43, v7, vcc_lo
	s_wait_alu 0xfffe
	v_add_co_u32 v8, vcc_lo, s48, v4
	s_wait_alu 0xfffd
	v_add_co_ci_u32_e64 v9, null, s49, v5, vcc_lo
	global_load_b32 v6, v[6:7], off
	global_load_b32 v7, v[8:9], off
	s_wait_loadcnt 0x0
	v_fmac_f32_e32 v16, v6, v7
.LBB44_18:                              ;   in Loop: Header=BB44_4 Depth=1
	s_wait_alu 0xfffe
	s_or_b32 exec_lo, exec_lo, s31
	ds_store_b32 v13, v16
	s_wait_dscnt 0x0
	s_barrier_signal -1
	s_barrier_wait -1
	global_inv scope:SCOPE_SE
	s_and_saveexec_b32 s31, s2
	s_cbranch_execz .LBB44_20
; %bb.19:                               ;   in Loop: Header=BB44_4 Depth=1
	ds_load_2addr_stride64_b32 v[6:7], v13 offset1:2
	s_wait_dscnt 0x0
	v_add_f32_e32 v6, v7, v6
	ds_store_b32 v13, v6
.LBB44_20:                              ;   in Loop: Header=BB44_4 Depth=1
	s_wait_alu 0xfffe
	s_or_b32 exec_lo, exec_lo, s31
	s_wait_loadcnt_dscnt 0x0
	s_barrier_signal -1
	s_barrier_wait -1
	global_inv scope:SCOPE_SE
	s_and_saveexec_b32 s31, s3
	s_cbranch_execz .LBB44_22
; %bb.21:                               ;   in Loop: Header=BB44_4 Depth=1
	ds_load_2addr_stride64_b32 v[6:7], v13 offset1:1
	s_wait_dscnt 0x0
	v_add_f32_e32 v6, v7, v6
	ds_store_b32 v13, v6
.LBB44_22:                              ;   in Loop: Header=BB44_4 Depth=1
	s_wait_alu 0xfffe
	s_or_b32 exec_lo, exec_lo, s31
	s_wait_loadcnt_dscnt 0x0
	s_barrier_signal -1
	s_barrier_wait -1
	global_inv scope:SCOPE_SE
	s_and_saveexec_b32 s31, s4
	s_cbranch_execz .LBB44_24
; %bb.23:                               ;   in Loop: Header=BB44_4 Depth=1
	ds_load_2addr_b32 v[6:7], v13 offset1:32
	s_wait_dscnt 0x0
	v_add_f32_e32 v6, v7, v6
	ds_store_b32 v13, v6
.LBB44_24:                              ;   in Loop: Header=BB44_4 Depth=1
	s_wait_alu 0xfffe
	s_or_b32 exec_lo, exec_lo, s31
	s_wait_loadcnt_dscnt 0x0
	s_barrier_signal -1
	s_barrier_wait -1
	global_inv scope:SCOPE_SE
	s_and_saveexec_b32 s31, s5
	s_cbranch_execz .LBB44_26
; %bb.25:                               ;   in Loop: Header=BB44_4 Depth=1
	ds_load_2addr_b32 v[6:7], v13 offset1:16
	s_wait_dscnt 0x0
	v_add_f32_e32 v6, v7, v6
	ds_store_b32 v13, v6
.LBB44_26:                              ;   in Loop: Header=BB44_4 Depth=1
	;; [unrolled: 14-line block ×5, first 2 shown]
	s_wait_alu 0xfffe
	s_or_b32 exec_lo, exec_lo, s31
	s_wait_loadcnt_dscnt 0x0
	s_barrier_signal -1
	s_barrier_wait -1
	global_inv scope:SCOPE_SE
	s_and_saveexec_b32 s31, s0
	s_cbranch_execz .LBB44_34
; %bb.33:                               ;   in Loop: Header=BB44_4 Depth=1
	ds_load_b64 v[6:7], v10
	s_wait_dscnt 0x0
	v_add_f32_e32 v6, v7, v6
	ds_store_b32 v10, v6
.LBB44_34:                              ;   in Loop: Header=BB44_4 Depth=1
	s_wait_alu 0xfffe
	s_or_b32 exec_lo, exec_lo, s31
	s_wait_loadcnt_dscnt 0x0
	s_barrier_signal -1
	s_barrier_wait -1
	global_inv scope:SCOPE_SE
                                        ; implicit-def: $vgpr6
	s_and_saveexec_b32 s31, s0
	s_cbranch_execz .LBB44_38
; %bb.35:                               ;   in Loop: Header=BB44_4 Depth=1
	ds_load_b32 v6, v10
	v_cmp_eq_f32_e32 vcc_lo, 0, v14
	s_wait_dscnt 0x0
	v_mul_f32_e32 v6, v15, v6
	s_cbranch_vccnz .LBB44_37
; %bb.36:                               ;   in Loop: Header=BB44_4 Depth=1
	s_add_nc_u64 s[48:49], s[44:45], s[40:41]
	global_load_b32 v7, v10, s[48:49]
	s_wait_loadcnt 0x0
	v_fmac_f32_e32 v6, v14, v7
.LBB44_37:                              ;   in Loop: Header=BB44_4 Depth=1
	s_or_b32 s9, s9, exec_lo
.LBB44_38:                              ;   in Loop: Header=BB44_4 Depth=1
	s_wait_alu 0xfffe
	s_or_b32 exec_lo, exec_lo, s31
.LBB44_39:                              ;   in Loop: Header=BB44_4 Depth=1
	s_wait_alu 0xfffe
	s_and_saveexec_b32 s31, s9
	s_cbranch_execz .LBB44_2
; %bb.40:                               ;   in Loop: Header=BB44_4 Depth=1
	s_add_nc_u64 s[44:45], s[44:45], s[40:41]
	global_store_b32 v10, v6, s[44:45]
	s_branch .LBB44_2
.LBB44_41:
	s_endpgm
	.section	.rodata,"a",@progbits
	.p2align	6, 0x0
	.amdhsa_kernel _ZL20rocblas_gemvt_kernelILb1ELi256EfPKffEviiT2_lPKT1_lilS5_lilS2_lPT3_lili
		.amdhsa_group_segment_fixed_size 1024
		.amdhsa_private_segment_fixed_size 0
		.amdhsa_kernarg_size 140
		.amdhsa_user_sgpr_count 2
		.amdhsa_user_sgpr_dispatch_ptr 0
		.amdhsa_user_sgpr_queue_ptr 0
		.amdhsa_user_sgpr_kernarg_segment_ptr 1
		.amdhsa_user_sgpr_dispatch_id 0
		.amdhsa_user_sgpr_private_segment_size 0
		.amdhsa_wavefront_size32 1
		.amdhsa_uses_dynamic_stack 0
		.amdhsa_enable_private_segment 0
		.amdhsa_system_sgpr_workgroup_id_x 1
		.amdhsa_system_sgpr_workgroup_id_y 0
		.amdhsa_system_sgpr_workgroup_id_z 1
		.amdhsa_system_sgpr_workgroup_info 0
		.amdhsa_system_vgpr_workitem_id 0
		.amdhsa_next_free_vgpr 19
		.amdhsa_next_free_sgpr 52
		.amdhsa_reserve_vcc 1
		.amdhsa_float_round_mode_32 0
		.amdhsa_float_round_mode_16_64 0
		.amdhsa_float_denorm_mode_32 3
		.amdhsa_float_denorm_mode_16_64 3
		.amdhsa_fp16_overflow 0
		.amdhsa_workgroup_processor_mode 1
		.amdhsa_memory_ordered 1
		.amdhsa_forward_progress 1
		.amdhsa_inst_pref_size 13
		.amdhsa_round_robin_scheduling 0
		.amdhsa_exception_fp_ieee_invalid_op 0
		.amdhsa_exception_fp_denorm_src 0
		.amdhsa_exception_fp_ieee_div_zero 0
		.amdhsa_exception_fp_ieee_overflow 0
		.amdhsa_exception_fp_ieee_underflow 0
		.amdhsa_exception_fp_ieee_inexact 0
		.amdhsa_exception_int_div_zero 0
	.end_amdhsa_kernel
	.section	.text._ZL20rocblas_gemvt_kernelILb1ELi256EfPKffEviiT2_lPKT1_lilS5_lilS2_lPT3_lili,"axG",@progbits,_ZL20rocblas_gemvt_kernelILb1ELi256EfPKffEviiT2_lPKT1_lilS5_lilS2_lPT3_lili,comdat
.Lfunc_end44:
	.size	_ZL20rocblas_gemvt_kernelILb1ELi256EfPKffEviiT2_lPKT1_lilS5_lilS2_lPT3_lili, .Lfunc_end44-_ZL20rocblas_gemvt_kernelILb1ELi256EfPKffEviiT2_lPKT1_lilS5_lilS2_lPT3_lili
                                        ; -- End function
	.set _ZL20rocblas_gemvt_kernelILb1ELi256EfPKffEviiT2_lPKT1_lilS5_lilS2_lPT3_lili.num_vgpr, 19
	.set _ZL20rocblas_gemvt_kernelILb1ELi256EfPKffEviiT2_lPKT1_lilS5_lilS2_lPT3_lili.num_agpr, 0
	.set _ZL20rocblas_gemvt_kernelILb1ELi256EfPKffEviiT2_lPKT1_lilS5_lilS2_lPT3_lili.numbered_sgpr, 52
	.set _ZL20rocblas_gemvt_kernelILb1ELi256EfPKffEviiT2_lPKT1_lilS5_lilS2_lPT3_lili.num_named_barrier, 0
	.set _ZL20rocblas_gemvt_kernelILb1ELi256EfPKffEviiT2_lPKT1_lilS5_lilS2_lPT3_lili.private_seg_size, 0
	.set _ZL20rocblas_gemvt_kernelILb1ELi256EfPKffEviiT2_lPKT1_lilS5_lilS2_lPT3_lili.uses_vcc, 1
	.set _ZL20rocblas_gemvt_kernelILb1ELi256EfPKffEviiT2_lPKT1_lilS5_lilS2_lPT3_lili.uses_flat_scratch, 0
	.set _ZL20rocblas_gemvt_kernelILb1ELi256EfPKffEviiT2_lPKT1_lilS5_lilS2_lPT3_lili.has_dyn_sized_stack, 0
	.set _ZL20rocblas_gemvt_kernelILb1ELi256EfPKffEviiT2_lPKT1_lilS5_lilS2_lPT3_lili.has_recursion, 0
	.set _ZL20rocblas_gemvt_kernelILb1ELi256EfPKffEviiT2_lPKT1_lilS5_lilS2_lPT3_lili.has_indirect_call, 0
	.section	.AMDGPU.csdata,"",@progbits
; Kernel info:
; codeLenInByte = 1652
; TotalNumSgprs: 54
; NumVgprs: 19
; ScratchSize: 0
; MemoryBound: 0
; FloatMode: 240
; IeeeMode: 1
; LDSByteSize: 1024 bytes/workgroup (compile time only)
; SGPRBlocks: 0
; VGPRBlocks: 2
; NumSGPRsForWavesPerEU: 54
; NumVGPRsForWavesPerEU: 19
; Occupancy: 16
; WaveLimiterHint : 0
; COMPUTE_PGM_RSRC2:SCRATCH_EN: 0
; COMPUTE_PGM_RSRC2:USER_SGPR: 2
; COMPUTE_PGM_RSRC2:TRAP_HANDLER: 0
; COMPUTE_PGM_RSRC2:TGID_X_EN: 1
; COMPUTE_PGM_RSRC2:TGID_Y_EN: 0
; COMPUTE_PGM_RSRC2:TGID_Z_EN: 1
; COMPUTE_PGM_RSRC2:TIDIG_COMP_CNT: 0
	.section	.text._ZL20rocblas_gemvt_kernelILb1ELi256EfffEviiT2_lPKT1_lilS3_lilS0_lPT3_lili,"axG",@progbits,_ZL20rocblas_gemvt_kernelILb1ELi256EfffEviiT2_lPKT1_lilS3_lilS0_lPT3_lili,comdat
	.globl	_ZL20rocblas_gemvt_kernelILb1ELi256EfffEviiT2_lPKT1_lilS3_lilS0_lPT3_lili ; -- Begin function _ZL20rocblas_gemvt_kernelILb1ELi256EfffEviiT2_lPKT1_lilS3_lilS0_lPT3_lili
	.p2align	8
	.type	_ZL20rocblas_gemvt_kernelILb1ELi256EfffEviiT2_lPKT1_lilS3_lilS0_lPT3_lili,@function
_ZL20rocblas_gemvt_kernelILb1ELi256EfffEviiT2_lPKT1_lilS3_lilS0_lPT3_lili: ; @_ZL20rocblas_gemvt_kernelILb1ELi256EfffEviiT2_lPKT1_lilS3_lilS0_lPT3_lili
; %bb.0:
	s_load_b32 s9, s[0:1], 0x88
	s_lshr_b32 s10, ttmp7, 16
	s_wait_kmcnt 0x0
	s_cmp_ge_u32 s10, s9
	s_cbranch_scc1 .LBB45_41
; %bb.1:
	s_clause 0x9
	s_load_b32 s26, s[0:1], 0x28
	s_load_b96 s[4:6], s[0:1], 0x40
	s_load_b32 s34, s[0:1], 0x78
	s_load_b128 s[28:31], s[0:1], 0x68
	s_load_b128 s[16:19], s[0:1], 0x18
	s_load_b32 s23, s[0:1], 0x8
	s_load_b96 s[20:22], s[0:1], 0x50
	s_load_b32 s7, s[0:1], 0x0
	s_load_b128 s[12:15], s[0:1], 0x30
	s_load_b64 s[24:25], s[0:1], 0x80
	s_mov_b32 s2, ttmp9
	v_cmp_eq_u32_e64 s0, 0, v0
	v_lshlrev_b32_e32 v13, 2, v0
	v_cmp_gt_u32_e64 s8, 2, v0
	s_mov_b32 s11, 0
	s_wait_kmcnt 0x0
	s_ashr_i32 s27, s26, 31
	s_ashr_i32 s37, s6, 31
	;; [unrolled: 1-line block ×3, first 2 shown]
	s_lshl_b64 s[4:5], s[4:5], 2
	s_lshl_b64 s[30:31], s[30:31], 2
	;; [unrolled: 1-line block ×3, first 2 shown]
	s_cmp_eq_f32 s23, 0
	v_cmp_gt_i32_e32 vcc_lo, s7, v0
	v_mov_b32_e32 v10, 0
	s_add_nc_u64 s[14:15], s[14:15], s[4:5]
	s_cselect_b32 s33, -1, 0
	s_cmp_neq_f32 s23, 0
	v_cndmask_b32_e32 v1, 0, v0, vcc_lo
	s_add_nc_u64 s[4:5], s[16:17], s[38:39]
	s_add_nc_u64 s[18:19], s[28:29], s[30:31]
	s_cselect_b32 s1, -1, 0
	s_cmp_neq_f32 s22, 1.0
	v_lshlrev_b32_e32 v3, 2, v1
	s_mov_b32 s36, s6
	s_cselect_b32 s3, -1, 0
	s_delay_alu instid0(SALU_CYCLE_1)
	s_or_b32 s40, s1, s3
	s_cmp_neq_f32 s22, 0
	v_add_co_u32 v1, s4, s4, v3
	s_wait_alu 0xf1ff
	v_add_co_ci_u32_e64 v2, null, s5, 0, s4
	s_cselect_b32 s41, -1, 0
	s_ashr_i32 s3, ttmp9, 31
	s_ashr_i32 s1, s7, 31
	s_mul_u64 s[28:29], s[26:27], s[2:3]
	s_lshr_b32 s1, s1, 24
	s_lshl_b64 s[30:31], s[28:29], 2
	s_add_co_i32 s1, s7, s1
	v_add_co_u32 v11, vcc_lo, v1, s30
	s_wait_alu 0xfffd
	v_add_co_ci_u32_e64 v12, null, s31, v2, vcc_lo
	v_mad_co_i64_i32 v[1:2], null, s6, v0, 0
	s_and_b32 s26, s1, 0xffffff00
	s_add_nc_u64 s[38:39], s[30:31], s[38:39]
	v_or_b32_e32 v4, s26, v0
	s_mul_u64 s[34:35], s[34:35], s[2:3]
	s_cmp_gt_i32 s7, 0xff
	v_cmp_gt_u32_e64 s2, 0x80, v0
	v_lshlrev_b64_e32 v[1:2], 2, v[1:2]
	v_cmp_gt_i32_e64 s1, s7, v4
	v_mad_co_i64_i32 v[4:5], null, s6, v4, 0
	v_cmp_gt_u32_e64 s3, 64, v0
	v_cmp_gt_u32_e64 s4, 32, v0
	;; [unrolled: 1-line block ×5, first 2 shown]
	v_add_co_u32 v0, vcc_lo, s14, v1
	s_add_nc_u64 s[16:17], s[16:17], s[38:39]
	s_wait_alu 0xfffd
	v_add_co_ci_u32_e64 v1, null, s15, v2, vcc_lo
	v_add_co_u32 v2, s16, s16, v3
	v_lshlrev_b64_e32 v[4:5], 2, v[4:5]
	s_wait_alu 0xf1ff
	v_add_co_ci_u32_e64 v3, null, s17, 0, s16
	s_cselect_b32 s42, -1, 0
	s_ashr_i32 s27, s26, 31
	s_lshl_b64 s[28:29], s[20:21], 2
	s_lshl_b64 s[30:31], s[36:37], 10
	s_lshl_b64 s[16:17], s[12:13], 2
	s_lshl_b64 s[34:35], s[34:35], 2
	s_wait_alu 0xfffe
	s_lshl_b64 s[36:37], s[26:27], 2
	s_branch .LBB45_4
.LBB45_2:                               ;   in Loop: Header=BB45_4 Depth=1
	s_or_b32 exec_lo, exec_lo, s43
.LBB45_3:                               ;   in Loop: Header=BB45_4 Depth=1
	s_add_co_i32 s10, s10, 0x10000
	s_wait_alu 0xfffe
	s_cmp_lt_u32 s10, s9
	s_cbranch_scc0 .LBB45_41
.LBB45_4:                               ; =>This Loop Header: Depth=1
                                        ;     Child Loop BB45_15 Depth 2
	s_and_not1_b32 vcc_lo, exec_lo, s40
	s_wait_alu 0xfffe
	s_cbranch_vccnz .LBB45_3
; %bb.5:                                ;   in Loop: Header=BB45_4 Depth=1
	s_mul_u64 s[38:39], s[24:25], s[10:11]
	s_and_not1_b32 vcc_lo, exec_lo, s33
	s_lshl_b64 s[38:39], s[38:39], 2
	s_delay_alu instid0(SALU_CYCLE_1)
	s_add_nc_u64 s[38:39], s[18:19], s[38:39]
	s_wait_alu 0xfffe
	s_cbranch_vccnz .LBB45_9
; %bb.6:                                ;   in Loop: Header=BB45_4 Depth=1
	s_mov_b32 s43, 0
	s_mov_b32 s27, 0
                                        ; implicit-def: $vgpr6
	s_and_saveexec_b32 s44, s0
	s_cbranch_execz .LBB45_10
; %bb.7:                                ;   in Loop: Header=BB45_4 Depth=1
	s_and_not1_b32 vcc_lo, exec_lo, s41
	s_wait_alu 0xfffe
	s_cbranch_vccnz .LBB45_11
; %bb.8:                                ;   in Loop: Header=BB45_4 Depth=1
	s_add_nc_u64 s[46:47], s[38:39], s[34:35]
	global_load_b32 v6, v10, s[46:47]
	s_wait_loadcnt 0x0
	v_mul_f32_e32 v6, s22, v6
	s_branch .LBB45_12
.LBB45_9:                               ;   in Loop: Header=BB45_4 Depth=1
	s_mov_b32 s27, 0
                                        ; implicit-def: $vgpr6
	s_cbranch_execnz .LBB45_13
	s_branch .LBB45_39
.LBB45_10:                              ;   in Loop: Header=BB45_4 Depth=1
	s_wait_alu 0xfffe
	s_or_b32 exec_lo, exec_lo, s44
	s_delay_alu instid0(SALU_CYCLE_1)
	s_and_b32 vcc_lo, exec_lo, s43
	s_wait_alu 0xfffe
	s_cbranch_vccnz .LBB45_13
	s_branch .LBB45_39
.LBB45_11:                              ;   in Loop: Header=BB45_4 Depth=1
	v_mov_b32_e32 v6, 0
.LBB45_12:                              ;   in Loop: Header=BB45_4 Depth=1
	s_mov_b32 s27, exec_lo
	s_or_b32 exec_lo, exec_lo, s44
	s_delay_alu instid0(SALU_CYCLE_1)
	s_and_b32 vcc_lo, exec_lo, s43
	s_wait_alu 0xfffe
	s_cbranch_vccz .LBB45_39
.LBB45_13:                              ;   in Loop: Header=BB45_4 Depth=1
	v_mov_b32_e32 v14, 0
	s_and_not1_b32 vcc_lo, exec_lo, s42
	s_wait_alu 0xfffe
	s_cbranch_vccnz .LBB45_16
; %bb.14:                               ;   in Loop: Header=BB45_4 Depth=1
	v_mad_co_u64_u32 v[6:7], null, s28, s10, v[0:1]
	v_mad_co_u64_u32 v[8:9], null, s16, s10, v[2:3]
	s_mov_b32 s43, 0
	v_mad_co_u64_u32 v[14:15], null, s29, s10, v[7:8]
	v_mad_co_u64_u32 v[15:16], null, s17, s10, v[9:10]
	s_delay_alu instid0(VALU_DEP_2) | instskip(NEXT) | instid1(VALU_DEP_2)
	v_dual_mov_b32 v7, v14 :: v_dual_mov_b32 v14, 0
	v_mov_b32_e32 v9, v15
.LBB45_15:                              ;   Parent Loop BB45_4 Depth=1
                                        ; =>  This Inner Loop Header: Depth=2
	global_load_b32 v15, v[8:9], off
	global_load_b32 v16, v[6:7], off
	v_add_co_u32 v6, vcc_lo, v6, s30
	s_wait_alu 0xfffd
	v_add_co_ci_u32_e64 v7, null, s31, v7, vcc_lo
	v_add_co_u32 v8, vcc_lo, 0x400, v8
	s_wait_alu 0xfffd
	v_add_co_ci_u32_e64 v9, null, 0, v9, vcc_lo
	s_addk_co_i32 s43, 0x100
	s_delay_alu instid0(SALU_CYCLE_1)
	s_cmp_ge_i32 s43, s26
	s_wait_loadcnt 0x0
	v_fmac_f32_e32 v14, v15, v16
	s_cbranch_scc0 .LBB45_15
.LBB45_16:                              ;   in Loop: Header=BB45_4 Depth=1
	s_and_saveexec_b32 s43, s1
	s_cbranch_execz .LBB45_18
; %bb.17:                               ;   in Loop: Header=BB45_4 Depth=1
	s_mul_u64 s[44:45], s[12:13], s[10:11]
	s_mul_u64 s[46:47], s[20:21], s[10:11]
	s_wait_alu 0xfffe
	s_lshl_b64 s[44:45], s[44:45], 2
	s_lshl_b64 s[46:47], s[46:47], 2
	s_wait_alu 0xfffe
	v_add_co_u32 v6, vcc_lo, v11, s44
	s_wait_alu 0xfffd
	v_add_co_ci_u32_e64 v7, null, s45, v12, vcc_lo
	s_add_nc_u64 s[44:45], s[14:15], s[46:47]
	v_add_co_u32 v6, vcc_lo, v6, s36
	s_wait_alu 0xfffd
	v_add_co_ci_u32_e64 v7, null, s37, v7, vcc_lo
	s_wait_alu 0xfffe
	v_add_co_u32 v8, vcc_lo, s44, v4
	s_wait_alu 0xfffd
	v_add_co_ci_u32_e64 v9, null, s45, v5, vcc_lo
	global_load_b32 v6, v[6:7], off
	global_load_b32 v7, v[8:9], off
	s_wait_loadcnt 0x0
	v_fmac_f32_e32 v14, v6, v7
.LBB45_18:                              ;   in Loop: Header=BB45_4 Depth=1
	s_or_b32 exec_lo, exec_lo, s43
	ds_store_b32 v13, v14
	s_wait_dscnt 0x0
	s_barrier_signal -1
	s_barrier_wait -1
	global_inv scope:SCOPE_SE
	s_and_saveexec_b32 s43, s2
	s_cbranch_execz .LBB45_20
; %bb.19:                               ;   in Loop: Header=BB45_4 Depth=1
	ds_load_2addr_stride64_b32 v[6:7], v13 offset1:2
	s_wait_dscnt 0x0
	v_add_f32_e32 v6, v7, v6
	ds_store_b32 v13, v6
.LBB45_20:                              ;   in Loop: Header=BB45_4 Depth=1
	s_or_b32 exec_lo, exec_lo, s43
	s_wait_loadcnt_dscnt 0x0
	s_barrier_signal -1
	s_barrier_wait -1
	global_inv scope:SCOPE_SE
	s_and_saveexec_b32 s43, s3
	s_cbranch_execz .LBB45_22
; %bb.21:                               ;   in Loop: Header=BB45_4 Depth=1
	ds_load_2addr_stride64_b32 v[6:7], v13 offset1:1
	s_wait_dscnt 0x0
	v_add_f32_e32 v6, v7, v6
	ds_store_b32 v13, v6
.LBB45_22:                              ;   in Loop: Header=BB45_4 Depth=1
	s_or_b32 exec_lo, exec_lo, s43
	s_wait_loadcnt_dscnt 0x0
	s_barrier_signal -1
	s_barrier_wait -1
	global_inv scope:SCOPE_SE
	s_and_saveexec_b32 s43, s4
	s_cbranch_execz .LBB45_24
; %bb.23:                               ;   in Loop: Header=BB45_4 Depth=1
	ds_load_2addr_b32 v[6:7], v13 offset1:32
	s_wait_dscnt 0x0
	v_add_f32_e32 v6, v7, v6
	ds_store_b32 v13, v6
.LBB45_24:                              ;   in Loop: Header=BB45_4 Depth=1
	s_or_b32 exec_lo, exec_lo, s43
	s_wait_loadcnt_dscnt 0x0
	s_barrier_signal -1
	s_barrier_wait -1
	global_inv scope:SCOPE_SE
	s_and_saveexec_b32 s43, s5
	s_cbranch_execz .LBB45_26
; %bb.25:                               ;   in Loop: Header=BB45_4 Depth=1
	ds_load_2addr_b32 v[6:7], v13 offset1:16
	s_wait_dscnt 0x0
	v_add_f32_e32 v6, v7, v6
	ds_store_b32 v13, v6
.LBB45_26:                              ;   in Loop: Header=BB45_4 Depth=1
	;; [unrolled: 13-line block ×5, first 2 shown]
	s_or_b32 exec_lo, exec_lo, s43
	s_wait_loadcnt_dscnt 0x0
	s_barrier_signal -1
	s_barrier_wait -1
	global_inv scope:SCOPE_SE
	s_and_saveexec_b32 s43, s0
	s_cbranch_execz .LBB45_34
; %bb.33:                               ;   in Loop: Header=BB45_4 Depth=1
	ds_load_b64 v[6:7], v10
	s_wait_dscnt 0x0
	v_add_f32_e32 v6, v7, v6
	ds_store_b32 v10, v6
.LBB45_34:                              ;   in Loop: Header=BB45_4 Depth=1
	s_or_b32 exec_lo, exec_lo, s43
	s_wait_loadcnt_dscnt 0x0
	s_barrier_signal -1
	s_barrier_wait -1
	global_inv scope:SCOPE_SE
                                        ; implicit-def: $vgpr6
	s_and_saveexec_b32 s43, s0
	s_cbranch_execz .LBB45_38
; %bb.35:                               ;   in Loop: Header=BB45_4 Depth=1
	ds_load_b32 v6, v10
	s_and_not1_b32 vcc_lo, exec_lo, s41
	s_wait_dscnt 0x0
	v_mul_f32_e32 v6, s23, v6
	s_wait_alu 0xfffe
	s_cbranch_vccnz .LBB45_37
; %bb.36:                               ;   in Loop: Header=BB45_4 Depth=1
	s_add_nc_u64 s[44:45], s[38:39], s[34:35]
	global_load_b32 v7, v10, s[44:45]
	s_wait_loadcnt 0x0
	v_fmac_f32_e32 v6, s22, v7
.LBB45_37:                              ;   in Loop: Header=BB45_4 Depth=1
	s_or_b32 s27, s27, exec_lo
.LBB45_38:                              ;   in Loop: Header=BB45_4 Depth=1
	s_or_b32 exec_lo, exec_lo, s43
.LBB45_39:                              ;   in Loop: Header=BB45_4 Depth=1
	s_wait_alu 0xfffe
	s_and_saveexec_b32 s43, s27
	s_cbranch_execz .LBB45_2
; %bb.40:                               ;   in Loop: Header=BB45_4 Depth=1
	s_add_nc_u64 s[38:39], s[38:39], s[34:35]
	global_store_b32 v10, v6, s[38:39]
	s_branch .LBB45_2
.LBB45_41:
	s_endpgm
	.section	.rodata,"a",@progbits
	.p2align	6, 0x0
	.amdhsa_kernel _ZL20rocblas_gemvt_kernelILb1ELi256EfffEviiT2_lPKT1_lilS3_lilS0_lPT3_lili
		.amdhsa_group_segment_fixed_size 1024
		.amdhsa_private_segment_fixed_size 0
		.amdhsa_kernarg_size 140
		.amdhsa_user_sgpr_count 2
		.amdhsa_user_sgpr_dispatch_ptr 0
		.amdhsa_user_sgpr_queue_ptr 0
		.amdhsa_user_sgpr_kernarg_segment_ptr 1
		.amdhsa_user_sgpr_dispatch_id 0
		.amdhsa_user_sgpr_private_segment_size 0
		.amdhsa_wavefront_size32 1
		.amdhsa_uses_dynamic_stack 0
		.amdhsa_enable_private_segment 0
		.amdhsa_system_sgpr_workgroup_id_x 1
		.amdhsa_system_sgpr_workgroup_id_y 0
		.amdhsa_system_sgpr_workgroup_id_z 1
		.amdhsa_system_sgpr_workgroup_info 0
		.amdhsa_system_vgpr_workitem_id 0
		.amdhsa_next_free_vgpr 17
		.amdhsa_next_free_sgpr 48
		.amdhsa_reserve_vcc 1
		.amdhsa_float_round_mode_32 0
		.amdhsa_float_round_mode_16_64 0
		.amdhsa_float_denorm_mode_32 3
		.amdhsa_float_denorm_mode_16_64 3
		.amdhsa_fp16_overflow 0
		.amdhsa_workgroup_processor_mode 1
		.amdhsa_memory_ordered 1
		.amdhsa_forward_progress 1
		.amdhsa_inst_pref_size 13
		.amdhsa_round_robin_scheduling 0
		.amdhsa_exception_fp_ieee_invalid_op 0
		.amdhsa_exception_fp_denorm_src 0
		.amdhsa_exception_fp_ieee_div_zero 0
		.amdhsa_exception_fp_ieee_overflow 0
		.amdhsa_exception_fp_ieee_underflow 0
		.amdhsa_exception_fp_ieee_inexact 0
		.amdhsa_exception_int_div_zero 0
	.end_amdhsa_kernel
	.section	.text._ZL20rocblas_gemvt_kernelILb1ELi256EfffEviiT2_lPKT1_lilS3_lilS0_lPT3_lili,"axG",@progbits,_ZL20rocblas_gemvt_kernelILb1ELi256EfffEviiT2_lPKT1_lilS3_lilS0_lPT3_lili,comdat
.Lfunc_end45:
	.size	_ZL20rocblas_gemvt_kernelILb1ELi256EfffEviiT2_lPKT1_lilS3_lilS0_lPT3_lili, .Lfunc_end45-_ZL20rocblas_gemvt_kernelILb1ELi256EfffEviiT2_lPKT1_lilS3_lilS0_lPT3_lili
                                        ; -- End function
	.set _ZL20rocblas_gemvt_kernelILb1ELi256EfffEviiT2_lPKT1_lilS3_lilS0_lPT3_lili.num_vgpr, 17
	.set _ZL20rocblas_gemvt_kernelILb1ELi256EfffEviiT2_lPKT1_lilS3_lilS0_lPT3_lili.num_agpr, 0
	.set _ZL20rocblas_gemvt_kernelILb1ELi256EfffEviiT2_lPKT1_lilS3_lilS0_lPT3_lili.numbered_sgpr, 48
	.set _ZL20rocblas_gemvt_kernelILb1ELi256EfffEviiT2_lPKT1_lilS3_lilS0_lPT3_lili.num_named_barrier, 0
	.set _ZL20rocblas_gemvt_kernelILb1ELi256EfffEviiT2_lPKT1_lilS3_lilS0_lPT3_lili.private_seg_size, 0
	.set _ZL20rocblas_gemvt_kernelILb1ELi256EfffEviiT2_lPKT1_lilS3_lilS0_lPT3_lili.uses_vcc, 1
	.set _ZL20rocblas_gemvt_kernelILb1ELi256EfffEviiT2_lPKT1_lilS3_lilS0_lPT3_lili.uses_flat_scratch, 0
	.set _ZL20rocblas_gemvt_kernelILb1ELi256EfffEviiT2_lPKT1_lilS3_lilS0_lPT3_lili.has_dyn_sized_stack, 0
	.set _ZL20rocblas_gemvt_kernelILb1ELi256EfffEviiT2_lPKT1_lilS3_lilS0_lPT3_lili.has_recursion, 0
	.set _ZL20rocblas_gemvt_kernelILb1ELi256EfffEviiT2_lPKT1_lilS3_lilS0_lPT3_lili.has_indirect_call, 0
	.section	.AMDGPU.csdata,"",@progbits
; Kernel info:
; codeLenInByte = 1592
; TotalNumSgprs: 50
; NumVgprs: 17
; ScratchSize: 0
; MemoryBound: 0
; FloatMode: 240
; IeeeMode: 1
; LDSByteSize: 1024 bytes/workgroup (compile time only)
; SGPRBlocks: 0
; VGPRBlocks: 2
; NumSGPRsForWavesPerEU: 50
; NumVGPRsForWavesPerEU: 17
; Occupancy: 16
; WaveLimiterHint : 0
; COMPUTE_PGM_RSRC2:SCRATCH_EN: 0
; COMPUTE_PGM_RSRC2:USER_SGPR: 2
; COMPUTE_PGM_RSRC2:TRAP_HANDLER: 0
; COMPUTE_PGM_RSRC2:TGID_X_EN: 1
; COMPUTE_PGM_RSRC2:TGID_Y_EN: 0
; COMPUTE_PGM_RSRC2:TGID_Z_EN: 1
; COMPUTE_PGM_RSRC2:TIDIG_COMP_CNT: 0
	.section	.text._ZL32rocblas_gemvt_warp_reduce_kernelILb1ELi1024EifPKffEviiT3_lPKT2_lT1_lS5_lS6_lS2_lPT4_lS6_li,"axG",@progbits,_ZL32rocblas_gemvt_warp_reduce_kernelILb1ELi1024EifPKffEviiT3_lPKT2_lT1_lS5_lS6_lS2_lPT4_lS6_li,comdat
	.globl	_ZL32rocblas_gemvt_warp_reduce_kernelILb1ELi1024EifPKffEviiT3_lPKT2_lT1_lS5_lS6_lS2_lPT4_lS6_li ; -- Begin function _ZL32rocblas_gemvt_warp_reduce_kernelILb1ELi1024EifPKffEviiT3_lPKT2_lT1_lS5_lS6_lS2_lPT4_lS6_li
	.p2align	8
	.type	_ZL32rocblas_gemvt_warp_reduce_kernelILb1ELi1024EifPKffEviiT3_lPKT2_lT1_lS5_lS6_lS2_lPT4_lS6_li,@function
_ZL32rocblas_gemvt_warp_reduce_kernelILb1ELi1024EifPKffEviiT3_lPKT2_lT1_lS5_lS6_lS2_lPT4_lS6_li: ; @_ZL32rocblas_gemvt_warp_reduce_kernelILb1ELi1024EifPKffEviiT3_lPKT2_lT1_lS5_lS6_lS2_lPT4_lS6_li
; %bb.0:
	s_load_b32 s33, s[0:1], 0x88
	s_lshr_b32 s28, ttmp7, 16
	s_wait_kmcnt 0x0
	s_cmp_ge_u32 s28, s33
	s_cbranch_scc1 .LBB46_34
; %bb.1:
	s_clause 0x7
	s_load_b96 s[4:6], s[0:1], 0x40
	s_load_b96 s[36:38], s[0:1], 0x70
	s_load_b256 s[8:15], s[0:1], 0x8
	s_load_b32 s7, s[0:1], 0x0
	s_load_b32 s39, s[0:1], 0x28
	s_load_b128 s[24:27], s[0:1], 0x30
	s_load_b256 s[16:23], s[0:1], 0x50
	s_load_b64 s[30:31], s[0:1], 0x80
	v_mov_b32_e32 v9, 0
	v_mbcnt_lo_u32_b32 v15, -1, 0
	v_cmp_eq_u32_e64 s0, 0, v0
	s_mov_b32 s29, 0
	v_lshl_or_b32 v16, v15, 2, 64
	s_wait_kmcnt 0x0
	s_lshl_b64 s[2:3], s[4:5], 2
	s_lshl_b64 s[4:5], s[36:37], 2
	;; [unrolled: 1-line block ×3, first 2 shown]
	v_cmp_gt_i32_e32 vcc_lo, s7, v0
	s_ashr_i32 s1, s7, 31
	s_add_nc_u64 s[14:15], s[26:27], s[2:3]
	s_lshr_b32 s1, s1, 22
	s_add_nc_u64 s[2:3], s[12:13], s[34:35]
	s_add_co_i32 s1, s7, s1
	v_cndmask_b32_e32 v1, 0, v0, vcc_lo
	s_and_b32 s26, s1, 0xfffffc00
	s_mul_i32 s36, s38, ttmp9
	v_or_b32_e32 v2, s26, v0
	s_mul_i32 s38, s39, ttmp9
	v_lshlrev_b32_e32 v1, 2, v1
	s_ashr_i32 s39, s38, 31
	v_mul_lo_u32 v14, v0, s6
	v_mul_lo_u32 v3, s6, v2
	s_lshl_b64 s[38:39], s[38:39], 2
	v_add_co_u32 v4, s1, s2, v1
	s_delay_alu instid0(VALU_DEP_1)
	v_add_co_ci_u32_e64 v5, null, s3, 0, s1
	s_add_nc_u64 s[34:35], s[34:35], s[38:39]
	v_add_co_u32 v10, vcc_lo, v4, s38
	v_ashrrev_i32_e32 v4, 31, v3
	s_wait_alu 0xfffd
	v_add_co_ci_u32_e64 v11, null, s39, v5, vcc_lo
	v_cmp_gt_i32_e64 s2, s7, v2
	v_and_b32_e32 v2, 31, v0
	v_lshrrev_b32_e32 v5, 3, v0
	s_lshl_b32 s40, s6, 10
	s_add_nc_u64 s[6:7], s[12:13], s[34:35]
	s_add_nc_u64 s[22:23], s[22:23], s[4:5]
	s_wait_alu 0xfffe
	v_add_co_u32 v1, s5, s6, v1
	v_lshlrev_b64_e32 v[3:4], 2, v[3:4]
	v_cmp_gt_i32_e64 s1, s26, v0
	v_cmp_gt_u32_e64 s3, 32, v0
	v_lshlrev_b32_e32 v12, 2, v2
	v_cmp_eq_u32_e64 s4, 0, v2
	v_and_b32_e32 v13, 0x7c, v5
	v_add_co_ci_u32_e64 v2, null, s7, 0, s5
	s_ashr_i32 s37, s36, 31
	s_ashr_i32 s27, s26, 31
	s_lshl_b64 s[6:7], s[24:25], 2
	s_lshl_b64 s[12:13], s[36:37], 2
	s_wait_alu 0xfffe
	s_lshl_b64 s[34:35], s[26:27], 2
	s_branch .LBB46_4
.LBB46_2:                               ;   in Loop: Header=BB46_4 Depth=1
	s_wait_alu 0xfffe
	s_or_b32 exec_lo, exec_lo, s5
.LBB46_3:                               ;   in Loop: Header=BB46_4 Depth=1
	s_add_co_i32 s28, s28, 0x10000
	s_wait_alu 0xfffe
	s_cmp_lt_u32 s28, s33
	s_cbranch_scc0 .LBB46_34
.LBB46_4:                               ; =>This Loop Header: Depth=1
                                        ;     Child Loop BB46_23 Depth 2
	s_mul_u64 s[36:37], s[10:11], s[28:29]
	s_mul_u64 s[38:39], s[20:21], s[28:29]
	s_lshl_b64 s[36:37], s[36:37], 2
	s_wait_alu 0xfffe
	s_lshl_b64 s[38:39], s[38:39], 2
	s_add_nc_u64 s[36:37], s[8:9], s[36:37]
	s_wait_alu 0xfffe
	s_add_nc_u64 s[38:39], s[18:19], s[38:39]
	s_clause 0x1
	global_load_b32 v17, v9, s[36:37]
	global_load_b32 v5, v9, s[38:39]
	s_wait_loadcnt 0x1
	v_cmp_eq_f32_e32 vcc_lo, 0, v17
	s_wait_loadcnt 0x0
	v_cmp_eq_f32_e64 s5, 1.0, v5
	v_readfirstlane_b32 s27, v5
	s_and_b32 s5, vcc_lo, s5
	s_wait_alu 0xfffe
	s_and_b32 vcc_lo, exec_lo, s5
	s_wait_alu 0xfffe
	s_cbranch_vccnz .LBB46_3
; %bb.5:                                ;   in Loop: Header=BB46_4 Depth=1
	v_cmp_neq_f32_e32 vcc_lo, 0, v17
	s_mul_u64 s[36:37], s[30:31], s[28:29]
	s_delay_alu instid0(SALU_CYCLE_1) | instskip(NEXT) | instid1(SALU_CYCLE_1)
	s_lshl_b64 s[36:37], s[36:37], 2
	s_add_nc_u64 s[36:37], s[22:23], s[36:37]
	s_cbranch_vccnz .LBB46_9
; %bb.6:                                ;   in Loop: Header=BB46_4 Depth=1
	s_mov_b32 s5, 0
	s_mov_b32 s41, 0
                                        ; implicit-def: $vgpr5
	s_and_saveexec_b32 s38, s0
	s_cbranch_execz .LBB46_10
; %bb.7:                                ;   in Loop: Header=BB46_4 Depth=1
	s_cmp_eq_f32 s27, 0
	s_cbranch_scc1 .LBB46_11
; %bb.8:                                ;   in Loop: Header=BB46_4 Depth=1
	s_add_nc_u64 s[42:43], s[36:37], s[12:13]
	global_load_b32 v5, v9, s[42:43]
	s_wait_loadcnt 0x0
	v_mul_f32_e32 v5, s27, v5
	s_branch .LBB46_12
.LBB46_9:                               ;   in Loop: Header=BB46_4 Depth=1
	s_mov_b32 s41, 0
                                        ; implicit-def: $vgpr5
	s_cbranch_execnz .LBB46_13
	s_branch .LBB46_32
.LBB46_10:                              ;   in Loop: Header=BB46_4 Depth=1
	s_wait_alu 0xfffe
	s_or_b32 exec_lo, exec_lo, s38
	s_delay_alu instid0(SALU_CYCLE_1)
	s_and_b32 vcc_lo, exec_lo, s5
	s_wait_alu 0xfffe
	s_cbranch_vccnz .LBB46_13
	s_branch .LBB46_32
.LBB46_11:                              ;   in Loop: Header=BB46_4 Depth=1
	v_mov_b32_e32 v5, 0
.LBB46_12:                              ;   in Loop: Header=BB46_4 Depth=1
	s_mov_b32 s41, exec_lo
	s_wait_alu 0xfffe
	s_or_b32 exec_lo, exec_lo, s38
	s_delay_alu instid0(SALU_CYCLE_1)
	s_and_b32 vcc_lo, exec_lo, s5
	s_wait_alu 0xfffe
	s_cbranch_vccz .LBB46_32
.LBB46_13:                              ;   in Loop: Header=BB46_4 Depth=1
	s_mul_u64 s[38:39], s[16:17], s[28:29]
	s_wait_dscnt 0x0
	v_mov_b32_e32 v18, 0
	s_wait_alu 0xfffe
	s_lshl_b64 s[38:39], s[38:39], 2
	s_wait_alu 0xfffe
	s_add_nc_u64 s[38:39], s[14:15], s[38:39]
	s_and_saveexec_b32 s42, s1
	s_cbranch_execnz .LBB46_22
; %bb.14:                               ;   in Loop: Header=BB46_4 Depth=1
	s_wait_alu 0xfffe
	s_or_b32 exec_lo, exec_lo, s42
	s_and_saveexec_b32 s5, s2
	s_cbranch_execnz .LBB46_25
.LBB46_15:                              ;   in Loop: Header=BB46_4 Depth=1
	s_wait_alu 0xfffe
	s_or_b32 exec_lo, exec_lo, s5
	s_and_saveexec_b32 s5, s3
.LBB46_16:                              ;   in Loop: Header=BB46_4 Depth=1
	ds_store_b32 v12, v9
.LBB46_17:                              ;   in Loop: Header=BB46_4 Depth=1
	s_wait_alu 0xfffe
	s_or_b32 exec_lo, exec_lo, s5
	ds_bpermute_b32 v6, v16, v18
	v_cmp_gt_u32_e32 vcc_lo, 24, v15
	s_wait_dscnt 0x0
	s_barrier_signal -1
	s_barrier_wait -1
	global_inv scope:SCOPE_SE
	s_wait_alu 0xfffd
	v_cndmask_b32_e64 v5, 0, 8, vcc_lo
	v_cmp_gt_u32_e32 vcc_lo, 28, v15
	s_delay_alu instid0(VALU_DEP_2)
	v_add_lshl_u32 v5, v5, v15, 2
	v_add_f32_e32 v7, v18, v6
	s_wait_alu 0xfffd
	v_cndmask_b32_e64 v6, 0, 4, vcc_lo
	v_cmp_gt_u32_e32 vcc_lo, 30, v15
	ds_bpermute_b32 v8, v5, v7
	v_add_lshl_u32 v6, v6, v15, 2
	s_wait_dscnt 0x0
	v_add_f32_e32 v8, v7, v8
	s_wait_alu 0xfffd
	v_cndmask_b32_e64 v7, 0, 2, vcc_lo
	v_cmp_ne_u32_e32 vcc_lo, 31, v15
	ds_bpermute_b32 v18, v6, v8
	v_add_lshl_u32 v7, v7, v15, 2
	s_wait_alu 0xfffd
	v_add_co_ci_u32_e64 v19, null, 0, v15, vcc_lo
	s_wait_dscnt 0x0
	v_add_f32_e32 v8, v8, v18
	ds_bpermute_b32 v18, v7, v8
	s_wait_dscnt 0x0
	v_add_f32_e32 v18, v8, v18
	v_lshlrev_b32_e32 v8, 2, v19
	ds_bpermute_b32 v19, v8, v18
	s_and_saveexec_b32 s5, s4
	s_cbranch_execz .LBB46_19
; %bb.18:                               ;   in Loop: Header=BB46_4 Depth=1
	s_wait_dscnt 0x0
	v_add_f32_e32 v18, v18, v19
	ds_store_b32 v13, v18
.LBB46_19:                              ;   in Loop: Header=BB46_4 Depth=1
	s_wait_alu 0xfffe
	s_or_b32 exec_lo, exec_lo, s5
	v_mov_b32_e32 v18, 0
	s_wait_loadcnt_dscnt 0x0
	s_barrier_signal -1
	s_barrier_wait -1
	global_inv scope:SCOPE_SE
	s_and_saveexec_b32 s5, s3
	s_cbranch_execnz .LBB46_26
; %bb.20:                               ;   in Loop: Header=BB46_4 Depth=1
	s_wait_alu 0xfffe
	s_or_b32 exec_lo, exec_lo, s5
	s_and_saveexec_b32 s5, s3
	s_cbranch_execnz .LBB46_27
.LBB46_21:                              ;   in Loop: Header=BB46_4 Depth=1
	s_wait_alu 0xfffe
	s_or_b32 exec_lo, exec_lo, s5
                                        ; implicit-def: $vgpr5
	s_and_saveexec_b32 s5, s0
	s_cbranch_execnz .LBB46_28
	s_branch .LBB46_31
.LBB46_22:                              ;   in Loop: Header=BB46_4 Depth=1
	v_mad_co_u64_u32 v[5:6], null, s6, s28, v[1:2]
	v_dual_mov_b32 v18, 0 :: v_dual_mov_b32 v19, v0
	s_mov_b32 s43, 0
	s_delay_alu instid0(VALU_DEP_2)
	v_mad_co_u64_u32 v[6:7], null, s7, s28, v[6:7]
	v_mov_b32_e32 v7, v14
.LBB46_23:                              ;   Parent Loop BB46_4 Depth=1
                                        ; =>  This Inner Loop Header: Depth=2
	s_delay_alu instid0(VALU_DEP_1) | instskip(NEXT) | instid1(VALU_DEP_1)
	v_ashrrev_i32_e32 v8, 31, v7
	v_lshlrev_b64_e32 v[20:21], 2, v[7:8]
	v_add_nc_u32_e32 v7, s40, v7
	s_wait_alu 0xfffe
	s_delay_alu instid0(VALU_DEP_2) | instskip(SKIP_1) | instid1(VALU_DEP_3)
	v_add_co_u32 v20, vcc_lo, s38, v20
	s_wait_alu 0xfffd
	v_add_co_ci_u32_e64 v21, null, s39, v21, vcc_lo
	global_load_b32 v8, v[5:6], off
	global_load_b32 v20, v[20:21], off
	v_add_nc_u32_e32 v19, 0x400, v19
	v_add_co_u32 v5, vcc_lo, 0x1000, v5
	s_wait_alu 0xfffd
	v_add_co_ci_u32_e64 v6, null, 0, v6, vcc_lo
	s_wait_loadcnt 0x0
	v_fmac_f32_e32 v18, v8, v20
	v_cmp_le_i32_e64 s5, s26, v19
	s_or_b32 s43, s5, s43
	s_wait_alu 0xfffe
	s_and_not1_b32 exec_lo, exec_lo, s43
	s_cbranch_execnz .LBB46_23
; %bb.24:                               ;   in Loop: Header=BB46_4 Depth=1
	s_or_b32 exec_lo, exec_lo, s43
	s_delay_alu instid0(SALU_CYCLE_1)
	s_or_b32 exec_lo, exec_lo, s42
	s_and_saveexec_b32 s5, s2
	s_cbranch_execz .LBB46_15
.LBB46_25:                              ;   in Loop: Header=BB46_4 Depth=1
	s_mul_u64 s[42:43], s[24:25], s[28:29]
	s_wait_alu 0xfffe
	s_lshl_b64 s[42:43], s[42:43], 2
	s_wait_alu 0xfffe
	v_add_co_u32 v5, vcc_lo, v10, s42
	s_wait_alu 0xfffd
	v_add_co_ci_u32_e64 v6, null, s43, v11, vcc_lo
	s_delay_alu instid0(VALU_DEP_2) | instskip(SKIP_1) | instid1(VALU_DEP_2)
	v_add_co_u32 v5, vcc_lo, v5, s34
	s_wait_alu 0xfffd
	v_add_co_ci_u32_e64 v6, null, s35, v6, vcc_lo
	v_add_co_u32 v7, vcc_lo, s38, v3
	s_wait_alu 0xfffd
	v_add_co_ci_u32_e64 v8, null, s39, v4, vcc_lo
	global_load_b32 v5, v[5:6], off
	global_load_b32 v6, v[7:8], off
	s_wait_loadcnt 0x0
	v_fmac_f32_e32 v18, v5, v6
	s_or_b32 exec_lo, exec_lo, s5
	s_and_saveexec_b32 s5, s3
	s_cbranch_execnz .LBB46_16
	s_branch .LBB46_17
.LBB46_26:                              ;   in Loop: Header=BB46_4 Depth=1
	ds_load_b32 v18, v12
	s_wait_alu 0xfffe
	s_or_b32 exec_lo, exec_lo, s5
	s_and_saveexec_b32 s5, s3
	s_cbranch_execz .LBB46_21
.LBB46_27:                              ;   in Loop: Header=BB46_4 Depth=1
	s_wait_dscnt 0x0
	ds_bpermute_b32 v19, v16, v18
	s_wait_dscnt 0x0
	v_add_f32_e32 v18, v18, v19
	ds_bpermute_b32 v5, v5, v18
	s_wait_dscnt 0x0
	v_add_f32_e32 v5, v18, v5
	;; [unrolled: 3-line block ×5, first 2 shown]
	s_wait_alu 0xfffe
	s_or_b32 exec_lo, exec_lo, s5
                                        ; implicit-def: $vgpr5
	s_and_saveexec_b32 s5, s0
	s_cbranch_execz .LBB46_31
.LBB46_28:                              ;   in Loop: Header=BB46_4 Depth=1
	s_wait_dscnt 0x0
	v_mul_f32_e32 v5, v17, v18
	s_cmp_eq_f32 s27, 0
	s_cbranch_scc1 .LBB46_30
; %bb.29:                               ;   in Loop: Header=BB46_4 Depth=1
	s_add_nc_u64 s[38:39], s[36:37], s[12:13]
	global_load_b32 v6, v9, s[38:39]
	s_wait_loadcnt 0x0
	v_fmac_f32_e32 v5, s27, v6
.LBB46_30:                              ;   in Loop: Header=BB46_4 Depth=1
	s_or_b32 s41, s41, exec_lo
.LBB46_31:                              ;   in Loop: Header=BB46_4 Depth=1
	s_wait_alu 0xfffe
	s_or_b32 exec_lo, exec_lo, s5
.LBB46_32:                              ;   in Loop: Header=BB46_4 Depth=1
	s_wait_alu 0xfffe
	s_and_saveexec_b32 s5, s41
	s_cbranch_execz .LBB46_2
; %bb.33:                               ;   in Loop: Header=BB46_4 Depth=1
	s_add_nc_u64 s[36:37], s[36:37], s[12:13]
	global_store_b32 v9, v5, s[36:37]
	s_branch .LBB46_2
.LBB46_34:
	s_endpgm
	.section	.rodata,"a",@progbits
	.p2align	6, 0x0
	.amdhsa_kernel _ZL32rocblas_gemvt_warp_reduce_kernelILb1ELi1024EifPKffEviiT3_lPKT2_lT1_lS5_lS6_lS2_lPT4_lS6_li
		.amdhsa_group_segment_fixed_size 128
		.amdhsa_private_segment_fixed_size 0
		.amdhsa_kernarg_size 140
		.amdhsa_user_sgpr_count 2
		.amdhsa_user_sgpr_dispatch_ptr 0
		.amdhsa_user_sgpr_queue_ptr 0
		.amdhsa_user_sgpr_kernarg_segment_ptr 1
		.amdhsa_user_sgpr_dispatch_id 0
		.amdhsa_user_sgpr_private_segment_size 0
		.amdhsa_wavefront_size32 1
		.amdhsa_uses_dynamic_stack 0
		.amdhsa_enable_private_segment 0
		.amdhsa_system_sgpr_workgroup_id_x 1
		.amdhsa_system_sgpr_workgroup_id_y 0
		.amdhsa_system_sgpr_workgroup_id_z 1
		.amdhsa_system_sgpr_workgroup_info 0
		.amdhsa_system_vgpr_workitem_id 0
		.amdhsa_next_free_vgpr 22
		.amdhsa_next_free_sgpr 44
		.amdhsa_reserve_vcc 1
		.amdhsa_float_round_mode_32 0
		.amdhsa_float_round_mode_16_64 0
		.amdhsa_float_denorm_mode_32 3
		.amdhsa_float_denorm_mode_16_64 3
		.amdhsa_fp16_overflow 0
		.amdhsa_workgroup_processor_mode 1
		.amdhsa_memory_ordered 1
		.amdhsa_forward_progress 1
		.amdhsa_inst_pref_size 13
		.amdhsa_round_robin_scheduling 0
		.amdhsa_exception_fp_ieee_invalid_op 0
		.amdhsa_exception_fp_denorm_src 0
		.amdhsa_exception_fp_ieee_div_zero 0
		.amdhsa_exception_fp_ieee_overflow 0
		.amdhsa_exception_fp_ieee_underflow 0
		.amdhsa_exception_fp_ieee_inexact 0
		.amdhsa_exception_int_div_zero 0
	.end_amdhsa_kernel
	.section	.text._ZL32rocblas_gemvt_warp_reduce_kernelILb1ELi1024EifPKffEviiT3_lPKT2_lT1_lS5_lS6_lS2_lPT4_lS6_li,"axG",@progbits,_ZL32rocblas_gemvt_warp_reduce_kernelILb1ELi1024EifPKffEviiT3_lPKT2_lT1_lS5_lS6_lS2_lPT4_lS6_li,comdat
.Lfunc_end46:
	.size	_ZL32rocblas_gemvt_warp_reduce_kernelILb1ELi1024EifPKffEviiT3_lPKT2_lT1_lS5_lS6_lS2_lPT4_lS6_li, .Lfunc_end46-_ZL32rocblas_gemvt_warp_reduce_kernelILb1ELi1024EifPKffEviiT3_lPKT2_lT1_lS5_lS6_lS2_lPT4_lS6_li
                                        ; -- End function
	.set _ZL32rocblas_gemvt_warp_reduce_kernelILb1ELi1024EifPKffEviiT3_lPKT2_lT1_lS5_lS6_lS2_lPT4_lS6_li.num_vgpr, 22
	.set _ZL32rocblas_gemvt_warp_reduce_kernelILb1ELi1024EifPKffEviiT3_lPKT2_lT1_lS5_lS6_lS2_lPT4_lS6_li.num_agpr, 0
	.set _ZL32rocblas_gemvt_warp_reduce_kernelILb1ELi1024EifPKffEviiT3_lPKT2_lT1_lS5_lS6_lS2_lPT4_lS6_li.numbered_sgpr, 44
	.set _ZL32rocblas_gemvt_warp_reduce_kernelILb1ELi1024EifPKffEviiT3_lPKT2_lT1_lS5_lS6_lS2_lPT4_lS6_li.num_named_barrier, 0
	.set _ZL32rocblas_gemvt_warp_reduce_kernelILb1ELi1024EifPKffEviiT3_lPKT2_lT1_lS5_lS6_lS2_lPT4_lS6_li.private_seg_size, 0
	.set _ZL32rocblas_gemvt_warp_reduce_kernelILb1ELi1024EifPKffEviiT3_lPKT2_lT1_lS5_lS6_lS2_lPT4_lS6_li.uses_vcc, 1
	.set _ZL32rocblas_gemvt_warp_reduce_kernelILb1ELi1024EifPKffEviiT3_lPKT2_lT1_lS5_lS6_lS2_lPT4_lS6_li.uses_flat_scratch, 0
	.set _ZL32rocblas_gemvt_warp_reduce_kernelILb1ELi1024EifPKffEviiT3_lPKT2_lT1_lS5_lS6_lS2_lPT4_lS6_li.has_dyn_sized_stack, 0
	.set _ZL32rocblas_gemvt_warp_reduce_kernelILb1ELi1024EifPKffEviiT3_lPKT2_lT1_lS5_lS6_lS2_lPT4_lS6_li.has_recursion, 0
	.set _ZL32rocblas_gemvt_warp_reduce_kernelILb1ELi1024EifPKffEviiT3_lPKT2_lT1_lS5_lS6_lS2_lPT4_lS6_li.has_indirect_call, 0
	.section	.AMDGPU.csdata,"",@progbits
; Kernel info:
; codeLenInByte = 1560
; TotalNumSgprs: 46
; NumVgprs: 22
; ScratchSize: 0
; MemoryBound: 0
; FloatMode: 240
; IeeeMode: 1
; LDSByteSize: 128 bytes/workgroup (compile time only)
; SGPRBlocks: 0
; VGPRBlocks: 2
; NumSGPRsForWavesPerEU: 46
; NumVGPRsForWavesPerEU: 22
; Occupancy: 16
; WaveLimiterHint : 0
; COMPUTE_PGM_RSRC2:SCRATCH_EN: 0
; COMPUTE_PGM_RSRC2:USER_SGPR: 2
; COMPUTE_PGM_RSRC2:TRAP_HANDLER: 0
; COMPUTE_PGM_RSRC2:TGID_X_EN: 1
; COMPUTE_PGM_RSRC2:TGID_Y_EN: 0
; COMPUTE_PGM_RSRC2:TGID_Z_EN: 1
; COMPUTE_PGM_RSRC2:TIDIG_COMP_CNT: 0
	.section	.text._ZL32rocblas_gemvt_warp_reduce_kernelILb1ELi1024ElfPKffEviiT3_lPKT2_lT1_lS5_lS6_lS2_lPT4_lS6_li,"axG",@progbits,_ZL32rocblas_gemvt_warp_reduce_kernelILb1ELi1024ElfPKffEviiT3_lPKT2_lT1_lS5_lS6_lS2_lPT4_lS6_li,comdat
	.globl	_ZL32rocblas_gemvt_warp_reduce_kernelILb1ELi1024ElfPKffEviiT3_lPKT2_lT1_lS5_lS6_lS2_lPT4_lS6_li ; -- Begin function _ZL32rocblas_gemvt_warp_reduce_kernelILb1ELi1024ElfPKffEviiT3_lPKT2_lT1_lS5_lS6_lS2_lPT4_lS6_li
	.p2align	8
	.type	_ZL32rocblas_gemvt_warp_reduce_kernelILb1ELi1024ElfPKffEviiT3_lPKT2_lT1_lS5_lS6_lS2_lPT4_lS6_li,@function
_ZL32rocblas_gemvt_warp_reduce_kernelILb1ELi1024ElfPKffEviiT3_lPKT2_lT1_lS5_lS6_lS2_lPT4_lS6_li: ; @_ZL32rocblas_gemvt_warp_reduce_kernelILb1ELi1024ElfPKffEviiT3_lPKT2_lT1_lS5_lS6_lS2_lPT4_lS6_li
; %bb.0:
	s_load_b32 s33, s[0:1], 0x88
	s_lshr_b32 s6, ttmp7, 16
	s_wait_kmcnt 0x0
	s_cmp_ge_u32 s6, s33
	s_cbranch_scc1 .LBB47_34
; %bb.1:
	s_clause 0x2
	s_load_b512 s[8:23], s[0:1], 0x8
	s_load_b512 s[36:51], s[0:1], 0x48
	s_load_b32 s28, s[0:1], 0x0
	s_mov_b32 s2, ttmp9
	s_ashr_i32 s3, ttmp9, 31
	v_mbcnt_lo_u32_b32 v16, -1, 0
	v_cmp_eq_u32_e64 s0, 0, v0
	s_mov_b32 s7, 0
	v_lshl_or_b32 v17, v16, 2, 64
	s_wait_kmcnt 0x0
	s_lshl_b64 s[4:5], s[22:23], 2
	s_lshl_b64 s[24:25], s[14:15], 2
	v_cmp_gt_i32_e32 vcc_lo, s28, v0
	s_ashr_i32 s1, s28, 31
	v_mad_co_u64_u32 v[1:2], null, s36, v0, 0
	s_lshr_b32 s1, s1, 22
	v_cndmask_b32_e32 v3, 0, v0, vcc_lo
	s_add_nc_u64 s[14:15], s[20:21], s[4:5]
	s_add_nc_u64 s[4:5], s[12:13], s[24:25]
	s_add_co_i32 s1, s28, s1
	s_lshl_b64 s[22:23], s[46:47], 2
	v_lshlrev_b32_e32 v7, 2, v3
	s_and_b32 s20, s1, 0xfffffc00
	s_mul_u64 s[26:27], s[48:49], s[2:3]
	s_mul_u64 s[2:3], s[16:17], s[2:3]
	v_or_b32_e32 v4, s20, v0
	v_add_co_u32 v3, s1, s4, v7
	s_delay_alu instid0(VALU_DEP_1)
	v_add_co_ci_u32_e64 v5, null, s5, 0, s1
	s_add_nc_u64 s[16:17], s[44:45], s[22:23]
	s_lshl_b64 s[22:23], s[2:3], 2
	v_mul_lo_u32 v8, s37, v4
	v_add_co_u32 v12, vcc_lo, v3, s22
	v_mad_co_u64_u32 v[2:3], null, s37, v0, v[2:3]
	s_wait_alu 0xfffd
	v_add_co_ci_u32_e64 v13, null, s23, v5, vcc_lo
	v_mad_co_u64_u32 v[5:6], null, s36, v4, 0
	v_and_b32_e32 v3, 31, v0
	v_cmp_gt_i32_e64 s2, s28, v4
	v_lshrrev_b32_e32 v4, 3, v0
	s_ashr_i32 s21, s20, 31
	v_dual_mov_b32 v11, 0 :: v_dual_lshlrev_b32 v14, 2, v3
	s_wait_alu 0xfffe
	s_mul_i32 s3, s36, s21
	v_cmp_eq_u32_e64 s4, 0, v3
	v_and_b32_e32 v15, 0x7c, v4
	v_lshlrev_b64_e32 v[3:4], 2, v[1:2]
	v_add3_u32 v6, v6, s3, v8
	s_add_nc_u64 s[22:23], s[22:23], s[24:25]
	v_cmp_gt_i32_e64 s1, s20, v0
	s_wait_alu 0xfffe
	s_add_nc_u64 s[12:13], s[12:13], s[22:23]
	v_cmp_gt_u32_e64 s3, 32, v0
	v_add_co_u32 v1, s5, s12, v7
	v_add_co_u32 v3, vcc_lo, s14, v3
	v_lshlrev_b64_e32 v[5:6], 2, v[5:6]
	s_wait_alu 0xf1ff
	v_add_co_ci_u32_e64 v2, null, s13, 0, s5
	s_wait_alu 0xfffd
	v_add_co_ci_u32_e64 v4, null, s15, v4, vcc_lo
	s_lshl_b64 s[12:13], s[18:19], 2
	s_lshl_b64 s[22:23], s[38:39], 2
	;; [unrolled: 1-line block ×5, first 2 shown]
	s_branch .LBB47_4
.LBB47_2:                               ;   in Loop: Header=BB47_4 Depth=1
	s_wait_alu 0xfffe
	s_or_b32 exec_lo, exec_lo, s5
.LBB47_3:                               ;   in Loop: Header=BB47_4 Depth=1
	s_add_co_i32 s6, s6, 0x10000
	s_wait_alu 0xfffe
	s_cmp_lt_u32 s6, s33
	s_cbranch_scc0 .LBB47_34
.LBB47_4:                               ; =>This Loop Header: Depth=1
                                        ;     Child Loop BB47_23 Depth 2
	s_mul_u64 s[30:31], s[10:11], s[6:7]
	s_mul_u64 s[34:35], s[42:43], s[6:7]
	s_lshl_b64 s[30:31], s[30:31], 2
	s_lshl_b64 s[34:35], s[34:35], 2
	s_add_nc_u64 s[30:31], s[8:9], s[30:31]
	s_add_nc_u64 s[34:35], s[40:41], s[34:35]
	s_clause 0x1
	global_load_b32 v18, v11, s[30:31]
	global_load_b32 v7, v11, s[34:35]
	s_wait_loadcnt 0x1
	v_cmp_eq_f32_e32 vcc_lo, 0, v18
	s_wait_loadcnt 0x0
	v_cmp_eq_f32_e64 s5, 1.0, v7
	v_readfirstlane_b32 s21, v7
	s_and_b32 s5, vcc_lo, s5
	s_wait_alu 0xfffe
	s_and_b32 vcc_lo, exec_lo, s5
	s_wait_alu 0xfffe
	s_cbranch_vccnz .LBB47_3
; %bb.5:                                ;   in Loop: Header=BB47_4 Depth=1
	v_cmp_neq_f32_e32 vcc_lo, 0, v18
	s_mul_u64 s[30:31], s[50:51], s[6:7]
	s_delay_alu instid0(SALU_CYCLE_1) | instskip(NEXT) | instid1(SALU_CYCLE_1)
	s_lshl_b64 s[30:31], s[30:31], 2
	s_add_nc_u64 s[30:31], s[16:17], s[30:31]
	s_cbranch_vccnz .LBB47_9
; %bb.6:                                ;   in Loop: Header=BB47_4 Depth=1
	s_mov_b32 s5, 0
	s_mov_b32 s34, 0
                                        ; implicit-def: $vgpr7
	s_and_saveexec_b32 s35, s0
	s_cbranch_execz .LBB47_10
; %bb.7:                                ;   in Loop: Header=BB47_4 Depth=1
	s_cmp_eq_f32 s21, 0
	s_cbranch_scc1 .LBB47_11
; %bb.8:                                ;   in Loop: Header=BB47_4 Depth=1
	s_add_nc_u64 s[36:37], s[30:31], s[26:27]
	global_load_b32 v7, v11, s[36:37]
	s_wait_loadcnt 0x0
	v_mul_f32_e32 v7, s21, v7
	s_branch .LBB47_12
.LBB47_9:                               ;   in Loop: Header=BB47_4 Depth=1
	s_mov_b32 s34, 0
                                        ; implicit-def: $vgpr7
	s_cbranch_execnz .LBB47_13
	s_branch .LBB47_32
.LBB47_10:                              ;   in Loop: Header=BB47_4 Depth=1
	s_or_b32 exec_lo, exec_lo, s35
	s_wait_alu 0xfffe
	s_and_b32 vcc_lo, exec_lo, s5
	s_wait_alu 0xfffe
	s_cbranch_vccnz .LBB47_13
	s_branch .LBB47_32
.LBB47_11:                              ;   in Loop: Header=BB47_4 Depth=1
	v_mov_b32_e32 v7, 0
.LBB47_12:                              ;   in Loop: Header=BB47_4 Depth=1
	s_mov_b32 s34, exec_lo
	s_or_b32 exec_lo, exec_lo, s35
	s_wait_alu 0xfffe
	s_and_b32 vcc_lo, exec_lo, s5
	s_wait_alu 0xfffe
	s_cbranch_vccz .LBB47_32
.LBB47_13:                              ;   in Loop: Header=BB47_4 Depth=1
	s_wait_dscnt 0x0
	v_mov_b32_e32 v19, 0
	s_and_saveexec_b32 s35, s1
	s_cbranch_execnz .LBB47_22
; %bb.14:                               ;   in Loop: Header=BB47_4 Depth=1
	s_or_b32 exec_lo, exec_lo, s35
	s_and_saveexec_b32 s5, s2
	s_cbranch_execnz .LBB47_25
.LBB47_15:                              ;   in Loop: Header=BB47_4 Depth=1
	s_wait_alu 0xfffe
	s_or_b32 exec_lo, exec_lo, s5
	s_and_saveexec_b32 s5, s3
.LBB47_16:                              ;   in Loop: Header=BB47_4 Depth=1
	ds_store_b32 v14, v11
.LBB47_17:                              ;   in Loop: Header=BB47_4 Depth=1
	s_wait_alu 0xfffe
	s_or_b32 exec_lo, exec_lo, s5
	ds_bpermute_b32 v8, v17, v19
	v_cmp_gt_u32_e32 vcc_lo, 24, v16
	s_wait_dscnt 0x0
	s_barrier_signal -1
	s_barrier_wait -1
	global_inv scope:SCOPE_SE
	s_wait_alu 0xfffd
	v_cndmask_b32_e64 v7, 0, 8, vcc_lo
	v_cmp_gt_u32_e32 vcc_lo, 28, v16
	s_delay_alu instid0(VALU_DEP_2)
	v_add_lshl_u32 v7, v7, v16, 2
	v_add_f32_e32 v9, v19, v8
	s_wait_alu 0xfffd
	v_cndmask_b32_e64 v8, 0, 4, vcc_lo
	v_cmp_gt_u32_e32 vcc_lo, 30, v16
	ds_bpermute_b32 v10, v7, v9
	v_add_lshl_u32 v8, v8, v16, 2
	s_wait_dscnt 0x0
	v_add_f32_e32 v10, v9, v10
	s_wait_alu 0xfffd
	v_cndmask_b32_e64 v9, 0, 2, vcc_lo
	v_cmp_ne_u32_e32 vcc_lo, 31, v16
	ds_bpermute_b32 v19, v8, v10
	v_add_lshl_u32 v9, v9, v16, 2
	s_wait_alu 0xfffd
	v_add_co_ci_u32_e64 v20, null, 0, v16, vcc_lo
	s_wait_dscnt 0x0
	v_add_f32_e32 v10, v10, v19
	ds_bpermute_b32 v19, v9, v10
	s_wait_dscnt 0x0
	v_dual_add_f32 v19, v10, v19 :: v_dual_lshlrev_b32 v10, 2, v20
	ds_bpermute_b32 v20, v10, v19
	s_and_saveexec_b32 s5, s4
	s_cbranch_execz .LBB47_19
; %bb.18:                               ;   in Loop: Header=BB47_4 Depth=1
	s_wait_dscnt 0x0
	v_add_f32_e32 v19, v19, v20
	ds_store_b32 v15, v19
.LBB47_19:                              ;   in Loop: Header=BB47_4 Depth=1
	s_wait_alu 0xfffe
	s_or_b32 exec_lo, exec_lo, s5
	v_mov_b32_e32 v19, 0
	s_wait_loadcnt_dscnt 0x0
	s_barrier_signal -1
	s_barrier_wait -1
	global_inv scope:SCOPE_SE
	s_and_saveexec_b32 s5, s3
	s_cbranch_execnz .LBB47_26
; %bb.20:                               ;   in Loop: Header=BB47_4 Depth=1
	s_wait_alu 0xfffe
	s_or_b32 exec_lo, exec_lo, s5
	s_and_saveexec_b32 s5, s3
	s_cbranch_execnz .LBB47_27
.LBB47_21:                              ;   in Loop: Header=BB47_4 Depth=1
	s_wait_alu 0xfffe
	s_or_b32 exec_lo, exec_lo, s5
                                        ; implicit-def: $vgpr7
	s_and_saveexec_b32 s5, s0
	s_cbranch_execnz .LBB47_28
	s_branch .LBB47_31
.LBB47_22:                              ;   in Loop: Header=BB47_4 Depth=1
	v_mad_co_u64_u32 v[7:8], null, s12, s6, v[1:2]
	v_mad_co_u64_u32 v[9:10], null, s22, s6, v[3:4]
	s_mov_b32 s36, 0
	v_mad_co_u64_u32 v[20:21], null, s13, s6, v[8:9]
	v_mad_co_u64_u32 v[21:22], null, s23, s6, v[10:11]
	s_delay_alu instid0(VALU_DEP_2) | instskip(SKIP_1) | instid1(VALU_DEP_3)
	v_dual_mov_b32 v19, 0 :: v_dual_mov_b32 v8, v20
	v_mov_b32_e32 v20, v0
	v_mov_b32_e32 v10, v21
.LBB47_23:                              ;   Parent Loop BB47_4 Depth=1
                                        ; =>  This Inner Loop Header: Depth=2
	global_load_b32 v21, v[7:8], off
	global_load_b32 v22, v[9:10], off
	v_add_nc_u32_e32 v20, 0x400, v20
	v_add_co_u32 v7, vcc_lo, 0x1000, v7
	s_wait_alu 0xfffd
	v_add_co_ci_u32_e64 v8, null, 0, v8, vcc_lo
	v_add_co_u32 v9, vcc_lo, v9, s24
	s_wait_alu 0xfffd
	v_add_co_ci_u32_e64 v10, null, s25, v10, vcc_lo
	s_wait_loadcnt 0x0
	v_fmac_f32_e32 v19, v21, v22
	v_cmp_le_i32_e64 s5, s20, v20
	s_wait_alu 0xfffe
	s_or_b32 s36, s5, s36
	s_wait_alu 0xfffe
	s_and_not1_b32 exec_lo, exec_lo, s36
	s_cbranch_execnz .LBB47_23
; %bb.24:                               ;   in Loop: Header=BB47_4 Depth=1
	s_or_b32 exec_lo, exec_lo, s36
	s_delay_alu instid0(SALU_CYCLE_1)
	s_or_b32 exec_lo, exec_lo, s35
	s_and_saveexec_b32 s5, s2
	s_cbranch_execz .LBB47_15
.LBB47_25:                              ;   in Loop: Header=BB47_4 Depth=1
	s_mul_u64 s[36:37], s[18:19], s[6:7]
	s_mul_u64 s[44:45], s[38:39], s[6:7]
	s_wait_alu 0xfffe
	s_lshl_b64 s[36:37], s[36:37], 2
	s_lshl_b64 s[44:45], s[44:45], 2
	s_wait_alu 0xfffe
	v_add_co_u32 v7, vcc_lo, v12, s36
	s_wait_alu 0xfffd
	v_add_co_ci_u32_e64 v8, null, s37, v13, vcc_lo
	s_add_nc_u64 s[36:37], s[14:15], s[44:45]
	v_add_co_u32 v7, vcc_lo, v7, s28
	s_wait_alu 0xfffd
	v_add_co_ci_u32_e64 v8, null, s29, v8, vcc_lo
	s_wait_alu 0xfffe
	v_add_co_u32 v9, vcc_lo, s36, v5
	s_wait_alu 0xfffd
	v_add_co_ci_u32_e64 v10, null, s37, v6, vcc_lo
	global_load_b32 v7, v[7:8], off
	global_load_b32 v8, v[9:10], off
	s_wait_loadcnt 0x0
	v_fmac_f32_e32 v19, v7, v8
	s_or_b32 exec_lo, exec_lo, s5
	s_and_saveexec_b32 s5, s3
	s_cbranch_execnz .LBB47_16
	s_branch .LBB47_17
.LBB47_26:                              ;   in Loop: Header=BB47_4 Depth=1
	ds_load_b32 v19, v14
	s_wait_alu 0xfffe
	s_or_b32 exec_lo, exec_lo, s5
	s_and_saveexec_b32 s5, s3
	s_cbranch_execz .LBB47_21
.LBB47_27:                              ;   in Loop: Header=BB47_4 Depth=1
	s_wait_dscnt 0x0
	ds_bpermute_b32 v20, v17, v19
	s_wait_dscnt 0x0
	v_add_f32_e32 v19, v19, v20
	ds_bpermute_b32 v7, v7, v19
	s_wait_dscnt 0x0
	v_add_f32_e32 v7, v19, v7
	;; [unrolled: 3-line block ×5, first 2 shown]
	s_wait_alu 0xfffe
	s_or_b32 exec_lo, exec_lo, s5
                                        ; implicit-def: $vgpr7
	s_and_saveexec_b32 s5, s0
	s_cbranch_execz .LBB47_31
.LBB47_28:                              ;   in Loop: Header=BB47_4 Depth=1
	s_wait_dscnt 0x0
	v_mul_f32_e32 v7, v18, v19
	s_cmp_eq_f32 s21, 0
	s_cbranch_scc1 .LBB47_30
; %bb.29:                               ;   in Loop: Header=BB47_4 Depth=1
	s_add_nc_u64 s[36:37], s[30:31], s[26:27]
	global_load_b32 v8, v11, s[36:37]
	s_wait_loadcnt 0x0
	v_fmac_f32_e32 v7, s21, v8
.LBB47_30:                              ;   in Loop: Header=BB47_4 Depth=1
	s_or_b32 s34, s34, exec_lo
.LBB47_31:                              ;   in Loop: Header=BB47_4 Depth=1
	s_wait_alu 0xfffe
	s_or_b32 exec_lo, exec_lo, s5
.LBB47_32:                              ;   in Loop: Header=BB47_4 Depth=1
	s_and_saveexec_b32 s5, s34
	s_cbranch_execz .LBB47_2
; %bb.33:                               ;   in Loop: Header=BB47_4 Depth=1
	s_add_nc_u64 s[30:31], s[30:31], s[26:27]
	global_store_b32 v11, v7, s[30:31]
	s_branch .LBB47_2
.LBB47_34:
	s_endpgm
	.section	.rodata,"a",@progbits
	.p2align	6, 0x0
	.amdhsa_kernel _ZL32rocblas_gemvt_warp_reduce_kernelILb1ELi1024ElfPKffEviiT3_lPKT2_lT1_lS5_lS6_lS2_lPT4_lS6_li
		.amdhsa_group_segment_fixed_size 128
		.amdhsa_private_segment_fixed_size 0
		.amdhsa_kernarg_size 140
		.amdhsa_user_sgpr_count 2
		.amdhsa_user_sgpr_dispatch_ptr 0
		.amdhsa_user_sgpr_queue_ptr 0
		.amdhsa_user_sgpr_kernarg_segment_ptr 1
		.amdhsa_user_sgpr_dispatch_id 0
		.amdhsa_user_sgpr_private_segment_size 0
		.amdhsa_wavefront_size32 1
		.amdhsa_uses_dynamic_stack 0
		.amdhsa_enable_private_segment 0
		.amdhsa_system_sgpr_workgroup_id_x 1
		.amdhsa_system_sgpr_workgroup_id_y 0
		.amdhsa_system_sgpr_workgroup_id_z 1
		.amdhsa_system_sgpr_workgroup_info 0
		.amdhsa_system_vgpr_workitem_id 0
		.amdhsa_next_free_vgpr 23
		.amdhsa_next_free_sgpr 52
		.amdhsa_reserve_vcc 1
		.amdhsa_float_round_mode_32 0
		.amdhsa_float_round_mode_16_64 0
		.amdhsa_float_denorm_mode_32 3
		.amdhsa_float_denorm_mode_16_64 3
		.amdhsa_fp16_overflow 0
		.amdhsa_workgroup_processor_mode 1
		.amdhsa_memory_ordered 1
		.amdhsa_forward_progress 1
		.amdhsa_inst_pref_size 13
		.amdhsa_round_robin_scheduling 0
		.amdhsa_exception_fp_ieee_invalid_op 0
		.amdhsa_exception_fp_denorm_src 0
		.amdhsa_exception_fp_ieee_div_zero 0
		.amdhsa_exception_fp_ieee_overflow 0
		.amdhsa_exception_fp_ieee_underflow 0
		.amdhsa_exception_fp_ieee_inexact 0
		.amdhsa_exception_int_div_zero 0
	.end_amdhsa_kernel
	.section	.text._ZL32rocblas_gemvt_warp_reduce_kernelILb1ELi1024ElfPKffEviiT3_lPKT2_lT1_lS5_lS6_lS2_lPT4_lS6_li,"axG",@progbits,_ZL32rocblas_gemvt_warp_reduce_kernelILb1ELi1024ElfPKffEviiT3_lPKT2_lT1_lS5_lS6_lS2_lPT4_lS6_li,comdat
.Lfunc_end47:
	.size	_ZL32rocblas_gemvt_warp_reduce_kernelILb1ELi1024ElfPKffEviiT3_lPKT2_lT1_lS5_lS6_lS2_lPT4_lS6_li, .Lfunc_end47-_ZL32rocblas_gemvt_warp_reduce_kernelILb1ELi1024ElfPKffEviiT3_lPKT2_lT1_lS5_lS6_lS2_lPT4_lS6_li
                                        ; -- End function
	.set _ZL32rocblas_gemvt_warp_reduce_kernelILb1ELi1024ElfPKffEviiT3_lPKT2_lT1_lS5_lS6_lS2_lPT4_lS6_li.num_vgpr, 23
	.set _ZL32rocblas_gemvt_warp_reduce_kernelILb1ELi1024ElfPKffEviiT3_lPKT2_lT1_lS5_lS6_lS2_lPT4_lS6_li.num_agpr, 0
	.set _ZL32rocblas_gemvt_warp_reduce_kernelILb1ELi1024ElfPKffEviiT3_lPKT2_lT1_lS5_lS6_lS2_lPT4_lS6_li.numbered_sgpr, 52
	.set _ZL32rocblas_gemvt_warp_reduce_kernelILb1ELi1024ElfPKffEviiT3_lPKT2_lT1_lS5_lS6_lS2_lPT4_lS6_li.num_named_barrier, 0
	.set _ZL32rocblas_gemvt_warp_reduce_kernelILb1ELi1024ElfPKffEviiT3_lPKT2_lT1_lS5_lS6_lS2_lPT4_lS6_li.private_seg_size, 0
	.set _ZL32rocblas_gemvt_warp_reduce_kernelILb1ELi1024ElfPKffEviiT3_lPKT2_lT1_lS5_lS6_lS2_lPT4_lS6_li.uses_vcc, 1
	.set _ZL32rocblas_gemvt_warp_reduce_kernelILb1ELi1024ElfPKffEviiT3_lPKT2_lT1_lS5_lS6_lS2_lPT4_lS6_li.uses_flat_scratch, 0
	.set _ZL32rocblas_gemvt_warp_reduce_kernelILb1ELi1024ElfPKffEviiT3_lPKT2_lT1_lS5_lS6_lS2_lPT4_lS6_li.has_dyn_sized_stack, 0
	.set _ZL32rocblas_gemvt_warp_reduce_kernelILb1ELi1024ElfPKffEviiT3_lPKT2_lT1_lS5_lS6_lS2_lPT4_lS6_li.has_recursion, 0
	.set _ZL32rocblas_gemvt_warp_reduce_kernelILb1ELi1024ElfPKffEviiT3_lPKT2_lT1_lS5_lS6_lS2_lPT4_lS6_li.has_indirect_call, 0
	.section	.AMDGPU.csdata,"",@progbits
; Kernel info:
; codeLenInByte = 1544
; TotalNumSgprs: 54
; NumVgprs: 23
; ScratchSize: 0
; MemoryBound: 0
; FloatMode: 240
; IeeeMode: 1
; LDSByteSize: 128 bytes/workgroup (compile time only)
; SGPRBlocks: 0
; VGPRBlocks: 2
; NumSGPRsForWavesPerEU: 54
; NumVGPRsForWavesPerEU: 23
; Occupancy: 16
; WaveLimiterHint : 0
; COMPUTE_PGM_RSRC2:SCRATCH_EN: 0
; COMPUTE_PGM_RSRC2:USER_SGPR: 2
; COMPUTE_PGM_RSRC2:TRAP_HANDLER: 0
; COMPUTE_PGM_RSRC2:TGID_X_EN: 1
; COMPUTE_PGM_RSRC2:TGID_Y_EN: 0
; COMPUTE_PGM_RSRC2:TGID_Z_EN: 1
; COMPUTE_PGM_RSRC2:TIDIG_COMP_CNT: 0
	.section	.text._ZL32rocblas_gemvt_warp_reduce_kernelILb1ELi1024EifffEviiT3_lPKT2_lT1_lS3_lS4_lS0_lPT4_lS4_li,"axG",@progbits,_ZL32rocblas_gemvt_warp_reduce_kernelILb1ELi1024EifffEviiT3_lPKT2_lT1_lS3_lS4_lS0_lPT4_lS4_li,comdat
	.globl	_ZL32rocblas_gemvt_warp_reduce_kernelILb1ELi1024EifffEviiT3_lPKT2_lT1_lS3_lS4_lS0_lPT4_lS4_li ; -- Begin function _ZL32rocblas_gemvt_warp_reduce_kernelILb1ELi1024EifffEviiT3_lPKT2_lT1_lS3_lS4_lS0_lPT4_lS4_li
	.p2align	8
	.type	_ZL32rocblas_gemvt_warp_reduce_kernelILb1ELi1024EifffEviiT3_lPKT2_lT1_lS3_lS4_lS0_lPT4_lS4_li,@function
_ZL32rocblas_gemvt_warp_reduce_kernelILb1ELi1024EifffEviiT3_lPKT2_lT1_lS3_lS4_lS0_lPT4_lS4_li: ; @_ZL32rocblas_gemvt_warp_reduce_kernelILb1ELi1024EifffEviiT3_lPKT2_lT1_lS3_lS4_lS0_lPT4_lS4_li
; %bb.0:
	s_load_b32 s19, s[0:1], 0x88
	s_lshr_b32 s24, ttmp7, 16
	s_wait_kmcnt 0x0
	s_cmp_ge_u32 s24, s19
	s_cbranch_scc1 .LBB48_34
; %bb.1:
	s_clause 0x9
	s_load_b96 s[20:22], s[0:1], 0x40
	s_load_b128 s[4:7], s[0:1], 0x68
	s_load_b128 s[12:15], s[0:1], 0x18
	s_load_b32 s33, s[0:1], 0x8
	s_load_b96 s[16:18], s[0:1], 0x50
	s_load_b128 s[8:11], s[0:1], 0x30
	s_load_b32 s23, s[0:1], 0x0
	s_load_b32 s3, s[0:1], 0x28
	;; [unrolled: 1-line block ×3, first 2 shown]
	s_load_b64 s[26:27], s[0:1], 0x80
	v_and_b32_e32 v1, 31, v0
	v_lshrrev_b32_e32 v2, 3, v0
	v_mov_b32_e32 v9, 0
	v_mbcnt_lo_u32_b32 v15, -1, 0
	v_cmp_eq_u32_e64 s0, 0, v0
	v_lshlrev_b32_e32 v10, 2, v1
	v_cmp_eq_u32_e64 s2, 0, v1
	v_and_b32_e32 v11, 0x7c, v2
	v_cmp_gt_u32_e64 s1, 32, v0
	v_lshl_or_b32 v16, v15, 2, 64
	s_wait_kmcnt 0x0
	s_lshl_b64 s[20:21], s[20:21], 2
	s_lshl_b64 s[28:29], s[6:7], 2
	s_lshl_b64 s[30:31], s[14:15], 2
	s_cmp_eq_f32 s33, 0
	v_mul_lo_u32 v12, v0, s22
	s_mov_b32 s25, 0
	v_cmp_gt_i32_e32 vcc_lo, s23, v0
	s_cselect_b32 s34, -1, 0
	s_cmp_neq_f32 s33, 0
	s_mul_i32 s38, s35, ttmp9
	s_mul_i32 s40, s3, ttmp9
	v_cndmask_b32_e32 v1, 0, v0, vcc_lo
	s_cselect_b32 s6, -1, 0
	s_cmp_neq_f32 s18, 1.0
	s_delay_alu instid0(VALU_DEP_1) | instskip(SKIP_1) | instid1(SALU_CYCLE_1)
	v_lshlrev_b32_e32 v1, 2, v1
	s_cselect_b32 s7, -1, 0
	s_or_b32 s35, s6, s7
	s_cmp_neq_f32 s18, 0
	s_add_nc_u64 s[6:7], s[10:11], s[20:21]
	s_add_nc_u64 s[10:11], s[4:5], s[28:29]
	;; [unrolled: 1-line block ×3, first 2 shown]
	s_cselect_b32 s36, -1, 0
	s_ashr_i32 s3, s23, 31
	s_ashr_i32 s41, s40, 31
	s_lshr_b32 s3, s3, 22
	s_ashr_i32 s39, s38, 31
	s_add_co_i32 s3, s23, s3
	s_lshl_b32 s37, s22, 10
	s_and_b32 s14, s3, 0xfffffc00
	v_add_co_u32 v4, s3, s4, v1
	v_or_b32_e32 v2, s14, v0
	v_add_co_ci_u32_e64 v5, null, s5, 0, s3
	s_lshl_b64 s[4:5], s[40:41], 2
	v_cmp_gt_i32_e64 s3, s14, v0
	v_mul_lo_u32 v3, s22, v2
	s_wait_alu 0xfffe
	v_add_co_u32 v13, vcc_lo, v4, s4
	s_add_nc_u64 s[20:21], s[30:31], s[4:5]
	s_wait_alu 0xfffd
	v_add_co_ci_u32_e64 v14, null, s5, v5, vcc_lo
	s_add_nc_u64 s[12:13], s[12:13], s[20:21]
	v_cmp_gt_i32_e64 s4, s23, v2
	v_ashrrev_i32_e32 v4, 31, v3
	v_add_co_u32 v1, s5, s12, v1
	s_wait_alu 0xf1ff
	v_add_co_ci_u32_e64 v2, null, s13, 0, s5
	s_delay_alu instid0(VALU_DEP_3)
	v_lshlrev_b64_e32 v[3:4], 2, v[3:4]
	s_ashr_i32 s15, s14, 31
	s_lshl_b64 s[12:13], s[8:9], 2
	s_lshl_b64 s[20:21], s[38:39], 2
	s_wait_alu 0xfffe
	s_lshl_b64 s[22:23], s[14:15], 2
	s_branch .LBB48_4
.LBB48_2:                               ;   in Loop: Header=BB48_4 Depth=1
	s_wait_alu 0xfffe
	s_or_b32 exec_lo, exec_lo, s5
.LBB48_3:                               ;   in Loop: Header=BB48_4 Depth=1
	s_add_co_i32 s24, s24, 0x10000
	s_wait_alu 0xfffe
	s_cmp_lt_u32 s24, s19
	s_cbranch_scc0 .LBB48_34
.LBB48_4:                               ; =>This Loop Header: Depth=1
                                        ;     Child Loop BB48_23 Depth 2
	s_and_not1_b32 vcc_lo, exec_lo, s35
	s_wait_alu 0xfffe
	s_cbranch_vccnz .LBB48_3
; %bb.5:                                ;   in Loop: Header=BB48_4 Depth=1
	s_mul_u64 s[28:29], s[26:27], s[24:25]
	s_and_not1_b32 vcc_lo, exec_lo, s34
	s_lshl_b64 s[28:29], s[28:29], 2
	s_delay_alu instid0(SALU_CYCLE_1)
	s_add_nc_u64 s[28:29], s[10:11], s[28:29]
	s_wait_alu 0xfffe
	s_cbranch_vccnz .LBB48_9
; %bb.6:                                ;   in Loop: Header=BB48_4 Depth=1
	s_mov_b32 s5, 0
	s_mov_b32 s15, 0
                                        ; implicit-def: $vgpr5
	s_and_saveexec_b32 s30, s0
	s_cbranch_execz .LBB48_10
; %bb.7:                                ;   in Loop: Header=BB48_4 Depth=1
	s_and_not1_b32 vcc_lo, exec_lo, s36
	s_wait_alu 0xfffe
	s_cbranch_vccnz .LBB48_11
; %bb.8:                                ;   in Loop: Header=BB48_4 Depth=1
	s_add_nc_u64 s[38:39], s[28:29], s[20:21]
	global_load_b32 v5, v9, s[38:39]
	s_wait_loadcnt 0x0
	v_mul_f32_e32 v5, s18, v5
	s_branch .LBB48_12
.LBB48_9:                               ;   in Loop: Header=BB48_4 Depth=1
	s_mov_b32 s15, 0
                                        ; implicit-def: $vgpr5
	s_cbranch_execnz .LBB48_13
	s_branch .LBB48_32
.LBB48_10:                              ;   in Loop: Header=BB48_4 Depth=1
	s_wait_alu 0xfffe
	s_or_b32 exec_lo, exec_lo, s30
	s_delay_alu instid0(SALU_CYCLE_1)
	s_and_b32 vcc_lo, exec_lo, s5
	s_wait_alu 0xfffe
	s_cbranch_vccnz .LBB48_13
	s_branch .LBB48_32
.LBB48_11:                              ;   in Loop: Header=BB48_4 Depth=1
	v_mov_b32_e32 v5, 0
.LBB48_12:                              ;   in Loop: Header=BB48_4 Depth=1
	s_mov_b32 s15, exec_lo
	s_or_b32 exec_lo, exec_lo, s30
	s_delay_alu instid0(SALU_CYCLE_1)
	s_and_b32 vcc_lo, exec_lo, s5
	s_wait_alu 0xfffe
	s_cbranch_vccz .LBB48_32
.LBB48_13:                              ;   in Loop: Header=BB48_4 Depth=1
	s_mul_u64 s[30:31], s[16:17], s[24:25]
	s_wait_dscnt 0x0
	v_mov_b32_e32 v17, 0
	s_wait_alu 0xfffe
	s_lshl_b64 s[30:31], s[30:31], 2
	s_wait_alu 0xfffe
	s_add_nc_u64 s[30:31], s[6:7], s[30:31]
	s_and_saveexec_b32 s38, s3
	s_cbranch_execnz .LBB48_22
; %bb.14:                               ;   in Loop: Header=BB48_4 Depth=1
	s_wait_alu 0xfffe
	s_or_b32 exec_lo, exec_lo, s38
	s_and_saveexec_b32 s5, s4
	s_cbranch_execnz .LBB48_25
.LBB48_15:                              ;   in Loop: Header=BB48_4 Depth=1
	s_wait_alu 0xfffe
	s_or_b32 exec_lo, exec_lo, s5
	s_and_saveexec_b32 s5, s1
.LBB48_16:                              ;   in Loop: Header=BB48_4 Depth=1
	ds_store_b32 v10, v9
.LBB48_17:                              ;   in Loop: Header=BB48_4 Depth=1
	s_wait_alu 0xfffe
	s_or_b32 exec_lo, exec_lo, s5
	ds_bpermute_b32 v6, v16, v17
	v_cmp_gt_u32_e32 vcc_lo, 24, v15
	s_wait_dscnt 0x0
	s_barrier_signal -1
	s_barrier_wait -1
	global_inv scope:SCOPE_SE
	s_wait_alu 0xfffd
	v_cndmask_b32_e64 v5, 0, 8, vcc_lo
	v_cmp_gt_u32_e32 vcc_lo, 28, v15
	s_delay_alu instid0(VALU_DEP_2)
	v_add_lshl_u32 v5, v5, v15, 2
	v_add_f32_e32 v7, v17, v6
	s_wait_alu 0xfffd
	v_cndmask_b32_e64 v6, 0, 4, vcc_lo
	v_cmp_gt_u32_e32 vcc_lo, 30, v15
	ds_bpermute_b32 v8, v5, v7
	v_add_lshl_u32 v6, v6, v15, 2
	s_wait_dscnt 0x0
	v_add_f32_e32 v8, v7, v8
	s_wait_alu 0xfffd
	v_cndmask_b32_e64 v7, 0, 2, vcc_lo
	v_cmp_ne_u32_e32 vcc_lo, 31, v15
	ds_bpermute_b32 v17, v6, v8
	v_add_lshl_u32 v7, v7, v15, 2
	s_wait_alu 0xfffd
	v_add_co_ci_u32_e64 v18, null, 0, v15, vcc_lo
	s_wait_dscnt 0x0
	v_add_f32_e32 v8, v8, v17
	ds_bpermute_b32 v17, v7, v8
	s_wait_dscnt 0x0
	v_dual_add_f32 v17, v8, v17 :: v_dual_lshlrev_b32 v8, 2, v18
	ds_bpermute_b32 v18, v8, v17
	s_and_saveexec_b32 s5, s2
	s_cbranch_execz .LBB48_19
; %bb.18:                               ;   in Loop: Header=BB48_4 Depth=1
	s_wait_dscnt 0x0
	v_add_f32_e32 v17, v17, v18
	ds_store_b32 v11, v17
.LBB48_19:                              ;   in Loop: Header=BB48_4 Depth=1
	s_wait_alu 0xfffe
	s_or_b32 exec_lo, exec_lo, s5
	v_mov_b32_e32 v17, 0
	s_wait_loadcnt_dscnt 0x0
	s_barrier_signal -1
	s_barrier_wait -1
	global_inv scope:SCOPE_SE
	s_and_saveexec_b32 s5, s1
	s_cbranch_execnz .LBB48_26
; %bb.20:                               ;   in Loop: Header=BB48_4 Depth=1
	s_wait_alu 0xfffe
	s_or_b32 exec_lo, exec_lo, s5
	s_and_saveexec_b32 s5, s1
	s_cbranch_execnz .LBB48_27
.LBB48_21:                              ;   in Loop: Header=BB48_4 Depth=1
	s_wait_alu 0xfffe
	s_or_b32 exec_lo, exec_lo, s5
                                        ; implicit-def: $vgpr5
	s_and_saveexec_b32 s5, s0
	s_cbranch_execnz .LBB48_28
	s_branch .LBB48_31
.LBB48_22:                              ;   in Loop: Header=BB48_4 Depth=1
	v_mad_co_u64_u32 v[5:6], null, s12, s24, v[1:2]
	v_dual_mov_b32 v17, 0 :: v_dual_mov_b32 v18, v0
	s_mov_b32 s39, 0
	s_delay_alu instid0(VALU_DEP_2)
	v_mad_co_u64_u32 v[6:7], null, s13, s24, v[6:7]
	v_mov_b32_e32 v7, v12
.LBB48_23:                              ;   Parent Loop BB48_4 Depth=1
                                        ; =>  This Inner Loop Header: Depth=2
	s_delay_alu instid0(VALU_DEP_1) | instskip(NEXT) | instid1(VALU_DEP_1)
	v_ashrrev_i32_e32 v8, 31, v7
	v_lshlrev_b64_e32 v[19:20], 2, v[7:8]
	v_add_nc_u32_e32 v7, s37, v7
	s_wait_alu 0xfffe
	s_delay_alu instid0(VALU_DEP_2) | instskip(SKIP_1) | instid1(VALU_DEP_3)
	v_add_co_u32 v19, vcc_lo, s30, v19
	s_wait_alu 0xfffd
	v_add_co_ci_u32_e64 v20, null, s31, v20, vcc_lo
	global_load_b32 v8, v[5:6], off
	global_load_b32 v19, v[19:20], off
	v_add_nc_u32_e32 v18, 0x400, v18
	v_add_co_u32 v5, vcc_lo, 0x1000, v5
	s_wait_alu 0xfffd
	v_add_co_ci_u32_e64 v6, null, 0, v6, vcc_lo
	s_wait_loadcnt 0x0
	v_fmac_f32_e32 v17, v8, v19
	v_cmp_le_i32_e64 s5, s14, v18
	s_or_b32 s39, s5, s39
	s_wait_alu 0xfffe
	s_and_not1_b32 exec_lo, exec_lo, s39
	s_cbranch_execnz .LBB48_23
; %bb.24:                               ;   in Loop: Header=BB48_4 Depth=1
	s_or_b32 exec_lo, exec_lo, s39
	s_delay_alu instid0(SALU_CYCLE_1)
	s_or_b32 exec_lo, exec_lo, s38
	s_and_saveexec_b32 s5, s4
	s_cbranch_execz .LBB48_15
.LBB48_25:                              ;   in Loop: Header=BB48_4 Depth=1
	s_mul_u64 s[38:39], s[8:9], s[24:25]
	s_wait_alu 0xfffe
	s_lshl_b64 s[38:39], s[38:39], 2
	s_wait_alu 0xfffe
	v_add_co_u32 v5, vcc_lo, v13, s38
	s_wait_alu 0xfffd
	v_add_co_ci_u32_e64 v6, null, s39, v14, vcc_lo
	s_delay_alu instid0(VALU_DEP_2) | instskip(SKIP_1) | instid1(VALU_DEP_2)
	v_add_co_u32 v5, vcc_lo, v5, s22
	s_wait_alu 0xfffd
	v_add_co_ci_u32_e64 v6, null, s23, v6, vcc_lo
	v_add_co_u32 v7, vcc_lo, s30, v3
	s_wait_alu 0xfffd
	v_add_co_ci_u32_e64 v8, null, s31, v4, vcc_lo
	global_load_b32 v5, v[5:6], off
	global_load_b32 v6, v[7:8], off
	s_wait_loadcnt 0x0
	v_fmac_f32_e32 v17, v5, v6
	s_or_b32 exec_lo, exec_lo, s5
	s_and_saveexec_b32 s5, s1
	s_cbranch_execnz .LBB48_16
	s_branch .LBB48_17
.LBB48_26:                              ;   in Loop: Header=BB48_4 Depth=1
	ds_load_b32 v17, v10
	s_wait_alu 0xfffe
	s_or_b32 exec_lo, exec_lo, s5
	s_and_saveexec_b32 s5, s1
	s_cbranch_execz .LBB48_21
.LBB48_27:                              ;   in Loop: Header=BB48_4 Depth=1
	s_wait_dscnt 0x0
	ds_bpermute_b32 v18, v16, v17
	s_wait_dscnt 0x0
	v_add_f32_e32 v17, v17, v18
	ds_bpermute_b32 v5, v5, v17
	s_wait_dscnt 0x0
	v_add_f32_e32 v5, v17, v5
	;; [unrolled: 3-line block ×5, first 2 shown]
	s_wait_alu 0xfffe
	s_or_b32 exec_lo, exec_lo, s5
                                        ; implicit-def: $vgpr5
	s_and_saveexec_b32 s5, s0
	s_cbranch_execz .LBB48_31
.LBB48_28:                              ;   in Loop: Header=BB48_4 Depth=1
	s_wait_dscnt 0x0
	v_mul_f32_e32 v5, s33, v17
	s_and_not1_b32 vcc_lo, exec_lo, s36
	s_wait_alu 0xfffe
	s_cbranch_vccnz .LBB48_30
; %bb.29:                               ;   in Loop: Header=BB48_4 Depth=1
	s_add_nc_u64 s[30:31], s[28:29], s[20:21]
	global_load_b32 v6, v9, s[30:31]
	s_wait_loadcnt 0x0
	v_fmac_f32_e32 v5, s18, v6
.LBB48_30:                              ;   in Loop: Header=BB48_4 Depth=1
	s_or_b32 s15, s15, exec_lo
.LBB48_31:                              ;   in Loop: Header=BB48_4 Depth=1
	s_wait_alu 0xfffe
	s_or_b32 exec_lo, exec_lo, s5
.LBB48_32:                              ;   in Loop: Header=BB48_4 Depth=1
	s_wait_alu 0xfffe
	s_and_saveexec_b32 s5, s15
	s_cbranch_execz .LBB48_2
; %bb.33:                               ;   in Loop: Header=BB48_4 Depth=1
	s_add_nc_u64 s[28:29], s[28:29], s[20:21]
	global_store_b32 v9, v5, s[28:29]
	s_branch .LBB48_2
.LBB48_34:
	s_endpgm
	.section	.rodata,"a",@progbits
	.p2align	6, 0x0
	.amdhsa_kernel _ZL32rocblas_gemvt_warp_reduce_kernelILb1ELi1024EifffEviiT3_lPKT2_lT1_lS3_lS4_lS0_lPT4_lS4_li
		.amdhsa_group_segment_fixed_size 128
		.amdhsa_private_segment_fixed_size 0
		.amdhsa_kernarg_size 140
		.amdhsa_user_sgpr_count 2
		.amdhsa_user_sgpr_dispatch_ptr 0
		.amdhsa_user_sgpr_queue_ptr 0
		.amdhsa_user_sgpr_kernarg_segment_ptr 1
		.amdhsa_user_sgpr_dispatch_id 0
		.amdhsa_user_sgpr_private_segment_size 0
		.amdhsa_wavefront_size32 1
		.amdhsa_uses_dynamic_stack 0
		.amdhsa_enable_private_segment 0
		.amdhsa_system_sgpr_workgroup_id_x 1
		.amdhsa_system_sgpr_workgroup_id_y 0
		.amdhsa_system_sgpr_workgroup_id_z 1
		.amdhsa_system_sgpr_workgroup_info 0
		.amdhsa_system_vgpr_workitem_id 0
		.amdhsa_next_free_vgpr 21
		.amdhsa_next_free_sgpr 42
		.amdhsa_reserve_vcc 1
		.amdhsa_float_round_mode_32 0
		.amdhsa_float_round_mode_16_64 0
		.amdhsa_float_denorm_mode_32 3
		.amdhsa_float_denorm_mode_16_64 3
		.amdhsa_fp16_overflow 0
		.amdhsa_workgroup_processor_mode 1
		.amdhsa_memory_ordered 1
		.amdhsa_forward_progress 1
		.amdhsa_inst_pref_size 12
		.amdhsa_round_robin_scheduling 0
		.amdhsa_exception_fp_ieee_invalid_op 0
		.amdhsa_exception_fp_denorm_src 0
		.amdhsa_exception_fp_ieee_div_zero 0
		.amdhsa_exception_fp_ieee_overflow 0
		.amdhsa_exception_fp_ieee_underflow 0
		.amdhsa_exception_fp_ieee_inexact 0
		.amdhsa_exception_int_div_zero 0
	.end_amdhsa_kernel
	.section	.text._ZL32rocblas_gemvt_warp_reduce_kernelILb1ELi1024EifffEviiT3_lPKT2_lT1_lS3_lS4_lS0_lPT4_lS4_li,"axG",@progbits,_ZL32rocblas_gemvt_warp_reduce_kernelILb1ELi1024EifffEviiT3_lPKT2_lT1_lS3_lS4_lS0_lPT4_lS4_li,comdat
.Lfunc_end48:
	.size	_ZL32rocblas_gemvt_warp_reduce_kernelILb1ELi1024EifffEviiT3_lPKT2_lT1_lS3_lS4_lS0_lPT4_lS4_li, .Lfunc_end48-_ZL32rocblas_gemvt_warp_reduce_kernelILb1ELi1024EifffEviiT3_lPKT2_lT1_lS3_lS4_lS0_lPT4_lS4_li
                                        ; -- End function
	.set _ZL32rocblas_gemvt_warp_reduce_kernelILb1ELi1024EifffEviiT3_lPKT2_lT1_lS3_lS4_lS0_lPT4_lS4_li.num_vgpr, 21
	.set _ZL32rocblas_gemvt_warp_reduce_kernelILb1ELi1024EifffEviiT3_lPKT2_lT1_lS3_lS4_lS0_lPT4_lS4_li.num_agpr, 0
	.set _ZL32rocblas_gemvt_warp_reduce_kernelILb1ELi1024EifffEviiT3_lPKT2_lT1_lS3_lS4_lS0_lPT4_lS4_li.numbered_sgpr, 42
	.set _ZL32rocblas_gemvt_warp_reduce_kernelILb1ELi1024EifffEviiT3_lPKT2_lT1_lS3_lS4_lS0_lPT4_lS4_li.num_named_barrier, 0
	.set _ZL32rocblas_gemvt_warp_reduce_kernelILb1ELi1024EifffEviiT3_lPKT2_lT1_lS3_lS4_lS0_lPT4_lS4_li.private_seg_size, 0
	.set _ZL32rocblas_gemvt_warp_reduce_kernelILb1ELi1024EifffEviiT3_lPKT2_lT1_lS3_lS4_lS0_lPT4_lS4_li.uses_vcc, 1
	.set _ZL32rocblas_gemvt_warp_reduce_kernelILb1ELi1024EifffEviiT3_lPKT2_lT1_lS3_lS4_lS0_lPT4_lS4_li.uses_flat_scratch, 0
	.set _ZL32rocblas_gemvt_warp_reduce_kernelILb1ELi1024EifffEviiT3_lPKT2_lT1_lS3_lS4_lS0_lPT4_lS4_li.has_dyn_sized_stack, 0
	.set _ZL32rocblas_gemvt_warp_reduce_kernelILb1ELi1024EifffEviiT3_lPKT2_lT1_lS3_lS4_lS0_lPT4_lS4_li.has_recursion, 0
	.set _ZL32rocblas_gemvt_warp_reduce_kernelILb1ELi1024EifffEviiT3_lPKT2_lT1_lS3_lS4_lS0_lPT4_lS4_li.has_indirect_call, 0
	.section	.AMDGPU.csdata,"",@progbits
; Kernel info:
; codeLenInByte = 1536
; TotalNumSgprs: 44
; NumVgprs: 21
; ScratchSize: 0
; MemoryBound: 0
; FloatMode: 240
; IeeeMode: 1
; LDSByteSize: 128 bytes/workgroup (compile time only)
; SGPRBlocks: 0
; VGPRBlocks: 2
; NumSGPRsForWavesPerEU: 44
; NumVGPRsForWavesPerEU: 21
; Occupancy: 16
; WaveLimiterHint : 0
; COMPUTE_PGM_RSRC2:SCRATCH_EN: 0
; COMPUTE_PGM_RSRC2:USER_SGPR: 2
; COMPUTE_PGM_RSRC2:TRAP_HANDLER: 0
; COMPUTE_PGM_RSRC2:TGID_X_EN: 1
; COMPUTE_PGM_RSRC2:TGID_Y_EN: 0
; COMPUTE_PGM_RSRC2:TGID_Z_EN: 1
; COMPUTE_PGM_RSRC2:TIDIG_COMP_CNT: 0
	.section	.text._ZL32rocblas_gemvt_warp_reduce_kernelILb1ELi1024ElfffEviiT3_lPKT2_lT1_lS3_lS4_lS0_lPT4_lS4_li,"axG",@progbits,_ZL32rocblas_gemvt_warp_reduce_kernelILb1ELi1024ElfffEviiT3_lPKT2_lT1_lS3_lS4_lS0_lPT4_lS4_li,comdat
	.globl	_ZL32rocblas_gemvt_warp_reduce_kernelILb1ELi1024ElfffEviiT3_lPKT2_lT1_lS3_lS4_lS0_lPT4_lS4_li ; -- Begin function _ZL32rocblas_gemvt_warp_reduce_kernelILb1ELi1024ElfffEviiT3_lPKT2_lT1_lS3_lS4_lS0_lPT4_lS4_li
	.p2align	8
	.type	_ZL32rocblas_gemvt_warp_reduce_kernelILb1ELi1024ElfffEviiT3_lPKT2_lT1_lS3_lS4_lS0_lPT4_lS4_li,@function
_ZL32rocblas_gemvt_warp_reduce_kernelILb1ELi1024ElfffEviiT3_lPKT2_lT1_lS3_lS4_lS0_lPT4_lS4_li: ; @_ZL32rocblas_gemvt_warp_reduce_kernelILb1ELi1024ElfffEviiT3_lPKT2_lT1_lS3_lS4_lS0_lPT4_lS4_li
; %bb.0:
	s_load_b32 s33, s[0:1], 0x88
	s_lshr_b32 s6, ttmp7, 16
	s_wait_kmcnt 0x0
	s_cmp_ge_u32 s6, s33
	s_cbranch_scc1 .LBB49_34
; %bb.1:
	s_clause 0x4
	s_load_b512 s[8:23], s[0:1], 0x18
	s_load_b256 s[24:31], s[0:1], 0x68
	s_load_b32 s34, s[0:1], 0x8
	s_load_b32 s35, s[0:1], 0x58
	s_load_b32 s39, s[0:1], 0x0
	s_mov_b32 s2, ttmp9
	v_dual_mov_b32 v11, 0 :: v_dual_and_b32 v4, 31, v0
	v_lshrrev_b32_e32 v7, 3, v0
	v_mbcnt_lo_u32_b32 v16, -1, 0
	v_cmp_eq_u32_e64 s0, 0, v0
	v_cmp_gt_u32_e64 s1, 32, v0
	v_lshlrev_b32_e32 v12, 2, v4
	s_mov_b32 s7, 0
	v_lshl_or_b32 v17, v16, 2, 64
	s_wait_kmcnt 0x0
	s_lshl_b64 s[4:5], s[18:19], 2
	s_lshl_b64 s[18:19], s[26:27], 2
	;; [unrolled: 1-line block ×3, first 2 shown]
	s_cmp_eq_f32 s34, 0
	v_cmp_gt_i32_e32 vcc_lo, s39, v0
	v_mad_co_u64_u32 v[1:2], null, s20, v0, 0
	s_cselect_b32 s36, -1, 0
	s_cmp_neq_f32 s34, 0
	v_cndmask_b32_e32 v3, 0, v0, vcc_lo
	s_add_nc_u64 s[10:11], s[16:17], s[4:5]
	s_add_nc_u64 s[16:17], s[24:25], s[18:19]
	s_cselect_b32 s3, -1, 0
	s_cmp_neq_f32 s35, 1.0
	v_lshlrev_b32_e32 v8, 2, v3
	s_add_nc_u64 s[4:5], s[8:9], s[26:27]
	v_mad_co_u64_u32 v[2:3], null, s21, v0, v[2:3]
	s_cselect_b32 s37, -1, 0
	v_add_co_u32 v3, s4, s4, v8
	s_or_b32 s37, s3, s37
	s_cmp_neq_f32 s35, 0
	s_wait_alu 0xf1ff
	v_add_co_ci_u32_e64 v9, null, s5, 0, s4
	s_cselect_b32 s38, -1, 0
	s_ashr_i32 s3, s39, 31
	s_delay_alu instid0(SALU_CYCLE_1) | instskip(NEXT) | instid1(SALU_CYCLE_1)
	s_lshr_b32 s3, s3, 22
	s_add_co_i32 s3, s39, s3
	s_delay_alu instid0(SALU_CYCLE_1)
	s_and_b32 s18, s3, 0xfffffc00
	s_ashr_i32 s3, ttmp9, 31
	v_or_b32_e32 v10, s18, v0
	s_mul_u64 s[4:5], s[12:13], s[2:3]
	s_ashr_i32 s19, s18, 31
	s_wait_alu 0xfffe
	s_lshl_b64 s[12:13], s[4:5], 2
	s_mul_i32 s4, s20, s19
	v_mul_lo_u32 v15, s21, v10
	v_mad_co_u64_u32 v[5:6], null, s20, v10, 0
	v_add_co_u32 v13, vcc_lo, v3, s12
	s_wait_alu 0xfffd
	v_add_co_ci_u32_e64 v14, null, s13, v9, vcc_lo
	s_add_nc_u64 s[12:13], s[12:13], s[26:27]
	s_mul_u64 s[24:25], s[28:29], s[2:3]
	s_wait_alu 0xfffe
	v_add3_u32 v6, v6, s4, v15
	v_cmp_eq_u32_e64 s4, 0, v4
	v_lshlrev_b64_e32 v[3:4], 2, v[1:2]
	s_add_nc_u64 s[8:9], s[8:9], s[12:13]
	v_cmp_gt_i32_e64 s2, s18, v0
	v_add_co_u32 v1, s5, s8, v8
	v_lshlrev_b64_e32 v[5:6], 2, v[5:6]
	s_delay_alu instid0(VALU_DEP_4)
	v_add_co_u32 v3, vcc_lo, s10, v3
	v_cmp_gt_i32_e64 s3, s39, v10
	v_and_b32_e32 v15, 0x7c, v7
	s_wait_alu 0xf1ff
	v_add_co_ci_u32_e64 v2, null, s9, 0, s5
	s_wait_alu 0xfffd
	v_add_co_ci_u32_e64 v4, null, s11, v4, vcc_lo
	s_lshl_b64 s[8:9], s[14:15], 2
	s_lshl_b64 s[12:13], s[22:23], 2
	;; [unrolled: 1-line block ×5, first 2 shown]
	s_branch .LBB49_4
.LBB49_2:                               ;   in Loop: Header=BB49_4 Depth=1
	s_wait_alu 0xfffe
	s_or_b32 exec_lo, exec_lo, s5
.LBB49_3:                               ;   in Loop: Header=BB49_4 Depth=1
	s_add_co_i32 s6, s6, 0x10000
	s_wait_alu 0xfffe
	s_cmp_lt_u32 s6, s33
	s_cbranch_scc0 .LBB49_34
.LBB49_4:                               ; =>This Loop Header: Depth=1
                                        ;     Child Loop BB49_23 Depth 2
	s_and_not1_b32 vcc_lo, exec_lo, s37
	s_wait_alu 0xfffe
	s_cbranch_vccnz .LBB49_3
; %bb.5:                                ;   in Loop: Header=BB49_4 Depth=1
	s_mul_u64 s[28:29], s[30:31], s[6:7]
	s_and_not1_b32 vcc_lo, exec_lo, s36
	s_lshl_b64 s[28:29], s[28:29], 2
	s_delay_alu instid0(SALU_CYCLE_1)
	s_add_nc_u64 s[28:29], s[16:17], s[28:29]
	s_wait_alu 0xfffe
	s_cbranch_vccnz .LBB49_9
; %bb.6:                                ;   in Loop: Header=BB49_4 Depth=1
	s_mov_b32 s5, 0
	s_mov_b32 s19, 0
                                        ; implicit-def: $vgpr7
	s_and_saveexec_b32 s39, s0
	s_cbranch_execz .LBB49_10
; %bb.7:                                ;   in Loop: Header=BB49_4 Depth=1
	s_and_not1_b32 vcc_lo, exec_lo, s38
	s_wait_alu 0xfffe
	s_cbranch_vccnz .LBB49_11
; %bb.8:                                ;   in Loop: Header=BB49_4 Depth=1
	s_add_nc_u64 s[40:41], s[28:29], s[24:25]
	global_load_b32 v7, v11, s[40:41]
	s_wait_loadcnt 0x0
	v_mul_f32_e32 v7, s35, v7
	s_branch .LBB49_12
.LBB49_9:                               ;   in Loop: Header=BB49_4 Depth=1
	s_mov_b32 s19, 0
                                        ; implicit-def: $vgpr7
	s_cbranch_execnz .LBB49_13
	s_branch .LBB49_32
.LBB49_10:                              ;   in Loop: Header=BB49_4 Depth=1
	s_wait_alu 0xfffe
	s_or_b32 exec_lo, exec_lo, s39
	s_delay_alu instid0(SALU_CYCLE_1)
	s_and_b32 vcc_lo, exec_lo, s5
	s_wait_alu 0xfffe
	s_cbranch_vccnz .LBB49_13
	s_branch .LBB49_32
.LBB49_11:                              ;   in Loop: Header=BB49_4 Depth=1
	v_mov_b32_e32 v7, 0
.LBB49_12:                              ;   in Loop: Header=BB49_4 Depth=1
	s_mov_b32 s19, exec_lo
	s_or_b32 exec_lo, exec_lo, s39
	s_delay_alu instid0(SALU_CYCLE_1)
	s_and_b32 vcc_lo, exec_lo, s5
	s_wait_alu 0xfffe
	s_cbranch_vccz .LBB49_32
.LBB49_13:                              ;   in Loop: Header=BB49_4 Depth=1
	s_wait_dscnt 0x0
	v_mov_b32_e32 v18, 0
	s_and_saveexec_b32 s39, s2
	s_cbranch_execnz .LBB49_22
; %bb.14:                               ;   in Loop: Header=BB49_4 Depth=1
	s_wait_alu 0xfffe
	s_or_b32 exec_lo, exec_lo, s39
	s_and_saveexec_b32 s5, s3
	s_cbranch_execnz .LBB49_25
.LBB49_15:                              ;   in Loop: Header=BB49_4 Depth=1
	s_wait_alu 0xfffe
	s_or_b32 exec_lo, exec_lo, s5
	s_and_saveexec_b32 s5, s1
.LBB49_16:                              ;   in Loop: Header=BB49_4 Depth=1
	ds_store_b32 v12, v11
.LBB49_17:                              ;   in Loop: Header=BB49_4 Depth=1
	s_wait_alu 0xfffe
	s_or_b32 exec_lo, exec_lo, s5
	ds_bpermute_b32 v8, v17, v18
	v_cmp_gt_u32_e32 vcc_lo, 24, v16
	s_wait_dscnt 0x0
	s_barrier_signal -1
	s_barrier_wait -1
	global_inv scope:SCOPE_SE
	s_wait_alu 0xfffd
	v_cndmask_b32_e64 v7, 0, 8, vcc_lo
	v_cmp_gt_u32_e32 vcc_lo, 28, v16
	s_delay_alu instid0(VALU_DEP_2)
	v_add_lshl_u32 v7, v7, v16, 2
	v_add_f32_e32 v9, v18, v8
	s_wait_alu 0xfffd
	v_cndmask_b32_e64 v8, 0, 4, vcc_lo
	v_cmp_gt_u32_e32 vcc_lo, 30, v16
	ds_bpermute_b32 v10, v7, v9
	v_add_lshl_u32 v8, v8, v16, 2
	s_wait_dscnt 0x0
	v_add_f32_e32 v10, v9, v10
	s_wait_alu 0xfffd
	v_cndmask_b32_e64 v9, 0, 2, vcc_lo
	v_cmp_ne_u32_e32 vcc_lo, 31, v16
	ds_bpermute_b32 v18, v8, v10
	v_add_lshl_u32 v9, v9, v16, 2
	s_wait_alu 0xfffd
	v_add_co_ci_u32_e64 v19, null, 0, v16, vcc_lo
	s_wait_dscnt 0x0
	v_add_f32_e32 v10, v10, v18
	ds_bpermute_b32 v18, v9, v10
	s_wait_dscnt 0x0
	v_add_f32_e32 v18, v10, v18
	v_lshlrev_b32_e32 v10, 2, v19
	ds_bpermute_b32 v19, v10, v18
	s_and_saveexec_b32 s5, s4
	s_cbranch_execz .LBB49_19
; %bb.18:                               ;   in Loop: Header=BB49_4 Depth=1
	s_wait_dscnt 0x0
	v_add_f32_e32 v18, v18, v19
	ds_store_b32 v15, v18
.LBB49_19:                              ;   in Loop: Header=BB49_4 Depth=1
	s_wait_alu 0xfffe
	s_or_b32 exec_lo, exec_lo, s5
	v_mov_b32_e32 v18, 0
	s_wait_loadcnt_dscnt 0x0
	s_barrier_signal -1
	s_barrier_wait -1
	global_inv scope:SCOPE_SE
	s_and_saveexec_b32 s5, s1
	s_cbranch_execnz .LBB49_26
; %bb.20:                               ;   in Loop: Header=BB49_4 Depth=1
	s_wait_alu 0xfffe
	s_or_b32 exec_lo, exec_lo, s5
	s_and_saveexec_b32 s5, s1
	s_cbranch_execnz .LBB49_27
.LBB49_21:                              ;   in Loop: Header=BB49_4 Depth=1
	s_wait_alu 0xfffe
	s_or_b32 exec_lo, exec_lo, s5
                                        ; implicit-def: $vgpr7
	s_and_saveexec_b32 s5, s0
	s_cbranch_execnz .LBB49_28
	s_branch .LBB49_31
.LBB49_22:                              ;   in Loop: Header=BB49_4 Depth=1
	v_mad_co_u64_u32 v[7:8], null, s8, s6, v[1:2]
	v_mad_co_u64_u32 v[9:10], null, s12, s6, v[3:4]
	v_mov_b32_e32 v18, 0
	s_mov_b32 s40, 0
	s_delay_alu instid0(VALU_DEP_2) | instskip(NEXT) | instid1(VALU_DEP_3)
	v_mad_co_u64_u32 v[19:20], null, s9, s6, v[8:9]
	v_mad_co_u64_u32 v[20:21], null, s13, s6, v[10:11]
	s_delay_alu instid0(VALU_DEP_2) | instskip(NEXT) | instid1(VALU_DEP_2)
	v_dual_mov_b32 v8, v19 :: v_dual_mov_b32 v19, v0
	v_mov_b32_e32 v10, v20
.LBB49_23:                              ;   Parent Loop BB49_4 Depth=1
                                        ; =>  This Inner Loop Header: Depth=2
	global_load_b32 v20, v[7:8], off
	global_load_b32 v21, v[9:10], off
	v_add_nc_u32_e32 v19, 0x400, v19
	v_add_co_u32 v7, vcc_lo, 0x1000, v7
	s_wait_alu 0xfffd
	v_add_co_ci_u32_e64 v8, null, 0, v8, vcc_lo
	v_add_co_u32 v9, vcc_lo, v9, s20
	s_wait_alu 0xfffd
	v_add_co_ci_u32_e64 v10, null, s21, v10, vcc_lo
	s_wait_loadcnt 0x0
	v_fmac_f32_e32 v18, v20, v21
	v_cmp_le_i32_e64 s5, s18, v19
	s_wait_alu 0xfffe
	s_or_b32 s40, s5, s40
	s_wait_alu 0xfffe
	s_and_not1_b32 exec_lo, exec_lo, s40
	s_cbranch_execnz .LBB49_23
; %bb.24:                               ;   in Loop: Header=BB49_4 Depth=1
	s_or_b32 exec_lo, exec_lo, s40
	s_delay_alu instid0(SALU_CYCLE_1)
	s_or_b32 exec_lo, exec_lo, s39
	s_and_saveexec_b32 s5, s3
	s_cbranch_execz .LBB49_15
.LBB49_25:                              ;   in Loop: Header=BB49_4 Depth=1
	s_mul_u64 s[40:41], s[14:15], s[6:7]
	s_mul_u64 s[42:43], s[22:23], s[6:7]
	s_wait_alu 0xfffe
	s_lshl_b64 s[40:41], s[40:41], 2
	s_lshl_b64 s[42:43], s[42:43], 2
	s_wait_alu 0xfffe
	v_add_co_u32 v7, vcc_lo, v13, s40
	s_wait_alu 0xfffd
	v_add_co_ci_u32_e64 v8, null, s41, v14, vcc_lo
	s_add_nc_u64 s[40:41], s[10:11], s[42:43]
	v_add_co_u32 v7, vcc_lo, v7, s26
	s_wait_alu 0xfffd
	v_add_co_ci_u32_e64 v8, null, s27, v8, vcc_lo
	s_wait_alu 0xfffe
	v_add_co_u32 v9, vcc_lo, s40, v5
	s_wait_alu 0xfffd
	v_add_co_ci_u32_e64 v10, null, s41, v6, vcc_lo
	global_load_b32 v7, v[7:8], off
	global_load_b32 v8, v[9:10], off
	s_wait_loadcnt 0x0
	v_fmac_f32_e32 v18, v7, v8
	s_or_b32 exec_lo, exec_lo, s5
	s_and_saveexec_b32 s5, s1
	s_cbranch_execnz .LBB49_16
	s_branch .LBB49_17
.LBB49_26:                              ;   in Loop: Header=BB49_4 Depth=1
	ds_load_b32 v18, v12
	s_wait_alu 0xfffe
	s_or_b32 exec_lo, exec_lo, s5
	s_and_saveexec_b32 s5, s1
	s_cbranch_execz .LBB49_21
.LBB49_27:                              ;   in Loop: Header=BB49_4 Depth=1
	s_wait_dscnt 0x0
	ds_bpermute_b32 v19, v17, v18
	s_wait_dscnt 0x0
	v_add_f32_e32 v18, v18, v19
	ds_bpermute_b32 v7, v7, v18
	s_wait_dscnt 0x0
	v_add_f32_e32 v7, v18, v7
	;; [unrolled: 3-line block ×5, first 2 shown]
	s_wait_alu 0xfffe
	s_or_b32 exec_lo, exec_lo, s5
                                        ; implicit-def: $vgpr7
	s_and_saveexec_b32 s5, s0
	s_cbranch_execz .LBB49_31
.LBB49_28:                              ;   in Loop: Header=BB49_4 Depth=1
	s_wait_dscnt 0x0
	v_mul_f32_e32 v7, s34, v18
	s_and_not1_b32 vcc_lo, exec_lo, s38
	s_wait_alu 0xfffe
	s_cbranch_vccnz .LBB49_30
; %bb.29:                               ;   in Loop: Header=BB49_4 Depth=1
	s_add_nc_u64 s[40:41], s[28:29], s[24:25]
	global_load_b32 v8, v11, s[40:41]
	s_wait_loadcnt 0x0
	v_fmac_f32_e32 v7, s35, v8
.LBB49_30:                              ;   in Loop: Header=BB49_4 Depth=1
	s_or_b32 s19, s19, exec_lo
.LBB49_31:                              ;   in Loop: Header=BB49_4 Depth=1
	s_wait_alu 0xfffe
	s_or_b32 exec_lo, exec_lo, s5
.LBB49_32:                              ;   in Loop: Header=BB49_4 Depth=1
	s_wait_alu 0xfffe
	s_and_saveexec_b32 s5, s19
	s_cbranch_execz .LBB49_2
; %bb.33:                               ;   in Loop: Header=BB49_4 Depth=1
	s_add_nc_u64 s[28:29], s[28:29], s[24:25]
	global_store_b32 v11, v7, s[28:29]
	s_branch .LBB49_2
.LBB49_34:
	s_endpgm
	.section	.rodata,"a",@progbits
	.p2align	6, 0x0
	.amdhsa_kernel _ZL32rocblas_gemvt_warp_reduce_kernelILb1ELi1024ElfffEviiT3_lPKT2_lT1_lS3_lS4_lS0_lPT4_lS4_li
		.amdhsa_group_segment_fixed_size 128
		.amdhsa_private_segment_fixed_size 0
		.amdhsa_kernarg_size 140
		.amdhsa_user_sgpr_count 2
		.amdhsa_user_sgpr_dispatch_ptr 0
		.amdhsa_user_sgpr_queue_ptr 0
		.amdhsa_user_sgpr_kernarg_segment_ptr 1
		.amdhsa_user_sgpr_dispatch_id 0
		.amdhsa_user_sgpr_private_segment_size 0
		.amdhsa_wavefront_size32 1
		.amdhsa_uses_dynamic_stack 0
		.amdhsa_enable_private_segment 0
		.amdhsa_system_sgpr_workgroup_id_x 1
		.amdhsa_system_sgpr_workgroup_id_y 0
		.amdhsa_system_sgpr_workgroup_id_z 1
		.amdhsa_system_sgpr_workgroup_info 0
		.amdhsa_system_vgpr_workitem_id 0
		.amdhsa_next_free_vgpr 22
		.amdhsa_next_free_sgpr 44
		.amdhsa_reserve_vcc 1
		.amdhsa_float_round_mode_32 0
		.amdhsa_float_round_mode_16_64 0
		.amdhsa_float_denorm_mode_32 3
		.amdhsa_float_denorm_mode_16_64 3
		.amdhsa_fp16_overflow 0
		.amdhsa_workgroup_processor_mode 1
		.amdhsa_memory_ordered 1
		.amdhsa_forward_progress 1
		.amdhsa_inst_pref_size 13
		.amdhsa_round_robin_scheduling 0
		.amdhsa_exception_fp_ieee_invalid_op 0
		.amdhsa_exception_fp_denorm_src 0
		.amdhsa_exception_fp_ieee_div_zero 0
		.amdhsa_exception_fp_ieee_overflow 0
		.amdhsa_exception_fp_ieee_underflow 0
		.amdhsa_exception_fp_ieee_inexact 0
		.amdhsa_exception_int_div_zero 0
	.end_amdhsa_kernel
	.section	.text._ZL32rocblas_gemvt_warp_reduce_kernelILb1ELi1024ElfffEviiT3_lPKT2_lT1_lS3_lS4_lS0_lPT4_lS4_li,"axG",@progbits,_ZL32rocblas_gemvt_warp_reduce_kernelILb1ELi1024ElfffEviiT3_lPKT2_lT1_lS3_lS4_lS0_lPT4_lS4_li,comdat
.Lfunc_end49:
	.size	_ZL32rocblas_gemvt_warp_reduce_kernelILb1ELi1024ElfffEviiT3_lPKT2_lT1_lS3_lS4_lS0_lPT4_lS4_li, .Lfunc_end49-_ZL32rocblas_gemvt_warp_reduce_kernelILb1ELi1024ElfffEviiT3_lPKT2_lT1_lS3_lS4_lS0_lPT4_lS4_li
                                        ; -- End function
	.set _ZL32rocblas_gemvt_warp_reduce_kernelILb1ELi1024ElfffEviiT3_lPKT2_lT1_lS3_lS4_lS0_lPT4_lS4_li.num_vgpr, 22
	.set _ZL32rocblas_gemvt_warp_reduce_kernelILb1ELi1024ElfffEviiT3_lPKT2_lT1_lS3_lS4_lS0_lPT4_lS4_li.num_agpr, 0
	.set _ZL32rocblas_gemvt_warp_reduce_kernelILb1ELi1024ElfffEviiT3_lPKT2_lT1_lS3_lS4_lS0_lPT4_lS4_li.numbered_sgpr, 44
	.set _ZL32rocblas_gemvt_warp_reduce_kernelILb1ELi1024ElfffEviiT3_lPKT2_lT1_lS3_lS4_lS0_lPT4_lS4_li.num_named_barrier, 0
	.set _ZL32rocblas_gemvt_warp_reduce_kernelILb1ELi1024ElfffEviiT3_lPKT2_lT1_lS3_lS4_lS0_lPT4_lS4_li.private_seg_size, 0
	.set _ZL32rocblas_gemvt_warp_reduce_kernelILb1ELi1024ElfffEviiT3_lPKT2_lT1_lS3_lS4_lS0_lPT4_lS4_li.uses_vcc, 1
	.set _ZL32rocblas_gemvt_warp_reduce_kernelILb1ELi1024ElfffEviiT3_lPKT2_lT1_lS3_lS4_lS0_lPT4_lS4_li.uses_flat_scratch, 0
	.set _ZL32rocblas_gemvt_warp_reduce_kernelILb1ELi1024ElfffEviiT3_lPKT2_lT1_lS3_lS4_lS0_lPT4_lS4_li.has_dyn_sized_stack, 0
	.set _ZL32rocblas_gemvt_warp_reduce_kernelILb1ELi1024ElfffEviiT3_lPKT2_lT1_lS3_lS4_lS0_lPT4_lS4_li.has_recursion, 0
	.set _ZL32rocblas_gemvt_warp_reduce_kernelILb1ELi1024ElfffEviiT3_lPKT2_lT1_lS3_lS4_lS0_lPT4_lS4_li.has_indirect_call, 0
	.section	.AMDGPU.csdata,"",@progbits
; Kernel info:
; codeLenInByte = 1552
; TotalNumSgprs: 46
; NumVgprs: 22
; ScratchSize: 0
; MemoryBound: 0
; FloatMode: 240
; IeeeMode: 1
; LDSByteSize: 128 bytes/workgroup (compile time only)
; SGPRBlocks: 0
; VGPRBlocks: 2
; NumSGPRsForWavesPerEU: 46
; NumVGPRsForWavesPerEU: 22
; Occupancy: 16
; WaveLimiterHint : 0
; COMPUTE_PGM_RSRC2:SCRATCH_EN: 0
; COMPUTE_PGM_RSRC2:USER_SGPR: 2
; COMPUTE_PGM_RSRC2:TRAP_HANDLER: 0
; COMPUTE_PGM_RSRC2:TGID_X_EN: 1
; COMPUTE_PGM_RSRC2:TGID_Y_EN: 0
; COMPUTE_PGM_RSRC2:TGID_Z_EN: 1
; COMPUTE_PGM_RSRC2:TIDIG_COMP_CNT: 0
	.section	.text._ZL34rocblas_gemvn_sm_mn_batched_kernelILi32ELi24EdPKddEviiT2_lPKT1_lilS5_lilS2_lPT3_lili,"axG",@progbits,_ZL34rocblas_gemvn_sm_mn_batched_kernelILi32ELi24EdPKddEviiT2_lPKT1_lilS5_lilS2_lPT3_lili,comdat
	.globl	_ZL34rocblas_gemvn_sm_mn_batched_kernelILi32ELi24EdPKddEviiT2_lPKT1_lilS5_lilS2_lPT3_lili ; -- Begin function _ZL34rocblas_gemvn_sm_mn_batched_kernelILi32ELi24EdPKddEviiT2_lPKT1_lilS5_lilS2_lPT3_lili
	.p2align	8
	.type	_ZL34rocblas_gemvn_sm_mn_batched_kernelILi32ELi24EdPKddEviiT2_lPKT1_lilS5_lilS2_lPT3_lili,@function
_ZL34rocblas_gemvn_sm_mn_batched_kernelILi32ELi24EdPKddEviiT2_lPKT1_lilS5_lilS2_lPT3_lili: ; @_ZL34rocblas_gemvn_sm_mn_batched_kernelILi32ELi24EdPKddEviiT2_lPKT1_lilS5_lilS2_lPT3_lili
; %bb.0:
	s_endpgm
	.section	.rodata,"a",@progbits
	.p2align	6, 0x0
	.amdhsa_kernel _ZL34rocblas_gemvn_sm_mn_batched_kernelILi32ELi24EdPKddEviiT2_lPKT1_lilS5_lilS2_lPT3_lili
		.amdhsa_group_segment_fixed_size 0
		.amdhsa_private_segment_fixed_size 0
		.amdhsa_kernarg_size 140
		.amdhsa_user_sgpr_count 2
		.amdhsa_user_sgpr_dispatch_ptr 0
		.amdhsa_user_sgpr_queue_ptr 0
		.amdhsa_user_sgpr_kernarg_segment_ptr 1
		.amdhsa_user_sgpr_dispatch_id 0
		.amdhsa_user_sgpr_private_segment_size 0
		.amdhsa_wavefront_size32 1
		.amdhsa_uses_dynamic_stack 0
		.amdhsa_enable_private_segment 0
		.amdhsa_system_sgpr_workgroup_id_x 1
		.amdhsa_system_sgpr_workgroup_id_y 0
		.amdhsa_system_sgpr_workgroup_id_z 0
		.amdhsa_system_sgpr_workgroup_info 0
		.amdhsa_system_vgpr_workitem_id 0
		.amdhsa_next_free_vgpr 1
		.amdhsa_next_free_sgpr 1
		.amdhsa_reserve_vcc 0
		.amdhsa_float_round_mode_32 0
		.amdhsa_float_round_mode_16_64 0
		.amdhsa_float_denorm_mode_32 3
		.amdhsa_float_denorm_mode_16_64 3
		.amdhsa_fp16_overflow 0
		.amdhsa_workgroup_processor_mode 1
		.amdhsa_memory_ordered 1
		.amdhsa_forward_progress 1
		.amdhsa_inst_pref_size 1
		.amdhsa_round_robin_scheduling 0
		.amdhsa_exception_fp_ieee_invalid_op 0
		.amdhsa_exception_fp_denorm_src 0
		.amdhsa_exception_fp_ieee_div_zero 0
		.amdhsa_exception_fp_ieee_overflow 0
		.amdhsa_exception_fp_ieee_underflow 0
		.amdhsa_exception_fp_ieee_inexact 0
		.amdhsa_exception_int_div_zero 0
	.end_amdhsa_kernel
	.section	.text._ZL34rocblas_gemvn_sm_mn_batched_kernelILi32ELi24EdPKddEviiT2_lPKT1_lilS5_lilS2_lPT3_lili,"axG",@progbits,_ZL34rocblas_gemvn_sm_mn_batched_kernelILi32ELi24EdPKddEviiT2_lPKT1_lilS5_lilS2_lPT3_lili,comdat
.Lfunc_end50:
	.size	_ZL34rocblas_gemvn_sm_mn_batched_kernelILi32ELi24EdPKddEviiT2_lPKT1_lilS5_lilS2_lPT3_lili, .Lfunc_end50-_ZL34rocblas_gemvn_sm_mn_batched_kernelILi32ELi24EdPKddEviiT2_lPKT1_lilS5_lilS2_lPT3_lili
                                        ; -- End function
	.set _ZL34rocblas_gemvn_sm_mn_batched_kernelILi32ELi24EdPKddEviiT2_lPKT1_lilS5_lilS2_lPT3_lili.num_vgpr, 0
	.set _ZL34rocblas_gemvn_sm_mn_batched_kernelILi32ELi24EdPKddEviiT2_lPKT1_lilS5_lilS2_lPT3_lili.num_agpr, 0
	.set _ZL34rocblas_gemvn_sm_mn_batched_kernelILi32ELi24EdPKddEviiT2_lPKT1_lilS5_lilS2_lPT3_lili.numbered_sgpr, 0
	.set _ZL34rocblas_gemvn_sm_mn_batched_kernelILi32ELi24EdPKddEviiT2_lPKT1_lilS5_lilS2_lPT3_lili.num_named_barrier, 0
	.set _ZL34rocblas_gemvn_sm_mn_batched_kernelILi32ELi24EdPKddEviiT2_lPKT1_lilS5_lilS2_lPT3_lili.private_seg_size, 0
	.set _ZL34rocblas_gemvn_sm_mn_batched_kernelILi32ELi24EdPKddEviiT2_lPKT1_lilS5_lilS2_lPT3_lili.uses_vcc, 0
	.set _ZL34rocblas_gemvn_sm_mn_batched_kernelILi32ELi24EdPKddEviiT2_lPKT1_lilS5_lilS2_lPT3_lili.uses_flat_scratch, 0
	.set _ZL34rocblas_gemvn_sm_mn_batched_kernelILi32ELi24EdPKddEviiT2_lPKT1_lilS5_lilS2_lPT3_lili.has_dyn_sized_stack, 0
	.set _ZL34rocblas_gemvn_sm_mn_batched_kernelILi32ELi24EdPKddEviiT2_lPKT1_lilS5_lilS2_lPT3_lili.has_recursion, 0
	.set _ZL34rocblas_gemvn_sm_mn_batched_kernelILi32ELi24EdPKddEviiT2_lPKT1_lilS5_lilS2_lPT3_lili.has_indirect_call, 0
	.section	.AMDGPU.csdata,"",@progbits
; Kernel info:
; codeLenInByte = 4
; TotalNumSgprs: 0
; NumVgprs: 0
; ScratchSize: 0
; MemoryBound: 0
; FloatMode: 240
; IeeeMode: 1
; LDSByteSize: 0 bytes/workgroup (compile time only)
; SGPRBlocks: 0
; VGPRBlocks: 0
; NumSGPRsForWavesPerEU: 1
; NumVGPRsForWavesPerEU: 1
; Occupancy: 16
; WaveLimiterHint : 0
; COMPUTE_PGM_RSRC2:SCRATCH_EN: 0
; COMPUTE_PGM_RSRC2:USER_SGPR: 2
; COMPUTE_PGM_RSRC2:TRAP_HANDLER: 0
; COMPUTE_PGM_RSRC2:TGID_X_EN: 1
; COMPUTE_PGM_RSRC2:TGID_Y_EN: 0
; COMPUTE_PGM_RSRC2:TGID_Z_EN: 0
; COMPUTE_PGM_RSRC2:TIDIG_COMP_CNT: 0
	.section	.text._ZL34rocblas_gemvn_sm_mn_batched_kernelILi32ELi24EdddEviiT2_lPKT1_lilS3_lilS0_lPT3_lili,"axG",@progbits,_ZL34rocblas_gemvn_sm_mn_batched_kernelILi32ELi24EdddEviiT2_lPKT1_lilS3_lilS0_lPT3_lili,comdat
	.globl	_ZL34rocblas_gemvn_sm_mn_batched_kernelILi32ELi24EdddEviiT2_lPKT1_lilS3_lilS0_lPT3_lili ; -- Begin function _ZL34rocblas_gemvn_sm_mn_batched_kernelILi32ELi24EdddEviiT2_lPKT1_lilS3_lilS0_lPT3_lili
	.p2align	8
	.type	_ZL34rocblas_gemvn_sm_mn_batched_kernelILi32ELi24EdddEviiT2_lPKT1_lilS3_lilS0_lPT3_lili,@function
_ZL34rocblas_gemvn_sm_mn_batched_kernelILi32ELi24EdddEviiT2_lPKT1_lilS3_lilS0_lPT3_lili: ; @_ZL34rocblas_gemvn_sm_mn_batched_kernelILi32ELi24EdddEviiT2_lPKT1_lilS3_lilS0_lPT3_lili
; %bb.0:
	s_endpgm
	.section	.rodata,"a",@progbits
	.p2align	6, 0x0
	.amdhsa_kernel _ZL34rocblas_gemvn_sm_mn_batched_kernelILi32ELi24EdddEviiT2_lPKT1_lilS3_lilS0_lPT3_lili
		.amdhsa_group_segment_fixed_size 0
		.amdhsa_private_segment_fixed_size 0
		.amdhsa_kernarg_size 140
		.amdhsa_user_sgpr_count 2
		.amdhsa_user_sgpr_dispatch_ptr 0
		.amdhsa_user_sgpr_queue_ptr 0
		.amdhsa_user_sgpr_kernarg_segment_ptr 1
		.amdhsa_user_sgpr_dispatch_id 0
		.amdhsa_user_sgpr_private_segment_size 0
		.amdhsa_wavefront_size32 1
		.amdhsa_uses_dynamic_stack 0
		.amdhsa_enable_private_segment 0
		.amdhsa_system_sgpr_workgroup_id_x 1
		.amdhsa_system_sgpr_workgroup_id_y 0
		.amdhsa_system_sgpr_workgroup_id_z 0
		.amdhsa_system_sgpr_workgroup_info 0
		.amdhsa_system_vgpr_workitem_id 0
		.amdhsa_next_free_vgpr 1
		.amdhsa_next_free_sgpr 1
		.amdhsa_reserve_vcc 0
		.amdhsa_float_round_mode_32 0
		.amdhsa_float_round_mode_16_64 0
		.amdhsa_float_denorm_mode_32 3
		.amdhsa_float_denorm_mode_16_64 3
		.amdhsa_fp16_overflow 0
		.amdhsa_workgroup_processor_mode 1
		.amdhsa_memory_ordered 1
		.amdhsa_forward_progress 1
		.amdhsa_inst_pref_size 1
		.amdhsa_round_robin_scheduling 0
		.amdhsa_exception_fp_ieee_invalid_op 0
		.amdhsa_exception_fp_denorm_src 0
		.amdhsa_exception_fp_ieee_div_zero 0
		.amdhsa_exception_fp_ieee_overflow 0
		.amdhsa_exception_fp_ieee_underflow 0
		.amdhsa_exception_fp_ieee_inexact 0
		.amdhsa_exception_int_div_zero 0
	.end_amdhsa_kernel
	.section	.text._ZL34rocblas_gemvn_sm_mn_batched_kernelILi32ELi24EdddEviiT2_lPKT1_lilS3_lilS0_lPT3_lili,"axG",@progbits,_ZL34rocblas_gemvn_sm_mn_batched_kernelILi32ELi24EdddEviiT2_lPKT1_lilS3_lilS0_lPT3_lili,comdat
.Lfunc_end51:
	.size	_ZL34rocblas_gemvn_sm_mn_batched_kernelILi32ELi24EdddEviiT2_lPKT1_lilS3_lilS0_lPT3_lili, .Lfunc_end51-_ZL34rocblas_gemvn_sm_mn_batched_kernelILi32ELi24EdddEviiT2_lPKT1_lilS3_lilS0_lPT3_lili
                                        ; -- End function
	.set _ZL34rocblas_gemvn_sm_mn_batched_kernelILi32ELi24EdddEviiT2_lPKT1_lilS3_lilS0_lPT3_lili.num_vgpr, 0
	.set _ZL34rocblas_gemvn_sm_mn_batched_kernelILi32ELi24EdddEviiT2_lPKT1_lilS3_lilS0_lPT3_lili.num_agpr, 0
	.set _ZL34rocblas_gemvn_sm_mn_batched_kernelILi32ELi24EdddEviiT2_lPKT1_lilS3_lilS0_lPT3_lili.numbered_sgpr, 0
	.set _ZL34rocblas_gemvn_sm_mn_batched_kernelILi32ELi24EdddEviiT2_lPKT1_lilS3_lilS0_lPT3_lili.num_named_barrier, 0
	.set _ZL34rocblas_gemvn_sm_mn_batched_kernelILi32ELi24EdddEviiT2_lPKT1_lilS3_lilS0_lPT3_lili.private_seg_size, 0
	.set _ZL34rocblas_gemvn_sm_mn_batched_kernelILi32ELi24EdddEviiT2_lPKT1_lilS3_lilS0_lPT3_lili.uses_vcc, 0
	.set _ZL34rocblas_gemvn_sm_mn_batched_kernelILi32ELi24EdddEviiT2_lPKT1_lilS3_lilS0_lPT3_lili.uses_flat_scratch, 0
	.set _ZL34rocblas_gemvn_sm_mn_batched_kernelILi32ELi24EdddEviiT2_lPKT1_lilS3_lilS0_lPT3_lili.has_dyn_sized_stack, 0
	.set _ZL34rocblas_gemvn_sm_mn_batched_kernelILi32ELi24EdddEviiT2_lPKT1_lilS3_lilS0_lPT3_lili.has_recursion, 0
	.set _ZL34rocblas_gemvn_sm_mn_batched_kernelILi32ELi24EdddEviiT2_lPKT1_lilS3_lilS0_lPT3_lili.has_indirect_call, 0
	.section	.AMDGPU.csdata,"",@progbits
; Kernel info:
; codeLenInByte = 4
; TotalNumSgprs: 0
; NumVgprs: 0
; ScratchSize: 0
; MemoryBound: 0
; FloatMode: 240
; IeeeMode: 1
; LDSByteSize: 0 bytes/workgroup (compile time only)
; SGPRBlocks: 0
; VGPRBlocks: 0
; NumSGPRsForWavesPerEU: 1
; NumVGPRsForWavesPerEU: 1
; Occupancy: 16
; WaveLimiterHint : 0
; COMPUTE_PGM_RSRC2:SCRATCH_EN: 0
; COMPUTE_PGM_RSRC2:USER_SGPR: 2
; COMPUTE_PGM_RSRC2:TRAP_HANDLER: 0
; COMPUTE_PGM_RSRC2:TGID_X_EN: 1
; COMPUTE_PGM_RSRC2:TGID_Y_EN: 0
; COMPUTE_PGM_RSRC2:TGID_Z_EN: 0
; COMPUTE_PGM_RSRC2:TIDIG_COMP_CNT: 0
	.section	.text._ZL20rocblas_gemvn_kernelILi64ELi4EidPKddEviiT3_lPKT2_lT1_lS5_lS6_lS2_lPT4_lS6_li,"axG",@progbits,_ZL20rocblas_gemvn_kernelILi64ELi4EidPKddEviiT3_lPKT2_lT1_lS5_lS6_lS2_lPT4_lS6_li,comdat
	.globl	_ZL20rocblas_gemvn_kernelILi64ELi4EidPKddEviiT3_lPKT2_lT1_lS5_lS6_lS2_lPT4_lS6_li ; -- Begin function _ZL20rocblas_gemvn_kernelILi64ELi4EidPKddEviiT3_lPKT2_lT1_lS5_lS6_lS2_lPT4_lS6_li
	.p2align	8
	.type	_ZL20rocblas_gemvn_kernelILi64ELi4EidPKddEviiT3_lPKT2_lT1_lS5_lS6_lS2_lPT4_lS6_li,@function
_ZL20rocblas_gemvn_kernelILi64ELi4EidPKddEviiT3_lPKT2_lT1_lS5_lS6_lS2_lPT4_lS6_li: ; @_ZL20rocblas_gemvn_kernelILi64ELi4EidPKddEviiT3_lPKT2_lT1_lS5_lS6_lS2_lPT4_lS6_li
; %bb.0:
	s_load_b64 s[2:3], s[0:1], 0x9c
	s_wait_kmcnt 0x0
	s_lshr_b32 s4, s2, 16
	s_and_b32 s2, s2, 0xffff
	s_and_b32 s3, s3, 0xffff
	s_mul_i32 s2, s4, s2
	s_delay_alu instid0(SALU_CYCLE_1) | instskip(NEXT) | instid1(SALU_CYCLE_1)
	s_mul_i32 s2, s2, s3
	s_cmp_lg_u32 s2, 0x100
	s_cbranch_scc1 .LBB52_52
; %bb.1:
	s_load_b32 s31, s[0:1], 0x88
	s_lshr_b32 s34, ttmp7, 16
	s_wait_kmcnt 0x0
	s_cmp_ge_u32 s34, s31
	s_cbranch_scc1 .LBB52_52
; %bb.2:
	s_clause 0x3
	s_load_b96 s[4:6], s[0:1], 0x70
	s_load_b256 s[8:15], s[0:1], 0x8
	s_load_b96 s[28:30], s[0:1], 0x40
	s_load_b64 s[36:37], s[0:1], 0x0
	v_and_b32_e32 v9, 0x3ff, v0
	v_bfe_u32 v8, v0, 10, 10
	s_clause 0x2
	s_load_b32 s33, s[0:1], 0x28
	s_load_b128 s[24:27], s[0:1], 0x30
	s_load_b256 s[16:23], s[0:1], 0x50
	s_lshl_b32 s42, ttmp9, 8
	v_mov_b32_e32 v1, 0
	v_or_b32_e32 v63, s42, v9
	v_lshl_add_u32 v5, v8, 6, v9
	v_lshlrev_b32_e32 v64, 2, v8
	s_load_b64 s[38:39], s[0:1], 0x80
	s_mov_b32 s35, 0
	v_add_nc_u32_e32 v7, 0x80, v63
	v_add_nc_u32_e32 v0, s42, v5
	v_or_b32_e32 v11, s42, v5
	v_add_nc_u32_e32 v6, 64, v63
	v_add_nc_u32_e32 v10, 0xc0, v63
	v_or_b32_e32 v12, 3, v64
	s_wait_kmcnt 0x0
	v_mad_co_u64_u32 v[2:3], null, s6, v0, 0
	s_lshl_b64 s[2:3], s[14:15], 3
	s_ashr_i32 s1, s6, 31
	s_ashr_i32 s7, s37, 31
	s_add_nc_u64 s[12:13], s[12:13], s[2:3]
	v_cmp_gt_i32_e64 s3, s36, v7
	v_mul_lo_u32 v7, s33, v64
	s_lshl_b64 s[4:5], s[4:5], 3
	s_wait_alu 0xfffe
	s_lshr_b32 s2, s7, 28
	v_mad_co_u64_u32 v[3:4], null, s1, v0, v[3:4]
	v_mul_lo_u32 v4, s6, v11
	v_cmp_gt_i32_e64 s6, s36, v11
	v_mul_lo_u32 v11, v8, s33
	s_add_co_i32 s1, s37, s2
	s_add_nc_u64 s[22:23], s[22:23], s[4:5]
	v_cmp_gt_i32_e64 s2, s36, v6
	v_cmp_gt_i32_e64 s4, s36, v10
	v_lshlrev_b32_e32 v6, 3, v9
	v_or_b32_e32 v10, 2, v64
	v_mul_lo_u32 v13, v8, s30
	s_lshl_b64 s[14:15], s[28:29], 3
	s_ashr_i32 s29, s36, 31
	s_mov_b32 s28, s36
	s_wait_alu 0xfffe
	s_and_b32 s43, s1, -16
	s_add_nc_u64 s[14:15], s[26:27], s[14:15]
	v_cmp_gt_i64_e32 vcc_lo, s[28:29], v[0:1]
	v_lshl_add_u32 v0, v8, 11, v6
	v_lshl_add_u32 v65, v8, 9, v6
	v_add3_u32 v66, v7, s33, v9
	v_mad_co_u64_u32 v[6:7], null, s33, v10, v[9:10]
	s_mov_b32 s26, s30
	s_wait_alu 0xfffe
	s_sub_co_i32 s5, s37, s43
	v_mad_co_u64_u32 v[7:8], null, s33, v12, v[9:10]
	v_lshl_add_u32 v67, v11, 2, v9
	v_mad_co_u64_u32 v[8:9], null, s30, v64, s[26:27]
	v_mul_lo_u32 v68, s30, v10
	v_mul_lo_u32 v69, s30, v12
	s_cmp_gt_i32 s5, 0
	v_cmp_gt_u32_e64 s5, 0x100, v5
	v_lshlrev_b64_e32 v[9:10], 3, v[2:3]
	v_cmp_gt_i32_e64 s0, s36, v63
	v_cmp_gt_i32_e64 s1, s43, v64
	v_ashrrev_i32_e32 v5, 31, v4
	v_lshlrev_b32_e32 v70, 2, v13
	s_cselect_b32 s36, -1, 0
	s_and_b32 s44, s5, vcc_lo
	s_lshl_b32 s45, s33, 4
	s_lshl_b32 s46, s30, 4
	s_branch .LBB52_5
.LBB52_3:                               ;   in Loop: Header=BB52_5 Depth=1
	s_wait_alu 0xfffe
	s_or_b32 exec_lo, exec_lo, s7
.LBB52_4:                               ;   in Loop: Header=BB52_5 Depth=1
	s_add_co_i32 s34, s34, 0x10000
	s_delay_alu instid0(SALU_CYCLE_1)
	s_cmp_lt_u32 s34, s31
	s_cbranch_scc0 .LBB52_52
.LBB52_5:                               ; =>This Loop Header: Depth=1
                                        ;     Child Loop BB52_18 Depth 2
	s_mul_u64 s[26:27], s[10:11], s[34:35]
	s_mul_u64 s[28:29], s[20:21], s[34:35]
	s_wait_alu 0xfffe
	s_lshl_b64 s[26:27], s[26:27], 3
	s_lshl_b64 s[28:29], s[28:29], 3
	s_wait_alu 0xfffe
	s_add_nc_u64 s[26:27], s[8:9], s[26:27]
	s_add_nc_u64 s[28:29], s[18:19], s[28:29]
	s_clause 0x1
	global_load_b64 v[13:14], v1, s[26:27]
	global_load_b64 v[11:12], v1, s[28:29]
	s_wait_loadcnt 0x1
	v_cmp_eq_f64_e32 vcc_lo, 0, v[13:14]
	s_wait_loadcnt 0x0
	v_cmp_eq_f64_e64 s7, 1.0, v[11:12]
	s_and_b32 s7, vcc_lo, s7
	s_wait_alu 0xfffe
	s_and_b32 vcc_lo, exec_lo, s7
	s_wait_alu 0xfffe
	s_cbranch_vccnz .LBB52_4
; %bb.6:                                ;   in Loop: Header=BB52_5 Depth=1
	v_cmp_neq_f64_e32 vcc_lo, 0, v[13:14]
	s_mul_u64 s[26:27], s[38:39], s[34:35]
	s_wait_alu 0xfffe
	s_lshl_b64 s[26:27], s[26:27], 3
	s_wait_alu 0xfffe
	s_add_nc_u64 s[26:27], s[22:23], s[26:27]
	s_cbranch_vccnz .LBB52_11
; %bb.7:                                ;   in Loop: Header=BB52_5 Depth=1
	s_mov_b32 s7, 0
	s_mov_b32 s47, 0
                                        ; implicit-def: $vgpr15_vgpr16
	s_and_saveexec_b32 s28, s44
	s_cbranch_execz .LBB52_23
; %bb.8:                                ;   in Loop: Header=BB52_5 Depth=1
	v_cmp_eq_f64_e32 vcc_lo, 0, v[11:12]
	v_mov_b32_e32 v15, 0
	v_mov_b32_e32 v16, 0
	s_cbranch_vccnz .LBB52_10
; %bb.9:                                ;   in Loop: Header=BB52_5 Depth=1
	s_wait_alu 0xfffe
	v_add_co_u32 v15, vcc_lo, s26, v9
	s_wait_alu 0xfffd
	v_add_co_ci_u32_e64 v16, null, s27, v10, vcc_lo
	global_load_b64 v[15:16], v[15:16], off
	s_wait_loadcnt 0x0
	v_mul_f64_e32 v[15:16], v[11:12], v[15:16]
.LBB52_10:                              ;   in Loop: Header=BB52_5 Depth=1
	s_mov_b32 s47, exec_lo
	s_wait_alu 0xfffe
	s_or_b32 exec_lo, exec_lo, s28
	s_delay_alu instid0(SALU_CYCLE_1)
	s_and_b32 vcc_lo, exec_lo, s7
	s_wait_alu 0xfffe
	s_cbranch_vccnz .LBB52_12
	s_branch .LBB52_24
.LBB52_11:                              ;   in Loop: Header=BB52_5 Depth=1
	s_mov_b32 s47, 0
                                        ; implicit-def: $vgpr15_vgpr16
	s_cbranch_execz .LBB52_24
.LBB52_12:                              ;   in Loop: Header=BB52_5 Depth=1
	v_mov_b32_e32 v15, 0
	v_mov_b32_e32 v19, 0
	s_mul_u64 s[28:29], s[24:25], s[34:35]
	s_mul_u64 s[40:41], s[16:17], s[34:35]
	v_dual_mov_b32 v16, 0 :: v_dual_mov_b32 v17, 0
	v_dual_mov_b32 v20, 0 :: v_dual_mov_b32 v21, 0
	v_mov_b32_e32 v18, 0
	v_dual_mov_b32 v22, 0 :: v_dual_mov_b32 v71, v64
	s_wait_alu 0xfffe
	s_lshl_b64 s[28:29], s[28:29], 3
	s_lshl_b64 s[40:41], s[40:41], 3
	s_wait_alu 0xfffe
	s_add_nc_u64 s[28:29], s[12:13], s[28:29]
	s_add_nc_u64 s[40:41], s[14:15], s[40:41]
	s_and_saveexec_b32 s7, s1
	s_cbranch_execz .LBB52_26
; %bb.13:                               ;   in Loop: Header=BB52_5 Depth=1
	v_mov_b32_e32 v17, 0
	v_dual_mov_b32 v15, 0 :: v_dual_mov_b32 v72, v67
	v_dual_mov_b32 v18, 0 :: v_dual_mov_b32 v19, 0
	;; [unrolled: 1-line block ×6, first 2 shown]
	s_mov_b32 s48, 0
	s_mov_b32 s49, 0
	s_branch .LBB52_18
.LBB52_14:                              ;   in Loop: Header=BB52_18 Depth=2
	s_or_b32 exec_lo, exec_lo, s53
	s_wait_loadcnt 0x3
	v_fma_f64 v[19:20], v[23:24], v[55:56], v[19:20]
	s_wait_loadcnt 0x2
	s_delay_alu instid0(VALU_DEP_1) | instskip(SKIP_1) | instid1(VALU_DEP_1)
	v_fma_f64 v[19:20], v[25:26], v[57:58], v[19:20]
	s_wait_loadcnt 0x1
	v_fma_f64 v[19:20], v[27:28], v[59:60], v[19:20]
	s_wait_loadcnt 0x0
	s_delay_alu instid0(VALU_DEP_1)
	v_fma_f64 v[19:20], v[29:30], v[61:62], v[19:20]
.LBB52_15:                              ;   in Loop: Header=BB52_18 Depth=2
	s_or_b32 exec_lo, exec_lo, s52
	s_wait_loadcnt 0x3
	v_fma_f64 v[17:18], v[23:24], v[47:48], v[17:18]
	s_wait_loadcnt 0x2
	s_delay_alu instid0(VALU_DEP_1) | instskip(SKIP_1) | instid1(VALU_DEP_1)
	v_fma_f64 v[17:18], v[25:26], v[49:50], v[17:18]
	s_wait_loadcnt 0x1
	v_fma_f64 v[17:18], v[27:28], v[51:52], v[17:18]
	s_wait_loadcnt 0x0
	s_delay_alu instid0(VALU_DEP_1)
	v_fma_f64 v[17:18], v[29:30], v[53:54], v[17:18]
.LBB52_16:                              ;   in Loop: Header=BB52_18 Depth=2
	s_or_b32 exec_lo, exec_lo, s51
	s_wait_loadcnt 0x3
	v_fma_f64 v[15:16], v[23:24], v[31:32], v[15:16]
	s_wait_loadcnt 0x2
	s_delay_alu instid0(VALU_DEP_1) | instskip(SKIP_1) | instid1(VALU_DEP_1)
	v_fma_f64 v[15:16], v[25:26], v[33:34], v[15:16]
	s_wait_loadcnt 0x1
	v_fma_f64 v[15:16], v[27:28], v[35:36], v[15:16]
	s_wait_loadcnt 0x0
	s_delay_alu instid0(VALU_DEP_1)
	v_fma_f64 v[15:16], v[29:30], v[37:38], v[15:16]
.LBB52_17:                              ;   in Loop: Header=BB52_18 Depth=2
	s_or_b32 exec_lo, exec_lo, s50
	v_add_nc_u32_e32 v71, 16, v71
	v_add_nc_u32_e32 v75, s45, v75
	;; [unrolled: 1-line block ×5, first 2 shown]
	v_cmp_le_i32_e32 vcc_lo, s43, v71
	s_wait_alu 0xfffe
	s_add_co_i32 s49, s49, s46
	s_or_b32 s48, vcc_lo, s48
	s_wait_alu 0xfffe
	s_and_not1_b32 exec_lo, exec_lo, s48
	s_cbranch_execz .LBB52_25
.LBB52_18:                              ;   Parent Loop BB52_5 Depth=1
                                        ; =>  This Inner Loop Header: Depth=2
	s_and_saveexec_b32 s50, s0
	s_cbranch_execz .LBB52_17
; %bb.19:                               ;   in Loop: Header=BB52_18 Depth=2
	s_wait_alu 0xfffe
	v_add_nc_u32_e32 v23, s49, v70
	v_add_nc_u32_e32 v25, s49, v8
	v_add_nc_u32_e32 v27, s49, v68
	v_add_nc_u32_e32 v29, s49, v69
	v_add_nc_u32_e32 v31, s42, v72
	v_ashrrev_i32_e32 v24, 31, v23
	v_ashrrev_i32_e32 v26, 31, v25
	;; [unrolled: 1-line block ×3, first 2 shown]
	v_add_nc_u32_e32 v33, s42, v75
	v_ashrrev_i32_e32 v30, 31, v29
	v_lshlrev_b64_e32 v[23:24], 3, v[23:24]
	v_lshlrev_b64_e32 v[25:26], 3, v[25:26]
	v_ashrrev_i32_e32 v32, 31, v31
	v_lshlrev_b64_e32 v[27:28], 3, v[27:28]
	v_ashrrev_i32_e32 v34, 31, v33
	v_lshlrev_b64_e32 v[29:30], 3, v[29:30]
	v_add_co_u32 v23, vcc_lo, s40, v23
	v_add_nc_u32_e32 v35, s42, v74
	s_wait_alu 0xfffd
	v_add_co_ci_u32_e64 v24, null, s41, v24, vcc_lo
	v_add_co_u32 v25, vcc_lo, s40, v25
	v_lshlrev_b64_e32 v[31:32], 3, v[31:32]
	v_add_nc_u32_e32 v37, s42, v73
	s_wait_alu 0xfffd
	v_add_co_ci_u32_e64 v26, null, s41, v26, vcc_lo
	v_add_co_u32 v27, vcc_lo, s40, v27
	v_lshlrev_b64_e32 v[33:34], 3, v[33:34]
	v_ashrrev_i32_e32 v36, 31, v35
	s_wait_alu 0xfffd
	v_add_co_ci_u32_e64 v28, null, s41, v28, vcc_lo
	v_add_co_u32 v29, vcc_lo, s40, v29
	v_ashrrev_i32_e32 v38, 31, v37
	s_wait_alu 0xfffd
	v_add_co_ci_u32_e64 v30, null, s41, v30, vcc_lo
	v_add_co_u32 v39, vcc_lo, s28, v31
	s_wait_alu 0xfffd
	v_add_co_ci_u32_e64 v40, null, s29, v32, vcc_lo
	v_lshlrev_b64_e32 v[31:32], 3, v[35:36]
	v_add_co_u32 v41, vcc_lo, s28, v33
	s_wait_alu 0xfffd
	v_add_co_ci_u32_e64 v42, null, s29, v34, vcc_lo
	v_lshlrev_b64_e32 v[33:34], 3, v[37:38]
	s_delay_alu instid0(VALU_DEP_4) | instskip(SKIP_2) | instid1(VALU_DEP_3)
	v_add_co_u32 v43, vcc_lo, s28, v31
	s_wait_alu 0xfffd
	v_add_co_ci_u32_e64 v44, null, s29, v32, vcc_lo
	v_add_co_u32 v45, vcc_lo, s28, v33
	s_wait_alu 0xfffd
	v_add_co_ci_u32_e64 v46, null, s29, v34, vcc_lo
	s_clause 0x3
	global_load_b64 v[23:24], v[23:24], off
	global_load_b64 v[25:26], v[25:26], off
	;; [unrolled: 1-line block ×4, first 2 shown]
	s_clause 0x3
	global_load_b64 v[31:32], v[39:40], off
	global_load_b64 v[33:34], v[41:42], off
	;; [unrolled: 1-line block ×4, first 2 shown]
	s_and_saveexec_b32 s51, s2
	s_cbranch_execz .LBB52_16
; %bb.20:                               ;   in Loop: Header=BB52_18 Depth=2
	s_clause 0x3
	global_load_b64 v[47:48], v[39:40], off offset:512
	global_load_b64 v[49:50], v[41:42], off offset:512
	global_load_b64 v[51:52], v[43:44], off offset:512
	global_load_b64 v[53:54], v[45:46], off offset:512
	s_and_saveexec_b32 s52, s3
	s_cbranch_execz .LBB52_15
; %bb.21:                               ;   in Loop: Header=BB52_18 Depth=2
	s_clause 0x3
	global_load_b64 v[55:56], v[39:40], off offset:1024
	global_load_b64 v[57:58], v[41:42], off offset:1024
	global_load_b64 v[59:60], v[43:44], off offset:1024
	global_load_b64 v[61:62], v[45:46], off offset:1024
	;; [unrolled: 8-line block ×3, first 2 shown]
	s_wait_loadcnt 0x3
	v_fma_f64 v[21:22], v[23:24], v[39:40], v[21:22]
	s_wait_loadcnt 0x2
	s_delay_alu instid0(VALU_DEP_1) | instskip(SKIP_1) | instid1(VALU_DEP_1)
	v_fma_f64 v[21:22], v[25:26], v[41:42], v[21:22]
	s_wait_loadcnt 0x1
	v_fma_f64 v[21:22], v[27:28], v[43:44], v[21:22]
	s_wait_loadcnt 0x0
	s_delay_alu instid0(VALU_DEP_1)
	v_fma_f64 v[21:22], v[29:30], v[45:46], v[21:22]
	s_branch .LBB52_14
.LBB52_23:                              ;   in Loop: Header=BB52_5 Depth=1
	s_wait_alu 0xfffe
	s_or_b32 exec_lo, exec_lo, s28
	s_delay_alu instid0(SALU_CYCLE_1)
	s_and_b32 vcc_lo, exec_lo, s7
	s_wait_alu 0xfffe
	s_cbranch_vccnz .LBB52_12
.LBB52_24:                              ;   in Loop: Header=BB52_5 Depth=1
	v_dual_mov_b32 v12, v3 :: v_dual_mov_b32 v11, v2
	s_and_saveexec_b32 s7, s47
	s_cbranch_execz .LBB52_3
	s_branch .LBB52_51
.LBB52_25:                              ;   in Loop: Header=BB52_5 Depth=1
	s_or_b32 exec_lo, exec_lo, s48
.LBB52_26:                              ;   in Loop: Header=BB52_5 Depth=1
	s_wait_alu 0xfffe
	s_or_b32 exec_lo, exec_lo, s7
	s_delay_alu instid0(SALU_CYCLE_1)
	s_and_not1_b32 vcc_lo, exec_lo, s36
	s_wait_alu 0xfffe
	s_cbranch_vccnz .LBB52_44
; %bb.27:                               ;   in Loop: Header=BB52_5 Depth=1
	v_mov_b32_e32 v29, 0
	v_dual_mov_b32 v25, 0 :: v_dual_mov_b32 v30, 0
	v_dual_mov_b32 v27, 0 :: v_dual_mov_b32 v26, 0
	v_mov_b32_e32 v23, 0
	v_cmp_gt_i32_e32 vcc_lo, s37, v71
	v_mov_b32_e32 v28, 0
	v_mov_b32_e32 v24, 0
	v_or_b32_e32 v31, 1, v71
	s_and_saveexec_b32 s48, vcc_lo
	s_cbranch_execz .LBB52_35
; %bb.28:                               ;   in Loop: Header=BB52_5 Depth=1
	v_mul_lo_u32 v23, v71, s30
	v_mov_b32_e32 v25, 0
	v_dual_mov_b32 v26, 0 :: v_dual_mov_b32 v27, 0
	v_dual_mov_b32 v29, 0 :: v_dual_mov_b32 v28, 0
	v_mov_b32_e32 v30, 0
	s_mov_b32 s49, exec_lo
	v_ashrrev_i32_e32 v24, 31, v23
	s_delay_alu instid0(VALU_DEP_1) | instskip(NEXT) | instid1(VALU_DEP_1)
	v_lshlrev_b64_e32 v[23:24], 3, v[23:24]
	v_add_co_u32 v23, s7, s40, v23
	s_wait_alu 0xf1ff
	s_delay_alu instid0(VALU_DEP_2)
	v_add_co_ci_u32_e64 v24, null, s41, v24, s7
	global_load_b64 v[23:24], v[23:24], off
	v_cmpx_gt_i32_e64 s37, v31
	s_cbranch_execz .LBB52_34
; %bb.29:                               ;   in Loop: Header=BB52_5 Depth=1
	v_mul_lo_u32 v25, v31, s30
	v_mov_b32_e32 v27, 0
	v_dual_mov_b32 v28, 0 :: v_dual_mov_b32 v29, 0
	v_or_b32_e32 v32, 2, v71
	v_mov_b32_e32 v30, 0
	s_mov_b32 s50, exec_lo
	v_ashrrev_i32_e32 v26, 31, v25
	s_delay_alu instid0(VALU_DEP_1) | instskip(NEXT) | instid1(VALU_DEP_1)
	v_lshlrev_b64_e32 v[25:26], 3, v[25:26]
	v_add_co_u32 v25, s7, s40, v25
	s_wait_alu 0xf1ff
	s_delay_alu instid0(VALU_DEP_2)
	v_add_co_ci_u32_e64 v26, null, s41, v26, s7
	global_load_b64 v[25:26], v[25:26], off
	v_cmpx_gt_i32_e64 s37, v32
	s_cbranch_execz .LBB52_33
; %bb.30:                               ;   in Loop: Header=BB52_5 Depth=1
	v_mul_lo_u32 v27, v32, s30
	v_mov_b32_e32 v29, 0
	v_or_b32_e32 v32, 3, v71
	v_mov_b32_e32 v30, 0
	s_mov_b32 s51, exec_lo
	s_delay_alu instid0(VALU_DEP_4) | instskip(NEXT) | instid1(VALU_DEP_1)
	v_ashrrev_i32_e32 v28, 31, v27
	v_lshlrev_b64_e32 v[27:28], 3, v[27:28]
	s_delay_alu instid0(VALU_DEP_1) | instskip(SKIP_1) | instid1(VALU_DEP_2)
	v_add_co_u32 v27, s7, s40, v27
	s_wait_alu 0xf1ff
	v_add_co_ci_u32_e64 v28, null, s41, v28, s7
	global_load_b64 v[27:28], v[27:28], off
	v_cmpx_gt_i32_e64 s37, v32
	s_cbranch_execz .LBB52_32
; %bb.31:                               ;   in Loop: Header=BB52_5 Depth=1
	v_mul_lo_u32 v29, v32, s30
	s_delay_alu instid0(VALU_DEP_1) | instskip(NEXT) | instid1(VALU_DEP_1)
	v_ashrrev_i32_e32 v30, 31, v29
	v_lshlrev_b64_e32 v[29:30], 3, v[29:30]
	s_delay_alu instid0(VALU_DEP_1) | instskip(SKIP_1) | instid1(VALU_DEP_2)
	v_add_co_u32 v29, s7, s40, v29
	s_wait_alu 0xf1ff
	v_add_co_ci_u32_e64 v30, null, s41, v30, s7
	global_load_b64 v[29:30], v[29:30], off
.LBB52_32:                              ;   in Loop: Header=BB52_5 Depth=1
	s_or_b32 exec_lo, exec_lo, s51
.LBB52_33:                              ;   in Loop: Header=BB52_5 Depth=1
	s_delay_alu instid0(SALU_CYCLE_1)
	s_or_b32 exec_lo, exec_lo, s50
.LBB52_34:                              ;   in Loop: Header=BB52_5 Depth=1
	s_wait_alu 0xfffe
	s_or_b32 exec_lo, exec_lo, s49
.LBB52_35:                              ;   in Loop: Header=BB52_5 Depth=1
	s_wait_alu 0xfffe
	s_or_b32 exec_lo, exec_lo, s48
	s_and_saveexec_b32 s7, s0
	s_cbranch_execz .LBB52_43
; %bb.36:                               ;   in Loop: Header=BB52_5 Depth=1
	v_mul_lo_u32 v33, v71, s33
	v_or_b32_e32 v32, 2, v71
	v_mul_lo_u32 v35, v31, s33
	v_or_b32_e32 v34, 3, v71
	s_delay_alu instid0(VALU_DEP_3) | instskip(NEXT) | instid1(VALU_DEP_2)
	v_mul_lo_u32 v36, v32, s33
	v_mul_lo_u32 v37, v34, s33
	v_cndmask_b32_e32 v33, 0, v33, vcc_lo
	v_cmp_gt_i32_e32 vcc_lo, s37, v31
	s_wait_alu 0xfffd
	v_cndmask_b32_e32 v35, 0, v35, vcc_lo
	v_cmp_gt_i32_e32 vcc_lo, s37, v32
	s_wait_alu 0xfffd
	;; [unrolled: 3-line block ×3, first 2 shown]
	v_dual_cndmask_b32 v34, 0, v37 :: v_dual_add_nc_u32 v31, v33, v63
	v_add_nc_u32_e32 v33, v35, v63
	v_add_nc_u32_e32 v35, v32, v63
	s_delay_alu instid0(VALU_DEP_3) | instskip(NEXT) | instid1(VALU_DEP_4)
	v_ashrrev_i32_e32 v32, 31, v31
	v_add_nc_u32_e32 v37, v34, v63
	s_delay_alu instid0(VALU_DEP_4) | instskip(NEXT) | instid1(VALU_DEP_4)
	v_ashrrev_i32_e32 v34, 31, v33
	v_ashrrev_i32_e32 v36, 31, v35
	s_delay_alu instid0(VALU_DEP_4) | instskip(NEXT) | instid1(VALU_DEP_4)
	v_lshlrev_b64_e32 v[31:32], 3, v[31:32]
	v_ashrrev_i32_e32 v38, 31, v37
	s_delay_alu instid0(VALU_DEP_4) | instskip(NEXT) | instid1(VALU_DEP_4)
	v_lshlrev_b64_e32 v[33:34], 3, v[33:34]
	v_lshlrev_b64_e32 v[35:36], 3, v[35:36]
	s_delay_alu instid0(VALU_DEP_4) | instskip(NEXT) | instid1(VALU_DEP_4)
	v_add_co_u32 v47, vcc_lo, s28, v31
	v_lshlrev_b64_e32 v[37:38], 3, v[37:38]
	s_wait_alu 0xfffd
	v_add_co_ci_u32_e64 v48, null, s29, v32, vcc_lo
	v_add_co_u32 v49, vcc_lo, s28, v33
	s_wait_alu 0xfffd
	v_add_co_ci_u32_e64 v50, null, s29, v34, vcc_lo
	v_add_co_u32 v51, vcc_lo, s28, v35
	;; [unrolled: 3-line block ×3, first 2 shown]
	s_wait_alu 0xfffd
	v_add_co_ci_u32_e64 v54, null, s29, v38, vcc_lo
	s_clause 0x3
	global_load_b64 v[31:32], v[47:48], off
	global_load_b64 v[33:34], v[49:50], off
	;; [unrolled: 1-line block ×4, first 2 shown]
	s_and_saveexec_b32 s28, s2
	s_cbranch_execz .LBB52_42
; %bb.37:                               ;   in Loop: Header=BB52_5 Depth=1
	s_clause 0x3
	global_load_b64 v[39:40], v[47:48], off offset:512
	global_load_b64 v[41:42], v[49:50], off offset:512
	global_load_b64 v[43:44], v[51:52], off offset:512
	global_load_b64 v[45:46], v[53:54], off offset:512
	s_and_saveexec_b32 s29, s3
	s_cbranch_execz .LBB52_41
; %bb.38:                               ;   in Loop: Header=BB52_5 Depth=1
	s_clause 0x3
	global_load_b64 v[55:56], v[47:48], off offset:1024
	global_load_b64 v[57:58], v[49:50], off offset:1024
	global_load_b64 v[59:60], v[51:52], off offset:1024
	global_load_b64 v[61:62], v[53:54], off offset:1024
	;; [unrolled: 8-line block ×3, first 2 shown]
	s_wait_loadcnt 0x3
	v_fma_f64 v[21:22], v[23:24], v[47:48], v[21:22]
	s_wait_loadcnt 0x2
	s_delay_alu instid0(VALU_DEP_1) | instskip(SKIP_1) | instid1(VALU_DEP_1)
	v_fma_f64 v[21:22], v[25:26], v[49:50], v[21:22]
	s_wait_loadcnt 0x1
	v_fma_f64 v[21:22], v[27:28], v[51:52], v[21:22]
	s_wait_loadcnt 0x0
	s_delay_alu instid0(VALU_DEP_1)
	v_fma_f64 v[21:22], v[29:30], v[53:54], v[21:22]
.LBB52_40:                              ;   in Loop: Header=BB52_5 Depth=1
	s_wait_alu 0xfffe
	s_or_b32 exec_lo, exec_lo, s40
	s_wait_loadcnt 0x3
	v_fma_f64 v[19:20], v[23:24], v[55:56], v[19:20]
	s_wait_loadcnt 0x2
	s_delay_alu instid0(VALU_DEP_1) | instskip(SKIP_1) | instid1(VALU_DEP_1)
	v_fma_f64 v[19:20], v[25:26], v[57:58], v[19:20]
	s_wait_loadcnt 0x1
	v_fma_f64 v[19:20], v[27:28], v[59:60], v[19:20]
	s_wait_loadcnt 0x0
	s_delay_alu instid0(VALU_DEP_1)
	v_fma_f64 v[19:20], v[29:30], v[61:62], v[19:20]
.LBB52_41:                              ;   in Loop: Header=BB52_5 Depth=1
	s_wait_alu 0xfffe
	s_or_b32 exec_lo, exec_lo, s29
	s_wait_loadcnt 0x3
	v_fma_f64 v[17:18], v[23:24], v[39:40], v[17:18]
	s_wait_loadcnt 0x2
	s_delay_alu instid0(VALU_DEP_1) | instskip(SKIP_1) | instid1(VALU_DEP_1)
	v_fma_f64 v[17:18], v[25:26], v[41:42], v[17:18]
	s_wait_loadcnt 0x1
	v_fma_f64 v[17:18], v[27:28], v[43:44], v[17:18]
	s_wait_loadcnt 0x0
	s_delay_alu instid0(VALU_DEP_1)
	v_fma_f64 v[17:18], v[29:30], v[45:46], v[17:18]
.LBB52_42:                              ;   in Loop: Header=BB52_5 Depth=1
	s_wait_alu 0xfffe
	s_or_b32 exec_lo, exec_lo, s28
	s_wait_loadcnt 0x3
	v_fma_f64 v[15:16], v[23:24], v[31:32], v[15:16]
	s_wait_loadcnt 0x2
	s_delay_alu instid0(VALU_DEP_1) | instskip(SKIP_1) | instid1(VALU_DEP_1)
	v_fma_f64 v[15:16], v[25:26], v[33:34], v[15:16]
	s_wait_loadcnt 0x1
	v_fma_f64 v[15:16], v[27:28], v[35:36], v[15:16]
	s_wait_loadcnt 0x0
	s_delay_alu instid0(VALU_DEP_1)
	v_fma_f64 v[15:16], v[29:30], v[37:38], v[15:16]
.LBB52_43:                              ;   in Loop: Header=BB52_5 Depth=1
	s_wait_alu 0xfffe
	s_or_b32 exec_lo, exec_lo, s7
.LBB52_44:                              ;   in Loop: Header=BB52_5 Depth=1
	ds_store_2addr_stride64_b64 v0, v[15:16], v[17:18] offset1:1
	ds_store_2addr_stride64_b64 v0, v[19:20], v[21:22] offset0:2 offset1:3
	s_wait_loadcnt_dscnt 0x0
	s_barrier_signal -1
	s_barrier_wait -1
	global_inv scope:SCOPE_SE
                                        ; implicit-def: $vgpr15_vgpr16
	s_and_saveexec_b32 s7, s5
	s_cbranch_execz .LBB52_50
; %bb.45:                               ;   in Loop: Header=BB52_5 Depth=1
	ds_load_2addr_stride64_b64 v[15:18], v65 offset1:4
	s_mov_b32 s29, s47
	s_wait_dscnt 0x0
	v_add_f64_e32 v[19:20], v[15:16], v[17:18]
	ds_load_2addr_stride64_b64 v[15:18], v65 offset0:8 offset1:12
	s_wait_dscnt 0x0
	v_add_f64_e32 v[15:16], v[15:16], v[19:20]
	s_delay_alu instid0(VALU_DEP_1)
	v_add_f64_e32 v[17:18], v[17:18], v[15:16]
                                        ; implicit-def: $vgpr15_vgpr16
	ds_store_b64 v65, v[17:18]
	s_and_saveexec_b32 s28, s6
	s_cbranch_execz .LBB52_49
; %bb.46:                               ;   in Loop: Header=BB52_5 Depth=1
	v_cmp_eq_f64_e32 vcc_lo, 0, v[11:12]
	v_mul_f64_e32 v[15:16], v[13:14], v[17:18]
	s_cbranch_vccnz .LBB52_48
; %bb.47:                               ;   in Loop: Header=BB52_5 Depth=1
	v_lshlrev_b64_e32 v[13:14], 3, v[4:5]
	s_delay_alu instid0(VALU_DEP_1) | instskip(SKIP_1) | instid1(VALU_DEP_2)
	v_add_co_u32 v13, vcc_lo, s26, v13
	s_wait_alu 0xfffd
	v_add_co_ci_u32_e64 v14, null, s27, v14, vcc_lo
	global_load_b64 v[13:14], v[13:14], off
	s_wait_loadcnt 0x0
	v_fma_f64 v[15:16], v[11:12], v[13:14], v[15:16]
.LBB52_48:                              ;   in Loop: Header=BB52_5 Depth=1
	s_or_b32 s29, s47, exec_lo
.LBB52_49:                              ;   in Loop: Header=BB52_5 Depth=1
	s_wait_alu 0xfffe
	s_or_b32 exec_lo, exec_lo, s28
	s_delay_alu instid0(SALU_CYCLE_1)
	s_and_not1_b32 s28, s47, exec_lo
	s_and_b32 s29, s29, exec_lo
	s_wait_alu 0xfffe
	s_or_b32 s47, s28, s29
.LBB52_50:                              ;   in Loop: Header=BB52_5 Depth=1
	s_wait_alu 0xfffe
	s_or_b32 exec_lo, exec_lo, s7
	v_dual_mov_b32 v12, v5 :: v_dual_mov_b32 v11, v4
	s_and_saveexec_b32 s7, s47
	s_cbranch_execz .LBB52_3
.LBB52_51:                              ;   in Loop: Header=BB52_5 Depth=1
	s_delay_alu instid0(VALU_DEP_1) | instskip(SKIP_1) | instid1(VALU_DEP_1)
	v_lshlrev_b64_e32 v[11:12], 3, v[11:12]
	s_wait_alu 0xfffe
	v_add_co_u32 v11, vcc_lo, s26, v11
	s_wait_alu 0xfffd
	s_delay_alu instid0(VALU_DEP_2)
	v_add_co_ci_u32_e64 v12, null, s27, v12, vcc_lo
	global_store_b64 v[11:12], v[15:16], off
	s_branch .LBB52_3
.LBB52_52:
	s_endpgm
	.section	.rodata,"a",@progbits
	.p2align	6, 0x0
	.amdhsa_kernel _ZL20rocblas_gemvn_kernelILi64ELi4EidPKddEviiT3_lPKT2_lT1_lS5_lS6_lS2_lPT4_lS6_li
		.amdhsa_group_segment_fixed_size 8192
		.amdhsa_private_segment_fixed_size 0
		.amdhsa_kernarg_size 400
		.amdhsa_user_sgpr_count 2
		.amdhsa_user_sgpr_dispatch_ptr 0
		.amdhsa_user_sgpr_queue_ptr 0
		.amdhsa_user_sgpr_kernarg_segment_ptr 1
		.amdhsa_user_sgpr_dispatch_id 0
		.amdhsa_user_sgpr_private_segment_size 0
		.amdhsa_wavefront_size32 1
		.amdhsa_uses_dynamic_stack 0
		.amdhsa_enable_private_segment 0
		.amdhsa_system_sgpr_workgroup_id_x 1
		.amdhsa_system_sgpr_workgroup_id_y 0
		.amdhsa_system_sgpr_workgroup_id_z 1
		.amdhsa_system_sgpr_workgroup_info 0
		.amdhsa_system_vgpr_workitem_id 1
		.amdhsa_next_free_vgpr 76
		.amdhsa_next_free_sgpr 54
		.amdhsa_reserve_vcc 1
		.amdhsa_float_round_mode_32 0
		.amdhsa_float_round_mode_16_64 0
		.amdhsa_float_denorm_mode_32 3
		.amdhsa_float_denorm_mode_16_64 3
		.amdhsa_fp16_overflow 0
		.amdhsa_workgroup_processor_mode 1
		.amdhsa_memory_ordered 1
		.amdhsa_forward_progress 1
		.amdhsa_inst_pref_size 26
		.amdhsa_round_robin_scheduling 0
		.amdhsa_exception_fp_ieee_invalid_op 0
		.amdhsa_exception_fp_denorm_src 0
		.amdhsa_exception_fp_ieee_div_zero 0
		.amdhsa_exception_fp_ieee_overflow 0
		.amdhsa_exception_fp_ieee_underflow 0
		.amdhsa_exception_fp_ieee_inexact 0
		.amdhsa_exception_int_div_zero 0
	.end_amdhsa_kernel
	.section	.text._ZL20rocblas_gemvn_kernelILi64ELi4EidPKddEviiT3_lPKT2_lT1_lS5_lS6_lS2_lPT4_lS6_li,"axG",@progbits,_ZL20rocblas_gemvn_kernelILi64ELi4EidPKddEviiT3_lPKT2_lT1_lS5_lS6_lS2_lPT4_lS6_li,comdat
.Lfunc_end52:
	.size	_ZL20rocblas_gemvn_kernelILi64ELi4EidPKddEviiT3_lPKT2_lT1_lS5_lS6_lS2_lPT4_lS6_li, .Lfunc_end52-_ZL20rocblas_gemvn_kernelILi64ELi4EidPKddEviiT3_lPKT2_lT1_lS5_lS6_lS2_lPT4_lS6_li
                                        ; -- End function
	.set _ZL20rocblas_gemvn_kernelILi64ELi4EidPKddEviiT3_lPKT2_lT1_lS5_lS6_lS2_lPT4_lS6_li.num_vgpr, 76
	.set _ZL20rocblas_gemvn_kernelILi64ELi4EidPKddEviiT3_lPKT2_lT1_lS5_lS6_lS2_lPT4_lS6_li.num_agpr, 0
	.set _ZL20rocblas_gemvn_kernelILi64ELi4EidPKddEviiT3_lPKT2_lT1_lS5_lS6_lS2_lPT4_lS6_li.numbered_sgpr, 54
	.set _ZL20rocblas_gemvn_kernelILi64ELi4EidPKddEviiT3_lPKT2_lT1_lS5_lS6_lS2_lPT4_lS6_li.num_named_barrier, 0
	.set _ZL20rocblas_gemvn_kernelILi64ELi4EidPKddEviiT3_lPKT2_lT1_lS5_lS6_lS2_lPT4_lS6_li.private_seg_size, 0
	.set _ZL20rocblas_gemvn_kernelILi64ELi4EidPKddEviiT3_lPKT2_lT1_lS5_lS6_lS2_lPT4_lS6_li.uses_vcc, 1
	.set _ZL20rocblas_gemvn_kernelILi64ELi4EidPKddEviiT3_lPKT2_lT1_lS5_lS6_lS2_lPT4_lS6_li.uses_flat_scratch, 0
	.set _ZL20rocblas_gemvn_kernelILi64ELi4EidPKddEviiT3_lPKT2_lT1_lS5_lS6_lS2_lPT4_lS6_li.has_dyn_sized_stack, 0
	.set _ZL20rocblas_gemvn_kernelILi64ELi4EidPKddEviiT3_lPKT2_lT1_lS5_lS6_lS2_lPT4_lS6_li.has_recursion, 0
	.set _ZL20rocblas_gemvn_kernelILi64ELi4EidPKddEviiT3_lPKT2_lT1_lS5_lS6_lS2_lPT4_lS6_li.has_indirect_call, 0
	.section	.AMDGPU.csdata,"",@progbits
; Kernel info:
; codeLenInByte = 3280
; TotalNumSgprs: 56
; NumVgprs: 76
; ScratchSize: 0
; MemoryBound: 0
; FloatMode: 240
; IeeeMode: 1
; LDSByteSize: 8192 bytes/workgroup (compile time only)
; SGPRBlocks: 0
; VGPRBlocks: 9
; NumSGPRsForWavesPerEU: 56
; NumVGPRsForWavesPerEU: 76
; Occupancy: 16
; WaveLimiterHint : 1
; COMPUTE_PGM_RSRC2:SCRATCH_EN: 0
; COMPUTE_PGM_RSRC2:USER_SGPR: 2
; COMPUTE_PGM_RSRC2:TRAP_HANDLER: 0
; COMPUTE_PGM_RSRC2:TGID_X_EN: 1
; COMPUTE_PGM_RSRC2:TGID_Y_EN: 0
; COMPUTE_PGM_RSRC2:TGID_Z_EN: 1
; COMPUTE_PGM_RSRC2:TIDIG_COMP_CNT: 1
	.section	.text._ZL20rocblas_gemvn_kernelILi64ELi4EldPKddEviiT3_lPKT2_lT1_lS5_lS6_lS2_lPT4_lS6_li,"axG",@progbits,_ZL20rocblas_gemvn_kernelILi64ELi4EldPKddEviiT3_lPKT2_lT1_lS5_lS6_lS2_lPT4_lS6_li,comdat
	.globl	_ZL20rocblas_gemvn_kernelILi64ELi4EldPKddEviiT3_lPKT2_lT1_lS5_lS6_lS2_lPT4_lS6_li ; -- Begin function _ZL20rocblas_gemvn_kernelILi64ELi4EldPKddEviiT3_lPKT2_lT1_lS5_lS6_lS2_lPT4_lS6_li
	.p2align	8
	.type	_ZL20rocblas_gemvn_kernelILi64ELi4EldPKddEviiT3_lPKT2_lT1_lS5_lS6_lS2_lPT4_lS6_li,@function
_ZL20rocblas_gemvn_kernelILi64ELi4EldPKddEviiT3_lPKT2_lT1_lS5_lS6_lS2_lPT4_lS6_li: ; @_ZL20rocblas_gemvn_kernelILi64ELi4EldPKddEviiT3_lPKT2_lT1_lS5_lS6_lS2_lPT4_lS6_li
; %bb.0:
	s_load_b64 s[2:3], s[0:1], 0x9c
	s_wait_kmcnt 0x0
	s_lshr_b32 s4, s2, 16
	s_and_b32 s2, s2, 0xffff
	s_and_b32 s3, s3, 0xffff
	s_mul_i32 s2, s4, s2
	s_delay_alu instid0(SALU_CYCLE_1) | instskip(NEXT) | instid1(SALU_CYCLE_1)
	s_mul_i32 s2, s2, s3
	s_cmp_lg_u32 s2, 0x100
	s_cbranch_scc1 .LBB53_52
; %bb.1:
	s_load_b32 s33, s[0:1], 0x88
	s_lshr_b32 s10, ttmp7, 16
	s_wait_kmcnt 0x0
	s_cmp_ge_u32 s10, s33
	s_cbranch_scc1 .LBB53_52
; %bb.2:
	s_clause 0x2
	s_load_b512 s[12:27], s[0:1], 0x8
	s_load_b512 s[36:51], s[0:1], 0x48
	s_load_b64 s[8:9], s[0:1], 0x0
	v_and_b32_e32 v5, 0x3ff, v0
	v_bfe_u32 v17, v0, 10, 10
	s_lshl_b32 s34, ttmp9, 8
	v_mov_b32_e32 v1, 0
	s_mov_b32 s11, 0
	v_or_b32_e32 v6, s34, v5
	v_lshlrev_b32_e32 v62, 2, v17
	v_lshl_add_u32 v10, v17, 6, v5
	s_delay_alu instid0(VALU_DEP_3) | instskip(SKIP_1) | instid1(VALU_DEP_4)
	v_add_nc_u32_e32 v8, 0x80, v6
	v_add_nc_u32_e32 v9, 0xc0, v6
	v_or_b32_e32 v18, 3, v62
	s_delay_alu instid0(VALU_DEP_4)
	v_add_nc_u32_e32 v0, s34, v10
	v_or_b32_e32 v19, s34, v10
	v_or_b32_e32 v21, 2, v62
	v_ashrrev_i32_e32 v7, 31, v6
	s_wait_kmcnt 0x0
	s_lshl_b64 s[4:5], s[18:19], 3
	s_lshl_b64 s[18:19], s[26:27], 3
	s_ashr_i32 s28, s9, 31
	s_add_nc_u64 s[16:17], s[16:17], s[4:5]
	s_lshr_b32 s4, s28, 28
	s_lshl_b64 s[6:7], s[46:47], 3
	s_add_co_i32 s4, s9, s4
	s_ashr_i32 s31, s8, 31
	s_and_b32 s52, s4, -16
	v_cmp_gt_i32_e64 s2, s8, v8
	s_sub_co_i32 s5, s9, s52
	v_cmp_gt_i32_e64 s3, s8, v9
	s_cmp_gt_i32 s5, 0
	v_mad_co_u64_u32 v[8:9], null, s36, v17, 0
	v_cmp_gt_u32_e64 s5, 0x100, v10
	v_mad_co_u64_u32 v[10:11], null, s20, v18, 0
	s_mov_b32 s30, s8
	s_cselect_b32 s53, -1, 0
	v_mul_lo_u32 v20, s49, v19
	s_add_nc_u64 s[28:29], s[44:45], s[6:7]
	s_ashr_i32 s6, s34, 31
	v_cmp_gt_i32_e64 s0, s8, v6
	v_mad_co_u64_u32 v[12:13], null, s37, v17, v[9:10]
	v_mov_b32_e32 v9, v11
	v_mad_co_u64_u32 v[13:14], null, s36, v18, 0
	v_add_nc_u32_e32 v4, 64, v6
	v_cmp_gt_i64_e32 vcc_lo, s[30:31], v[0:1]
	s_delay_alu instid0(VALU_DEP_4) | instskip(SKIP_4) | instid1(VALU_DEP_3)
	v_mad_co_u64_u32 v[15:16], null, s21, v18, v[9:10]
	v_mov_b32_e32 v9, v12
	v_mad_co_u64_u32 v[2:3], null, s48, v0, 0
	v_mov_b32_e32 v12, v14
	s_and_b32 s54, s5, vcc_lo
	v_lshlrev_b64_e32 v[8:9], 5, v[8:9]
	v_mov_b32_e32 v11, v15
	v_cmp_gt_i32_e64 s1, s8, v4
	v_mad_co_u64_u32 v[14:15], null, s37, v18, v[12:13]
	v_mad_co_u64_u32 v[15:16], null, s20, v17, 0
	v_add_co_u32 v64, vcc_lo, s24, v8
	s_delay_alu instid0(VALU_DEP_1)
	v_add_co_ci_u32_e64 v65, null, s25, v9, vcc_lo
	v_lshlrev_b64_e32 v[8:9], 3, v[10:11]
	v_mad_co_u64_u32 v[11:12], null, s20, v21, 0
	v_mad_co_u64_u32 v[3:4], null, s49, v0, v[3:4]
	v_lshlrev_b32_e32 v4, 3, v5
	v_mov_b32_e32 v10, v16
	v_add_co_u32 v66, vcc_lo, s16, v8
	s_wait_alu 0xfffd
	v_add_co_ci_u32_e64 v67, null, s17, v9, vcc_lo
	v_lshl_add_u32 v0, v17, 11, v4
	v_lshl_add_u32 v63, v17, 9, v4
	v_mad_co_u64_u32 v[16:17], null, s21, v17, v[10:11]
	v_lshlrev_b64_e32 v[9:10], 3, v[13:14]
	v_mad_co_u64_u32 v[4:5], null, s48, v19, 0
	v_mad_co_u64_u32 v[17:18], null, s36, v21, 0
	v_mov_b32_e32 v8, v12
	s_mul_i32 s7, s48, s6
	v_cmp_gt_i32_e64 s6, s8, v19
	v_add_co_u32 v68, vcc_lo, s24, v9
	s_delay_alu instid0(VALU_DEP_3)
	v_mad_co_u64_u32 v[13:14], null, s21, v21, v[8:9]
	v_add3_u32 v5, v5, s7, v20
	v_mov_b32_e32 v12, v18
	v_mad_co_u64_u32 v[19:20], null, s36, v62, s[36:37]
	s_wait_alu 0xfffd
	v_add_co_ci_u32_e64 v69, null, s25, v10, vcc_lo
	s_delay_alu instid0(VALU_DEP_3)
	v_mad_co_u64_u32 v[21:22], null, s37, v21, v[12:13]
	v_lshlrev_b64_e32 v[9:10], 5, v[15:16]
	v_mad_co_u64_u32 v[22:23], null, s20, v62, s[20:21]
	v_mov_b32_e32 v8, v20
	v_mov_b32_e32 v12, v13
	v_lshlrev_b64_e32 v[6:7], 3, v[6:7]
	v_add_co_u32 v70, vcc_lo, s16, v9
	s_delay_alu instid0(VALU_DEP_4)
	v_mad_co_u64_u32 v[13:14], null, s37, v62, v[8:9]
	s_wait_alu 0xfffd
	v_add_co_ci_u32_e64 v71, null, s17, v10, vcc_lo
	v_lshlrev_b64_e32 v[9:10], 3, v[11:12]
	v_mov_b32_e32 v8, v23
	v_mov_b32_e32 v18, v21
	v_cmp_gt_i32_e64 s4, s52, v62
	v_mov_b32_e32 v20, v13
	s_add_nc_u64 s[26:27], s[24:25], s[18:19]
	v_mad_co_u64_u32 v[11:12], null, s21, v62, v[8:9]
	v_lshlrev_b64_e32 v[14:15], 3, v[17:18]
	v_add_co_u32 v72, vcc_lo, s16, v9
	v_lshlrev_b64_e32 v[8:9], 3, v[19:20]
	s_wait_alu 0xfffd
	v_add_co_ci_u32_e64 v73, null, s17, v10, vcc_lo
	v_mov_b32_e32 v23, v11
	v_add_co_u32 v74, vcc_lo, s24, v14
	s_wait_alu 0xfffd
	v_add_co_ci_u32_e64 v75, null, s25, v15, vcc_lo
	s_delay_alu instid0(VALU_DEP_3) | instskip(SKIP_4) | instid1(VALU_DEP_4)
	v_lshlrev_b64_e32 v[10:11], 3, v[22:23]
	v_add_co_u32 v76, vcc_lo, s24, v8
	s_wait_alu 0xfffd
	v_add_co_ci_u32_e64 v77, null, s25, v9, vcc_lo
	v_lshlrev_b64_e32 v[8:9], 3, v[2:3]
	v_add_co_u32 v78, vcc_lo, s16, v10
	s_wait_alu 0xfffd
	v_add_co_ci_u32_e64 v79, null, s17, v11, vcc_lo
	s_lshl_b64 s[30:31], s[38:39], 3
	s_lshl_b64 s[24:25], s[36:37], 7
	;; [unrolled: 1-line block ×4, first 2 shown]
	s_branch .LBB53_5
.LBB53_3:                               ;   in Loop: Header=BB53_5 Depth=1
	s_wait_alu 0xfffe
	s_or_b32 exec_lo, exec_lo, s7
.LBB53_4:                               ;   in Loop: Header=BB53_5 Depth=1
	s_add_co_i32 s10, s10, 0x10000
	s_delay_alu instid0(SALU_CYCLE_1)
	s_cmp_lt_u32 s10, s33
	s_cbranch_scc0 .LBB53_52
.LBB53_5:                               ; =>This Loop Header: Depth=1
                                        ;     Child Loop BB53_18 Depth 2
	s_mul_u64 s[46:47], s[14:15], s[10:11]
	s_mul_u64 s[48:49], s[42:43], s[10:11]
	s_wait_alu 0xfffe
	s_lshl_b64 s[46:47], s[46:47], 3
	s_lshl_b64 s[48:49], s[48:49], 3
	s_wait_alu 0xfffe
	s_add_nc_u64 s[46:47], s[12:13], s[46:47]
	s_add_nc_u64 s[48:49], s[40:41], s[48:49]
	s_clause 0x1
	global_load_b64 v[12:13], v1, s[46:47]
	global_load_b64 v[10:11], v1, s[48:49]
	s_wait_loadcnt 0x1
	v_cmp_eq_f64_e32 vcc_lo, 0, v[12:13]
	s_wait_loadcnt 0x0
	v_cmp_eq_f64_e64 s7, 1.0, v[10:11]
	s_and_b32 s7, vcc_lo, s7
	s_wait_alu 0xfffe
	s_and_b32 vcc_lo, exec_lo, s7
	s_wait_alu 0xfffe
	s_cbranch_vccnz .LBB53_4
; %bb.6:                                ;   in Loop: Header=BB53_5 Depth=1
	v_cmp_neq_f64_e32 vcc_lo, 0, v[12:13]
	s_mul_u64 s[46:47], s[50:51], s[10:11]
	s_wait_alu 0xfffe
	s_lshl_b64 s[46:47], s[46:47], 3
	s_wait_alu 0xfffe
	s_add_nc_u64 s[46:47], s[28:29], s[46:47]
	s_cbranch_vccnz .LBB53_11
; %bb.7:                                ;   in Loop: Header=BB53_5 Depth=1
	s_mov_b32 s7, 0
	s_mov_b32 s55, 0
                                        ; implicit-def: $vgpr14_vgpr15
	s_and_saveexec_b32 s8, s54
	s_cbranch_execz .LBB53_23
; %bb.8:                                ;   in Loop: Header=BB53_5 Depth=1
	v_cmp_eq_f64_e32 vcc_lo, 0, v[10:11]
	v_mov_b32_e32 v14, 0
	v_mov_b32_e32 v15, 0
	s_cbranch_vccnz .LBB53_10
; %bb.9:                                ;   in Loop: Header=BB53_5 Depth=1
	s_wait_alu 0xfffe
	v_add_co_u32 v14, vcc_lo, s46, v8
	s_wait_alu 0xfffd
	v_add_co_ci_u32_e64 v15, null, s47, v9, vcc_lo
	global_load_b64 v[14:15], v[14:15], off
	s_wait_loadcnt 0x0
	v_mul_f64_e32 v[14:15], v[10:11], v[14:15]
.LBB53_10:                              ;   in Loop: Header=BB53_5 Depth=1
	s_mov_b32 s55, exec_lo
	s_wait_alu 0xfffe
	s_or_b32 exec_lo, exec_lo, s8
	s_delay_alu instid0(SALU_CYCLE_1)
	s_and_b32 vcc_lo, exec_lo, s7
	s_wait_alu 0xfffe
	s_cbranch_vccnz .LBB53_12
	s_branch .LBB53_24
.LBB53_11:                              ;   in Loop: Header=BB53_5 Depth=1
	s_mov_b32 s55, 0
                                        ; implicit-def: $vgpr14_vgpr15
	s_cbranch_execz .LBB53_24
.LBB53_12:                              ;   in Loop: Header=BB53_5 Depth=1
	v_mov_b32_e32 v14, 0
	v_dual_mov_b32 v18, 0 :: v_dual_mov_b32 v15, 0
	v_dual_mov_b32 v16, 0 :: v_dual_mov_b32 v19, 0
	;; [unrolled: 1-line block ×4, first 2 shown]
	s_and_saveexec_b32 s8, s4
	s_cbranch_execz .LBB53_26
; %bb.13:                               ;   in Loop: Header=BB53_5 Depth=1
	s_mul_u64 s[48:49], s[30:31], s[10:11]
	s_mul_u64 s[56:57], s[34:35], s[10:11]
	s_wait_alu 0xfffe
	v_add_co_u32 v81, vcc_lo, v64, s48
	s_wait_alu 0xfffd
	v_add_co_ci_u32_e64 v82, null, s49, v65, vcc_lo
	v_add_co_u32 v83, vcc_lo, v66, s56
	s_wait_alu 0xfffd
	v_add_co_ci_u32_e64 v84, null, s57, v67, vcc_lo
	v_add_co_u32 v85, vcc_lo, v68, s48
	s_wait_alu 0xfffd
	v_add_co_ci_u32_e64 v86, null, s49, v69, vcc_lo
	v_add_co_u32 v87, vcc_lo, v70, s56
	s_wait_alu 0xfffd
	v_add_co_ci_u32_e64 v88, null, s57, v71, vcc_lo
	v_add_co_u32 v89, vcc_lo, v72, s56
	s_wait_alu 0xfffd
	v_add_co_ci_u32_e64 v90, null, s57, v73, vcc_lo
	v_add_co_u32 v91, vcc_lo, v74, s48
	s_wait_alu 0xfffd
	v_add_co_ci_u32_e64 v92, null, s49, v75, vcc_lo
	v_add_co_u32 v93, vcc_lo, v76, s48
	s_wait_alu 0xfffd
	v_add_co_ci_u32_e64 v94, null, s49, v77, vcc_lo
	v_add_co_u32 v95, vcc_lo, v78, s56
	v_mov_b32_e32 v14, 0
	v_dual_mov_b32 v18, 0 :: v_dual_mov_b32 v15, 0
	v_dual_mov_b32 v16, 0 :: v_dual_mov_b32 v19, 0
	v_mov_b32_e32 v20, 0
	s_wait_alu 0xfffd
	v_add_co_ci_u32_e64 v96, null, s57, v79, vcc_lo
	v_mov_b32_e32 v17, 0
	v_dual_mov_b32 v21, 0 :: v_dual_mov_b32 v80, v62
	s_mov_b32 s48, 0
	s_branch .LBB53_18
.LBB53_14:                              ;   in Loop: Header=BB53_18 Depth=2
	s_wait_alu 0xfffe
	s_or_b32 exec_lo, exec_lo, s57
	s_wait_loadcnt 0x3
	v_fma_f64 v[18:19], v[22:23], v[54:55], v[18:19]
	s_wait_loadcnt 0x2
	s_delay_alu instid0(VALU_DEP_1) | instskip(SKIP_1) | instid1(VALU_DEP_1)
	v_fma_f64 v[18:19], v[24:25], v[56:57], v[18:19]
	s_wait_loadcnt 0x1
	v_fma_f64 v[18:19], v[26:27], v[58:59], v[18:19]
	s_wait_loadcnt 0x0
	s_delay_alu instid0(VALU_DEP_1)
	v_fma_f64 v[18:19], v[28:29], v[60:61], v[18:19]
.LBB53_15:                              ;   in Loop: Header=BB53_18 Depth=2
	s_wait_alu 0xfffe
	s_or_b32 exec_lo, exec_lo, s56
	s_wait_loadcnt 0x3
	v_fma_f64 v[16:17], v[22:23], v[44:45], v[16:17]
	s_wait_loadcnt 0x2
	s_delay_alu instid0(VALU_DEP_1) | instskip(SKIP_1) | instid1(VALU_DEP_1)
	v_fma_f64 v[16:17], v[24:25], v[46:47], v[16:17]
	s_wait_loadcnt 0x1
	v_fma_f64 v[16:17], v[26:27], v[48:49], v[16:17]
	s_wait_loadcnt 0x0
	s_delay_alu instid0(VALU_DEP_1)
	v_fma_f64 v[16:17], v[28:29], v[50:51], v[16:17]
.LBB53_16:                              ;   in Loop: Header=BB53_18 Depth=2
	s_wait_alu 0xfffe
	s_or_b32 exec_lo, exec_lo, s49
	s_wait_loadcnt 0x3
	v_fma_f64 v[14:15], v[22:23], v[30:31], v[14:15]
	s_wait_loadcnt 0x2
	s_delay_alu instid0(VALU_DEP_1) | instskip(SKIP_1) | instid1(VALU_DEP_1)
	v_fma_f64 v[14:15], v[24:25], v[32:33], v[14:15]
	s_wait_loadcnt 0x1
	v_fma_f64 v[14:15], v[26:27], v[34:35], v[14:15]
	s_wait_loadcnt 0x0
	s_delay_alu instid0(VALU_DEP_1)
	v_fma_f64 v[14:15], v[28:29], v[36:37], v[14:15]
.LBB53_17:                              ;   in Loop: Header=BB53_18 Depth=2
	s_wait_alu 0xfffe
	s_or_b32 exec_lo, exec_lo, s7
	v_add_co_u32 v81, vcc_lo, v81, s24
	s_wait_alu 0xfffd
	v_add_co_ci_u32_e64 v82, null, s25, v82, vcc_lo
	v_add_co_u32 v83, vcc_lo, v83, s44
	s_wait_alu 0xfffd
	v_add_co_ci_u32_e64 v84, null, s45, v84, vcc_lo
	;; [unrolled: 3-line block ×4, first 2 shown]
	v_add_co_u32 v89, vcc_lo, v89, s44
	v_add_nc_u32_e32 v80, 16, v80
	s_wait_alu 0xfffd
	v_add_co_ci_u32_e64 v90, null, s45, v90, vcc_lo
	v_add_co_u32 v91, vcc_lo, v91, s24
	s_wait_alu 0xfffd
	v_add_co_ci_u32_e64 v92, null, s25, v92, vcc_lo
	v_add_co_u32 v93, vcc_lo, v93, s24
	s_wait_alu 0xfffd
	v_add_co_ci_u32_e64 v94, null, s25, v94, vcc_lo
	v_cmp_le_i32_e32 vcc_lo, s52, v80
	v_add_co_u32 v95, s7, v95, s44
	s_wait_alu 0xf1ff
	v_add_co_ci_u32_e64 v96, null, s45, v96, s7
	s_or_b32 s48, vcc_lo, s48
	s_wait_alu 0xfffe
	s_and_not1_b32 exec_lo, exec_lo, s48
	s_cbranch_execz .LBB53_25
.LBB53_18:                              ;   Parent Loop BB53_5 Depth=1
                                        ; =>  This Inner Loop Header: Depth=2
	s_and_saveexec_b32 s7, s0
	s_cbranch_execz .LBB53_17
; %bb.19:                               ;   in Loop: Header=BB53_18 Depth=2
	v_add_co_u32 v22, vcc_lo, v81, s18
	s_wait_alu 0xfffd
	v_add_co_ci_u32_e64 v23, null, s19, v82, vcc_lo
	v_add_co_u32 v24, vcc_lo, v93, s18
	s_wait_alu 0xfffd
	v_add_co_ci_u32_e64 v25, null, s19, v94, vcc_lo
	;; [unrolled: 3-line block ×8, first 2 shown]
	global_load_b64 v[22:23], v[22:23], off
	global_load_b64 v[24:25], v[24:25], off
	;; [unrolled: 1-line block ×8, first 2 shown]
	s_and_saveexec_b32 s49, s1
	s_cbranch_execz .LBB53_16
; %bb.20:                               ;   in Loop: Header=BB53_18 Depth=2
	global_load_b64 v[44:45], v[38:39], off offset:512
	global_load_b64 v[46:47], v[40:41], off offset:512
	global_load_b64 v[48:49], v[42:43], off offset:512
	global_load_b64 v[50:51], v[52:53], off offset:512
	s_and_saveexec_b32 s56, s2
	s_cbranch_execz .LBB53_15
; %bb.21:                               ;   in Loop: Header=BB53_18 Depth=2
	global_load_b64 v[54:55], v[38:39], off offset:1024
	global_load_b64 v[56:57], v[40:41], off offset:1024
	global_load_b64 v[58:59], v[42:43], off offset:1024
	global_load_b64 v[60:61], v[52:53], off offset:1024
	;; [unrolled: 7-line block ×3, first 2 shown]
	s_wait_loadcnt 0x3
	v_fma_f64 v[20:21], v[22:23], v[38:39], v[20:21]
	s_wait_loadcnt 0x2
	s_delay_alu instid0(VALU_DEP_1) | instskip(SKIP_1) | instid1(VALU_DEP_1)
	v_fma_f64 v[20:21], v[24:25], v[40:41], v[20:21]
	s_wait_loadcnt 0x1
	v_fma_f64 v[20:21], v[26:27], v[42:43], v[20:21]
	s_wait_loadcnt 0x0
	s_delay_alu instid0(VALU_DEP_1)
	v_fma_f64 v[20:21], v[28:29], v[52:53], v[20:21]
	s_branch .LBB53_14
.LBB53_23:                              ;   in Loop: Header=BB53_5 Depth=1
	s_wait_alu 0xfffe
	s_or_b32 exec_lo, exec_lo, s8
	s_delay_alu instid0(SALU_CYCLE_1)
	s_and_b32 vcc_lo, exec_lo, s7
	s_wait_alu 0xfffe
	s_cbranch_vccnz .LBB53_12
.LBB53_24:                              ;   in Loop: Header=BB53_5 Depth=1
	v_dual_mov_b32 v11, v3 :: v_dual_mov_b32 v10, v2
	s_and_saveexec_b32 s7, s55
	s_cbranch_execz .LBB53_3
	s_branch .LBB53_51
.LBB53_25:                              ;   in Loop: Header=BB53_5 Depth=1
	s_or_b32 exec_lo, exec_lo, s48
.LBB53_26:                              ;   in Loop: Header=BB53_5 Depth=1
	s_wait_alu 0xfffe
	s_or_b32 exec_lo, exec_lo, s8
	s_delay_alu instid0(SALU_CYCLE_1)
	s_and_not1_b32 vcc_lo, exec_lo, s53
	s_wait_alu 0xfffe
	s_cbranch_vccnz .LBB53_44
; %bb.27:                               ;   in Loop: Header=BB53_5 Depth=1
	v_mov_b32_e32 v28, 0
	v_dual_mov_b32 v24, 0 :: v_dual_mov_b32 v29, 0
	v_dual_mov_b32 v26, 0 :: v_dual_mov_b32 v25, 0
	v_mov_b32_e32 v22, 0
	v_cmp_gt_i32_e32 vcc_lo, s9, v80
	v_mov_b32_e32 v27, 0
	v_mov_b32_e32 v23, 0
	v_or_b32_e32 v30, 1, v80
	s_and_saveexec_b32 s8, vcc_lo
	s_cbranch_execz .LBB53_35
; %bb.28:                               ;   in Loop: Header=BB53_5 Depth=1
	v_mad_co_u64_u32 v[22:23], null, s36, v80, 0
	s_mul_u64 s[48:49], s[38:39], s[10:11]
	v_mov_b32_e32 v28, 0
	s_wait_alu 0xfffe
	s_lshl_b64 s[48:49], s[48:49], 3
	v_mov_b32_e32 v29, 0
	s_wait_alu 0xfffe
	s_add_nc_u64 s[48:49], s[26:27], s[48:49]
	s_mov_b32 s56, exec_lo
	v_mad_co_u64_u32 v[23:24], null, s37, v80, v[23:24]
	v_mov_b32_e32 v24, 0
	v_dual_mov_b32 v25, 0 :: v_dual_mov_b32 v26, 0
	v_mov_b32_e32 v27, 0
	s_delay_alu instid0(VALU_DEP_4) | instskip(SKIP_1) | instid1(VALU_DEP_1)
	v_lshlrev_b64_e32 v[22:23], 3, v[22:23]
	s_wait_alu 0xfffe
	v_add_co_u32 v22, s7, s48, v22
	s_wait_alu 0xf1ff
	s_delay_alu instid0(VALU_DEP_2)
	v_add_co_ci_u32_e64 v23, null, s49, v23, s7
	global_load_b64 v[22:23], v[22:23], off
	v_cmpx_gt_i32_e64 s9, v30
	s_cbranch_execz .LBB53_34
; %bb.29:                               ;   in Loop: Header=BB53_5 Depth=1
	v_mad_co_u64_u32 v[24:25], null, s36, v30, 0
	v_or_b32_e32 v31, 2, v80
	s_mov_b32 s57, exec_lo
	v_mov_b32_e32 v28, 0
	v_mov_b32_e32 v29, 0
	s_delay_alu instid0(VALU_DEP_4) | instskip(SKIP_2) | instid1(VALU_DEP_3)
	v_mad_co_u64_u32 v[25:26], null, s37, v30, v[25:26]
	v_mov_b32_e32 v26, 0
	v_mov_b32_e32 v27, 0
	v_lshlrev_b64_e32 v[24:25], 3, v[24:25]
	s_delay_alu instid0(VALU_DEP_1) | instskip(SKIP_1) | instid1(VALU_DEP_2)
	v_add_co_u32 v24, s7, s48, v24
	s_wait_alu 0xf1ff
	v_add_co_ci_u32_e64 v25, null, s49, v25, s7
	global_load_b64 v[24:25], v[24:25], off
	v_cmpx_gt_i32_e64 s9, v31
	s_cbranch_execz .LBB53_33
; %bb.30:                               ;   in Loop: Header=BB53_5 Depth=1
	v_mad_co_u64_u32 v[26:27], null, s36, v31, 0
	s_mov_b32 s58, exec_lo
	v_mad_co_u64_u32 v[27:28], null, s37, v31, v[27:28]
	v_mov_b32_e32 v28, 0
	v_or_b32_e32 v31, 3, v80
	v_mov_b32_e32 v29, 0
	s_delay_alu instid0(VALU_DEP_4) | instskip(NEXT) | instid1(VALU_DEP_1)
	v_lshlrev_b64_e32 v[26:27], 3, v[26:27]
	v_add_co_u32 v26, s7, s48, v26
	s_wait_alu 0xf1ff
	s_delay_alu instid0(VALU_DEP_2)
	v_add_co_ci_u32_e64 v27, null, s49, v27, s7
	global_load_b64 v[26:27], v[26:27], off
	v_cmpx_gt_i32_e64 s9, v31
	s_cbranch_execz .LBB53_32
; %bb.31:                               ;   in Loop: Header=BB53_5 Depth=1
	v_mad_co_u64_u32 v[28:29], null, s36, v31, 0
	s_delay_alu instid0(VALU_DEP_1) | instskip(NEXT) | instid1(VALU_DEP_1)
	v_mad_co_u64_u32 v[31:32], null, s37, v31, v[29:30]
	v_mov_b32_e32 v29, v31
	s_delay_alu instid0(VALU_DEP_1) | instskip(NEXT) | instid1(VALU_DEP_1)
	v_lshlrev_b64_e32 v[28:29], 3, v[28:29]
	v_add_co_u32 v28, s7, s48, v28
	s_wait_alu 0xf1ff
	s_delay_alu instid0(VALU_DEP_2)
	v_add_co_ci_u32_e64 v29, null, s49, v29, s7
	global_load_b64 v[28:29], v[28:29], off
.LBB53_32:                              ;   in Loop: Header=BB53_5 Depth=1
	s_or_b32 exec_lo, exec_lo, s58
.LBB53_33:                              ;   in Loop: Header=BB53_5 Depth=1
	s_wait_alu 0xfffe
	s_or_b32 exec_lo, exec_lo, s57
.LBB53_34:                              ;   in Loop: Header=BB53_5 Depth=1
	s_delay_alu instid0(SALU_CYCLE_1)
	s_or_b32 exec_lo, exec_lo, s56
.LBB53_35:                              ;   in Loop: Header=BB53_5 Depth=1
	s_wait_alu 0xfffe
	s_or_b32 exec_lo, exec_lo, s8
	s_and_saveexec_b32 s48, s0
	s_cbranch_execz .LBB53_43
; %bb.36:                               ;   in Loop: Header=BB53_5 Depth=1
	v_mad_co_u64_u32 v[31:32], null, s20, v80, 0
	v_mad_co_u64_u32 v[33:34], null, s20, v30, 0
	v_or_b32_e32 v39, 2, v80
	v_or_b32_e32 v43, 3, v80
	s_mul_u64 s[56:57], s[22:23], s[10:11]
	s_wait_alu 0xfffe
	s_lshl_b64 s[56:57], s[56:57], 3
	v_cmp_gt_i32_e64 s7, s9, v39
	s_delay_alu instid0(VALU_DEP_4)
	v_mad_co_u64_u32 v[35:36], null, s21, v80, v[32:33]
	v_mad_co_u64_u32 v[36:37], null, s20, v39, 0
	;; [unrolled: 1-line block ×3, first 2 shown]
	v_cndmask_b32_e32 v31, 0, v31, vcc_lo
	s_wait_alu 0xfffe
	s_add_nc_u64 s[56:57], s[16:17], s[56:57]
	s_delay_alu instid0(VALU_DEP_4) | instskip(SKIP_4) | instid1(VALU_DEP_2)
	v_cndmask_b32_e32 v32, 0, v35, vcc_lo
	v_cmp_gt_i32_e32 vcc_lo, s9, v30
	v_mov_b32_e32 v35, v37
	s_wait_alu 0xfffd
	v_cndmask_b32_e32 v33, 0, v33, vcc_lo
	v_mad_co_u64_u32 v[37:38], null, s21, v30, v[34:35]
	v_mov_b32_e32 v30, v41
	v_lshlrev_b64_e32 v[31:32], 3, v[31:32]
	s_delay_alu instid0(VALU_DEP_3) | instskip(SKIP_1) | instid1(VALU_DEP_2)
	v_cndmask_b32_e32 v34, 0, v37, vcc_lo
	s_wait_alu 0xfffe
	v_add_co_u32 v31, s8, s56, v31
	s_wait_alu 0xf1ff
	s_delay_alu instid0(VALU_DEP_3) | instskip(SKIP_1) | instid1(VALU_DEP_3)
	v_add_co_ci_u32_e64 v32, null, s57, v32, s8
	v_mad_co_u64_u32 v[41:42], null, s21, v39, v[35:36]
	v_add_co_u32 v38, vcc_lo, v31, v6
	s_wait_alu 0xfffd
	s_delay_alu instid0(VALU_DEP_3) | instskip(SKIP_4) | instid1(VALU_DEP_4)
	v_add_co_ci_u32_e64 v39, null, v32, v7, vcc_lo
	v_lshlrev_b64_e32 v[31:32], 3, v[33:34]
	v_cndmask_b32_e64 v33, 0, v36, s7
	v_cndmask_b32_e64 v34, 0, v41, s7
	v_cmp_gt_i32_e32 vcc_lo, s9, v43
	v_mad_co_u64_u32 v[35:36], null, s21, v43, v[30:31]
	v_add_co_u32 v36, s7, s56, v31
	s_wait_alu 0xf1ff
	v_add_co_ci_u32_e64 v37, null, s57, v32, s7
	v_lshlrev_b64_e32 v[30:31], 3, v[33:34]
	s_wait_alu 0xfffd
	s_delay_alu instid0(VALU_DEP_4) | instskip(SKIP_3) | instid1(VALU_DEP_3)
	v_dual_cndmask_b32 v32, 0, v40 :: v_dual_cndmask_b32 v33, 0, v35
	v_add_co_u32 v40, vcc_lo, v36, v6
	s_wait_alu 0xfffd
	v_add_co_ci_u32_e64 v41, null, v37, v7, vcc_lo
	v_lshlrev_b64_e32 v[32:33], 3, v[32:33]
	v_add_co_u32 v30, vcc_lo, s56, v30
	s_wait_alu 0xfffd
	v_add_co_ci_u32_e64 v31, null, s57, v31, vcc_lo
	s_delay_alu instid0(VALU_DEP_3)
	v_add_co_u32 v32, vcc_lo, s56, v32
	s_wait_alu 0xfffd
	v_add_co_ci_u32_e64 v33, null, s57, v33, vcc_lo
	v_add_co_u32 v50, vcc_lo, v30, v6
	s_wait_alu 0xfffd
	v_add_co_ci_u32_e64 v51, null, v31, v7, vcc_lo
	;; [unrolled: 3-line block ×3, first 2 shown]
	s_clause 0x3
	global_load_b64 v[30:31], v[38:39], off
	global_load_b64 v[32:33], v[40:41], off
	;; [unrolled: 1-line block ×4, first 2 shown]
	s_and_saveexec_b32 s7, s1
	s_cbranch_execz .LBB53_42
; %bb.37:                               ;   in Loop: Header=BB53_5 Depth=1
	s_clause 0x3
	global_load_b64 v[42:43], v[38:39], off offset:512
	global_load_b64 v[44:45], v[40:41], off offset:512
	global_load_b64 v[46:47], v[50:51], off offset:512
	global_load_b64 v[48:49], v[52:53], off offset:512
	s_and_saveexec_b32 s8, s2
	s_cbranch_execz .LBB53_41
; %bb.38:                               ;   in Loop: Header=BB53_5 Depth=1
	s_clause 0x3
	global_load_b64 v[54:55], v[38:39], off offset:1024
	global_load_b64 v[56:57], v[40:41], off offset:1024
	global_load_b64 v[58:59], v[50:51], off offset:1024
	global_load_b64 v[60:61], v[52:53], off offset:1024
	;; [unrolled: 8-line block ×3, first 2 shown]
	s_wait_loadcnt 0x3
	v_fma_f64 v[20:21], v[22:23], v[38:39], v[20:21]
	s_wait_loadcnt 0x2
	s_delay_alu instid0(VALU_DEP_1) | instskip(SKIP_1) | instid1(VALU_DEP_1)
	v_fma_f64 v[20:21], v[24:25], v[40:41], v[20:21]
	s_wait_loadcnt 0x1
	v_fma_f64 v[20:21], v[26:27], v[50:51], v[20:21]
	s_wait_loadcnt 0x0
	s_delay_alu instid0(VALU_DEP_1)
	v_fma_f64 v[20:21], v[28:29], v[52:53], v[20:21]
.LBB53_40:                              ;   in Loop: Header=BB53_5 Depth=1
	s_wait_alu 0xfffe
	s_or_b32 exec_lo, exec_lo, s49
	s_wait_loadcnt 0x3
	v_fma_f64 v[18:19], v[22:23], v[54:55], v[18:19]
	s_wait_loadcnt 0x2
	s_delay_alu instid0(VALU_DEP_1) | instskip(SKIP_1) | instid1(VALU_DEP_1)
	v_fma_f64 v[18:19], v[24:25], v[56:57], v[18:19]
	s_wait_loadcnt 0x1
	v_fma_f64 v[18:19], v[26:27], v[58:59], v[18:19]
	s_wait_loadcnt 0x0
	s_delay_alu instid0(VALU_DEP_1)
	v_fma_f64 v[18:19], v[28:29], v[60:61], v[18:19]
.LBB53_41:                              ;   in Loop: Header=BB53_5 Depth=1
	s_wait_alu 0xfffe
	s_or_b32 exec_lo, exec_lo, s8
	s_wait_loadcnt 0x3
	v_fma_f64 v[16:17], v[22:23], v[42:43], v[16:17]
	s_wait_loadcnt 0x2
	s_delay_alu instid0(VALU_DEP_1) | instskip(SKIP_1) | instid1(VALU_DEP_1)
	v_fma_f64 v[16:17], v[24:25], v[44:45], v[16:17]
	s_wait_loadcnt 0x1
	v_fma_f64 v[16:17], v[26:27], v[46:47], v[16:17]
	s_wait_loadcnt 0x0
	s_delay_alu instid0(VALU_DEP_1)
	v_fma_f64 v[16:17], v[28:29], v[48:49], v[16:17]
.LBB53_42:                              ;   in Loop: Header=BB53_5 Depth=1
	s_wait_alu 0xfffe
	s_or_b32 exec_lo, exec_lo, s7
	s_wait_loadcnt 0x3
	v_fma_f64 v[14:15], v[22:23], v[30:31], v[14:15]
	s_wait_loadcnt 0x2
	s_delay_alu instid0(VALU_DEP_1) | instskip(SKIP_1) | instid1(VALU_DEP_1)
	v_fma_f64 v[14:15], v[24:25], v[32:33], v[14:15]
	s_wait_loadcnt 0x1
	v_fma_f64 v[14:15], v[26:27], v[34:35], v[14:15]
	s_wait_loadcnt 0x0
	s_delay_alu instid0(VALU_DEP_1)
	v_fma_f64 v[14:15], v[28:29], v[36:37], v[14:15]
.LBB53_43:                              ;   in Loop: Header=BB53_5 Depth=1
	s_wait_alu 0xfffe
	s_or_b32 exec_lo, exec_lo, s48
.LBB53_44:                              ;   in Loop: Header=BB53_5 Depth=1
	ds_store_2addr_stride64_b64 v0, v[14:15], v[16:17] offset1:1
	ds_store_2addr_stride64_b64 v0, v[18:19], v[20:21] offset0:2 offset1:3
	s_wait_loadcnt_dscnt 0x0
	s_barrier_signal -1
	s_barrier_wait -1
	global_inv scope:SCOPE_SE
                                        ; implicit-def: $vgpr14_vgpr15
	s_and_saveexec_b32 s7, s5
	s_cbranch_execz .LBB53_50
; %bb.45:                               ;   in Loop: Header=BB53_5 Depth=1
	ds_load_2addr_stride64_b64 v[14:17], v63 offset1:4
	s_mov_b32 s48, s55
	s_wait_dscnt 0x0
	v_add_f64_e32 v[18:19], v[14:15], v[16:17]
	ds_load_2addr_stride64_b64 v[14:17], v63 offset0:8 offset1:12
	s_wait_dscnt 0x0
	v_add_f64_e32 v[14:15], v[14:15], v[18:19]
	s_delay_alu instid0(VALU_DEP_1)
	v_add_f64_e32 v[16:17], v[16:17], v[14:15]
                                        ; implicit-def: $vgpr14_vgpr15
	ds_store_b64 v63, v[16:17]
	s_and_saveexec_b32 s8, s6
	s_cbranch_execz .LBB53_49
; %bb.46:                               ;   in Loop: Header=BB53_5 Depth=1
	v_cmp_eq_f64_e32 vcc_lo, 0, v[10:11]
	v_mul_f64_e32 v[14:15], v[12:13], v[16:17]
	s_cbranch_vccnz .LBB53_48
; %bb.47:                               ;   in Loop: Header=BB53_5 Depth=1
	v_lshlrev_b64_e32 v[12:13], 3, v[4:5]
	s_delay_alu instid0(VALU_DEP_1) | instskip(SKIP_1) | instid1(VALU_DEP_2)
	v_add_co_u32 v12, vcc_lo, s46, v12
	s_wait_alu 0xfffd
	v_add_co_ci_u32_e64 v13, null, s47, v13, vcc_lo
	global_load_b64 v[12:13], v[12:13], off
	s_wait_loadcnt 0x0
	v_fma_f64 v[14:15], v[10:11], v[12:13], v[14:15]
.LBB53_48:                              ;   in Loop: Header=BB53_5 Depth=1
	s_or_b32 s48, s55, exec_lo
.LBB53_49:                              ;   in Loop: Header=BB53_5 Depth=1
	s_wait_alu 0xfffe
	s_or_b32 exec_lo, exec_lo, s8
	s_delay_alu instid0(SALU_CYCLE_1)
	s_and_not1_b32 s8, s55, exec_lo
	s_and_b32 s48, s48, exec_lo
	s_wait_alu 0xfffe
	s_or_b32 s55, s8, s48
.LBB53_50:                              ;   in Loop: Header=BB53_5 Depth=1
	s_wait_alu 0xfffe
	s_or_b32 exec_lo, exec_lo, s7
	v_dual_mov_b32 v11, v5 :: v_dual_mov_b32 v10, v4
	s_and_saveexec_b32 s7, s55
	s_cbranch_execz .LBB53_3
.LBB53_51:                              ;   in Loop: Header=BB53_5 Depth=1
	s_delay_alu instid0(VALU_DEP_1) | instskip(SKIP_1) | instid1(VALU_DEP_1)
	v_lshlrev_b64_e32 v[10:11], 3, v[10:11]
	s_wait_alu 0xfffe
	v_add_co_u32 v10, vcc_lo, s46, v10
	s_wait_alu 0xfffd
	s_delay_alu instid0(VALU_DEP_2)
	v_add_co_ci_u32_e64 v11, null, s47, v11, vcc_lo
	global_store_b64 v[10:11], v[14:15], off
	s_branch .LBB53_3
.LBB53_52:
	s_nop 0
	s_sendmsg sendmsg(MSG_DEALLOC_VGPRS)
	s_endpgm
	.section	.rodata,"a",@progbits
	.p2align	6, 0x0
	.amdhsa_kernel _ZL20rocblas_gemvn_kernelILi64ELi4EldPKddEviiT3_lPKT2_lT1_lS5_lS6_lS2_lPT4_lS6_li
		.amdhsa_group_segment_fixed_size 8192
		.amdhsa_private_segment_fixed_size 0
		.amdhsa_kernarg_size 400
		.amdhsa_user_sgpr_count 2
		.amdhsa_user_sgpr_dispatch_ptr 0
		.amdhsa_user_sgpr_queue_ptr 0
		.amdhsa_user_sgpr_kernarg_segment_ptr 1
		.amdhsa_user_sgpr_dispatch_id 0
		.amdhsa_user_sgpr_private_segment_size 0
		.amdhsa_wavefront_size32 1
		.amdhsa_uses_dynamic_stack 0
		.amdhsa_enable_private_segment 0
		.amdhsa_system_sgpr_workgroup_id_x 1
		.amdhsa_system_sgpr_workgroup_id_y 0
		.amdhsa_system_sgpr_workgroup_id_z 1
		.amdhsa_system_sgpr_workgroup_info 0
		.amdhsa_system_vgpr_workitem_id 1
		.amdhsa_next_free_vgpr 97
		.amdhsa_next_free_sgpr 59
		.amdhsa_reserve_vcc 1
		.amdhsa_float_round_mode_32 0
		.amdhsa_float_round_mode_16_64 0
		.amdhsa_float_denorm_mode_32 3
		.amdhsa_float_denorm_mode_16_64 3
		.amdhsa_fp16_overflow 0
		.amdhsa_workgroup_processor_mode 1
		.amdhsa_memory_ordered 1
		.amdhsa_forward_progress 1
		.amdhsa_inst_pref_size 31
		.amdhsa_round_robin_scheduling 0
		.amdhsa_exception_fp_ieee_invalid_op 0
		.amdhsa_exception_fp_denorm_src 0
		.amdhsa_exception_fp_ieee_div_zero 0
		.amdhsa_exception_fp_ieee_overflow 0
		.amdhsa_exception_fp_ieee_underflow 0
		.amdhsa_exception_fp_ieee_inexact 0
		.amdhsa_exception_int_div_zero 0
	.end_amdhsa_kernel
	.section	.text._ZL20rocblas_gemvn_kernelILi64ELi4EldPKddEviiT3_lPKT2_lT1_lS5_lS6_lS2_lPT4_lS6_li,"axG",@progbits,_ZL20rocblas_gemvn_kernelILi64ELi4EldPKddEviiT3_lPKT2_lT1_lS5_lS6_lS2_lPT4_lS6_li,comdat
.Lfunc_end53:
	.size	_ZL20rocblas_gemvn_kernelILi64ELi4EldPKddEviiT3_lPKT2_lT1_lS5_lS6_lS2_lPT4_lS6_li, .Lfunc_end53-_ZL20rocblas_gemvn_kernelILi64ELi4EldPKddEviiT3_lPKT2_lT1_lS5_lS6_lS2_lPT4_lS6_li
                                        ; -- End function
	.set _ZL20rocblas_gemvn_kernelILi64ELi4EldPKddEviiT3_lPKT2_lT1_lS5_lS6_lS2_lPT4_lS6_li.num_vgpr, 97
	.set _ZL20rocblas_gemvn_kernelILi64ELi4EldPKddEviiT3_lPKT2_lT1_lS5_lS6_lS2_lPT4_lS6_li.num_agpr, 0
	.set _ZL20rocblas_gemvn_kernelILi64ELi4EldPKddEviiT3_lPKT2_lT1_lS5_lS6_lS2_lPT4_lS6_li.numbered_sgpr, 59
	.set _ZL20rocblas_gemvn_kernelILi64ELi4EldPKddEviiT3_lPKT2_lT1_lS5_lS6_lS2_lPT4_lS6_li.num_named_barrier, 0
	.set _ZL20rocblas_gemvn_kernelILi64ELi4EldPKddEviiT3_lPKT2_lT1_lS5_lS6_lS2_lPT4_lS6_li.private_seg_size, 0
	.set _ZL20rocblas_gemvn_kernelILi64ELi4EldPKddEviiT3_lPKT2_lT1_lS5_lS6_lS2_lPT4_lS6_li.uses_vcc, 1
	.set _ZL20rocblas_gemvn_kernelILi64ELi4EldPKddEviiT3_lPKT2_lT1_lS5_lS6_lS2_lPT4_lS6_li.uses_flat_scratch, 0
	.set _ZL20rocblas_gemvn_kernelILi64ELi4EldPKddEviiT3_lPKT2_lT1_lS5_lS6_lS2_lPT4_lS6_li.has_dyn_sized_stack, 0
	.set _ZL20rocblas_gemvn_kernelILi64ELi4EldPKddEviiT3_lPKT2_lT1_lS5_lS6_lS2_lPT4_lS6_li.has_recursion, 0
	.set _ZL20rocblas_gemvn_kernelILi64ELi4EldPKddEviiT3_lPKT2_lT1_lS5_lS6_lS2_lPT4_lS6_li.has_indirect_call, 0
	.section	.AMDGPU.csdata,"",@progbits
; Kernel info:
; codeLenInByte = 3912
; TotalNumSgprs: 61
; NumVgprs: 97
; ScratchSize: 0
; MemoryBound: 1
; FloatMode: 240
; IeeeMode: 1
; LDSByteSize: 8192 bytes/workgroup (compile time only)
; SGPRBlocks: 0
; VGPRBlocks: 12
; NumSGPRsForWavesPerEU: 61
; NumVGPRsForWavesPerEU: 97
; Occupancy: 12
; WaveLimiterHint : 1
; COMPUTE_PGM_RSRC2:SCRATCH_EN: 0
; COMPUTE_PGM_RSRC2:USER_SGPR: 2
; COMPUTE_PGM_RSRC2:TRAP_HANDLER: 0
; COMPUTE_PGM_RSRC2:TGID_X_EN: 1
; COMPUTE_PGM_RSRC2:TGID_Y_EN: 0
; COMPUTE_PGM_RSRC2:TGID_Z_EN: 1
; COMPUTE_PGM_RSRC2:TIDIG_COMP_CNT: 1
	.section	.text._ZL20rocblas_gemvn_kernelILi64ELi4EidddEviiT3_lPKT2_lT1_lS3_lS4_lS0_lPT4_lS4_li,"axG",@progbits,_ZL20rocblas_gemvn_kernelILi64ELi4EidddEviiT3_lPKT2_lT1_lS3_lS4_lS0_lPT4_lS4_li,comdat
	.globl	_ZL20rocblas_gemvn_kernelILi64ELi4EidddEviiT3_lPKT2_lT1_lS3_lS4_lS0_lPT4_lS4_li ; -- Begin function _ZL20rocblas_gemvn_kernelILi64ELi4EidddEviiT3_lPKT2_lT1_lS3_lS4_lS0_lPT4_lS4_li
	.p2align	8
	.type	_ZL20rocblas_gemvn_kernelILi64ELi4EidddEviiT3_lPKT2_lT1_lS3_lS4_lS0_lPT4_lS4_li,@function
_ZL20rocblas_gemvn_kernelILi64ELi4EidddEviiT3_lPKT2_lT1_lS3_lS4_lS0_lPT4_lS4_li: ; @_ZL20rocblas_gemvn_kernelILi64ELi4EidddEviiT3_lPKT2_lT1_lS3_lS4_lS0_lPT4_lS4_li
; %bb.0:
	s_load_b64 s[2:3], s[0:1], 0x9c
	s_wait_kmcnt 0x0
	s_lshr_b32 s4, s2, 16
	s_and_b32 s2, s2, 0xffff
	s_and_b32 s3, s3, 0xffff
	s_mul_i32 s2, s4, s2
	s_delay_alu instid0(SALU_CYCLE_1) | instskip(NEXT) | instid1(SALU_CYCLE_1)
	s_mul_i32 s2, s2, s3
	s_cmp_lg_u32 s2, 0x100
	s_cbranch_scc1 .LBB54_53
; %bb.1:
	s_load_b32 s31, s[0:1], 0x88
	s_lshr_b32 s34, ttmp7, 16
	s_wait_kmcnt 0x0
	s_cmp_ge_u32 s34, s31
	s_cbranch_scc1 .LBB54_53
; %bb.2:
	s_clause 0x8
	s_load_b128 s[8:11], s[0:1], 0x0
	s_load_b128 s[12:15], s[0:1], 0x50
	s_load_b96 s[28:30], s[0:1], 0x40
	s_load_b128 s[20:23], s[0:1], 0x18
	s_load_b32 s33, s[0:1], 0x28
	s_load_b128 s[16:19], s[0:1], 0x30
	s_load_b128 s[24:27], s[0:1], 0x68
	s_load_b32 s39, s[0:1], 0x78
	s_load_b64 s[36:37], s[0:1], 0x80
	v_dual_mov_b32 v4, 0 :: v_dual_and_b32 v7, 0x3ff, v0
	v_bfe_u32 v8, v0, 10, 10
	s_lshl_b32 s38, ttmp9, 8
	s_mov_b32 s35, 0
	s_delay_alu instid0(VALU_DEP_2) | instskip(SKIP_2) | instid1(VALU_DEP_3)
	v_or_b32_e32 v57, s38, v7
	v_lshlrev_b32_e32 v1, 3, v7
	v_lshl_add_u32 v0, v8, 6, v7
	v_add_nc_u32_e32 v2, 64, v57
	s_delay_alu instid0(VALU_DEP_3) | instskip(NEXT) | instid1(VALU_DEP_3)
	v_lshl_add_u32 v59, v8, 11, v1
	v_add_nc_u32_e32 v3, s38, v0
	s_wait_kmcnt 0x0
	v_cmp_neq_f64_e64 s40, s[10:11], 0
	v_cmp_neq_f64_e64 s41, s[14:15], 1.0
	v_or_b32_e32 v9, s38, v0
	v_cmp_gt_u32_e64 s0, 0x100, v0
	v_lshl_add_u32 v60, v8, 9, v1
	s_ashr_i32 s42, s39, 31
	v_mad_co_u64_u32 v[0:1], null, s39, v3, 0
	v_cmp_gt_i32_e64 s2, s8, v2
	v_mul_lo_u32 v2, s39, v9
	v_add_nc_u32_e32 v5, 0x80, v57
	v_add_nc_u32_e32 v6, 0xc0, v57
	v_cmp_gt_i32_e64 s5, s8, v9
	s_lshl_b64 s[6:7], s[22:23], 3
	s_lshl_b64 s[22:23], s[28:29], 3
	v_cmp_gt_i32_e64 s3, s8, v5
	v_cmp_gt_i32_e64 s4, s8, v6
	v_mad_co_u64_u32 v[5:6], null, s42, v3, v[1:2]
	v_lshlrev_b32_e32 v58, 2, v8
	s_ashr_i32 s29, s8, 31
	s_mov_b32 s28, s8
	v_mul_lo_u32 v11, v8, s33
	v_cmp_gt_i64_e32 vcc_lo, s[28:29], v[3:4]
	s_ashr_i32 s43, s9, 31
	s_delay_alu instid0(VALU_DEP_4)
	v_mov_b32_e32 v1, v5
	v_mul_lo_u32 v9, s33, v58
	v_or_b32_e32 v10, 2, v58
	s_lshl_b64 s[26:27], s[26:27], 3
	s_add_nc_u64 s[20:21], s[20:21], s[6:7]
	s_wait_alu 0xfffe
	s_lshr_b32 s6, s43, 28
	s_add_nc_u64 s[18:19], s[18:19], s[22:23]
	v_mad_co_u64_u32 v[4:5], null, s33, v10, v[7:8]
	v_mul_lo_u32 v8, v8, s30
	v_add3_u32 v61, v9, s33, v7
	v_or_b32_e32 v9, 3, v58
	s_add_co_i32 s6, s9, s6
	s_add_nc_u64 s[22:23], s[24:25], s[26:27]
	s_or_b32 s39, s40, s41
	v_cmp_eq_f64_e64 s40, s[10:11], 0
	v_cmp_neq_f64_e64 s41, s[14:15], 0
	s_mov_b32 s24, s30
	v_mad_co_u64_u32 v[5:6], null, s33, v9, v[7:8]
	v_cmp_gt_i32_e64 s1, s8, v57
	s_and_b32 s8, s6, -16
	v_lshl_add_u32 v62, v11, 2, v7
	v_mad_co_u64_u32 v[6:7], null, s30, v58, s[24:25]
	v_mul_lo_u32 v63, s30, v10
	v_mul_lo_u32 v64, s30, v9
	s_wait_alu 0xfffe
	s_sub_co_i32 s7, s9, s8
	v_lshlrev_b32_e32 v65, 2, v8
	v_lshlrev_b64_e32 v[7:8], 3, v[0:1]
	v_cmp_gt_i32_e64 s6, s8, v58
	v_ashrrev_i32_e32 v3, 31, v2
	s_cmp_gt_i32 s7, 0
	s_cselect_b32 s42, -1, 0
	s_and_b32 s43, s0, vcc_lo
	s_lshl_b32 s44, s33, 4
	s_lshl_b32 s45, s30, 4
	s_branch .LBB54_5
.LBB54_3:                               ;   in Loop: Header=BB54_5 Depth=1
	s_wait_alu 0xfffe
	s_or_b32 exec_lo, exec_lo, s7
.LBB54_4:                               ;   in Loop: Header=BB54_5 Depth=1
	s_add_co_i32 s34, s34, 0x10000
	s_delay_alu instid0(SALU_CYCLE_1)
	s_cmp_lt_u32 s34, s31
	s_cbranch_scc0 .LBB54_53
.LBB54_5:                               ; =>This Loop Header: Depth=1
                                        ;     Child Loop BB54_21 Depth 2
	s_and_not1_b32 vcc_lo, exec_lo, s39
	s_wait_alu 0xfffe
	s_cbranch_vccnz .LBB54_4
; %bb.6:                                ;   in Loop: Header=BB54_5 Depth=1
	s_mul_u64 s[24:25], s[36:37], s[34:35]
	s_and_not1_b32 vcc_lo, exec_lo, s40
	s_wait_alu 0xfffe
	s_lshl_b64 s[24:25], s[24:25], 3
	s_wait_alu 0xfffe
	s_add_nc_u64 s[24:25], s[22:23], s[24:25]
	s_cbranch_vccnz .LBB54_10
; %bb.7:                                ;   in Loop: Header=BB54_5 Depth=1
	s_mov_b32 s7, 0
	s_mov_b32 s46, 0
                                        ; implicit-def: $vgpr9_vgpr10
	s_and_saveexec_b32 s26, s43
	s_cbranch_execz .LBB54_11
; %bb.8:                                ;   in Loop: Header=BB54_5 Depth=1
	s_and_not1_b32 vcc_lo, exec_lo, s41
	s_wait_alu 0xfffe
	s_cbranch_vccnz .LBB54_13
; %bb.9:                                ;   in Loop: Header=BB54_5 Depth=1
	v_add_co_u32 v9, vcc_lo, s24, v7
	s_wait_alu 0xfffd
	v_add_co_ci_u32_e64 v10, null, s25, v8, vcc_lo
	global_load_b64 v[9:10], v[9:10], off
	s_wait_loadcnt 0x0
	v_mul_f64_e32 v[9:10], s[14:15], v[9:10]
	s_branch .LBB54_14
.LBB54_10:                              ;   in Loop: Header=BB54_5 Depth=1
	s_mov_b32 s46, 0
                                        ; implicit-def: $vgpr9_vgpr10
	s_cbranch_execz .LBB54_12
	s_branch .LBB54_15
.LBB54_11:                              ;   in Loop: Header=BB54_5 Depth=1
	s_wait_alu 0xfffe
	s_or_b32 exec_lo, exec_lo, s26
	s_delay_alu instid0(SALU_CYCLE_1)
	s_and_b32 vcc_lo, exec_lo, s7
	s_wait_alu 0xfffe
	s_cbranch_vccnz .LBB54_15
.LBB54_12:                              ;   in Loop: Header=BB54_5 Depth=1
	v_dual_mov_b32 v12, v1 :: v_dual_mov_b32 v11, v0
	s_and_saveexec_b32 s7, s46
	s_cbranch_execz .LBB54_3
	s_branch .LBB54_52
.LBB54_13:                              ;   in Loop: Header=BB54_5 Depth=1
	v_mov_b32_e32 v9, 0
	v_mov_b32_e32 v10, 0
.LBB54_14:                              ;   in Loop: Header=BB54_5 Depth=1
	s_mov_b32 s46, exec_lo
	s_or_b32 exec_lo, exec_lo, s26
	s_delay_alu instid0(SALU_CYCLE_1)
	s_and_b32 vcc_lo, exec_lo, s7
	s_wait_alu 0xfffe
	s_cbranch_vccz .LBB54_12
.LBB54_15:                              ;   in Loop: Header=BB54_5 Depth=1
	v_mov_b32_e32 v9, 0
	v_mov_b32_e32 v13, 0
	s_mul_u64 s[26:27], s[16:17], s[34:35]
	s_mul_u64 s[28:29], s[12:13], s[34:35]
	v_dual_mov_b32 v10, 0 :: v_dual_mov_b32 v11, 0
	v_dual_mov_b32 v14, 0 :: v_dual_mov_b32 v15, 0
	v_mov_b32_e32 v12, 0
	v_mov_b32_e32 v16, 0
	;; [unrolled: 1-line block ×3, first 2 shown]
	s_wait_alu 0xfffe
	s_lshl_b64 s[26:27], s[26:27], 3
	s_lshl_b64 s[28:29], s[28:29], 3
	s_wait_alu 0xfffe
	s_add_nc_u64 s[26:27], s[20:21], s[26:27]
	s_add_nc_u64 s[28:29], s[18:19], s[28:29]
	s_and_saveexec_b32 s7, s6
	s_cbranch_execz .LBB54_27
; %bb.16:                               ;   in Loop: Header=BB54_5 Depth=1
	v_mov_b32_e32 v11, 0
	v_dual_mov_b32 v9, 0 :: v_dual_mov_b32 v68, v5
	v_dual_mov_b32 v12, 0 :: v_dual_mov_b32 v13, 0
	v_dual_mov_b32 v15, 0 :: v_dual_mov_b32 v66, v58
	v_dual_mov_b32 v10, 0 :: v_dual_mov_b32 v67, v62
	v_dual_mov_b32 v69, v4 :: v_dual_mov_b32 v70, v61
	v_mov_b32_e32 v14, 0
	v_mov_b32_e32 v16, 0
	s_mov_b32 s47, 0
	s_mov_b32 s48, 0
	s_branch .LBB54_21
.LBB54_17:                              ;   in Loop: Header=BB54_21 Depth=2
	s_or_b32 exec_lo, exec_lo, s52
	s_wait_loadcnt 0x3
	v_fma_f64 v[13:14], v[17:18], v[49:50], v[13:14]
	s_wait_loadcnt 0x2
	s_delay_alu instid0(VALU_DEP_1) | instskip(SKIP_1) | instid1(VALU_DEP_1)
	v_fma_f64 v[13:14], v[19:20], v[51:52], v[13:14]
	s_wait_loadcnt 0x1
	v_fma_f64 v[13:14], v[21:22], v[53:54], v[13:14]
	s_wait_loadcnt 0x0
	s_delay_alu instid0(VALU_DEP_1)
	v_fma_f64 v[13:14], v[23:24], v[55:56], v[13:14]
.LBB54_18:                              ;   in Loop: Header=BB54_21 Depth=2
	s_or_b32 exec_lo, exec_lo, s51
	s_wait_loadcnt 0x3
	v_fma_f64 v[11:12], v[17:18], v[41:42], v[11:12]
	s_wait_loadcnt 0x2
	s_delay_alu instid0(VALU_DEP_1) | instskip(SKIP_1) | instid1(VALU_DEP_1)
	v_fma_f64 v[11:12], v[19:20], v[43:44], v[11:12]
	s_wait_loadcnt 0x1
	v_fma_f64 v[11:12], v[21:22], v[45:46], v[11:12]
	s_wait_loadcnt 0x0
	s_delay_alu instid0(VALU_DEP_1)
	v_fma_f64 v[11:12], v[23:24], v[47:48], v[11:12]
.LBB54_19:                              ;   in Loop: Header=BB54_21 Depth=2
	s_or_b32 exec_lo, exec_lo, s50
	s_wait_loadcnt 0x3
	v_fma_f64 v[9:10], v[17:18], v[25:26], v[9:10]
	s_wait_loadcnt 0x2
	s_delay_alu instid0(VALU_DEP_1) | instskip(SKIP_1) | instid1(VALU_DEP_1)
	v_fma_f64 v[9:10], v[19:20], v[27:28], v[9:10]
	s_wait_loadcnt 0x1
	v_fma_f64 v[9:10], v[21:22], v[29:30], v[9:10]
	s_wait_loadcnt 0x0
	s_delay_alu instid0(VALU_DEP_1)
	v_fma_f64 v[9:10], v[23:24], v[31:32], v[9:10]
.LBB54_20:                              ;   in Loop: Header=BB54_21 Depth=2
	s_wait_alu 0xfffe
	s_or_b32 exec_lo, exec_lo, s49
	v_add_nc_u32_e32 v66, 16, v66
	v_add_nc_u32_e32 v70, s44, v70
	;; [unrolled: 1-line block ×5, first 2 shown]
	v_cmp_le_i32_e32 vcc_lo, s8, v66
	s_add_co_i32 s48, s48, s45
	s_or_b32 s47, vcc_lo, s47
	s_delay_alu instid0(SALU_CYCLE_1)
	s_and_not1_b32 exec_lo, exec_lo, s47
	s_cbranch_execz .LBB54_26
.LBB54_21:                              ;   Parent Loop BB54_5 Depth=1
                                        ; =>  This Inner Loop Header: Depth=2
	s_and_saveexec_b32 s49, s1
	s_cbranch_execz .LBB54_20
; %bb.22:                               ;   in Loop: Header=BB54_21 Depth=2
	s_wait_alu 0xfffe
	v_add_nc_u32_e32 v17, s48, v65
	v_add_nc_u32_e32 v19, s48, v6
	v_add_nc_u32_e32 v21, s48, v63
	v_add_nc_u32_e32 v23, s48, v64
	v_add_nc_u32_e32 v25, s38, v67
	v_ashrrev_i32_e32 v18, 31, v17
	v_ashrrev_i32_e32 v20, 31, v19
	v_ashrrev_i32_e32 v22, 31, v21
	v_add_nc_u32_e32 v27, s38, v70
	v_ashrrev_i32_e32 v24, 31, v23
	v_lshlrev_b64_e32 v[17:18], 3, v[17:18]
	v_lshlrev_b64_e32 v[19:20], 3, v[19:20]
	v_ashrrev_i32_e32 v26, 31, v25
	v_lshlrev_b64_e32 v[21:22], 3, v[21:22]
	v_ashrrev_i32_e32 v28, 31, v27
	v_lshlrev_b64_e32 v[23:24], 3, v[23:24]
	v_add_co_u32 v17, vcc_lo, s28, v17
	v_add_nc_u32_e32 v29, s38, v69
	s_wait_alu 0xfffd
	v_add_co_ci_u32_e64 v18, null, s29, v18, vcc_lo
	v_add_co_u32 v19, vcc_lo, s28, v19
	v_lshlrev_b64_e32 v[25:26], 3, v[25:26]
	v_add_nc_u32_e32 v31, s38, v68
	s_wait_alu 0xfffd
	v_add_co_ci_u32_e64 v20, null, s29, v20, vcc_lo
	v_add_co_u32 v21, vcc_lo, s28, v21
	v_lshlrev_b64_e32 v[27:28], 3, v[27:28]
	v_ashrrev_i32_e32 v30, 31, v29
	s_wait_alu 0xfffd
	v_add_co_ci_u32_e64 v22, null, s29, v22, vcc_lo
	v_add_co_u32 v23, vcc_lo, s28, v23
	v_ashrrev_i32_e32 v32, 31, v31
	s_wait_alu 0xfffd
	v_add_co_ci_u32_e64 v24, null, s29, v24, vcc_lo
	v_add_co_u32 v33, vcc_lo, s26, v25
	s_wait_alu 0xfffd
	v_add_co_ci_u32_e64 v34, null, s27, v26, vcc_lo
	v_lshlrev_b64_e32 v[25:26], 3, v[29:30]
	v_add_co_u32 v35, vcc_lo, s26, v27
	s_wait_alu 0xfffd
	v_add_co_ci_u32_e64 v36, null, s27, v28, vcc_lo
	v_lshlrev_b64_e32 v[27:28], 3, v[31:32]
	s_delay_alu instid0(VALU_DEP_4) | instskip(SKIP_2) | instid1(VALU_DEP_3)
	v_add_co_u32 v37, vcc_lo, s26, v25
	s_wait_alu 0xfffd
	v_add_co_ci_u32_e64 v38, null, s27, v26, vcc_lo
	v_add_co_u32 v39, vcc_lo, s26, v27
	s_wait_alu 0xfffd
	v_add_co_ci_u32_e64 v40, null, s27, v28, vcc_lo
	s_clause 0x3
	global_load_b64 v[17:18], v[17:18], off
	global_load_b64 v[19:20], v[19:20], off
	;; [unrolled: 1-line block ×4, first 2 shown]
	s_clause 0x3
	global_load_b64 v[25:26], v[33:34], off
	global_load_b64 v[27:28], v[35:36], off
	;; [unrolled: 1-line block ×4, first 2 shown]
	s_and_saveexec_b32 s50, s2
	s_cbranch_execz .LBB54_19
; %bb.23:                               ;   in Loop: Header=BB54_21 Depth=2
	s_clause 0x3
	global_load_b64 v[41:42], v[33:34], off offset:512
	global_load_b64 v[43:44], v[35:36], off offset:512
	global_load_b64 v[45:46], v[37:38], off offset:512
	global_load_b64 v[47:48], v[39:40], off offset:512
	s_and_saveexec_b32 s51, s3
	s_cbranch_execz .LBB54_18
; %bb.24:                               ;   in Loop: Header=BB54_21 Depth=2
	s_clause 0x3
	global_load_b64 v[49:50], v[33:34], off offset:1024
	global_load_b64 v[51:52], v[35:36], off offset:1024
	global_load_b64 v[53:54], v[37:38], off offset:1024
	global_load_b64 v[55:56], v[39:40], off offset:1024
	;; [unrolled: 8-line block ×3, first 2 shown]
	s_wait_loadcnt 0x3
	v_fma_f64 v[15:16], v[17:18], v[33:34], v[15:16]
	s_wait_loadcnt 0x2
	s_delay_alu instid0(VALU_DEP_1) | instskip(SKIP_1) | instid1(VALU_DEP_1)
	v_fma_f64 v[15:16], v[19:20], v[35:36], v[15:16]
	s_wait_loadcnt 0x1
	v_fma_f64 v[15:16], v[21:22], v[37:38], v[15:16]
	s_wait_loadcnt 0x0
	s_delay_alu instid0(VALU_DEP_1)
	v_fma_f64 v[15:16], v[23:24], v[39:40], v[15:16]
	s_branch .LBB54_17
.LBB54_26:                              ;   in Loop: Header=BB54_5 Depth=1
	s_or_b32 exec_lo, exec_lo, s47
.LBB54_27:                              ;   in Loop: Header=BB54_5 Depth=1
	s_wait_alu 0xfffe
	s_or_b32 exec_lo, exec_lo, s7
	s_delay_alu instid0(SALU_CYCLE_1)
	s_and_not1_b32 vcc_lo, exec_lo, s42
	s_wait_alu 0xfffe
	s_cbranch_vccnz .LBB54_45
; %bb.28:                               ;   in Loop: Header=BB54_5 Depth=1
	v_mov_b32_e32 v23, 0
	v_dual_mov_b32 v19, 0 :: v_dual_mov_b32 v24, 0
	v_dual_mov_b32 v21, 0 :: v_dual_mov_b32 v20, 0
	v_mov_b32_e32 v17, 0
	v_cmp_gt_i32_e32 vcc_lo, s9, v66
	v_mov_b32_e32 v22, 0
	v_mov_b32_e32 v18, 0
	v_or_b32_e32 v25, 1, v66
	s_and_saveexec_b32 s47, vcc_lo
	s_cbranch_execz .LBB54_36
; %bb.29:                               ;   in Loop: Header=BB54_5 Depth=1
	v_mul_lo_u32 v17, v66, s30
	v_mov_b32_e32 v19, 0
	v_dual_mov_b32 v20, 0 :: v_dual_mov_b32 v21, 0
	v_dual_mov_b32 v23, 0 :: v_dual_mov_b32 v22, 0
	v_mov_b32_e32 v24, 0
	s_mov_b32 s48, exec_lo
	v_ashrrev_i32_e32 v18, 31, v17
	s_delay_alu instid0(VALU_DEP_1) | instskip(NEXT) | instid1(VALU_DEP_1)
	v_lshlrev_b64_e32 v[17:18], 3, v[17:18]
	v_add_co_u32 v17, s7, s28, v17
	s_wait_alu 0xf1ff
	s_delay_alu instid0(VALU_DEP_2)
	v_add_co_ci_u32_e64 v18, null, s29, v18, s7
	global_load_b64 v[17:18], v[17:18], off
	v_cmpx_gt_i32_e64 s9, v25
	s_cbranch_execz .LBB54_35
; %bb.30:                               ;   in Loop: Header=BB54_5 Depth=1
	v_mul_lo_u32 v19, v25, s30
	v_mov_b32_e32 v21, 0
	v_dual_mov_b32 v22, 0 :: v_dual_mov_b32 v23, 0
	v_or_b32_e32 v26, 2, v66
	v_mov_b32_e32 v24, 0
	s_mov_b32 s49, exec_lo
	v_ashrrev_i32_e32 v20, 31, v19
	s_delay_alu instid0(VALU_DEP_1) | instskip(NEXT) | instid1(VALU_DEP_1)
	v_lshlrev_b64_e32 v[19:20], 3, v[19:20]
	v_add_co_u32 v19, s7, s28, v19
	s_wait_alu 0xf1ff
	s_delay_alu instid0(VALU_DEP_2)
	v_add_co_ci_u32_e64 v20, null, s29, v20, s7
	global_load_b64 v[19:20], v[19:20], off
	v_cmpx_gt_i32_e64 s9, v26
	s_cbranch_execz .LBB54_34
; %bb.31:                               ;   in Loop: Header=BB54_5 Depth=1
	v_mul_lo_u32 v21, v26, s30
	v_mov_b32_e32 v23, 0
	v_or_b32_e32 v26, 3, v66
	v_mov_b32_e32 v24, 0
	s_mov_b32 s50, exec_lo
	s_delay_alu instid0(VALU_DEP_4) | instskip(NEXT) | instid1(VALU_DEP_1)
	v_ashrrev_i32_e32 v22, 31, v21
	v_lshlrev_b64_e32 v[21:22], 3, v[21:22]
	s_delay_alu instid0(VALU_DEP_1) | instskip(SKIP_1) | instid1(VALU_DEP_2)
	v_add_co_u32 v21, s7, s28, v21
	s_wait_alu 0xf1ff
	v_add_co_ci_u32_e64 v22, null, s29, v22, s7
	global_load_b64 v[21:22], v[21:22], off
	v_cmpx_gt_i32_e64 s9, v26
	s_cbranch_execz .LBB54_33
; %bb.32:                               ;   in Loop: Header=BB54_5 Depth=1
	v_mul_lo_u32 v23, v26, s30
	s_delay_alu instid0(VALU_DEP_1) | instskip(NEXT) | instid1(VALU_DEP_1)
	v_ashrrev_i32_e32 v24, 31, v23
	v_lshlrev_b64_e32 v[23:24], 3, v[23:24]
	s_delay_alu instid0(VALU_DEP_1) | instskip(SKIP_1) | instid1(VALU_DEP_2)
	v_add_co_u32 v23, s7, s28, v23
	s_wait_alu 0xf1ff
	v_add_co_ci_u32_e64 v24, null, s29, v24, s7
	global_load_b64 v[23:24], v[23:24], off
.LBB54_33:                              ;   in Loop: Header=BB54_5 Depth=1
	s_or_b32 exec_lo, exec_lo, s50
.LBB54_34:                              ;   in Loop: Header=BB54_5 Depth=1
	s_wait_alu 0xfffe
	s_or_b32 exec_lo, exec_lo, s49
.LBB54_35:                              ;   in Loop: Header=BB54_5 Depth=1
	s_wait_alu 0xfffe
	s_or_b32 exec_lo, exec_lo, s48
.LBB54_36:                              ;   in Loop: Header=BB54_5 Depth=1
	s_delay_alu instid0(SALU_CYCLE_1)
	s_or_b32 exec_lo, exec_lo, s47
	s_and_saveexec_b32 s7, s1
	s_cbranch_execz .LBB54_44
; %bb.37:                               ;   in Loop: Header=BB54_5 Depth=1
	v_mul_lo_u32 v27, v66, s33
	v_or_b32_e32 v26, 2, v66
	v_mul_lo_u32 v29, v25, s33
	v_or_b32_e32 v28, 3, v66
	s_delay_alu instid0(VALU_DEP_3) | instskip(NEXT) | instid1(VALU_DEP_2)
	v_mul_lo_u32 v30, v26, s33
	v_mul_lo_u32 v31, v28, s33
	v_cndmask_b32_e32 v27, 0, v27, vcc_lo
	v_cmp_gt_i32_e32 vcc_lo, s9, v25
	s_wait_alu 0xfffd
	v_cndmask_b32_e32 v29, 0, v29, vcc_lo
	v_cmp_gt_i32_e32 vcc_lo, s9, v26
	s_wait_alu 0xfffd
	;; [unrolled: 3-line block ×3, first 2 shown]
	v_dual_cndmask_b32 v28, 0, v31 :: v_dual_add_nc_u32 v25, v27, v57
	v_add_nc_u32_e32 v27, v29, v57
	v_add_nc_u32_e32 v29, v26, v57
	s_delay_alu instid0(VALU_DEP_3) | instskip(NEXT) | instid1(VALU_DEP_4)
	v_ashrrev_i32_e32 v26, 31, v25
	v_add_nc_u32_e32 v31, v28, v57
	s_delay_alu instid0(VALU_DEP_4) | instskip(NEXT) | instid1(VALU_DEP_4)
	v_ashrrev_i32_e32 v28, 31, v27
	v_ashrrev_i32_e32 v30, 31, v29
	s_delay_alu instid0(VALU_DEP_4) | instskip(NEXT) | instid1(VALU_DEP_4)
	v_lshlrev_b64_e32 v[25:26], 3, v[25:26]
	v_ashrrev_i32_e32 v32, 31, v31
	s_delay_alu instid0(VALU_DEP_4) | instskip(NEXT) | instid1(VALU_DEP_4)
	v_lshlrev_b64_e32 v[27:28], 3, v[27:28]
	v_lshlrev_b64_e32 v[29:30], 3, v[29:30]
	s_delay_alu instid0(VALU_DEP_4) | instskip(NEXT) | instid1(VALU_DEP_4)
	v_add_co_u32 v41, vcc_lo, s26, v25
	v_lshlrev_b64_e32 v[31:32], 3, v[31:32]
	s_wait_alu 0xfffd
	v_add_co_ci_u32_e64 v42, null, s27, v26, vcc_lo
	v_add_co_u32 v43, vcc_lo, s26, v27
	s_wait_alu 0xfffd
	v_add_co_ci_u32_e64 v44, null, s27, v28, vcc_lo
	v_add_co_u32 v45, vcc_lo, s26, v29
	;; [unrolled: 3-line block ×3, first 2 shown]
	s_wait_alu 0xfffd
	v_add_co_ci_u32_e64 v48, null, s27, v32, vcc_lo
	s_clause 0x3
	global_load_b64 v[25:26], v[41:42], off
	global_load_b64 v[27:28], v[43:44], off
	;; [unrolled: 1-line block ×4, first 2 shown]
	s_and_saveexec_b32 s26, s2
	s_cbranch_execz .LBB54_43
; %bb.38:                               ;   in Loop: Header=BB54_5 Depth=1
	s_clause 0x3
	global_load_b64 v[33:34], v[41:42], off offset:512
	global_load_b64 v[35:36], v[43:44], off offset:512
	global_load_b64 v[37:38], v[45:46], off offset:512
	global_load_b64 v[39:40], v[47:48], off offset:512
	s_and_saveexec_b32 s27, s3
	s_cbranch_execz .LBB54_42
; %bb.39:                               ;   in Loop: Header=BB54_5 Depth=1
	s_clause 0x3
	global_load_b64 v[49:50], v[41:42], off offset:1024
	global_load_b64 v[51:52], v[43:44], off offset:1024
	global_load_b64 v[53:54], v[45:46], off offset:1024
	global_load_b64 v[55:56], v[47:48], off offset:1024
	;; [unrolled: 8-line block ×3, first 2 shown]
	s_wait_loadcnt 0x3
	v_fma_f64 v[15:16], v[17:18], v[41:42], v[15:16]
	s_wait_loadcnt 0x2
	s_delay_alu instid0(VALU_DEP_1) | instskip(SKIP_1) | instid1(VALU_DEP_1)
	v_fma_f64 v[15:16], v[19:20], v[43:44], v[15:16]
	s_wait_loadcnt 0x1
	v_fma_f64 v[15:16], v[21:22], v[45:46], v[15:16]
	s_wait_loadcnt 0x0
	s_delay_alu instid0(VALU_DEP_1)
	v_fma_f64 v[15:16], v[23:24], v[47:48], v[15:16]
.LBB54_41:                              ;   in Loop: Header=BB54_5 Depth=1
	s_wait_alu 0xfffe
	s_or_b32 exec_lo, exec_lo, s28
	s_wait_loadcnt 0x3
	v_fma_f64 v[13:14], v[17:18], v[49:50], v[13:14]
	s_wait_loadcnt 0x2
	s_delay_alu instid0(VALU_DEP_1) | instskip(SKIP_1) | instid1(VALU_DEP_1)
	v_fma_f64 v[13:14], v[19:20], v[51:52], v[13:14]
	s_wait_loadcnt 0x1
	v_fma_f64 v[13:14], v[21:22], v[53:54], v[13:14]
	s_wait_loadcnt 0x0
	s_delay_alu instid0(VALU_DEP_1)
	v_fma_f64 v[13:14], v[23:24], v[55:56], v[13:14]
.LBB54_42:                              ;   in Loop: Header=BB54_5 Depth=1
	s_wait_alu 0xfffe
	s_or_b32 exec_lo, exec_lo, s27
	s_wait_loadcnt 0x3
	v_fma_f64 v[11:12], v[17:18], v[33:34], v[11:12]
	s_wait_loadcnt 0x2
	s_delay_alu instid0(VALU_DEP_1) | instskip(SKIP_1) | instid1(VALU_DEP_1)
	v_fma_f64 v[11:12], v[19:20], v[35:36], v[11:12]
	s_wait_loadcnt 0x1
	v_fma_f64 v[11:12], v[21:22], v[37:38], v[11:12]
	s_wait_loadcnt 0x0
	s_delay_alu instid0(VALU_DEP_1)
	v_fma_f64 v[11:12], v[23:24], v[39:40], v[11:12]
.LBB54_43:                              ;   in Loop: Header=BB54_5 Depth=1
	s_wait_alu 0xfffe
	s_or_b32 exec_lo, exec_lo, s26
	s_wait_loadcnt 0x3
	v_fma_f64 v[9:10], v[17:18], v[25:26], v[9:10]
	s_wait_loadcnt 0x2
	s_delay_alu instid0(VALU_DEP_1) | instskip(SKIP_1) | instid1(VALU_DEP_1)
	v_fma_f64 v[9:10], v[19:20], v[27:28], v[9:10]
	s_wait_loadcnt 0x1
	v_fma_f64 v[9:10], v[21:22], v[29:30], v[9:10]
	s_wait_loadcnt 0x0
	s_delay_alu instid0(VALU_DEP_1)
	v_fma_f64 v[9:10], v[23:24], v[31:32], v[9:10]
.LBB54_44:                              ;   in Loop: Header=BB54_5 Depth=1
	s_wait_alu 0xfffe
	s_or_b32 exec_lo, exec_lo, s7
.LBB54_45:                              ;   in Loop: Header=BB54_5 Depth=1
	ds_store_2addr_stride64_b64 v59, v[9:10], v[11:12] offset1:1
	ds_store_2addr_stride64_b64 v59, v[13:14], v[15:16] offset0:2 offset1:3
	s_wait_loadcnt_dscnt 0x0
	s_barrier_signal -1
	s_barrier_wait -1
	global_inv scope:SCOPE_SE
                                        ; implicit-def: $vgpr9_vgpr10
	s_and_saveexec_b32 s7, s0
	s_cbranch_execz .LBB54_51
; %bb.46:                               ;   in Loop: Header=BB54_5 Depth=1
	ds_load_2addr_stride64_b64 v[9:12], v60 offset1:4
	s_mov_b32 s27, s46
	s_wait_dscnt 0x0
	v_add_f64_e32 v[13:14], v[9:10], v[11:12]
	ds_load_2addr_stride64_b64 v[9:12], v60 offset0:8 offset1:12
	s_wait_dscnt 0x0
	v_add_f64_e32 v[9:10], v[9:10], v[13:14]
	s_delay_alu instid0(VALU_DEP_1)
	v_add_f64_e32 v[11:12], v[11:12], v[9:10]
                                        ; implicit-def: $vgpr9_vgpr10
	ds_store_b64 v60, v[11:12]
	s_and_saveexec_b32 s26, s5
	s_cbranch_execz .LBB54_50
; %bb.47:                               ;   in Loop: Header=BB54_5 Depth=1
	v_mul_f64_e32 v[9:10], s[10:11], v[11:12]
	s_and_not1_b32 vcc_lo, exec_lo, s41
	s_wait_alu 0xfffe
	s_cbranch_vccnz .LBB54_49
; %bb.48:                               ;   in Loop: Header=BB54_5 Depth=1
	v_lshlrev_b64_e32 v[11:12], 3, v[2:3]
	s_delay_alu instid0(VALU_DEP_1) | instskip(SKIP_1) | instid1(VALU_DEP_2)
	v_add_co_u32 v11, vcc_lo, s24, v11
	s_wait_alu 0xfffd
	v_add_co_ci_u32_e64 v12, null, s25, v12, vcc_lo
	global_load_b64 v[11:12], v[11:12], off
	s_wait_loadcnt 0x0
	v_fma_f64 v[9:10], s[14:15], v[11:12], v[9:10]
.LBB54_49:                              ;   in Loop: Header=BB54_5 Depth=1
	s_or_b32 s27, s46, exec_lo
.LBB54_50:                              ;   in Loop: Header=BB54_5 Depth=1
	s_wait_alu 0xfffe
	s_or_b32 exec_lo, exec_lo, s26
	s_delay_alu instid0(SALU_CYCLE_1)
	s_and_not1_b32 s26, s46, exec_lo
	s_and_b32 s27, s27, exec_lo
	s_wait_alu 0xfffe
	s_or_b32 s46, s26, s27
.LBB54_51:                              ;   in Loop: Header=BB54_5 Depth=1
	s_wait_alu 0xfffe
	s_or_b32 exec_lo, exec_lo, s7
	v_dual_mov_b32 v12, v3 :: v_dual_mov_b32 v11, v2
	s_and_saveexec_b32 s7, s46
	s_cbranch_execz .LBB54_3
.LBB54_52:                              ;   in Loop: Header=BB54_5 Depth=1
	s_delay_alu instid0(VALU_DEP_1) | instskip(SKIP_1) | instid1(VALU_DEP_1)
	v_lshlrev_b64_e32 v[11:12], 3, v[11:12]
	s_wait_alu 0xfffe
	v_add_co_u32 v11, vcc_lo, s24, v11
	s_wait_alu 0xfffd
	s_delay_alu instid0(VALU_DEP_2)
	v_add_co_ci_u32_e64 v12, null, s25, v12, vcc_lo
	global_store_b64 v[11:12], v[9:10], off
	s_branch .LBB54_3
.LBB54_53:
	s_endpgm
	.section	.rodata,"a",@progbits
	.p2align	6, 0x0
	.amdhsa_kernel _ZL20rocblas_gemvn_kernelILi64ELi4EidddEviiT3_lPKT2_lT1_lS3_lS4_lS0_lPT4_lS4_li
		.amdhsa_group_segment_fixed_size 8192
		.amdhsa_private_segment_fixed_size 0
		.amdhsa_kernarg_size 400
		.amdhsa_user_sgpr_count 2
		.amdhsa_user_sgpr_dispatch_ptr 0
		.amdhsa_user_sgpr_queue_ptr 0
		.amdhsa_user_sgpr_kernarg_segment_ptr 1
		.amdhsa_user_sgpr_dispatch_id 0
		.amdhsa_user_sgpr_private_segment_size 0
		.amdhsa_wavefront_size32 1
		.amdhsa_uses_dynamic_stack 0
		.amdhsa_enable_private_segment 0
		.amdhsa_system_sgpr_workgroup_id_x 1
		.amdhsa_system_sgpr_workgroup_id_y 0
		.amdhsa_system_sgpr_workgroup_id_z 1
		.amdhsa_system_sgpr_workgroup_info 0
		.amdhsa_system_vgpr_workitem_id 1
		.amdhsa_next_free_vgpr 71
		.amdhsa_next_free_sgpr 53
		.amdhsa_reserve_vcc 1
		.amdhsa_float_round_mode_32 0
		.amdhsa_float_round_mode_16_64 0
		.amdhsa_float_denorm_mode_32 3
		.amdhsa_float_denorm_mode_16_64 3
		.amdhsa_fp16_overflow 0
		.amdhsa_workgroup_processor_mode 1
		.amdhsa_memory_ordered 1
		.amdhsa_forward_progress 1
		.amdhsa_inst_pref_size 26
		.amdhsa_round_robin_scheduling 0
		.amdhsa_exception_fp_ieee_invalid_op 0
		.amdhsa_exception_fp_denorm_src 0
		.amdhsa_exception_fp_ieee_div_zero 0
		.amdhsa_exception_fp_ieee_overflow 0
		.amdhsa_exception_fp_ieee_underflow 0
		.amdhsa_exception_fp_ieee_inexact 0
		.amdhsa_exception_int_div_zero 0
	.end_amdhsa_kernel
	.section	.text._ZL20rocblas_gemvn_kernelILi64ELi4EidddEviiT3_lPKT2_lT1_lS3_lS4_lS0_lPT4_lS4_li,"axG",@progbits,_ZL20rocblas_gemvn_kernelILi64ELi4EidddEviiT3_lPKT2_lT1_lS3_lS4_lS0_lPT4_lS4_li,comdat
.Lfunc_end54:
	.size	_ZL20rocblas_gemvn_kernelILi64ELi4EidddEviiT3_lPKT2_lT1_lS3_lS4_lS0_lPT4_lS4_li, .Lfunc_end54-_ZL20rocblas_gemvn_kernelILi64ELi4EidddEviiT3_lPKT2_lT1_lS3_lS4_lS0_lPT4_lS4_li
                                        ; -- End function
	.set _ZL20rocblas_gemvn_kernelILi64ELi4EidddEviiT3_lPKT2_lT1_lS3_lS4_lS0_lPT4_lS4_li.num_vgpr, 71
	.set _ZL20rocblas_gemvn_kernelILi64ELi4EidddEviiT3_lPKT2_lT1_lS3_lS4_lS0_lPT4_lS4_li.num_agpr, 0
	.set _ZL20rocblas_gemvn_kernelILi64ELi4EidddEviiT3_lPKT2_lT1_lS3_lS4_lS0_lPT4_lS4_li.numbered_sgpr, 53
	.set _ZL20rocblas_gemvn_kernelILi64ELi4EidddEviiT3_lPKT2_lT1_lS3_lS4_lS0_lPT4_lS4_li.num_named_barrier, 0
	.set _ZL20rocblas_gemvn_kernelILi64ELi4EidddEviiT3_lPKT2_lT1_lS3_lS4_lS0_lPT4_lS4_li.private_seg_size, 0
	.set _ZL20rocblas_gemvn_kernelILi64ELi4EidddEviiT3_lPKT2_lT1_lS3_lS4_lS0_lPT4_lS4_li.uses_vcc, 1
	.set _ZL20rocblas_gemvn_kernelILi64ELi4EidddEviiT3_lPKT2_lT1_lS3_lS4_lS0_lPT4_lS4_li.uses_flat_scratch, 0
	.set _ZL20rocblas_gemvn_kernelILi64ELi4EidddEviiT3_lPKT2_lT1_lS3_lS4_lS0_lPT4_lS4_li.has_dyn_sized_stack, 0
	.set _ZL20rocblas_gemvn_kernelILi64ELi4EidddEviiT3_lPKT2_lT1_lS3_lS4_lS0_lPT4_lS4_li.has_recursion, 0
	.set _ZL20rocblas_gemvn_kernelILi64ELi4EidddEviiT3_lPKT2_lT1_lS3_lS4_lS0_lPT4_lS4_li.has_indirect_call, 0
	.section	.AMDGPU.csdata,"",@progbits
; Kernel info:
; codeLenInByte = 3248
; TotalNumSgprs: 55
; NumVgprs: 71
; ScratchSize: 0
; MemoryBound: 0
; FloatMode: 240
; IeeeMode: 1
; LDSByteSize: 8192 bytes/workgroup (compile time only)
; SGPRBlocks: 0
; VGPRBlocks: 8
; NumSGPRsForWavesPerEU: 55
; NumVGPRsForWavesPerEU: 71
; Occupancy: 16
; WaveLimiterHint : 1
; COMPUTE_PGM_RSRC2:SCRATCH_EN: 0
; COMPUTE_PGM_RSRC2:USER_SGPR: 2
; COMPUTE_PGM_RSRC2:TRAP_HANDLER: 0
; COMPUTE_PGM_RSRC2:TGID_X_EN: 1
; COMPUTE_PGM_RSRC2:TGID_Y_EN: 0
; COMPUTE_PGM_RSRC2:TGID_Z_EN: 1
; COMPUTE_PGM_RSRC2:TIDIG_COMP_CNT: 1
	.section	.text._ZL20rocblas_gemvn_kernelILi64ELi4EldddEviiT3_lPKT2_lT1_lS3_lS4_lS0_lPT4_lS4_li,"axG",@progbits,_ZL20rocblas_gemvn_kernelILi64ELi4EldddEviiT3_lPKT2_lT1_lS3_lS4_lS0_lPT4_lS4_li,comdat
	.globl	_ZL20rocblas_gemvn_kernelILi64ELi4EldddEviiT3_lPKT2_lT1_lS3_lS4_lS0_lPT4_lS4_li ; -- Begin function _ZL20rocblas_gemvn_kernelILi64ELi4EldddEviiT3_lPKT2_lT1_lS3_lS4_lS0_lPT4_lS4_li
	.p2align	8
	.type	_ZL20rocblas_gemvn_kernelILi64ELi4EldddEviiT3_lPKT2_lT1_lS3_lS4_lS0_lPT4_lS4_li,@function
_ZL20rocblas_gemvn_kernelILi64ELi4EldddEviiT3_lPKT2_lT1_lS3_lS4_lS0_lPT4_lS4_li: ; @_ZL20rocblas_gemvn_kernelILi64ELi4EldddEviiT3_lPKT2_lT1_lS3_lS4_lS0_lPT4_lS4_li
; %bb.0:
	s_load_b64 s[2:3], s[0:1], 0x9c
	s_wait_kmcnt 0x0
	s_lshr_b32 s4, s2, 16
	s_and_b32 s2, s2, 0xffff
	s_and_b32 s3, s3, 0xffff
	s_mul_i32 s2, s4, s2
	s_delay_alu instid0(SALU_CYCLE_1) | instskip(NEXT) | instid1(SALU_CYCLE_1)
	s_mul_i32 s2, s2, s3
	s_cmp_lg_u32 s2, 0x100
	s_cbranch_scc1 .LBB55_53
; %bb.1:
	s_load_b32 s33, s[0:1], 0x88
	s_lshr_b32 s34, ttmp7, 16
	s_wait_kmcnt 0x0
	s_cmp_ge_u32 s34, s33
	s_cbranch_scc1 .LBB55_53
; %bb.2:
	s_clause 0x3
	s_load_b128 s[36:39], s[0:1], 0x0
	s_load_b64 s[40:41], s[0:1], 0x58
	s_load_b512 s[8:23], s[0:1], 0x18
	s_load_b256 s[24:31], s[0:1], 0x68
	v_bfe_u32 v16, v0, 10, 10
	v_and_b32_e32 v1, 0x3ff, v0
	v_mov_b32_e32 v5, 0
	s_lshl_b32 s46, ttmp9, 8
	s_mov_b32 s35, 0
	v_lshlrev_b32_e32 v56, 2, v16
	v_lshl_add_u32 v0, v16, 6, v1
	v_or_b32_e32 v6, s46, v1
	v_lshlrev_b32_e32 v1, 3, v1
	s_delay_alu instid0(VALU_DEP_4) | instskip(NEXT) | instid1(VALU_DEP_4)
	v_or_b32_e32 v18, 3, v56
	v_add_nc_u32_e32 v4, s46, v0
	s_delay_alu instid0(VALU_DEP_4)
	v_add_nc_u32_e32 v3, 0x80, v6
	v_or_b32_e32 v17, s46, v0
	v_lshl_add_u32 v57, v16, 11, v1
	v_cmp_gt_u32_e64 s0, 0x100, v0
	v_lshl_add_u32 v58, v16, 9, v1
	s_wait_kmcnt 0x0
	v_cmp_neq_f64_e64 s47, s[38:39], 0
	v_mad_co_u64_u32 v[10:11], null, s12, v18, 0
	v_add_nc_u32_e32 v2, 64, v6
	v_cmp_neq_f64_e64 s49, s[40:41], 1.0
	v_mad_co_u64_u32 v[0:1], null, s28, v4, 0
	v_cmp_gt_i32_e64 s3, s36, v3
	s_delay_alu instid0(VALU_DEP_4)
	v_cmp_gt_i32_e64 s2, s36, v2
	v_mad_co_u64_u32 v[2:3], null, s28, v17, 0
	v_add_nc_u32_e32 v8, 0xc0, v6
	s_ashr_i32 s45, s36, 31
	s_mov_b32 s44, s36
	s_ashr_i32 s5, s37, 31
	s_lshl_b64 s[6:7], s[10:11], 3
	v_cmp_gt_i32_e64 s4, s36, v8
	v_mad_co_u64_u32 v[8:9], null, s20, v16, 0
	v_mad_co_u64_u32 v[12:13], null, s29, v4, v[1:2]
	s_lshr_b32 s5, s5, 28
	s_lshl_b64 s[10:11], s[18:19], 3
	s_add_co_i32 s5, s37, s5
	s_add_nc_u64 s[18:19], s[8:9], s[6:7]
	s_and_b32 s48, s5, -16
	s_lshl_b64 s[42:43], s[26:27], 3
	v_mov_b32_e32 v1, v12
	v_cmp_gt_i64_e32 vcc_lo, s[44:45], v[4:5]
	v_mov_b32_e32 v4, v9
	v_mad_co_u64_u32 v[12:13], null, s20, v18, 0
	s_sub_co_i32 s6, s37, s48
	v_ashrrev_i32_e32 v7, 31, v6
	v_mad_co_u64_u32 v[4:5], null, s21, v16, v[4:5]
	v_mov_b32_e32 v5, v11
	v_cmp_gt_i32_e64 s1, s36, v6
	v_mul_lo_u32 v19, s29, v17
	v_cmp_eq_f64_e64 s51, s[38:39], 0
	v_cmp_neq_f64_e64 s52, s[40:41], 0
	v_mad_co_u64_u32 v[14:15], null, s13, v18, v[5:6]
	v_dual_mov_b32 v9, v4 :: v_dual_mov_b32 v4, v13
	s_or_b32 s49, s47, s49
	s_cmp_gt_i32 s6, 0
	v_cmp_gt_i32_e64 s5, s48, v56
	s_delay_alu instid0(VALU_DEP_2) | instskip(NEXT) | instid1(VALU_DEP_4)
	v_lshlrev_b64_e32 v[8:9], 5, v[8:9]
	v_mov_b32_e32 v11, v14
	v_mad_co_u64_u32 v[13:14], null, s21, v18, v[4:5]
	v_mad_co_u64_u32 v[14:15], null, s12, v16, 0
	v_or_b32_e32 v18, 2, v56
	s_cselect_b32 s50, -1, 0
	s_ashr_i32 s6, s46, 31
	v_lshlrev_b64_e32 v[4:5], 3, v[6:7]
	s_mul_i32 s7, s28, s6
	v_cmp_gt_i32_e64 s6, s36, v17
	s_and_b32 s36, s0, vcc_lo
	v_add_co_u32 v59, vcc_lo, s16, v8
	s_delay_alu instid0(VALU_DEP_1)
	v_add_co_ci_u32_e64 v60, null, s17, v9, vcc_lo
	v_lshlrev_b64_e32 v[6:7], 3, v[10:11]
	v_mad_co_u64_u32 v[9:10], null, s12, v18, 0
	v_mov_b32_e32 v8, v15
	v_add3_u32 v3, v3, s7, v19
	s_add_nc_u64 s[26:27], s[16:17], s[10:11]
	s_delay_alu instid0(VALU_DEP_4)
	v_add_co_u32 v61, vcc_lo, s18, v6
	s_wait_alu 0xfffd
	v_add_co_ci_u32_e64 v62, null, s19, v7, vcc_lo
	v_mad_co_u64_u32 v[15:16], null, s13, v16, v[8:9]
	v_lshlrev_b64_e32 v[7:8], 3, v[12:13]
	v_mad_co_u64_u32 v[16:17], null, s20, v18, 0
	v_mov_b32_e32 v6, v10
	s_add_nc_u64 s[24:25], s[24:25], s[42:43]
	s_lshl_b64 s[28:29], s[22:23], 3
	s_delay_alu instid0(VALU_DEP_3) | instskip(NEXT) | instid1(VALU_DEP_2)
	v_add_co_u32 v63, vcc_lo, s16, v7
	v_mad_co_u64_u32 v[11:12], null, s13, v18, v[6:7]
	s_delay_alu instid0(VALU_DEP_4)
	v_mov_b32_e32 v10, v17
	v_mad_co_u64_u32 v[12:13], null, s20, v56, s[20:21]
	s_wait_alu 0xfffd
	v_add_co_ci_u32_e64 v64, null, s17, v8, vcc_lo
	v_lshlrev_b64_e32 v[7:8], 5, v[14:15]
	v_mad_co_u64_u32 v[17:18], null, s21, v18, v[10:11]
	v_mad_co_u64_u32 v[18:19], null, s12, v56, s[12:13]
	v_mov_b32_e32 v6, v13
	v_mov_b32_e32 v10, v11
	v_add_co_u32 v65, vcc_lo, s18, v7
	s_wait_alu 0xfffd
	v_add_co_ci_u32_e64 v66, null, s19, v8, vcc_lo
	v_mad_co_u64_u32 v[13:14], null, s21, v56, v[6:7]
	v_lshlrev_b64_e32 v[7:8], 3, v[9:10]
	v_mov_b32_e32 v6, v19
	s_lshl_b64 s[42:43], s[14:15], 3
	s_lshl_b64 s[44:45], s[12:13], 7
	s_delay_alu instid0(VALU_DEP_1)
	v_mad_co_u64_u32 v[9:10], null, s13, v56, v[6:7]
	v_lshlrev_b64_e32 v[10:11], 3, v[16:17]
	v_add_co_u32 v67, vcc_lo, s18, v7
	v_lshlrev_b64_e32 v[6:7], 3, v[12:13]
	s_wait_alu 0xfffd
	v_add_co_ci_u32_e64 v68, null, s19, v8, vcc_lo
	v_mov_b32_e32 v19, v9
	v_add_co_u32 v69, vcc_lo, s16, v10
	s_wait_alu 0xfffd
	v_add_co_ci_u32_e64 v70, null, s17, v11, vcc_lo
	s_delay_alu instid0(VALU_DEP_3) | instskip(SKIP_4) | instid1(VALU_DEP_4)
	v_lshlrev_b64_e32 v[8:9], 3, v[18:19]
	v_add_co_u32 v71, vcc_lo, s16, v6
	s_wait_alu 0xfffd
	v_add_co_ci_u32_e64 v72, null, s17, v7, vcc_lo
	v_lshlrev_b64_e32 v[6:7], 3, v[0:1]
	v_add_co_u32 v73, vcc_lo, s18, v8
	s_wait_alu 0xfffd
	v_add_co_ci_u32_e64 v74, null, s19, v9, vcc_lo
	s_lshl_b64 s[16:17], s[20:21], 7
	s_branch .LBB55_5
.LBB55_3:                               ;   in Loop: Header=BB55_5 Depth=1
	s_wait_alu 0xfffe
	s_or_b32 exec_lo, exec_lo, s7
.LBB55_4:                               ;   in Loop: Header=BB55_5 Depth=1
	s_add_co_i32 s34, s34, 0x10000
	s_delay_alu instid0(SALU_CYCLE_1)
	s_cmp_lt_u32 s34, s33
	s_cbranch_scc0 .LBB55_53
.LBB55_5:                               ; =>This Loop Header: Depth=1
                                        ;     Child Loop BB55_21 Depth 2
	s_and_not1_b32 vcc_lo, exec_lo, s49
	s_wait_alu 0xfffe
	s_cbranch_vccnz .LBB55_4
; %bb.6:                                ;   in Loop: Header=BB55_5 Depth=1
	s_mul_u64 s[8:9], s[30:31], s[34:35]
	s_and_not1_b32 vcc_lo, exec_lo, s51
	s_wait_alu 0xfffe
	s_lshl_b64 s[8:9], s[8:9], 3
	s_wait_alu 0xfffe
	s_add_nc_u64 s[46:47], s[24:25], s[8:9]
	s_cbranch_vccnz .LBB55_10
; %bb.7:                                ;   in Loop: Header=BB55_5 Depth=1
	s_mov_b32 s7, 0
	s_mov_b32 s53, 0
                                        ; implicit-def: $vgpr8_vgpr9
	s_and_saveexec_b32 s8, s36
	s_cbranch_execz .LBB55_11
; %bb.8:                                ;   in Loop: Header=BB55_5 Depth=1
	s_and_not1_b32 vcc_lo, exec_lo, s52
	s_wait_alu 0xfffe
	s_cbranch_vccnz .LBB55_13
; %bb.9:                                ;   in Loop: Header=BB55_5 Depth=1
	v_add_co_u32 v8, vcc_lo, s46, v6
	s_wait_alu 0xfffd
	v_add_co_ci_u32_e64 v9, null, s47, v7, vcc_lo
	global_load_b64 v[8:9], v[8:9], off
	s_wait_loadcnt 0x0
	v_mul_f64_e32 v[8:9], s[40:41], v[8:9]
	s_branch .LBB55_14
.LBB55_10:                              ;   in Loop: Header=BB55_5 Depth=1
	s_mov_b32 s53, 0
                                        ; implicit-def: $vgpr8_vgpr9
	s_cbranch_execz .LBB55_12
	s_branch .LBB55_15
.LBB55_11:                              ;   in Loop: Header=BB55_5 Depth=1
	s_wait_alu 0xfffe
	s_or_b32 exec_lo, exec_lo, s8
	s_delay_alu instid0(SALU_CYCLE_1)
	s_and_b32 vcc_lo, exec_lo, s7
	s_wait_alu 0xfffe
	s_cbranch_vccnz .LBB55_15
.LBB55_12:                              ;   in Loop: Header=BB55_5 Depth=1
	v_dual_mov_b32 v11, v1 :: v_dual_mov_b32 v10, v0
	s_and_saveexec_b32 s7, s53
	s_cbranch_execz .LBB55_3
	s_branch .LBB55_52
.LBB55_13:                              ;   in Loop: Header=BB55_5 Depth=1
	v_mov_b32_e32 v8, 0
	v_mov_b32_e32 v9, 0
.LBB55_14:                              ;   in Loop: Header=BB55_5 Depth=1
	s_mov_b32 s53, exec_lo
	s_or_b32 exec_lo, exec_lo, s8
	s_delay_alu instid0(SALU_CYCLE_1)
	s_and_b32 vcc_lo, exec_lo, s7
	s_wait_alu 0xfffe
	s_cbranch_vccz .LBB55_12
.LBB55_15:                              ;   in Loop: Header=BB55_5 Depth=1
	v_mov_b32_e32 v8, 0
	v_dual_mov_b32 v12, 0 :: v_dual_mov_b32 v9, 0
	v_dual_mov_b32 v10, 0 :: v_dual_mov_b32 v13, 0
	v_dual_mov_b32 v14, 0 :: v_dual_mov_b32 v11, 0
	v_mov_b32_e32 v15, 0
	v_mov_b32_e32 v75, v56
	s_and_saveexec_b32 s8, s5
	s_cbranch_execz .LBB55_27
; %bb.16:                               ;   in Loop: Header=BB55_5 Depth=1
	s_mul_u64 s[54:55], s[28:29], s[34:35]
	s_mul_u64 s[56:57], s[42:43], s[34:35]
	s_wait_alu 0xfffe
	v_add_co_u32 v76, vcc_lo, v59, s54
	s_wait_alu 0xfffd
	v_add_co_ci_u32_e64 v77, null, s55, v60, vcc_lo
	v_add_co_u32 v78, vcc_lo, v61, s56
	s_wait_alu 0xfffd
	v_add_co_ci_u32_e64 v79, null, s57, v62, vcc_lo
	;; [unrolled: 3-line block ×7, first 2 shown]
	v_add_co_u32 v90, vcc_lo, v73, s56
	v_mov_b32_e32 v8, 0
	v_dual_mov_b32 v12, 0 :: v_dual_mov_b32 v9, 0
	v_dual_mov_b32 v10, 0 :: v_dual_mov_b32 v13, 0
	v_mov_b32_e32 v14, 0
	s_wait_alu 0xfffd
	v_add_co_ci_u32_e64 v91, null, s57, v74, vcc_lo
	v_mov_b32_e32 v11, 0
	v_mov_b32_e32 v15, 0
	;; [unrolled: 1-line block ×3, first 2 shown]
	s_mov_b32 s9, 0
	s_branch .LBB55_21
.LBB55_17:                              ;   in Loop: Header=BB55_21 Depth=2
	s_wait_alu 0xfffe
	s_or_b32 exec_lo, exec_lo, s56
	s_wait_loadcnt 0x3
	v_fma_f64 v[12:13], v[16:17], v[48:49], v[12:13]
	s_wait_loadcnt 0x2
	s_delay_alu instid0(VALU_DEP_1) | instskip(SKIP_1) | instid1(VALU_DEP_1)
	v_fma_f64 v[12:13], v[18:19], v[50:51], v[12:13]
	s_wait_loadcnt 0x1
	v_fma_f64 v[12:13], v[20:21], v[52:53], v[12:13]
	s_wait_loadcnt 0x0
	s_delay_alu instid0(VALU_DEP_1)
	v_fma_f64 v[12:13], v[22:23], v[54:55], v[12:13]
.LBB55_18:                              ;   in Loop: Header=BB55_21 Depth=2
	s_wait_alu 0xfffe
	s_or_b32 exec_lo, exec_lo, s55
	s_wait_loadcnt 0x3
	v_fma_f64 v[10:11], v[16:17], v[38:39], v[10:11]
	s_wait_loadcnt 0x2
	s_delay_alu instid0(VALU_DEP_1) | instskip(SKIP_1) | instid1(VALU_DEP_1)
	v_fma_f64 v[10:11], v[18:19], v[40:41], v[10:11]
	s_wait_loadcnt 0x1
	v_fma_f64 v[10:11], v[20:21], v[42:43], v[10:11]
	s_wait_loadcnt 0x0
	s_delay_alu instid0(VALU_DEP_1)
	v_fma_f64 v[10:11], v[22:23], v[44:45], v[10:11]
.LBB55_19:                              ;   in Loop: Header=BB55_21 Depth=2
	s_wait_alu 0xfffe
	s_or_b32 exec_lo, exec_lo, s54
	s_wait_loadcnt 0x3
	v_fma_f64 v[8:9], v[16:17], v[24:25], v[8:9]
	s_wait_loadcnt 0x2
	s_delay_alu instid0(VALU_DEP_1) | instskip(SKIP_1) | instid1(VALU_DEP_1)
	v_fma_f64 v[8:9], v[18:19], v[26:27], v[8:9]
	s_wait_loadcnt 0x1
	v_fma_f64 v[8:9], v[20:21], v[28:29], v[8:9]
	s_wait_loadcnt 0x0
	s_delay_alu instid0(VALU_DEP_1)
	v_fma_f64 v[8:9], v[22:23], v[30:31], v[8:9]
.LBB55_20:                              ;   in Loop: Header=BB55_21 Depth=2
	s_wait_alu 0xfffe
	s_or_b32 exec_lo, exec_lo, s7
	v_add_co_u32 v76, vcc_lo, v76, s16
	s_wait_alu 0xfffd
	v_add_co_ci_u32_e64 v77, null, s17, v77, vcc_lo
	v_add_co_u32 v78, vcc_lo, v78, s44
	s_wait_alu 0xfffd
	v_add_co_ci_u32_e64 v79, null, s45, v79, vcc_lo
	v_add_co_u32 v80, vcc_lo, v80, s16
	s_wait_alu 0xfffd
	v_add_co_ci_u32_e64 v81, null, s17, v81, vcc_lo
	v_add_co_u32 v82, vcc_lo, v82, s44
	s_wait_alu 0xfffd
	v_add_co_ci_u32_e64 v83, null, s45, v83, vcc_lo
	v_add_co_u32 v84, vcc_lo, v84, s44
	v_add_nc_u32_e32 v75, 16, v75
	s_wait_alu 0xfffd
	v_add_co_ci_u32_e64 v85, null, s45, v85, vcc_lo
	v_add_co_u32 v86, vcc_lo, v86, s16
	s_wait_alu 0xfffd
	v_add_co_ci_u32_e64 v87, null, s17, v87, vcc_lo
	v_add_co_u32 v88, vcc_lo, v88, s16
	s_wait_alu 0xfffd
	v_add_co_ci_u32_e64 v89, null, s17, v89, vcc_lo
	v_cmp_le_i32_e32 vcc_lo, s48, v75
	v_add_co_u32 v90, s7, v90, s44
	s_wait_alu 0xf1ff
	v_add_co_ci_u32_e64 v91, null, s45, v91, s7
	s_or_b32 s9, vcc_lo, s9
	s_wait_alu 0xfffe
	s_and_not1_b32 exec_lo, exec_lo, s9
	s_cbranch_execz .LBB55_26
.LBB55_21:                              ;   Parent Loop BB55_5 Depth=1
                                        ; =>  This Inner Loop Header: Depth=2
	s_and_saveexec_b32 s7, s1
	s_cbranch_execz .LBB55_20
; %bb.22:                               ;   in Loop: Header=BB55_21 Depth=2
	v_add_co_u32 v16, vcc_lo, v76, s10
	s_wait_alu 0xfffd
	v_add_co_ci_u32_e64 v17, null, s11, v77, vcc_lo
	v_add_co_u32 v18, vcc_lo, v88, s10
	s_wait_alu 0xfffd
	v_add_co_ci_u32_e64 v19, null, s11, v89, vcc_lo
	;; [unrolled: 3-line block ×8, first 2 shown]
	global_load_b64 v[16:17], v[16:17], off
	global_load_b64 v[18:19], v[18:19], off
	;; [unrolled: 1-line block ×8, first 2 shown]
	s_and_saveexec_b32 s54, s2
	s_cbranch_execz .LBB55_19
; %bb.23:                               ;   in Loop: Header=BB55_21 Depth=2
	global_load_b64 v[38:39], v[32:33], off offset:512
	global_load_b64 v[40:41], v[34:35], off offset:512
	global_load_b64 v[42:43], v[36:37], off offset:512
	global_load_b64 v[44:45], v[46:47], off offset:512
	s_and_saveexec_b32 s55, s3
	s_cbranch_execz .LBB55_18
; %bb.24:                               ;   in Loop: Header=BB55_21 Depth=2
	global_load_b64 v[48:49], v[32:33], off offset:1024
	global_load_b64 v[50:51], v[34:35], off offset:1024
	global_load_b64 v[52:53], v[36:37], off offset:1024
	global_load_b64 v[54:55], v[46:47], off offset:1024
	;; [unrolled: 7-line block ×3, first 2 shown]
	s_wait_loadcnt 0x3
	v_fma_f64 v[14:15], v[16:17], v[32:33], v[14:15]
	s_wait_loadcnt 0x2
	s_delay_alu instid0(VALU_DEP_1) | instskip(SKIP_1) | instid1(VALU_DEP_1)
	v_fma_f64 v[14:15], v[18:19], v[34:35], v[14:15]
	s_wait_loadcnt 0x1
	v_fma_f64 v[14:15], v[20:21], v[36:37], v[14:15]
	s_wait_loadcnt 0x0
	s_delay_alu instid0(VALU_DEP_1)
	v_fma_f64 v[14:15], v[22:23], v[46:47], v[14:15]
	s_branch .LBB55_17
.LBB55_26:                              ;   in Loop: Header=BB55_5 Depth=1
	s_or_b32 exec_lo, exec_lo, s9
.LBB55_27:                              ;   in Loop: Header=BB55_5 Depth=1
	s_wait_alu 0xfffe
	s_or_b32 exec_lo, exec_lo, s8
	s_delay_alu instid0(SALU_CYCLE_1)
	s_and_not1_b32 vcc_lo, exec_lo, s50
	s_wait_alu 0xfffe
	s_cbranch_vccnz .LBB55_45
; %bb.28:                               ;   in Loop: Header=BB55_5 Depth=1
	v_mov_b32_e32 v22, 0
	v_dual_mov_b32 v18, 0 :: v_dual_mov_b32 v23, 0
	v_dual_mov_b32 v20, 0 :: v_dual_mov_b32 v19, 0
	v_mov_b32_e32 v16, 0
	v_cmp_gt_i32_e32 vcc_lo, s37, v75
	v_mov_b32_e32 v21, 0
	v_mov_b32_e32 v17, 0
	v_or_b32_e32 v24, 1, v75
	s_and_saveexec_b32 s54, vcc_lo
	s_cbranch_execz .LBB55_36
; %bb.29:                               ;   in Loop: Header=BB55_5 Depth=1
	v_mad_co_u64_u32 v[16:17], null, s20, v75, 0
	s_mul_u64 s[8:9], s[22:23], s[34:35]
	v_mov_b32_e32 v22, 0
	s_wait_alu 0xfffe
	s_lshl_b64 s[8:9], s[8:9], 3
	v_mov_b32_e32 v23, 0
	s_wait_alu 0xfffe
	s_add_nc_u64 s[8:9], s[26:27], s[8:9]
	s_mov_b32 s55, exec_lo
	v_mad_co_u64_u32 v[17:18], null, s21, v75, v[17:18]
	v_mov_b32_e32 v18, 0
	v_dual_mov_b32 v19, 0 :: v_dual_mov_b32 v20, 0
	v_mov_b32_e32 v21, 0
	s_delay_alu instid0(VALU_DEP_4) | instskip(SKIP_1) | instid1(VALU_DEP_1)
	v_lshlrev_b64_e32 v[16:17], 3, v[16:17]
	s_wait_alu 0xfffe
	v_add_co_u32 v16, s7, s8, v16
	s_wait_alu 0xf1ff
	s_delay_alu instid0(VALU_DEP_2)
	v_add_co_ci_u32_e64 v17, null, s9, v17, s7
	global_load_b64 v[16:17], v[16:17], off
	v_cmpx_gt_i32_e64 s37, v24
	s_cbranch_execz .LBB55_35
; %bb.30:                               ;   in Loop: Header=BB55_5 Depth=1
	v_mad_co_u64_u32 v[18:19], null, s20, v24, 0
	v_or_b32_e32 v25, 2, v75
	s_mov_b32 s56, exec_lo
	v_mov_b32_e32 v22, 0
	v_mov_b32_e32 v23, 0
	s_delay_alu instid0(VALU_DEP_4) | instskip(SKIP_2) | instid1(VALU_DEP_3)
	v_mad_co_u64_u32 v[19:20], null, s21, v24, v[19:20]
	v_mov_b32_e32 v20, 0
	v_mov_b32_e32 v21, 0
	v_lshlrev_b64_e32 v[18:19], 3, v[18:19]
	s_delay_alu instid0(VALU_DEP_1) | instskip(SKIP_1) | instid1(VALU_DEP_2)
	v_add_co_u32 v18, s7, s8, v18
	s_wait_alu 0xf1ff
	v_add_co_ci_u32_e64 v19, null, s9, v19, s7
	global_load_b64 v[18:19], v[18:19], off
	v_cmpx_gt_i32_e64 s37, v25
	s_cbranch_execz .LBB55_34
; %bb.31:                               ;   in Loop: Header=BB55_5 Depth=1
	v_mad_co_u64_u32 v[20:21], null, s20, v25, 0
	s_mov_b32 s57, exec_lo
	v_mad_co_u64_u32 v[21:22], null, s21, v25, v[21:22]
	v_mov_b32_e32 v22, 0
	v_or_b32_e32 v25, 3, v75
	v_mov_b32_e32 v23, 0
	s_delay_alu instid0(VALU_DEP_4) | instskip(NEXT) | instid1(VALU_DEP_1)
	v_lshlrev_b64_e32 v[20:21], 3, v[20:21]
	v_add_co_u32 v20, s7, s8, v20
	s_wait_alu 0xf1ff
	s_delay_alu instid0(VALU_DEP_2)
	v_add_co_ci_u32_e64 v21, null, s9, v21, s7
	global_load_b64 v[20:21], v[20:21], off
	v_cmpx_gt_i32_e64 s37, v25
	s_cbranch_execz .LBB55_33
; %bb.32:                               ;   in Loop: Header=BB55_5 Depth=1
	v_mad_co_u64_u32 v[22:23], null, s20, v25, 0
	s_delay_alu instid0(VALU_DEP_1) | instskip(NEXT) | instid1(VALU_DEP_1)
	v_mad_co_u64_u32 v[25:26], null, s21, v25, v[23:24]
	v_mov_b32_e32 v23, v25
	s_delay_alu instid0(VALU_DEP_1) | instskip(NEXT) | instid1(VALU_DEP_1)
	v_lshlrev_b64_e32 v[22:23], 3, v[22:23]
	v_add_co_u32 v22, s7, s8, v22
	s_wait_alu 0xf1ff
	s_delay_alu instid0(VALU_DEP_2)
	v_add_co_ci_u32_e64 v23, null, s9, v23, s7
	global_load_b64 v[22:23], v[22:23], off
.LBB55_33:                              ;   in Loop: Header=BB55_5 Depth=1
	s_wait_alu 0xfffe
	s_or_b32 exec_lo, exec_lo, s57
.LBB55_34:                              ;   in Loop: Header=BB55_5 Depth=1
	s_wait_alu 0xfffe
	s_or_b32 exec_lo, exec_lo, s56
.LBB55_35:                              ;   in Loop: Header=BB55_5 Depth=1
	s_wait_alu 0xfffe
	s_or_b32 exec_lo, exec_lo, s55
.LBB55_36:                              ;   in Loop: Header=BB55_5 Depth=1
	s_wait_alu 0xfffe
	s_or_b32 exec_lo, exec_lo, s54
	s_and_saveexec_b32 s9, s1
	s_cbranch_execz .LBB55_44
; %bb.37:                               ;   in Loop: Header=BB55_5 Depth=1
	v_mad_co_u64_u32 v[25:26], null, s12, v75, 0
	v_mad_co_u64_u32 v[27:28], null, s12, v24, 0
	v_or_b32_e32 v33, 2, v75
	v_or_b32_e32 v37, 3, v75
	s_mul_u64 s[54:55], s[14:15], s[34:35]
	s_wait_alu 0xfffe
	s_lshl_b64 s[54:55], s[54:55], 3
	v_cmp_gt_i32_e64 s7, s37, v33
	s_delay_alu instid0(VALU_DEP_4)
	v_mad_co_u64_u32 v[29:30], null, s13, v75, v[26:27]
	v_mad_co_u64_u32 v[30:31], null, s12, v33, 0
	;; [unrolled: 1-line block ×3, first 2 shown]
	v_cndmask_b32_e32 v25, 0, v25, vcc_lo
	s_wait_alu 0xfffe
	s_add_nc_u64 s[54:55], s[18:19], s[54:55]
	s_delay_alu instid0(VALU_DEP_4) | instskip(SKIP_4) | instid1(VALU_DEP_2)
	v_cndmask_b32_e32 v26, 0, v29, vcc_lo
	v_cmp_gt_i32_e32 vcc_lo, s37, v24
	v_mov_b32_e32 v29, v31
	s_wait_alu 0xfffd
	v_cndmask_b32_e32 v27, 0, v27, vcc_lo
	v_mad_co_u64_u32 v[31:32], null, s13, v24, v[28:29]
	v_mov_b32_e32 v24, v35
	v_lshlrev_b64_e32 v[25:26], 3, v[25:26]
	s_delay_alu instid0(VALU_DEP_3) | instskip(SKIP_1) | instid1(VALU_DEP_2)
	v_cndmask_b32_e32 v28, 0, v31, vcc_lo
	s_wait_alu 0xfffe
	v_add_co_u32 v25, s8, s54, v25
	s_wait_alu 0xf1ff
	s_delay_alu instid0(VALU_DEP_3) | instskip(SKIP_1) | instid1(VALU_DEP_3)
	v_add_co_ci_u32_e64 v26, null, s55, v26, s8
	v_mad_co_u64_u32 v[35:36], null, s13, v33, v[29:30]
	v_add_co_u32 v32, vcc_lo, v25, v4
	s_wait_alu 0xfffd
	s_delay_alu instid0(VALU_DEP_3) | instskip(SKIP_4) | instid1(VALU_DEP_4)
	v_add_co_ci_u32_e64 v33, null, v26, v5, vcc_lo
	v_lshlrev_b64_e32 v[25:26], 3, v[27:28]
	v_cndmask_b32_e64 v27, 0, v30, s7
	v_cndmask_b32_e64 v28, 0, v35, s7
	v_cmp_gt_i32_e32 vcc_lo, s37, v37
	v_mad_co_u64_u32 v[29:30], null, s13, v37, v[24:25]
	v_add_co_u32 v30, s7, s54, v25
	s_wait_alu 0xf1ff
	v_add_co_ci_u32_e64 v31, null, s55, v26, s7
	v_lshlrev_b64_e32 v[24:25], 3, v[27:28]
	s_wait_alu 0xfffd
	s_delay_alu instid0(VALU_DEP_4) | instskip(SKIP_3) | instid1(VALU_DEP_3)
	v_dual_cndmask_b32 v26, 0, v34 :: v_dual_cndmask_b32 v27, 0, v29
	v_add_co_u32 v34, vcc_lo, v30, v4
	s_wait_alu 0xfffd
	v_add_co_ci_u32_e64 v35, null, v31, v5, vcc_lo
	v_lshlrev_b64_e32 v[26:27], 3, v[26:27]
	v_add_co_u32 v24, vcc_lo, s54, v24
	s_wait_alu 0xfffd
	v_add_co_ci_u32_e64 v25, null, s55, v25, vcc_lo
	s_delay_alu instid0(VALU_DEP_3)
	v_add_co_u32 v26, vcc_lo, s54, v26
	s_wait_alu 0xfffd
	v_add_co_ci_u32_e64 v27, null, s55, v27, vcc_lo
	v_add_co_u32 v44, vcc_lo, v24, v4
	s_wait_alu 0xfffd
	v_add_co_ci_u32_e64 v45, null, v25, v5, vcc_lo
	;; [unrolled: 3-line block ×3, first 2 shown]
	s_clause 0x3
	global_load_b64 v[24:25], v[32:33], off
	global_load_b64 v[26:27], v[34:35], off
	;; [unrolled: 1-line block ×4, first 2 shown]
	s_and_saveexec_b32 s7, s2
	s_cbranch_execz .LBB55_43
; %bb.38:                               ;   in Loop: Header=BB55_5 Depth=1
	s_clause 0x3
	global_load_b64 v[36:37], v[32:33], off offset:512
	global_load_b64 v[38:39], v[34:35], off offset:512
	global_load_b64 v[40:41], v[44:45], off offset:512
	global_load_b64 v[42:43], v[46:47], off offset:512
	s_and_saveexec_b32 s8, s3
	s_cbranch_execz .LBB55_42
; %bb.39:                               ;   in Loop: Header=BB55_5 Depth=1
	s_clause 0x3
	global_load_b64 v[48:49], v[32:33], off offset:1024
	global_load_b64 v[50:51], v[34:35], off offset:1024
	global_load_b64 v[52:53], v[44:45], off offset:1024
	global_load_b64 v[54:55], v[46:47], off offset:1024
	;; [unrolled: 8-line block ×3, first 2 shown]
	s_wait_loadcnt 0x3
	v_fma_f64 v[14:15], v[16:17], v[32:33], v[14:15]
	s_wait_loadcnt 0x2
	s_delay_alu instid0(VALU_DEP_1) | instskip(SKIP_1) | instid1(VALU_DEP_1)
	v_fma_f64 v[14:15], v[18:19], v[34:35], v[14:15]
	s_wait_loadcnt 0x1
	v_fma_f64 v[14:15], v[20:21], v[44:45], v[14:15]
	s_wait_loadcnt 0x0
	s_delay_alu instid0(VALU_DEP_1)
	v_fma_f64 v[14:15], v[22:23], v[46:47], v[14:15]
.LBB55_41:                              ;   in Loop: Header=BB55_5 Depth=1
	s_wait_alu 0xfffe
	s_or_b32 exec_lo, exec_lo, s54
	s_wait_loadcnt 0x3
	v_fma_f64 v[12:13], v[16:17], v[48:49], v[12:13]
	s_wait_loadcnt 0x2
	s_delay_alu instid0(VALU_DEP_1) | instskip(SKIP_1) | instid1(VALU_DEP_1)
	v_fma_f64 v[12:13], v[18:19], v[50:51], v[12:13]
	s_wait_loadcnt 0x1
	v_fma_f64 v[12:13], v[20:21], v[52:53], v[12:13]
	s_wait_loadcnt 0x0
	s_delay_alu instid0(VALU_DEP_1)
	v_fma_f64 v[12:13], v[22:23], v[54:55], v[12:13]
.LBB55_42:                              ;   in Loop: Header=BB55_5 Depth=1
	s_wait_alu 0xfffe
	s_or_b32 exec_lo, exec_lo, s8
	s_wait_loadcnt 0x3
	v_fma_f64 v[10:11], v[16:17], v[36:37], v[10:11]
	s_wait_loadcnt 0x2
	s_delay_alu instid0(VALU_DEP_1) | instskip(SKIP_1) | instid1(VALU_DEP_1)
	v_fma_f64 v[10:11], v[18:19], v[38:39], v[10:11]
	s_wait_loadcnt 0x1
	v_fma_f64 v[10:11], v[20:21], v[40:41], v[10:11]
	s_wait_loadcnt 0x0
	s_delay_alu instid0(VALU_DEP_1)
	v_fma_f64 v[10:11], v[22:23], v[42:43], v[10:11]
.LBB55_43:                              ;   in Loop: Header=BB55_5 Depth=1
	s_wait_alu 0xfffe
	s_or_b32 exec_lo, exec_lo, s7
	s_wait_loadcnt 0x3
	v_fma_f64 v[8:9], v[16:17], v[24:25], v[8:9]
	s_wait_loadcnt 0x2
	s_delay_alu instid0(VALU_DEP_1) | instskip(SKIP_1) | instid1(VALU_DEP_1)
	v_fma_f64 v[8:9], v[18:19], v[26:27], v[8:9]
	s_wait_loadcnt 0x1
	v_fma_f64 v[8:9], v[20:21], v[28:29], v[8:9]
	s_wait_loadcnt 0x0
	s_delay_alu instid0(VALU_DEP_1)
	v_fma_f64 v[8:9], v[22:23], v[30:31], v[8:9]
.LBB55_44:                              ;   in Loop: Header=BB55_5 Depth=1
	s_wait_alu 0xfffe
	s_or_b32 exec_lo, exec_lo, s9
.LBB55_45:                              ;   in Loop: Header=BB55_5 Depth=1
	ds_store_2addr_stride64_b64 v57, v[8:9], v[10:11] offset1:1
	ds_store_2addr_stride64_b64 v57, v[12:13], v[14:15] offset0:2 offset1:3
	s_wait_loadcnt_dscnt 0x0
	s_barrier_signal -1
	s_barrier_wait -1
	global_inv scope:SCOPE_SE
                                        ; implicit-def: $vgpr8_vgpr9
	s_and_saveexec_b32 s7, s0
	s_cbranch_execz .LBB55_51
; %bb.46:                               ;   in Loop: Header=BB55_5 Depth=1
	ds_load_2addr_stride64_b64 v[8:11], v58 offset1:4
	s_mov_b32 s9, s53
	s_wait_dscnt 0x0
	v_add_f64_e32 v[12:13], v[8:9], v[10:11]
	ds_load_2addr_stride64_b64 v[8:11], v58 offset0:8 offset1:12
	s_wait_dscnt 0x0
	v_add_f64_e32 v[8:9], v[8:9], v[12:13]
	s_delay_alu instid0(VALU_DEP_1)
	v_add_f64_e32 v[10:11], v[10:11], v[8:9]
                                        ; implicit-def: $vgpr8_vgpr9
	ds_store_b64 v58, v[10:11]
	s_and_saveexec_b32 s8, s6
	s_cbranch_execz .LBB55_50
; %bb.47:                               ;   in Loop: Header=BB55_5 Depth=1
	v_mul_f64_e32 v[8:9], s[38:39], v[10:11]
	s_and_not1_b32 vcc_lo, exec_lo, s52
	s_wait_alu 0xfffe
	s_cbranch_vccnz .LBB55_49
; %bb.48:                               ;   in Loop: Header=BB55_5 Depth=1
	v_lshlrev_b64_e32 v[10:11], 3, v[2:3]
	s_delay_alu instid0(VALU_DEP_1) | instskip(SKIP_1) | instid1(VALU_DEP_2)
	v_add_co_u32 v10, vcc_lo, s46, v10
	s_wait_alu 0xfffd
	v_add_co_ci_u32_e64 v11, null, s47, v11, vcc_lo
	global_load_b64 v[10:11], v[10:11], off
	s_wait_loadcnt 0x0
	v_fma_f64 v[8:9], s[40:41], v[10:11], v[8:9]
.LBB55_49:                              ;   in Loop: Header=BB55_5 Depth=1
	s_or_b32 s9, s53, exec_lo
.LBB55_50:                              ;   in Loop: Header=BB55_5 Depth=1
	s_wait_alu 0xfffe
	s_or_b32 exec_lo, exec_lo, s8
	s_delay_alu instid0(SALU_CYCLE_1)
	s_and_not1_b32 s8, s53, exec_lo
	s_and_b32 s9, s9, exec_lo
	s_wait_alu 0xfffe
	s_or_b32 s53, s8, s9
.LBB55_51:                              ;   in Loop: Header=BB55_5 Depth=1
	s_wait_alu 0xfffe
	s_or_b32 exec_lo, exec_lo, s7
	v_dual_mov_b32 v11, v3 :: v_dual_mov_b32 v10, v2
	s_and_saveexec_b32 s7, s53
	s_cbranch_execz .LBB55_3
.LBB55_52:                              ;   in Loop: Header=BB55_5 Depth=1
	s_delay_alu instid0(VALU_DEP_1) | instskip(SKIP_1) | instid1(VALU_DEP_1)
	v_lshlrev_b64_e32 v[10:11], 3, v[10:11]
	s_wait_alu 0xfffe
	v_add_co_u32 v10, vcc_lo, s46, v10
	s_wait_alu 0xfffd
	s_delay_alu instid0(VALU_DEP_2)
	v_add_co_ci_u32_e64 v11, null, s47, v11, vcc_lo
	global_store_b64 v[10:11], v[8:9], off
	s_branch .LBB55_3
.LBB55_53:
	s_endpgm
	.section	.rodata,"a",@progbits
	.p2align	6, 0x0
	.amdhsa_kernel _ZL20rocblas_gemvn_kernelILi64ELi4EldddEviiT3_lPKT2_lT1_lS3_lS4_lS0_lPT4_lS4_li
		.amdhsa_group_segment_fixed_size 8192
		.amdhsa_private_segment_fixed_size 0
		.amdhsa_kernarg_size 400
		.amdhsa_user_sgpr_count 2
		.amdhsa_user_sgpr_dispatch_ptr 0
		.amdhsa_user_sgpr_queue_ptr 0
		.amdhsa_user_sgpr_kernarg_segment_ptr 1
		.amdhsa_user_sgpr_dispatch_id 0
		.amdhsa_user_sgpr_private_segment_size 0
		.amdhsa_wavefront_size32 1
		.amdhsa_uses_dynamic_stack 0
		.amdhsa_enable_private_segment 0
		.amdhsa_system_sgpr_workgroup_id_x 1
		.amdhsa_system_sgpr_workgroup_id_y 0
		.amdhsa_system_sgpr_workgroup_id_z 1
		.amdhsa_system_sgpr_workgroup_info 0
		.amdhsa_system_vgpr_workitem_id 1
		.amdhsa_next_free_vgpr 92
		.amdhsa_next_free_sgpr 58
		.amdhsa_reserve_vcc 1
		.amdhsa_float_round_mode_32 0
		.amdhsa_float_round_mode_16_64 0
		.amdhsa_float_denorm_mode_32 3
		.amdhsa_float_denorm_mode_16_64 3
		.amdhsa_fp16_overflow 0
		.amdhsa_workgroup_processor_mode 1
		.amdhsa_memory_ordered 1
		.amdhsa_forward_progress 1
		.amdhsa_inst_pref_size 31
		.amdhsa_round_robin_scheduling 0
		.amdhsa_exception_fp_ieee_invalid_op 0
		.amdhsa_exception_fp_denorm_src 0
		.amdhsa_exception_fp_ieee_div_zero 0
		.amdhsa_exception_fp_ieee_overflow 0
		.amdhsa_exception_fp_ieee_underflow 0
		.amdhsa_exception_fp_ieee_inexact 0
		.amdhsa_exception_int_div_zero 0
	.end_amdhsa_kernel
	.section	.text._ZL20rocblas_gemvn_kernelILi64ELi4EldddEviiT3_lPKT2_lT1_lS3_lS4_lS0_lPT4_lS4_li,"axG",@progbits,_ZL20rocblas_gemvn_kernelILi64ELi4EldddEviiT3_lPKT2_lT1_lS3_lS4_lS0_lPT4_lS4_li,comdat
.Lfunc_end55:
	.size	_ZL20rocblas_gemvn_kernelILi64ELi4EldddEviiT3_lPKT2_lT1_lS3_lS4_lS0_lPT4_lS4_li, .Lfunc_end55-_ZL20rocblas_gemvn_kernelILi64ELi4EldddEviiT3_lPKT2_lT1_lS3_lS4_lS0_lPT4_lS4_li
                                        ; -- End function
	.set _ZL20rocblas_gemvn_kernelILi64ELi4EldddEviiT3_lPKT2_lT1_lS3_lS4_lS0_lPT4_lS4_li.num_vgpr, 92
	.set _ZL20rocblas_gemvn_kernelILi64ELi4EldddEviiT3_lPKT2_lT1_lS3_lS4_lS0_lPT4_lS4_li.num_agpr, 0
	.set _ZL20rocblas_gemvn_kernelILi64ELi4EldddEviiT3_lPKT2_lT1_lS3_lS4_lS0_lPT4_lS4_li.numbered_sgpr, 58
	.set _ZL20rocblas_gemvn_kernelILi64ELi4EldddEviiT3_lPKT2_lT1_lS3_lS4_lS0_lPT4_lS4_li.num_named_barrier, 0
	.set _ZL20rocblas_gemvn_kernelILi64ELi4EldddEviiT3_lPKT2_lT1_lS3_lS4_lS0_lPT4_lS4_li.private_seg_size, 0
	.set _ZL20rocblas_gemvn_kernelILi64ELi4EldddEviiT3_lPKT2_lT1_lS3_lS4_lS0_lPT4_lS4_li.uses_vcc, 1
	.set _ZL20rocblas_gemvn_kernelILi64ELi4EldddEviiT3_lPKT2_lT1_lS3_lS4_lS0_lPT4_lS4_li.uses_flat_scratch, 0
	.set _ZL20rocblas_gemvn_kernelILi64ELi4EldddEviiT3_lPKT2_lT1_lS3_lS4_lS0_lPT4_lS4_li.has_dyn_sized_stack, 0
	.set _ZL20rocblas_gemvn_kernelILi64ELi4EldddEviiT3_lPKT2_lT1_lS3_lS4_lS0_lPT4_lS4_li.has_recursion, 0
	.set _ZL20rocblas_gemvn_kernelILi64ELi4EldddEviiT3_lPKT2_lT1_lS3_lS4_lS0_lPT4_lS4_li.has_indirect_call, 0
	.section	.AMDGPU.csdata,"",@progbits
; Kernel info:
; codeLenInByte = 3876
; TotalNumSgprs: 60
; NumVgprs: 92
; ScratchSize: 0
; MemoryBound: 1
; FloatMode: 240
; IeeeMode: 1
; LDSByteSize: 8192 bytes/workgroup (compile time only)
; SGPRBlocks: 0
; VGPRBlocks: 11
; NumSGPRsForWavesPerEU: 60
; NumVGPRsForWavesPerEU: 92
; Occupancy: 16
; WaveLimiterHint : 1
; COMPUTE_PGM_RSRC2:SCRATCH_EN: 0
; COMPUTE_PGM_RSRC2:USER_SGPR: 2
; COMPUTE_PGM_RSRC2:TRAP_HANDLER: 0
; COMPUTE_PGM_RSRC2:TGID_X_EN: 1
; COMPUTE_PGM_RSRC2:TGID_Y_EN: 0
; COMPUTE_PGM_RSRC2:TGID_Z_EN: 1
; COMPUTE_PGM_RSRC2:TIDIG_COMP_CNT: 1
	.section	.text._ZL24rocblas_gemv_scal_kernelILi256EPKdPdEviT0_lT1_lili,"axG",@progbits,_ZL24rocblas_gemv_scal_kernelILi256EPKdPdEviT0_lT1_lili,comdat
	.globl	_ZL24rocblas_gemv_scal_kernelILi256EPKdPdEviT0_lT1_lili ; -- Begin function _ZL24rocblas_gemv_scal_kernelILi256EPKdPdEviT0_lT1_lili
	.p2align	8
	.type	_ZL24rocblas_gemv_scal_kernelILi256EPKdPdEviT0_lT1_lili,@function
_ZL24rocblas_gemv_scal_kernelILi256EPKdPdEviT0_lT1_lili: ; @_ZL24rocblas_gemv_scal_kernelILi256EPKdPdEviT0_lT1_lili
; %bb.0:
	s_load_b32 s18, s[0:1], 0x38
	s_lshr_b32 s2, ttmp7, 16
	s_wait_kmcnt 0x0
	s_cmp_ge_u32 s2, s18
	s_cbranch_scc1 .LBB56_9
; %bb.1:
	s_clause 0x3
	s_load_b32 s12, s[0:1], 0x0
	s_load_b256 s[4:11], s[0:1], 0x8
	s_load_b32 s19, s[0:1], 0x28
	s_load_b64 s[14:15], s[0:1], 0x30
	v_mov_b32_e32 v2, 0
	s_add_nc_u64 s[16:17], s[0:1], 64
	s_mov_b32 s3, 0
	s_wait_kmcnt 0x0
	s_ashr_i32 s13, s12, 31
	s_lshl_b64 s[10:11], s[10:11], 3
	s_ashr_i32 s1, s19, 31
	s_add_nc_u64 s[8:9], s[8:9], s[10:11]
	s_branch .LBB56_5
.LBB56_2:                               ;   in Loop: Header=BB56_5 Depth=1
	global_store_b64 v[5:6], v[7:8], off
.LBB56_3:                               ;   in Loop: Header=BB56_5 Depth=1
	s_or_b32 exec_lo, exec_lo, s10
.LBB56_4:                               ;   in Loop: Header=BB56_5 Depth=1
	s_add_co_i32 s2, s2, 0x10000
	s_delay_alu instid0(SALU_CYCLE_1)
	s_cmp_lt_u32 s2, s18
	s_cbranch_scc0 .LBB56_9
.LBB56_5:                               ; =>This Inner Loop Header: Depth=1
	s_mul_u64 s[10:11], s[6:7], s[2:3]
	s_delay_alu instid0(SALU_CYCLE_1) | instskip(NEXT) | instid1(SALU_CYCLE_1)
	s_lshl_b64 s[10:11], s[10:11], 3
	s_add_nc_u64 s[10:11], s[4:5], s[10:11]
	global_load_b64 v[3:4], v2, s[10:11]
	s_wait_loadcnt 0x0
	v_cmp_eq_f64_e32 vcc_lo, 1.0, v[3:4]
	s_cbranch_vccnz .LBB56_4
; %bb.6:                                ;   in Loop: Header=BB56_5 Depth=1
	s_load_b32 s0, s[16:17], 0xc
	s_mov_b32 s10, exec_lo
	s_wait_kmcnt 0x0
	s_and_b32 s0, s0, 0xffff
	s_wait_alu 0xfffe
	v_mad_co_u64_u32 v[5:6], null, ttmp9, s0, v[0:1]
	s_delay_alu instid0(VALU_DEP_1) | instskip(NEXT) | instid1(VALU_DEP_1)
	v_mov_b32_e32 v1, v5
	v_cmpx_gt_i64_e64 s[12:13], v[1:2]
	s_cbranch_execz .LBB56_3
; %bb.7:                                ;   in Loop: Header=BB56_5 Depth=1
	v_cmp_eq_f64_e32 vcc_lo, 0, v[3:4]
	v_mad_co_u64_u32 v[5:6], null, v1, s19, 0
	s_mul_u64 s[20:21], s[14:15], s[2:3]
	s_wait_alu 0xfffe
	s_lshl_b64 s[20:21], s[20:21], 3
	s_wait_alu 0xfffe
	s_add_nc_u64 s[20:21], s[8:9], s[20:21]
	v_mad_co_u64_u32 v[6:7], null, v1, s1, v[6:7]
	v_mov_b32_e32 v7, 0
	v_mov_b32_e32 v8, 0
	s_delay_alu instid0(VALU_DEP_3) | instskip(SKIP_1) | instid1(VALU_DEP_1)
	v_lshlrev_b64_e32 v[5:6], 3, v[5:6]
	s_wait_alu 0xfffe
	v_add_co_u32 v5, s0, s20, v5
	s_wait_alu 0xf1ff
	s_delay_alu instid0(VALU_DEP_2)
	v_add_co_ci_u32_e64 v6, null, s21, v6, s0
	s_cbranch_vccnz .LBB56_2
; %bb.8:                                ;   in Loop: Header=BB56_5 Depth=1
	global_load_b64 v[7:8], v[5:6], off
	s_wait_loadcnt 0x0
	v_mul_f64_e32 v[7:8], v[3:4], v[7:8]
	s_branch .LBB56_2
.LBB56_9:
	s_endpgm
	.section	.rodata,"a",@progbits
	.p2align	6, 0x0
	.amdhsa_kernel _ZL24rocblas_gemv_scal_kernelILi256EPKdPdEviT0_lT1_lili
		.amdhsa_group_segment_fixed_size 0
		.amdhsa_private_segment_fixed_size 0
		.amdhsa_kernarg_size 320
		.amdhsa_user_sgpr_count 2
		.amdhsa_user_sgpr_dispatch_ptr 0
		.amdhsa_user_sgpr_queue_ptr 0
		.amdhsa_user_sgpr_kernarg_segment_ptr 1
		.amdhsa_user_sgpr_dispatch_id 0
		.amdhsa_user_sgpr_private_segment_size 0
		.amdhsa_wavefront_size32 1
		.amdhsa_uses_dynamic_stack 0
		.amdhsa_enable_private_segment 0
		.amdhsa_system_sgpr_workgroup_id_x 1
		.amdhsa_system_sgpr_workgroup_id_y 0
		.amdhsa_system_sgpr_workgroup_id_z 1
		.amdhsa_system_sgpr_workgroup_info 0
		.amdhsa_system_vgpr_workitem_id 0
		.amdhsa_next_free_vgpr 9
		.amdhsa_next_free_sgpr 22
		.amdhsa_reserve_vcc 1
		.amdhsa_float_round_mode_32 0
		.amdhsa_float_round_mode_16_64 0
		.amdhsa_float_denorm_mode_32 3
		.amdhsa_float_denorm_mode_16_64 3
		.amdhsa_fp16_overflow 0
		.amdhsa_workgroup_processor_mode 1
		.amdhsa_memory_ordered 1
		.amdhsa_forward_progress 1
		.amdhsa_inst_pref_size 3
		.amdhsa_round_robin_scheduling 0
		.amdhsa_exception_fp_ieee_invalid_op 0
		.amdhsa_exception_fp_denorm_src 0
		.amdhsa_exception_fp_ieee_div_zero 0
		.amdhsa_exception_fp_ieee_overflow 0
		.amdhsa_exception_fp_ieee_underflow 0
		.amdhsa_exception_fp_ieee_inexact 0
		.amdhsa_exception_int_div_zero 0
	.end_amdhsa_kernel
	.section	.text._ZL24rocblas_gemv_scal_kernelILi256EPKdPdEviT0_lT1_lili,"axG",@progbits,_ZL24rocblas_gemv_scal_kernelILi256EPKdPdEviT0_lT1_lili,comdat
.Lfunc_end56:
	.size	_ZL24rocblas_gemv_scal_kernelILi256EPKdPdEviT0_lT1_lili, .Lfunc_end56-_ZL24rocblas_gemv_scal_kernelILi256EPKdPdEviT0_lT1_lili
                                        ; -- End function
	.set _ZL24rocblas_gemv_scal_kernelILi256EPKdPdEviT0_lT1_lili.num_vgpr, 9
	.set _ZL24rocblas_gemv_scal_kernelILi256EPKdPdEviT0_lT1_lili.num_agpr, 0
	.set _ZL24rocblas_gemv_scal_kernelILi256EPKdPdEviT0_lT1_lili.numbered_sgpr, 22
	.set _ZL24rocblas_gemv_scal_kernelILi256EPKdPdEviT0_lT1_lili.num_named_barrier, 0
	.set _ZL24rocblas_gemv_scal_kernelILi256EPKdPdEviT0_lT1_lili.private_seg_size, 0
	.set _ZL24rocblas_gemv_scal_kernelILi256EPKdPdEviT0_lT1_lili.uses_vcc, 1
	.set _ZL24rocblas_gemv_scal_kernelILi256EPKdPdEviT0_lT1_lili.uses_flat_scratch, 0
	.set _ZL24rocblas_gemv_scal_kernelILi256EPKdPdEviT0_lT1_lili.has_dyn_sized_stack, 0
	.set _ZL24rocblas_gemv_scal_kernelILi256EPKdPdEviT0_lT1_lili.has_recursion, 0
	.set _ZL24rocblas_gemv_scal_kernelILi256EPKdPdEviT0_lT1_lili.has_indirect_call, 0
	.section	.AMDGPU.csdata,"",@progbits
; Kernel info:
; codeLenInByte = 344
; TotalNumSgprs: 24
; NumVgprs: 9
; ScratchSize: 0
; MemoryBound: 1
; FloatMode: 240
; IeeeMode: 1
; LDSByteSize: 0 bytes/workgroup (compile time only)
; SGPRBlocks: 0
; VGPRBlocks: 1
; NumSGPRsForWavesPerEU: 24
; NumVGPRsForWavesPerEU: 9
; Occupancy: 16
; WaveLimiterHint : 0
; COMPUTE_PGM_RSRC2:SCRATCH_EN: 0
; COMPUTE_PGM_RSRC2:USER_SGPR: 2
; COMPUTE_PGM_RSRC2:TRAP_HANDLER: 0
; COMPUTE_PGM_RSRC2:TGID_X_EN: 1
; COMPUTE_PGM_RSRC2:TGID_Y_EN: 0
; COMPUTE_PGM_RSRC2:TGID_Z_EN: 1
; COMPUTE_PGM_RSRC2:TIDIG_COMP_CNT: 0
	.section	.text._ZL24rocblas_gemv_scal_kernelILi256EdPdEviT0_lT1_lili,"axG",@progbits,_ZL24rocblas_gemv_scal_kernelILi256EdPdEviT0_lT1_lili,comdat
	.globl	_ZL24rocblas_gemv_scal_kernelILi256EdPdEviT0_lT1_lili ; -- Begin function _ZL24rocblas_gemv_scal_kernelILi256EdPdEviT0_lT1_lili
	.p2align	8
	.type	_ZL24rocblas_gemv_scal_kernelILi256EdPdEviT0_lT1_lili,@function
_ZL24rocblas_gemv_scal_kernelILi256EdPdEviT0_lT1_lili: ; @_ZL24rocblas_gemv_scal_kernelILi256EdPdEviT0_lT1_lili
; %bb.0:
	s_load_b32 s12, s[0:1], 0x38
	s_lshr_b32 s2, ttmp7, 16
	s_wait_kmcnt 0x0
	s_cmp_ge_u32 s2, s12
	s_cbranch_scc1 .LBB57_10
; %bb.1:
	s_clause 0x4
	s_load_b32 s4, s[0:1], 0x0
	s_load_b32 s13, s[0:1], 0x28
	s_load_b128 s[20:23], s[0:1], 0x18
	s_load_b64 s[6:7], s[0:1], 0x8
	s_load_b64 s[8:9], s[0:1], 0x30
	v_mov_b32_e32 v2, 0
	s_add_nc_u64 s[0:1], s[0:1], 64
	s_mov_b32 s3, 0
	s_wait_kmcnt 0x0
	s_ashr_i32 s5, s4, 31
	s_ashr_i32 s14, s13, 31
	s_lshl_b64 s[10:11], s[22:23], 3
	v_cmp_neq_f64_e64 s15, s[6:7], 1.0
	v_cmp_neq_f64_e64 s16, s[6:7], 0
	s_add_nc_u64 s[10:11], s[20:21], s[10:11]
	s_branch .LBB57_6
.LBB57_2:                               ;   in Loop: Header=BB57_6 Depth=1
	global_load_b64 v[5:6], v[3:4], off
	s_wait_loadcnt 0x0
	v_mul_f64_e32 v[5:6], s[6:7], v[5:6]
.LBB57_3:                               ;   in Loop: Header=BB57_6 Depth=1
	global_store_b64 v[3:4], v[5:6], off
.LBB57_4:                               ;   in Loop: Header=BB57_6 Depth=1
	s_wait_alu 0xfffe
	s_or_b32 exec_lo, exec_lo, s17
.LBB57_5:                               ;   in Loop: Header=BB57_6 Depth=1
	s_add_co_i32 s2, s2, 0x10000
	s_delay_alu instid0(SALU_CYCLE_1)
	s_cmp_lt_u32 s2, s12
	s_cbranch_scc0 .LBB57_10
.LBB57_6:                               ; =>This Inner Loop Header: Depth=1
	s_and_not1_b32 vcc_lo, exec_lo, s15
	s_wait_alu 0xfffe
	s_cbranch_vccnz .LBB57_5
; %bb.7:                                ;   in Loop: Header=BB57_6 Depth=1
	s_load_b32 s17, s[0:1], 0xc
	s_wait_kmcnt 0x0
	s_and_b32 s17, s17, 0xffff
	s_wait_alu 0xfffe
	v_mad_co_u64_u32 v[3:4], null, ttmp9, s17, v[0:1]
	s_mov_b32 s17, exec_lo
	v_mov_b32_e32 v1, v3
	s_delay_alu instid0(VALU_DEP_1)
	v_cmpx_gt_i64_e64 s[4:5], v[1:2]
	s_cbranch_execz .LBB57_4
; %bb.8:                                ;   in Loop: Header=BB57_6 Depth=1
	v_mad_co_u64_u32 v[3:4], null, v1, s13, 0
	s_mul_u64 s[18:19], s[8:9], s[2:3]
	s_wait_alu 0xfffe
	s_lshl_b64 s[18:19], s[18:19], 3
	s_wait_alu 0xfffe
	s_add_nc_u64 s[18:19], s[10:11], s[18:19]
	v_mad_co_u64_u32 v[4:5], null, v1, s14, v[4:5]
	s_delay_alu instid0(VALU_DEP_1) | instskip(SKIP_1) | instid1(VALU_DEP_1)
	v_lshlrev_b64_e32 v[3:4], 3, v[3:4]
	s_wait_alu 0xfffe
	v_add_co_u32 v3, vcc_lo, s18, v3
	s_wait_alu 0xfffd
	s_delay_alu instid0(VALU_DEP_2)
	v_add_co_ci_u32_e64 v4, null, s19, v4, vcc_lo
	s_and_not1_b32 vcc_lo, exec_lo, s16
	s_wait_alu 0xfffe
	s_cbranch_vccz .LBB57_2
; %bb.9:                                ;   in Loop: Header=BB57_6 Depth=1
	v_mov_b32_e32 v5, 0
	v_mov_b32_e32 v6, 0
	s_branch .LBB57_3
.LBB57_10:
	s_endpgm
	.section	.rodata,"a",@progbits
	.p2align	6, 0x0
	.amdhsa_kernel _ZL24rocblas_gemv_scal_kernelILi256EdPdEviT0_lT1_lili
		.amdhsa_group_segment_fixed_size 0
		.amdhsa_private_segment_fixed_size 0
		.amdhsa_kernarg_size 320
		.amdhsa_user_sgpr_count 2
		.amdhsa_user_sgpr_dispatch_ptr 0
		.amdhsa_user_sgpr_queue_ptr 0
		.amdhsa_user_sgpr_kernarg_segment_ptr 1
		.amdhsa_user_sgpr_dispatch_id 0
		.amdhsa_user_sgpr_private_segment_size 0
		.amdhsa_wavefront_size32 1
		.amdhsa_uses_dynamic_stack 0
		.amdhsa_enable_private_segment 0
		.amdhsa_system_sgpr_workgroup_id_x 1
		.amdhsa_system_sgpr_workgroup_id_y 0
		.amdhsa_system_sgpr_workgroup_id_z 1
		.amdhsa_system_sgpr_workgroup_info 0
		.amdhsa_system_vgpr_workitem_id 0
		.amdhsa_next_free_vgpr 7
		.amdhsa_next_free_sgpr 24
		.amdhsa_reserve_vcc 1
		.amdhsa_float_round_mode_32 0
		.amdhsa_float_round_mode_16_64 0
		.amdhsa_float_denorm_mode_32 3
		.amdhsa_float_denorm_mode_16_64 3
		.amdhsa_fp16_overflow 0
		.amdhsa_workgroup_processor_mode 1
		.amdhsa_memory_ordered 1
		.amdhsa_forward_progress 1
		.amdhsa_inst_pref_size 3
		.amdhsa_round_robin_scheduling 0
		.amdhsa_exception_fp_ieee_invalid_op 0
		.amdhsa_exception_fp_denorm_src 0
		.amdhsa_exception_fp_ieee_div_zero 0
		.amdhsa_exception_fp_ieee_overflow 0
		.amdhsa_exception_fp_ieee_underflow 0
		.amdhsa_exception_fp_ieee_inexact 0
		.amdhsa_exception_int_div_zero 0
	.end_amdhsa_kernel
	.section	.text._ZL24rocblas_gemv_scal_kernelILi256EdPdEviT0_lT1_lili,"axG",@progbits,_ZL24rocblas_gemv_scal_kernelILi256EdPdEviT0_lT1_lili,comdat
.Lfunc_end57:
	.size	_ZL24rocblas_gemv_scal_kernelILi256EdPdEviT0_lT1_lili, .Lfunc_end57-_ZL24rocblas_gemv_scal_kernelILi256EdPdEviT0_lT1_lili
                                        ; -- End function
	.set _ZL24rocblas_gemv_scal_kernelILi256EdPdEviT0_lT1_lili.num_vgpr, 7
	.set _ZL24rocblas_gemv_scal_kernelILi256EdPdEviT0_lT1_lili.num_agpr, 0
	.set _ZL24rocblas_gemv_scal_kernelILi256EdPdEviT0_lT1_lili.numbered_sgpr, 24
	.set _ZL24rocblas_gemv_scal_kernelILi256EdPdEviT0_lT1_lili.num_named_barrier, 0
	.set _ZL24rocblas_gemv_scal_kernelILi256EdPdEviT0_lT1_lili.private_seg_size, 0
	.set _ZL24rocblas_gemv_scal_kernelILi256EdPdEviT0_lT1_lili.uses_vcc, 1
	.set _ZL24rocblas_gemv_scal_kernelILi256EdPdEviT0_lT1_lili.uses_flat_scratch, 0
	.set _ZL24rocblas_gemv_scal_kernelILi256EdPdEviT0_lT1_lili.has_dyn_sized_stack, 0
	.set _ZL24rocblas_gemv_scal_kernelILi256EdPdEviT0_lT1_lili.has_recursion, 0
	.set _ZL24rocblas_gemv_scal_kernelILi256EdPdEviT0_lT1_lili.has_indirect_call, 0
	.section	.AMDGPU.csdata,"",@progbits
; Kernel info:
; codeLenInByte = 348
; TotalNumSgprs: 26
; NumVgprs: 7
; ScratchSize: 0
; MemoryBound: 1
; FloatMode: 240
; IeeeMode: 1
; LDSByteSize: 0 bytes/workgroup (compile time only)
; SGPRBlocks: 0
; VGPRBlocks: 0
; NumSGPRsForWavesPerEU: 26
; NumVGPRsForWavesPerEU: 7
; Occupancy: 16
; WaveLimiterHint : 0
; COMPUTE_PGM_RSRC2:SCRATCH_EN: 0
; COMPUTE_PGM_RSRC2:USER_SGPR: 2
; COMPUTE_PGM_RSRC2:TRAP_HANDLER: 0
; COMPUTE_PGM_RSRC2:TGID_X_EN: 1
; COMPUTE_PGM_RSRC2:TGID_Y_EN: 0
; COMPUTE_PGM_RSRC2:TGID_Z_EN: 1
; COMPUTE_PGM_RSRC2:TIDIG_COMP_CNT: 0
	.section	.text._ZL36rocblas_gemvn_double_buffered_kernelILi128ELi4ELi16EdPKddEviiT3_lPKT2_lilS5_lilPT4_lili,"axG",@progbits,_ZL36rocblas_gemvn_double_buffered_kernelILi128ELi4ELi16EdPKddEviiT3_lPKT2_lilS5_lilPT4_lili,comdat
	.globl	_ZL36rocblas_gemvn_double_buffered_kernelILi128ELi4ELi16EdPKddEviiT3_lPKT2_lilS5_lilPT4_lili ; -- Begin function _ZL36rocblas_gemvn_double_buffered_kernelILi128ELi4ELi16EdPKddEviiT3_lPKT2_lilS5_lilPT4_lili
	.p2align	8
	.type	_ZL36rocblas_gemvn_double_buffered_kernelILi128ELi4ELi16EdPKddEviiT3_lPKT2_lilS5_lilPT4_lili,@function
_ZL36rocblas_gemvn_double_buffered_kernelILi128ELi4ELi16EdPKddEviiT3_lPKT2_lilS5_lilPT4_lili: ; @_ZL36rocblas_gemvn_double_buffered_kernelILi128ELi4ELi16EdPKddEviiT3_lPKT2_lilS5_lilPT4_lili
; %bb.0:
	s_load_b32 s33, s[0:1], 0x78
	s_lshr_b32 s2, ttmp7, 16
	s_wait_kmcnt 0x0
	s_cmp_ge_u32 s2, s33
	s_cbranch_scc1 .LBB58_16
; %bb.1:
	v_and_b32_e32 v6, 0x3ff, v0
	v_bfe_u32 v7, v0, 10, 10
	v_dual_mov_b32 v64, 0 :: v_dual_and_b32 v63, 63, v0
	s_and_b32 s46, ttmp7, 0xffff
	s_clause 0x5
	s_load_b32 s28, s[0:1], 0x28
	s_load_b96 s[20:22], s[0:1], 0x40
	s_load_b96 s[24:26], s[0:1], 0x60
	s_load_b256 s[4:11], s[0:1], 0x8
	s_load_b32 s3, s[0:1], 0x4
	s_load_b128 s[16:19], s[0:1], 0x50
	v_lshl_add_u32 v0, v7, 7, v6
	s_lshl_b32 s42, ttmp9, 7
	s_clause 0x1
	s_load_b128 s[12:15], s[0:1], 0x30
	s_load_b64 s[30:31], s[0:1], 0x70
	s_ashr_i32 s43, s42, 31
	v_lshlrev_b32_e32 v175, 3, v63
	v_lshrrev_b32_e32 v8, 6, v0
	v_cvt_f64_i32_e32 v[0:1], s46
	v_lshlrev_b32_e32 v177, 3, v6
	s_delay_alu instid0(VALU_DEP_3)
	v_lshlrev_b32_e32 v180, 7, v8
	v_lshlrev_b32_e32 v4, 4, v8
	v_lshl_or_b32 v176, v8, 10, v175
	s_wait_kmcnt 0x0
	s_ashr_i32 s29, s28, 31
	s_ashr_i32 s35, s22, 31
	;; [unrolled: 1-line block ×3, first 2 shown]
	s_mov_b32 s36, s26
	s_lshl_b64 s[24:25], s[24:25], 3
	s_mul_u64 s[36:37], s[36:37], s[42:43]
	s_add_nc_u64 s[40:41], s[18:19], s[24:25]
	s_add_nc_u64 s[18:19], s[0:1], 0x80
	s_lshl_b64 s[0:1], s[36:37], 3
	v_mad_co_i64_i32 v[2:3], null, s26, v6, 0
	s_add_nc_u64 s[36:37], s[40:41], s[0:1]
	v_add_co_u32 v181, s1, 0x400, v180
	s_delay_alu instid0(VALU_DEP_1)
	v_add_co_ci_u32_e64 v182, null, 0, 0, s1
	v_add_co_u32 v183, s1, 0x410, v180
	s_wait_alu 0xf1ff
	v_add_co_ci_u32_e64 v184, null, 0, 0, s1
	v_add_co_u32 v185, s1, 0x418, v180
	s_wait_alu 0xf1ff
	;; [unrolled: 3-line block ×3, first 2 shown]
	v_add_co_ci_u32_e64 v188, null, 0, 0, s1
	v_add_co_u32 v189, s1, 0x428, v180
	v_max_num_f64_e32 v[65:66], v[0:1], v[0:1]
	s_wait_alu 0xf1ff
	v_add_co_ci_u32_e64 v190, null, 0, 0, s1
	v_add_co_u32 v191, s1, 0x430, v180
	s_wait_alu 0xf1ff
	v_add_co_ci_u32_e64 v192, null, 0, 0, s1
	v_add_co_u32 v193, s1, 0x438, v180
	;; [unrolled: 3-line block ×7, first 2 shown]
	v_mad_co_i64_i32 v[4:5], null, s28, v4, v[63:64]
	v_lshlrev_b64_e32 v[2:3], 3, v[2:3]
	s_wait_alu 0xf1ff
	v_add_co_ci_u32_e64 v204, null, 0, 0, s1
	v_add_co_u32 v205, s1, 0x468, v180
	s_wait_alu 0xf1ff
	v_add_co_ci_u32_e64 v206, null, 0, 0, s1
	v_add_co_u32 v207, s1, 0x470, v180
	s_lshl_b64 s[38:39], s[10:11], 3
	s_ashr_i32 s10, s3, 31
	s_wait_alu 0xf1ff
	v_add_co_ci_u32_e64 v208, null, 0, 0, s1
	v_add_co_u32 v209, s1, 0x478, v180
	s_lshr_b32 s10, s10, 25
	s_lshl_b64 s[42:43], s[42:43], 3
	v_add_co_u32 v178, vcc_lo, s36, v2
	s_wait_alu 0xf1ff
	v_add_co_ci_u32_e64 v210, null, 0, 0, s1
	v_add_co_u32 v211, s1, 0x408, v180
	s_mov_b32 s34, s22
	s_add_co_i32 s3, s3, s10
	s_lshl_b32 s40, s22, 7
	s_add_nc_u64 s[22:23], s[38:39], s[42:43]
	v_lshlrev_b64_e32 v[67:68], 3, v[4:5]
	v_cmp_eq_u32_e64 s0, 0, v7
	v_add_co_ci_u32_e64 v179, null, s37, v3, vcc_lo
	s_wait_alu 0xf1ff
	v_add_co_ci_u32_e64 v212, null, 0, 0, s1
	s_add_nc_u64 s[24:25], s[8:9], s[38:39]
	s_ashr_i32 s10, s3, 7
	s_mov_b32 s3, 0
	s_ashr_i32 s41, s40, 31
	s_add_nc_u64 s[8:9], s[8:9], s[22:23]
	s_lshl_b64 s[20:21], s[20:21], 3
	s_add_nc_u64 s[24:25], s[24:25], s[42:43]
	s_lshl_b64 s[26:27], s[28:29], 10
	s_mov_b32 s11, s3
	s_lshl_b64 s[22:23], s[28:29], 3
	s_add_nc_u64 s[36:37], s[8:9], 0x200
	s_lshl_b64 s[38:39], s[12:13], 3
	s_add_nc_u64 s[14:15], s[14:15], s[20:21]
	s_lshl_b64 s[16:17], s[16:17], 3
	s_lshl_b64 s[20:21], s[40:41], 3
	;; [unrolled: 1-line block ×3, first 2 shown]
	s_branch .LBB58_4
.LBB58_2:                               ;   in Loop: Header=BB58_4 Depth=1
	s_wait_alu 0xfffe
	s_or_b32 exec_lo, exec_lo, s1
.LBB58_3:                               ;   in Loop: Header=BB58_4 Depth=1
	s_add_co_i32 s2, s2, 0x10000
	s_delay_alu instid0(SALU_CYCLE_1)
	s_cmp_lt_u32 s2, s33
	s_cbranch_scc0 .LBB58_16
.LBB58_4:                               ; =>This Loop Header: Depth=1
                                        ;     Child Loop BB58_8 Depth 2
                                        ;     Child Loop BB58_15 Depth 2
	s_mul_u64 s[42:43], s[6:7], s[2:3]
	s_wait_alu 0xfffe
	s_lshl_b64 s[42:43], s[42:43], 3
	s_wait_alu 0xfffe
	s_add_nc_u64 s[42:43], s[4:5], s[42:43]
	global_load_b64 v[69:70], v64, s[42:43]
	s_wait_loadcnt 0x0
	v_cmp_eq_f64_e32 vcc_lo, 0, v[69:70]
	s_cbranch_vccnz .LBB58_3
; %bb.5:                                ;   in Loop: Header=BB58_4 Depth=1
	s_load_b32 s44, s[18:19], 0x4
	s_mov_b32 s43, s3
	s_wait_kmcnt 0x0
	s_cvt_f32_u32 s1, s44
	s_sub_co_i32 s42, 0, s44
	s_wait_alu 0xfffe
	s_delay_alu instid0(SALU_CYCLE_1) | instskip(NEXT) | instid1(TRANS32_DEP_1)
	v_rcp_iflag_f32_e32 v0, s1
	v_readfirstlane_b32 s1, v0
	s_mul_f32 s1, s1, 0x4f7ffffe
	s_wait_alu 0xfffe
	s_delay_alu instid0(SALU_CYCLE_2) | instskip(SKIP_1) | instid1(SALU_CYCLE_2)
	s_cvt_u32_f32 s1, s1
	s_wait_alu 0xfffe
	s_mul_i32 s42, s42, s1
	s_wait_alu 0xfffe
	s_mul_hi_u32 s42, s1, s42
	s_wait_alu 0xfffe
	s_add_co_i32 s42, s1, s42
	s_wait_alu 0xfffe
	s_mul_u64 s[42:43], s[10:11], s[42:43]
	s_wait_alu 0xfffe
	s_mul_i32 s1, s43, s44
	s_add_co_i32 s42, s43, 1
	s_wait_alu 0xfffe
	s_sub_co_i32 s1, s10, s1
	s_wait_alu 0xfffe
	s_sub_co_i32 s45, s1, s44
	s_cmp_ge_u32 s1, s44
	s_cselect_b32 s42, s42, s43
	s_wait_alu 0xfffe
	s_cselect_b32 s1, s45, s1
	s_add_co_i32 s43, s42, 1
	s_wait_alu 0xfffe
	s_cmp_ge_u32 s1, s44
	s_cselect_b32 s1, s43, s42
	s_wait_alu 0xfffe
	s_mul_i32 s42, s1, s44
	s_wait_alu 0xfffe
	s_sub_co_i32 s42, s10, s42
	s_wait_alu 0xfffe
	s_cmp_lt_u32 s46, s42
	s_cselect_b32 s43, -1, 0
	s_wait_alu 0xfffe
	s_cmp_lg_u32 s43, 0
	s_add_co_ci_u32 s47, s1, 0
	s_wait_alu 0xfffe
	s_cmp_eq_u32 s47, 0
	s_cbranch_scc1 .LBB58_3
; %bb.6:                                ;   in Loop: Header=BB58_4 Depth=1
	s_cmp_lt_i32 s47, 1
	s_cbranch_scc1 .LBB58_12
; %bb.7:                                ;   in Loop: Header=BB58_4 Depth=1
	v_cvt_f64_u32_e32 v[0:1], s42
	s_mul_i32 s1, s1, s46
	s_mul_u64 s[44:45], s[12:13], s[2:3]
	s_wait_alu 0xfffe
	v_cvt_f64_u32_e32 v[2:3], s1
	s_lshl_b64 s[44:45], s[44:45], 3
	v_mov_b32_e32 v107, 0
	s_wait_alu 0xfffe
	s_add_nc_u64 s[44:45], s[24:25], s[44:45]
	v_dual_mov_b32 v108, 0 :: v_dual_mov_b32 v109, 0
	v_mov_b32_e32 v110, 0
	v_min_num_f64_e32 v[0:1], v[65:66], v[0:1]
	s_delay_alu instid0(VALU_DEP_1) | instskip(NEXT) | instid1(VALU_DEP_1)
	v_add_f64_e32 v[0:1], v[0:1], v[2:3]
	v_cvt_i32_f64_e32 v0, v[0:1]
	s_delay_alu instid0(VALU_DEP_1)
	v_readfirstlane_b32 s1, v0
	s_lshl_b32 s42, s1, 7
	s_wait_alu 0xfffe
	s_ashr_i32 s43, s42, 31
	s_wait_alu 0xfffe
	s_mul_u64 s[48:49], s[42:43], s[28:29]
	s_lshl_b64 s[42:43], s[42:43], 3
	s_wait_alu 0xfffe
	s_lshl_b64 s[48:49], s[48:49], 3
	v_add_co_u32 v32, s1, v180, s42
	s_wait_alu 0xfffe
	s_add_nc_u64 s[44:45], s[44:45], s[48:49]
	v_add_co_ci_u32_e64 v33, null, 0, s43, s1
	s_wait_alu 0xfffe
	v_add_co_u32 v0, vcc_lo, s44, v67
	s_wait_alu 0xfffd
	v_add_co_ci_u32_e64 v1, null, s45, v68, vcc_lo
	s_mul_u64 s[44:45], s[38:39], s[2:3]
	v_add_co_u32 v2, vcc_lo, v0, s22
	s_wait_alu 0xfffd
	v_add_co_ci_u32_e64 v3, null, s23, v1, vcc_lo
	s_wait_alu 0xfffe
	s_add_nc_u64 s[48:49], s[36:37], s[44:45]
	v_add_co_u32 v4, vcc_lo, v2, s22
	s_wait_alu 0xfffd
	v_add_co_ci_u32_e64 v5, null, s23, v3, vcc_lo
	s_add_nc_u64 s[44:45], s[8:9], s[44:45]
	v_add_co_u32 v6, vcc_lo, v4, s22
	s_wait_alu 0xfffd
	v_add_co_ci_u32_e64 v7, null, s23, v5, vcc_lo
	v_mul_lo_u32 v34, s28, v33
	s_delay_alu instid0(VALU_DEP_3) | instskip(SKIP_1) | instid1(VALU_DEP_3)
	v_add_co_u32 v8, vcc_lo, v6, s22
	s_wait_alu 0xfffd
	v_add_co_ci_u32_e64 v9, null, s23, v7, vcc_lo
	s_clause 0x3
	global_load_b64 v[0:1], v[0:1], off
	global_load_b64 v[2:3], v[2:3], off
	;; [unrolled: 1-line block ×4, first 2 shown]
	v_add_co_u32 v10, vcc_lo, v8, s22
	s_wait_alu 0xfffd
	v_add_co_ci_u32_e64 v11, null, s23, v9, vcc_lo
	v_mul_lo_u32 v37, s29, v32
	s_delay_alu instid0(VALU_DEP_3) | instskip(SKIP_1) | instid1(VALU_DEP_3)
	v_add_co_u32 v12, vcc_lo, v10, s22
	s_wait_alu 0xfffd
	v_add_co_ci_u32_e64 v13, null, s23, v11, vcc_lo
	s_clause 0x1
	global_load_b64 v[8:9], v[8:9], off
	global_load_b64 v[10:11], v[10:11], off
	v_add_co_u32 v14, vcc_lo, v12, s22
	s_wait_alu 0xfffd
	v_add_co_ci_u32_e64 v15, null, s23, v13, vcc_lo
	global_load_b64 v[12:13], v[12:13], off
	v_add_co_u32 v16, vcc_lo, v14, s22
	s_wait_alu 0xfffd
	v_add_co_ci_u32_e64 v17, null, s23, v15, vcc_lo
	;; [unrolled: 4-line block ×6, first 2 shown]
	s_wait_alu 0xfffe
	v_mad_co_u64_u32 v[71:72], null, s28, v32, s[48:49]
	v_add_co_u32 v26, vcc_lo, v24, s22
	s_wait_alu 0xfffd
	v_add_co_ci_u32_e64 v27, null, s23, v25, vcc_lo
	v_mul_lo_u32 v111, s34, v33
	s_delay_alu instid0(VALU_DEP_3) | instskip(SKIP_1) | instid1(VALU_DEP_3)
	v_add_co_u32 v28, vcc_lo, v26, s22
	s_wait_alu 0xfffd
	v_add_co_ci_u32_e64 v29, null, s23, v27, vcc_lo
	v_add3_u32 v72, v37, v72, v34
	s_delay_alu instid0(VALU_DEP_3) | instskip(SKIP_1) | instid1(VALU_DEP_3)
	v_add_co_u32 v30, vcc_lo, v28, s22
	s_wait_alu 0xfffd
	v_add_co_ci_u32_e64 v31, null, s23, v29, vcc_lo
	global_load_b64 v[22:23], v[22:23], off
	global_load_b64 v[24:25], v[24:25], off
	;; [unrolled: 1-line block ×5, first 2 shown]
	v_add_co_u32 v35, vcc_lo, v181, s42
	s_wait_alu 0xfffd
	v_add_co_ci_u32_e64 v36, null, s43, v182, vcc_lo
	v_add_co_u32 v38, vcc_lo, v183, s42
	s_wait_alu 0xfffd
	v_add_co_ci_u32_e64 v39, null, s43, v184, vcc_lo
	v_mul_lo_u32 v40, s29, v35
	v_mad_co_u64_u32 v[73:74], null, s28, v35, s[44:45]
	s_delay_alu instid0(VALU_DEP_3)
	v_mul_lo_u32 v35, s28, v39
	v_mul_lo_u32 v39, s29, v38
	v_mad_co_u64_u32 v[75:76], null, s28, v38, s[44:45]
	v_add_co_u32 v38, vcc_lo, v185, s42
	v_mul_lo_u32 v36, s28, v36
	s_wait_alu 0xfffd
	v_add_co_ci_u32_e64 v41, null, s43, v186, vcc_lo
	v_add_co_u32 v42, vcc_lo, v187, s42
	s_wait_alu 0xfffd
	v_add_co_ci_u32_e64 v43, null, s43, v188, vcc_lo
	v_add_co_u32 v34, vcc_lo, v189, s42
	v_mul_lo_u32 v44, s29, v38
	v_mad_co_u64_u32 v[77:78], null, s28, v38, s[44:45]
	s_delay_alu instid0(VALU_DEP_4)
	v_mul_lo_u32 v38, s28, v43
	v_mul_lo_u32 v43, s29, v42
	v_mad_co_u64_u32 v[79:80], null, s28, v42, s[44:45]
	v_add3_u32 v74, v40, v74, v36
	v_add3_u32 v76, v39, v76, v35
	s_wait_alu 0xfffd
	v_add_co_ci_u32_e64 v35, null, s43, v190, vcc_lo
	v_add_co_u32 v36, vcc_lo, v191, s42
	s_wait_alu 0xfffd
	v_add_co_ci_u32_e64 v37, null, s43, v192, vcc_lo
	v_mul_lo_u32 v41, s28, v41
	v_add3_u32 v80, v43, v80, v38
	v_mul_lo_u32 v38, s29, v34
	v_mad_co_u64_u32 v[81:82], null, s28, v34, s[44:45]
	v_mul_lo_u32 v34, s28, v37
	v_mul_lo_u32 v37, s29, v36
	v_mad_co_u64_u32 v[83:84], null, s28, v36, s[44:45]
	v_add_co_u32 v36, vcc_lo, v193, s42
	s_wait_alu 0xfffd
	v_add_co_ci_u32_e64 v39, null, s43, v194, vcc_lo
	v_add_co_u32 v40, vcc_lo, v195, s42
	v_add3_u32 v78, v44, v78, v41
	s_wait_alu 0xfffd
	v_add_co_ci_u32_e64 v41, null, s43, v196, vcc_lo
	v_mul_lo_u32 v42, s29, v36
	v_mad_co_u64_u32 v[85:86], null, s28, v36, s[44:45]
	s_delay_alu instid0(VALU_DEP_3)
	v_mul_lo_u32 v36, s28, v41
	v_mul_lo_u32 v41, s29, v40
	v_mad_co_u64_u32 v[87:88], null, s28, v40, s[44:45]
	v_add_co_u32 v40, vcc_lo, v197, s42
	s_wait_alu 0xfffd
	v_add_co_ci_u32_e64 v43, null, s43, v198, vcc_lo
	v_add_co_u32 v44, vcc_lo, v199, s42
	s_wait_alu 0xfffd
	v_add_co_ci_u32_e64 v45, null, s43, v200, vcc_lo
	v_mul_lo_u32 v35, s28, v35
	v_mul_lo_u32 v46, s29, v40
	v_mad_co_u64_u32 v[89:90], null, s28, v40, s[44:45]
	s_delay_alu instid0(VALU_DEP_4)
	v_mul_lo_u32 v40, s28, v45
	v_mul_lo_u32 v45, s29, v44
	v_mad_co_u64_u32 v[91:92], null, s28, v44, s[44:45]
	v_add_co_u32 v44, vcc_lo, v201, s42
	s_wait_alu 0xfffd
	v_add_co_ci_u32_e64 v47, null, s43, v202, vcc_lo
	v_add_co_u32 v48, vcc_lo, v203, s42
	s_wait_alu 0xfffd
	v_add_co_ci_u32_e64 v49, null, s43, v204, vcc_lo
	v_add3_u32 v84, v37, v84, v34
	v_add_co_u32 v34, vcc_lo, v205, s42
	v_add3_u32 v82, v38, v82, v35
	v_add3_u32 v88, v41, v88, v36
	s_wait_alu 0xfffd
	v_add_co_ci_u32_e64 v35, null, s43, v206, vcc_lo
	v_add_co_u32 v36, vcc_lo, v207, s42
	v_mul_lo_u32 v39, s28, v39
	s_wait_alu 0xfffd
	v_add_co_ci_u32_e64 v37, null, s43, v208, vcc_lo
	v_mul_lo_u32 v38, s29, v34
	v_mad_co_u64_u32 v[97:98], null, s28, v34, s[44:45]
	s_delay_alu instid0(VALU_DEP_3)
	v_mul_lo_u32 v34, s28, v37
	v_mul_lo_u32 v37, s29, v36
	v_mad_co_u64_u32 v[99:100], null, s28, v36, s[44:45]
	v_add_co_u32 v36, vcc_lo, v209, s42
	v_add3_u32 v86, v42, v86, v39
	v_add3_u32 v92, v45, v92, v40
	s_wait_alu 0xfffd
	v_add_co_ci_u32_e64 v39, null, s43, v210, vcc_lo
	v_add_co_u32 v40, vcc_lo, v211, s42
	s_wait_alu 0xfffd
	v_add_co_ci_u32_e64 v41, null, s43, v212, vcc_lo
	s_mul_u64 s[42:43], s[16:17], s[2:3]
	v_mul_lo_u32 v43, s28, v43
	s_wait_alu 0xfffe
	s_add_nc_u64 s[42:43], s[14:15], s[42:43]
	v_mul_lo_u32 v47, s28, v47
	v_mul_lo_u32 v50, s29, v44
	v_mad_co_u64_u32 v[93:94], null, s28, v44, s[44:45]
	v_mul_lo_u32 v44, s28, v49
	v_mul_lo_u32 v49, s29, v48
	v_mad_co_u64_u32 v[95:96], null, s28, v48, s[44:45]
	v_mul_lo_u32 v35, s28, v35
	v_mul_lo_u32 v39, s28, v39
	;; [unrolled: 1-line block ×3, first 2 shown]
	v_mad_co_u64_u32 v[101:102], null, s28, v36, s[44:45]
	v_mul_lo_u32 v36, s28, v41
	v_mul_lo_u32 v41, s29, v40
	v_mad_co_u64_u32 v[103:104], null, s28, v40, s[44:45]
	v_mul_lo_u32 v112, s35, v32
	s_wait_alu 0xfffe
	v_mad_co_u64_u32 v[105:106], null, s34, v32, s[42:43]
	v_add3_u32 v90, v46, v90, v43
	v_add3_u32 v94, v50, v94, v47
	;; [unrolled: 1-line block ×8, first 2 shown]
	s_add_co_i32 s42, s47, -1
	s_mov_b32 s43, 0
	s_wait_loadcnt 0x0
	v_dual_mov_b32 v63, v31 :: v_dual_mov_b32 v62, v30
	v_dual_mov_b32 v61, v29 :: v_dual_mov_b32 v60, v28
	v_dual_mov_b32 v59, v27 :: v_dual_mov_b32 v58, v26
	v_dual_mov_b32 v57, v25 :: v_dual_mov_b32 v56, v24
	v_dual_mov_b32 v55, v23 :: v_dual_mov_b32 v54, v22
	v_dual_mov_b32 v53, v21 :: v_dual_mov_b32 v52, v20
	v_dual_mov_b32 v51, v19 :: v_dual_mov_b32 v50, v18
	v_dual_mov_b32 v49, v17 :: v_dual_mov_b32 v48, v16
	v_dual_mov_b32 v47, v15 :: v_dual_mov_b32 v46, v14
	v_dual_mov_b32 v45, v13 :: v_dual_mov_b32 v44, v12
	v_dual_mov_b32 v43, v11 :: v_dual_mov_b32 v42, v10
	v_dual_mov_b32 v41, v9 :: v_dual_mov_b32 v40, v8
	v_dual_mov_b32 v39, v7 :: v_dual_mov_b32 v38, v6
	v_dual_mov_b32 v37, v5 :: v_dual_mov_b32 v36, v4
	v_dual_mov_b32 v35, v3 :: v_dual_mov_b32 v34, v2
	v_dual_mov_b32 v33, v1 :: v_dual_mov_b32 v32, v0
.LBB58_8:                               ;   Parent Loop BB58_4 Depth=1
                                        ; =>  This Inner Loop Header: Depth=2
	v_add_co_u32 v111, vcc_lo, v71, v175
	s_wait_alu 0xfffd
	v_add_co_ci_u32_e64 v112, null, 0, v72, vcc_lo
	s_wait_alu 0xfffe
	s_cmp_eq_u32 s42, s43
	v_add_co_u32 v113, vcc_lo, v111, s22
	s_wait_alu 0xfffd
	v_add_co_ci_u32_e64 v114, null, s23, v112, vcc_lo
	global_load_b64 v[111:112], v[111:112], off
	v_add_co_u32 v115, vcc_lo, v113, s22
	s_wait_alu 0xfffd
	v_add_co_ci_u32_e64 v116, null, s23, v114, vcc_lo
	global_load_b64 v[113:114], v[113:114], off
	;; [unrolled: 4-line block ×3, first 2 shown]
	v_add_co_u32 v121, s1, v117, s22
	s_wait_alu 0xf1ff
	v_add_co_ci_u32_e64 v122, null, s23, v118, s1
	global_load_b64 v[119:120], v[117:118], off
	v_add_co_u32 v125, s1, v121, s22
	s_wait_alu 0xf1ff
	v_add_co_ci_u32_e64 v126, null, s23, v122, s1
	global_load_b64 v[123:124], v[121:122], off
	;; [unrolled: 4-line block ×3, first 2 shown]
	v_add_co_u32 v133, s1, v129, s22
	s_wait_alu 0xf1ff
	v_add_co_ci_u32_e64 v134, null, s23, v130, s1
	v_add_co_u32 v143, vcc_lo, v105, s40
	s_delay_alu instid0(VALU_DEP_3) | instskip(SKIP_1) | instid1(VALU_DEP_3)
	v_add_co_u32 v117, s1, v133, s22
	s_wait_alu 0xf1ff
	v_add_co_ci_u32_e64 v118, null, s23, v134, s1
	s_wait_alu 0xfffd
	v_add_co_ci_u32_e64 v144, null, s41, v106, vcc_lo
	v_add_co_u32 v121, s1, v117, s22
	s_wait_alu 0xf1ff
	v_add_co_ci_u32_e64 v122, null, s23, v118, s1
	s_delay_alu instid0(VALU_DEP_2) | instskip(SKIP_1) | instid1(VALU_DEP_2)
	v_add_co_u32 v135, s1, v121, s22
	s_wait_alu 0xf1ff
	v_add_co_ci_u32_e64 v136, null, s23, v122, s1
	s_clause 0x3
	global_load_b64 v[131:132], v[129:130], off
	global_load_b64 v[129:130], v[133:134], off
	;; [unrolled: 1-line block ×5, first 2 shown]
	v_add_co_u32 v135, vcc_lo, v135, s22
	s_wait_alu 0xfffd
	v_add_co_ci_u32_e64 v136, null, s23, v136, vcc_lo
	v_add_co_u32 v147, vcc_lo, v143, s40
	s_wait_alu 0xfffd
	v_add_co_ci_u32_e64 v148, null, s41, v144, vcc_lo
	global_load_b64 v[133:134], v[135:136], off
	v_add_co_u32 v149, vcc_lo, v147, s40
	s_wait_alu 0xfffd
	v_add_co_ci_u32_e64 v150, null, s41, v148, vcc_lo
	v_add_co_u32 v135, vcc_lo, v135, s22
	s_wait_alu 0xfffd
	v_add_co_ci_u32_e64 v136, null, s23, v136, vcc_lo
	v_add_co_u32 v151, vcc_lo, v149, s40
	s_wait_alu 0xfffd
	v_add_co_ci_u32_e64 v152, null, s41, v150, vcc_lo
	global_load_b64 v[137:138], v[135:136], off
	v_add_co_u32 v155, vcc_lo, v151, s40
	s_wait_alu 0xfffd
	v_add_co_ci_u32_e64 v156, null, s41, v152, vcc_lo
	;; [unrolled: 10-line block ×5, first 2 shown]
	global_load_b64 v[145:146], v[105:106], off
	v_add_co_u32 v213, vcc_lo, v173, s40
	s_wait_alu 0xfffd
	v_add_co_ci_u32_e64 v214, null, s41, v174, vcc_lo
	s_clause 0x3
	global_load_b64 v[159:160], v[143:144], off
	global_load_b64 v[153:154], v[147:148], off
	;; [unrolled: 1-line block ×4, first 2 shown]
	v_add_co_u32 v143, vcc_lo, v213, s40
	s_wait_alu 0xfffd
	v_add_co_ci_u32_e64 v144, null, s41, v214, vcc_lo
	s_clause 0x3
	global_load_b64 v[163:164], v[155:156], off
	global_load_b64 v[161:162], v[157:158], off
	;; [unrolled: 1-line block ×4, first 2 shown]
	v_add_co_u32 v157, vcc_lo, v143, s40
	s_wait_alu 0xfffd
	v_add_co_ci_u32_e64 v158, null, s41, v144, vcc_lo
	s_clause 0x1
	global_load_b64 v[167:168], v[169:170], off
	global_load_b64 v[165:166], v[171:172], off
	v_add_co_u32 v215, vcc_lo, v157, s40
	s_wait_alu 0xfffd
	v_add_co_ci_u32_e64 v216, null, s41, v158, vcc_lo
	global_load_b64 v[173:174], v[173:174], off
	global_load_b64 v[171:172], v[213:214], off
	global_load_b64 v[169:170], v[143:144], off
	global_load_b64 v[157:158], v[157:158], off
	global_load_b64 v[143:144], v[215:216], off
	s_cbranch_scc1 .LBB58_10
; %bb.9:                                ;   in Loop: Header=BB58_8 Depth=2
	v_add_co_u32 v32, vcc_lo, v73, v175
	s_wait_alu 0xfffd
	v_add_co_ci_u32_e64 v33, null, 0, v74, vcc_lo
	v_add_co_u32 v34, vcc_lo, v103, v175
	s_wait_alu 0xfffd
	v_add_co_ci_u32_e64 v35, null, 0, v104, vcc_lo
	v_add_co_u32 v36, vcc_lo, v75, v175
	s_wait_alu 0xfffd
	v_add_co_ci_u32_e64 v37, null, 0, v76, vcc_lo
	v_add_co_u32 v38, vcc_lo, v77, v175
	s_wait_alu 0xfffd
	v_add_co_ci_u32_e64 v39, null, 0, v78, vcc_lo
	v_add_co_u32 v40, vcc_lo, v79, v175
	s_wait_alu 0xfffd
	v_add_co_ci_u32_e64 v41, null, 0, v80, vcc_lo
	v_add_co_u32 v42, vcc_lo, v81, v175
	s_wait_alu 0xfffd
	v_add_co_ci_u32_e64 v43, null, 0, v82, vcc_lo
	v_add_co_u32 v44, vcc_lo, v83, v175
	s_wait_alu 0xfffd
	v_add_co_ci_u32_e64 v45, null, 0, v84, vcc_lo
	v_add_co_u32 v46, vcc_lo, v85, v175
	s_wait_alu 0xfffd
	v_add_co_ci_u32_e64 v47, null, 0, v86, vcc_lo
	v_add_co_u32 v48, vcc_lo, v87, v175
	s_wait_alu 0xfffd
	v_add_co_ci_u32_e64 v49, null, 0, v88, vcc_lo
	v_add_co_u32 v50, vcc_lo, v89, v175
	s_wait_alu 0xfffd
	v_add_co_ci_u32_e64 v51, null, 0, v90, vcc_lo
	v_add_co_u32 v52, vcc_lo, v91, v175
	s_wait_alu 0xfffd
	v_add_co_ci_u32_e64 v53, null, 0, v92, vcc_lo
	v_add_co_u32 v54, vcc_lo, v93, v175
	s_wait_alu 0xfffd
	v_add_co_ci_u32_e64 v55, null, 0, v94, vcc_lo
	v_add_co_u32 v56, vcc_lo, v95, v175
	s_wait_alu 0xfffd
	v_add_co_ci_u32_e64 v57, null, 0, v96, vcc_lo
	v_add_co_u32 v58, vcc_lo, v97, v175
	s_wait_alu 0xfffd
	v_add_co_ci_u32_e64 v59, null, 0, v98, vcc_lo
	v_add_co_u32 v60, vcc_lo, v99, v175
	s_wait_alu 0xfffd
	v_add_co_ci_u32_e64 v61, null, 0, v100, vcc_lo
	v_add_co_u32 v62, vcc_lo, v101, v175
	s_wait_alu 0xfffd
	v_add_co_ci_u32_e64 v63, null, 0, v102, vcc_lo
	global_load_b64 v[32:33], v[32:33], off
	global_load_b64 v[34:35], v[34:35], off
	;; [unrolled: 1-line block ×16, first 2 shown]
.LBB58_10:                              ;   in Loop: Header=BB58_8 Depth=2
	s_wait_loadcnt 0xf
	v_fma_f64 v[0:1], v[0:1], v[145:146], v[109:110]
	v_fma_f64 v[107:108], v[111:112], v[145:146], v[107:108]
	v_add_co_u32 v71, vcc_lo, v71, s26
	s_wait_alu 0xfffd
	v_add_co_ci_u32_e64 v72, null, s27, v72, vcc_lo
	v_add_co_u32 v73, vcc_lo, v73, s26
	s_wait_alu 0xfffd
	v_add_co_ci_u32_e64 v74, null, s27, v74, vcc_lo
	v_add_co_u32 v75, vcc_lo, v75, s26
	s_wait_alu 0xfffd
	v_add_co_ci_u32_e64 v76, null, s27, v76, vcc_lo
	v_add_co_u32 v77, vcc_lo, v77, s26
	s_wait_alu 0xfffd
	v_add_co_ci_u32_e64 v78, null, s27, v78, vcc_lo
	v_add_co_u32 v79, vcc_lo, v79, s26
	s_wait_alu 0xfffd
	v_add_co_ci_u32_e64 v80, null, s27, v80, vcc_lo
	v_add_co_u32 v81, vcc_lo, v81, s26
	s_wait_alu 0xfffd
	v_add_co_ci_u32_e64 v82, null, s27, v82, vcc_lo
	v_add_co_u32 v83, vcc_lo, v83, s26
	s_wait_alu 0xfffd
	v_add_co_ci_u32_e64 v84, null, s27, v84, vcc_lo
	v_add_co_u32 v85, vcc_lo, v85, s26
	s_wait_alu 0xfffd
	v_add_co_ci_u32_e64 v86, null, s27, v86, vcc_lo
	v_add_co_u32 v87, vcc_lo, v87, s26
	s_wait_alu 0xfffd
	v_add_co_ci_u32_e64 v88, null, s27, v88, vcc_lo
	s_wait_loadcnt 0xe
	v_fma_f64 v[0:1], v[2:3], v[159:160], v[0:1]
	v_fma_f64 v[2:3], v[113:114], v[159:160], v[107:108]
	v_add_co_u32 v89, vcc_lo, v89, s26
	s_wait_alu 0xfffd
	v_add_co_ci_u32_e64 v90, null, s27, v90, vcc_lo
	v_add_co_u32 v91, vcc_lo, v91, s26
	s_wait_alu 0xfffd
	v_add_co_ci_u32_e64 v92, null, s27, v92, vcc_lo
	v_add_co_u32 v93, vcc_lo, v93, s26
	s_wait_alu 0xfffd
	v_add_co_ci_u32_e64 v94, null, s27, v94, vcc_lo
	v_add_co_u32 v95, vcc_lo, v95, s26
	s_wait_alu 0xfffd
	v_add_co_ci_u32_e64 v96, null, s27, v96, vcc_lo
	v_add_co_u32 v97, vcc_lo, v97, s26
	s_wait_alu 0xfffd
	v_add_co_ci_u32_e64 v98, null, s27, v98, vcc_lo
	v_add_co_u32 v99, vcc_lo, v99, s26
	s_wait_alu 0xfffd
	v_add_co_ci_u32_e64 v100, null, s27, v100, vcc_lo
	v_add_co_u32 v101, vcc_lo, v101, s26
	s_wait_alu 0xfffd
	v_add_co_ci_u32_e64 v102, null, s27, v102, vcc_lo
	v_add_co_u32 v103, vcc_lo, v103, s26
	s_wait_alu 0xfffd
	v_add_co_ci_u32_e64 v104, null, s27, v104, vcc_lo
	v_add_co_u32 v105, vcc_lo, v105, s20
	s_wait_alu 0xfffd
	v_add_co_ci_u32_e64 v106, null, s21, v106, vcc_lo
	s_wait_loadcnt 0xd
	v_fma_f64 v[0:1], v[4:5], v[153:154], v[0:1]
	v_fma_f64 v[2:3], v[115:116], v[153:154], v[2:3]
	s_add_co_i32 s43, s43, 1
	s_wait_alu 0xfffe
	s_cmp_lt_i32 s43, s47
	s_wait_loadcnt 0xc
	s_delay_alu instid0(VALU_DEP_2) | instskip(NEXT) | instid1(VALU_DEP_2)
	v_fma_f64 v[0:1], v[6:7], v[149:150], v[0:1]
	v_fma_f64 v[2:3], v[119:120], v[149:150], v[2:3]
	s_wait_loadcnt 0xb
	s_delay_alu instid0(VALU_DEP_2) | instskip(NEXT) | instid1(VALU_DEP_2)
	v_fma_f64 v[0:1], v[8:9], v[147:148], v[0:1]
	v_fma_f64 v[2:3], v[123:124], v[147:148], v[2:3]
	;; [unrolled: 4-line block ×13, first 2 shown]
	s_cbranch_scc0 .LBB58_13
; %bb.11:                               ;   in Loop: Header=BB58_8 Depth=2
	v_dual_mov_b32 v0, v32 :: v_dual_mov_b32 v1, v33
	v_dual_mov_b32 v2, v34 :: v_dual_mov_b32 v3, v35
	;; [unrolled: 1-line block ×16, first 2 shown]
	s_branch .LBB58_8
.LBB58_12:                              ;   in Loop: Header=BB58_4 Depth=1
	v_mov_b32_e32 v107, 0
	v_dual_mov_b32 v108, 0 :: v_dual_mov_b32 v109, 0
	v_mov_b32_e32 v110, 0
.LBB58_13:                              ;   in Loop: Header=BB58_4 Depth=1
	ds_store_2addr_stride64_b64 v176, v[109:110], v[107:108] offset1:1
	s_wait_dscnt 0x0
	s_barrier_signal -1
	s_barrier_wait -1
	global_inv scope:SCOPE_SE
	s_and_saveexec_b32 s1, s0
	s_cbranch_execz .LBB58_2
; %bb.14:                               ;   in Loop: Header=BB58_4 Depth=1
	ds_load_2addr_stride64_b64 v[4:7], v177 offset1:2
	s_mul_u64 s[42:43], s[30:31], s[2:3]
	s_wait_alu 0xfffe
	s_lshl_b64 s[42:43], s[42:43], 3
	s_wait_dscnt 0x0
	v_add_f64_e32 v[0:1], 0, v[4:5]
	s_wait_alu 0xfffe
	v_add_co_u32 v4, vcc_lo, v178, s42
	s_wait_alu 0xfffd
	v_add_co_ci_u32_e64 v5, null, s43, v179, vcc_lo
	s_mov_b32 s42, 0
	global_load_b64 v[2:3], v[4:5], off
	v_add_f64_e32 v[0:1], v[0:1], v[6:7]
	ds_load_2addr_stride64_b64 v[6:9], v177 offset0:4 offset1:6
	s_wait_dscnt 0x0
	v_add_f64_e32 v[0:1], v[0:1], v[6:7]
	s_delay_alu instid0(VALU_DEP_1) | instskip(SKIP_3) | instid1(VALU_DEP_1)
	v_add_f64_e32 v[0:1], v[0:1], v[8:9]
	ds_load_2addr_stride64_b64 v[6:9], v177 offset0:8 offset1:10
	s_wait_dscnt 0x0
	v_add_f64_e32 v[0:1], v[0:1], v[6:7]
	v_add_f64_e32 v[0:1], v[0:1], v[8:9]
	ds_load_2addr_stride64_b64 v[6:9], v177 offset0:12 offset1:14
	s_wait_dscnt 0x0
	v_add_f64_e32 v[0:1], v[0:1], v[6:7]
	s_delay_alu instid0(VALU_DEP_1) | instskip(NEXT) | instid1(VALU_DEP_1)
	v_add_f64_e32 v[0:1], v[0:1], v[8:9]
	v_mul_f64_e32 v[6:7], v[69:70], v[0:1]
.LBB58_15:                              ;   Parent Loop BB58_4 Depth=1
                                        ; =>  This Inner Loop Header: Depth=2
	s_wait_loadcnt 0x0
	s_delay_alu instid0(VALU_DEP_1)
	v_add_f64_e32 v[0:1], v[2:3], v[6:7]
	global_atomic_cmpswap_b64 v[0:1], v[4:5], v[0:3], off th:TH_ATOMIC_RETURN scope:SCOPE_DEV
	s_wait_loadcnt 0x0
	v_cmp_eq_u64_e32 vcc_lo, v[0:1], v[2:3]
	v_dual_mov_b32 v3, v1 :: v_dual_mov_b32 v2, v0
	s_wait_alu 0xfffe
	s_or_b32 s42, vcc_lo, s42
	s_wait_alu 0xfffe
	s_and_not1_b32 exec_lo, exec_lo, s42
	s_cbranch_execnz .LBB58_15
	s_branch .LBB58_2
.LBB58_16:
	s_endpgm
	.section	.rodata,"a",@progbits
	.p2align	6, 0x0
	.amdhsa_kernel _ZL36rocblas_gemvn_double_buffered_kernelILi128ELi4ELi16EdPKddEviiT3_lPKT2_lilS5_lilPT4_lili
		.amdhsa_group_segment_fixed_size 8192
		.amdhsa_private_segment_fixed_size 0
		.amdhsa_kernarg_size 384
		.amdhsa_user_sgpr_count 2
		.amdhsa_user_sgpr_dispatch_ptr 0
		.amdhsa_user_sgpr_queue_ptr 0
		.amdhsa_user_sgpr_kernarg_segment_ptr 1
		.amdhsa_user_sgpr_dispatch_id 0
		.amdhsa_user_sgpr_private_segment_size 0
		.amdhsa_wavefront_size32 1
		.amdhsa_uses_dynamic_stack 0
		.amdhsa_enable_private_segment 0
		.amdhsa_system_sgpr_workgroup_id_x 1
		.amdhsa_system_sgpr_workgroup_id_y 1
		.amdhsa_system_sgpr_workgroup_id_z 1
		.amdhsa_system_sgpr_workgroup_info 0
		.amdhsa_system_vgpr_workitem_id 1
		.amdhsa_next_free_vgpr 217
		.amdhsa_next_free_sgpr 50
		.amdhsa_reserve_vcc 1
		.amdhsa_float_round_mode_32 0
		.amdhsa_float_round_mode_16_64 0
		.amdhsa_float_denorm_mode_32 3
		.amdhsa_float_denorm_mode_16_64 3
		.amdhsa_fp16_overflow 0
		.amdhsa_workgroup_processor_mode 1
		.amdhsa_memory_ordered 1
		.amdhsa_forward_progress 1
		.amdhsa_inst_pref_size 44
		.amdhsa_round_robin_scheduling 0
		.amdhsa_exception_fp_ieee_invalid_op 0
		.amdhsa_exception_fp_denorm_src 0
		.amdhsa_exception_fp_ieee_div_zero 0
		.amdhsa_exception_fp_ieee_overflow 0
		.amdhsa_exception_fp_ieee_underflow 0
		.amdhsa_exception_fp_ieee_inexact 0
		.amdhsa_exception_int_div_zero 0
	.end_amdhsa_kernel
	.section	.text._ZL36rocblas_gemvn_double_buffered_kernelILi128ELi4ELi16EdPKddEviiT3_lPKT2_lilS5_lilPT4_lili,"axG",@progbits,_ZL36rocblas_gemvn_double_buffered_kernelILi128ELi4ELi16EdPKddEviiT3_lPKT2_lilS5_lilPT4_lili,comdat
.Lfunc_end58:
	.size	_ZL36rocblas_gemvn_double_buffered_kernelILi128ELi4ELi16EdPKddEviiT3_lPKT2_lilS5_lilPT4_lili, .Lfunc_end58-_ZL36rocblas_gemvn_double_buffered_kernelILi128ELi4ELi16EdPKddEviiT3_lPKT2_lilS5_lilPT4_lili
                                        ; -- End function
	.set _ZL36rocblas_gemvn_double_buffered_kernelILi128ELi4ELi16EdPKddEviiT3_lPKT2_lilS5_lilPT4_lili.num_vgpr, 217
	.set _ZL36rocblas_gemvn_double_buffered_kernelILi128ELi4ELi16EdPKddEviiT3_lPKT2_lilS5_lilPT4_lili.num_agpr, 0
	.set _ZL36rocblas_gemvn_double_buffered_kernelILi128ELi4ELi16EdPKddEviiT3_lPKT2_lilS5_lilPT4_lili.numbered_sgpr, 50
	.set _ZL36rocblas_gemvn_double_buffered_kernelILi128ELi4ELi16EdPKddEviiT3_lPKT2_lilS5_lilPT4_lili.num_named_barrier, 0
	.set _ZL36rocblas_gemvn_double_buffered_kernelILi128ELi4ELi16EdPKddEviiT3_lPKT2_lilS5_lilPT4_lili.private_seg_size, 0
	.set _ZL36rocblas_gemvn_double_buffered_kernelILi128ELi4ELi16EdPKddEviiT3_lPKT2_lilS5_lilPT4_lili.uses_vcc, 1
	.set _ZL36rocblas_gemvn_double_buffered_kernelILi128ELi4ELi16EdPKddEviiT3_lPKT2_lilS5_lilPT4_lili.uses_flat_scratch, 0
	.set _ZL36rocblas_gemvn_double_buffered_kernelILi128ELi4ELi16EdPKddEviiT3_lPKT2_lilS5_lilPT4_lili.has_dyn_sized_stack, 0
	.set _ZL36rocblas_gemvn_double_buffered_kernelILi128ELi4ELi16EdPKddEviiT3_lPKT2_lilS5_lilPT4_lili.has_recursion, 0
	.set _ZL36rocblas_gemvn_double_buffered_kernelILi128ELi4ELi16EdPKddEviiT3_lPKT2_lilS5_lilPT4_lili.has_indirect_call, 0
	.section	.AMDGPU.csdata,"",@progbits
; Kernel info:
; codeLenInByte = 5512
; TotalNumSgprs: 52
; NumVgprs: 217
; ScratchSize: 0
; MemoryBound: 1
; FloatMode: 240
; IeeeMode: 1
; LDSByteSize: 8192 bytes/workgroup (compile time only)
; SGPRBlocks: 0
; VGPRBlocks: 27
; NumSGPRsForWavesPerEU: 52
; NumVGPRsForWavesPerEU: 217
; Occupancy: 6
; WaveLimiterHint : 0
; COMPUTE_PGM_RSRC2:SCRATCH_EN: 0
; COMPUTE_PGM_RSRC2:USER_SGPR: 2
; COMPUTE_PGM_RSRC2:TRAP_HANDLER: 0
; COMPUTE_PGM_RSRC2:TGID_X_EN: 1
; COMPUTE_PGM_RSRC2:TGID_Y_EN: 1
; COMPUTE_PGM_RSRC2:TGID_Z_EN: 1
; COMPUTE_PGM_RSRC2:TIDIG_COMP_CNT: 1
	.section	.text._ZL36rocblas_gemvn_double_buffered_kernelILi128ELi4ELi16EdddEviiT3_lPKT2_lilS3_lilPT4_lili,"axG",@progbits,_ZL36rocblas_gemvn_double_buffered_kernelILi128ELi4ELi16EdddEviiT3_lPKT2_lilS3_lilPT4_lili,comdat
	.globl	_ZL36rocblas_gemvn_double_buffered_kernelILi128ELi4ELi16EdddEviiT3_lPKT2_lilS3_lilPT4_lili ; -- Begin function _ZL36rocblas_gemvn_double_buffered_kernelILi128ELi4ELi16EdddEviiT3_lPKT2_lilS3_lilPT4_lili
	.p2align	8
	.type	_ZL36rocblas_gemvn_double_buffered_kernelILi128ELi4ELi16EdddEviiT3_lPKT2_lilS3_lilPT4_lili,@function
_ZL36rocblas_gemvn_double_buffered_kernelILi128ELi4ELi16EdddEviiT3_lPKT2_lilS3_lilPT4_lili: ; @_ZL36rocblas_gemvn_double_buffered_kernelILi128ELi4ELi16EdddEviiT3_lPKT2_lilS3_lilPT4_lili
; %bb.0:
	s_load_b32 s33, s[0:1], 0x78
	s_lshr_b32 s2, ttmp7, 16
	s_wait_kmcnt 0x0
	s_cmp_ge_u32 s2, s33
	s_cbranch_scc1 .LBB59_16
; %bb.1:
	s_and_b32 s44, ttmp7, 0xffff
	s_clause 0x6
	s_load_b32 s24, s[0:1], 0x28
	s_load_b96 s[16:18], s[0:1], 0x40
	s_load_b96 s[20:22], s[0:1], 0x60
	s_load_b128 s[12:15], s[0:1], 0x18
	s_load_b128 s[8:11], s[0:1], 0x50
	s_load_b32 s3, s[0:1], 0x4
	s_load_b128 s[4:7], s[0:1], 0x30
	v_cvt_f64_i32_e32 v[2:3], s44
	v_and_b32_e32 v8, 0x3ff, v0
	v_bfe_u32 v9, v0, 10, 10
	s_clause 0x1
	s_load_b64 s[26:27], s[0:1], 0x8
	s_load_b64 s[28:29], s[0:1], 0x70
	s_lshl_b32 s40, ttmp9, 7
	v_and_b32_e32 v0, 63, v0
	s_ashr_i32 s41, s40, 31
	v_lshl_add_u32 v1, v9, 7, v8
	s_delay_alu instid0(VALU_DEP_2) | instskip(NEXT) | instid1(VALU_DEP_2)
	v_lshlrev_b32_e32 v172, 3, v0
	v_lshrrev_b32_e32 v10, 6, v1
	v_mov_b32_e32 v1, 0
	s_wait_kmcnt 0x0
	s_ashr_i32 s31, s18, 31
	s_ashr_i32 s35, s22, 31
	s_mov_b32 s34, s22
	v_lshlrev_b32_e32 v177, 7, v10
	s_lshl_b64 s[20:21], s[20:21], 3
	s_mul_u64 s[34:35], s[34:35], s[40:41]
	s_lshl_b64 s[36:37], s[14:15], 3
	s_add_nc_u64 s[38:39], s[10:11], s[20:21]
	s_add_nc_u64 s[14:15], s[0:1], 0x80
	s_lshl_b64 s[0:1], s[34:35], 3
	v_cmp_neq_f64_e64 s45, s[26:27], 0
	s_add_nc_u64 s[34:35], s[38:39], s[0:1]
	v_add_co_u32 v178, s1, 0x400, v177
	s_delay_alu instid0(VALU_DEP_1)
	v_add_co_ci_u32_e64 v179, null, 0, 0, s1
	v_add_co_u32 v180, s1, 0x410, v177
	s_wait_alu 0xf1ff
	v_add_co_ci_u32_e64 v181, null, 0, 0, s1
	v_add_co_u32 v182, s1, 0x418, v177
	s_wait_alu 0xf1ff
	v_add_co_ci_u32_e64 v183, null, 0, 0, s1
	v_max_num_f64_e32 v[64:65], v[2:3], v[2:3]
	v_add_co_u32 v184, s1, 0x420, v177
	s_wait_alu 0xf1ff
	v_add_co_ci_u32_e64 v185, null, 0, 0, s1
	v_add_co_u32 v186, s1, 0x428, v177
	s_wait_alu 0xf1ff
	v_add_co_ci_u32_e64 v187, null, 0, 0, s1
	;; [unrolled: 3-line block ×4, first 2 shown]
	v_add_co_u32 v192, s1, 0x440, v177
	v_mad_co_i64_i32 v[4:5], null, s22, v8, 0
	s_wait_alu 0xf1ff
	v_add_co_ci_u32_e64 v193, null, 0, 0, s1
	v_add_co_u32 v194, s1, 0x448, v177
	v_lshlrev_b32_e32 v6, 4, v10
	s_wait_alu 0xf1ff
	v_add_co_ci_u32_e64 v195, null, 0, 0, s1
	v_add_co_u32 v196, s1, 0x450, v177
	s_wait_alu 0xf1ff
	v_add_co_ci_u32_e64 v197, null, 0, 0, s1
	v_add_co_u32 v198, s1, 0x458, v177
	;; [unrolled: 3-line block ×3, first 2 shown]
	v_mad_co_i64_i32 v[6:7], null, s24, v6, v[0:1]
	v_lshlrev_b64_e32 v[0:1], 3, v[4:5]
	s_wait_alu 0xf1ff
	v_add_co_ci_u32_e64 v201, null, 0, 0, s1
	v_add_co_u32 v202, s1, 0x468, v177
	s_wait_alu 0xf1ff
	v_add_co_ci_u32_e64 v203, null, 0, 0, s1
	v_add_co_u32 v204, s1, 0x470, v177
	s_ashr_i32 s10, s3, 31
	s_wait_alu 0xf1ff
	v_add_co_ci_u32_e64 v205, null, 0, 0, s1
	v_add_co_u32 v206, s1, 0x478, v177
	s_lshr_b32 s10, s10, 25
	s_lshl_b64 s[40:41], s[40:41], 3
	v_add_co_u32 v175, vcc_lo, s34, v0
	s_wait_alu 0xf1ff
	v_add_co_ci_u32_e64 v207, null, 0, 0, s1
	v_add_co_u32 v208, s1, 0x408, v177
	s_mov_b32 s30, s18
	s_add_co_i32 s3, s3, s10
	s_lshl_b32 s38, s18, 7
	s_add_nc_u64 s[18:19], s[36:37], s[40:41]
	v_lshlrev_b64_e32 v[66:67], 3, v[6:7]
	v_lshl_or_b32 v173, v10, 10, v172
	v_cmp_eq_u32_e64 s0, 0, v9
	v_lshlrev_b32_e32 v174, 3, v8
	v_add_co_ci_u32_e64 v176, null, s35, v1, vcc_lo
	s_wait_alu 0xf1ff
	v_add_co_ci_u32_e64 v209, null, 0, 0, s1
	s_ashr_i32 s25, s24, 31
	s_add_nc_u64 s[20:21], s[12:13], s[36:37]
	s_ashr_i32 s10, s3, 7
	s_mov_b32 s3, 0
	s_ashr_i32 s39, s38, 31
	s_add_nc_u64 s[12:13], s[12:13], s[18:19]
	s_lshl_b64 s[16:17], s[16:17], 3
	s_add_nc_u64 s[20:21], s[20:21], s[40:41]
	s_wait_alu 0xfffe
	s_lshl_b64 s[22:23], s[24:25], 10
	s_mov_b32 s11, s3
	s_lshl_b64 s[18:19], s[24:25], 3
	s_add_nc_u64 s[34:35], s[12:13], 0x200
	s_lshl_b64 s[36:37], s[4:5], 3
	s_add_nc_u64 s[6:7], s[6:7], s[16:17]
	s_lshl_b64 s[8:9], s[8:9], 3
	s_lshl_b64 s[16:17], s[38:39], 3
	;; [unrolled: 1-line block ×3, first 2 shown]
	s_branch .LBB59_4
.LBB59_2:                               ;   in Loop: Header=BB59_4 Depth=1
	s_wait_alu 0xfffe
	s_or_b32 exec_lo, exec_lo, s1
.LBB59_3:                               ;   in Loop: Header=BB59_4 Depth=1
	s_add_co_i32 s2, s2, 0x10000
	s_delay_alu instid0(SALU_CYCLE_1)
	s_cmp_lt_u32 s2, s33
	s_cbranch_scc0 .LBB59_16
.LBB59_4:                               ; =>This Loop Header: Depth=1
                                        ;     Child Loop BB59_8 Depth 2
                                        ;     Child Loop BB59_15 Depth 2
	s_and_not1_b32 vcc_lo, exec_lo, s45
	s_wait_alu 0xfffe
	s_cbranch_vccnz .LBB59_3
; %bb.5:                                ;   in Loop: Header=BB59_4 Depth=1
	s_load_b32 s42, s[14:15], 0x4
	s_mov_b32 s41, s3
	s_wait_kmcnt 0x0
	s_cvt_f32_u32 s1, s42
	s_sub_co_i32 s40, 0, s42
	s_wait_alu 0xfffe
	s_delay_alu instid0(SALU_CYCLE_1) | instskip(NEXT) | instid1(TRANS32_DEP_1)
	v_rcp_iflag_f32_e32 v0, s1
	v_readfirstlane_b32 s1, v0
	s_mul_f32 s1, s1, 0x4f7ffffe
	s_wait_alu 0xfffe
	s_delay_alu instid0(SALU_CYCLE_2) | instskip(SKIP_1) | instid1(SALU_CYCLE_2)
	s_cvt_u32_f32 s1, s1
	s_wait_alu 0xfffe
	s_mul_i32 s40, s40, s1
	s_wait_alu 0xfffe
	s_mul_hi_u32 s40, s1, s40
	s_wait_alu 0xfffe
	s_add_co_i32 s40, s1, s40
	s_wait_alu 0xfffe
	s_mul_u64 s[40:41], s[10:11], s[40:41]
	s_wait_alu 0xfffe
	s_mul_i32 s1, s41, s42
	s_add_co_i32 s40, s41, 1
	s_wait_alu 0xfffe
	s_sub_co_i32 s1, s10, s1
	s_wait_alu 0xfffe
	s_sub_co_i32 s43, s1, s42
	s_cmp_ge_u32 s1, s42
	s_cselect_b32 s40, s40, s41
	s_wait_alu 0xfffe
	s_cselect_b32 s1, s43, s1
	s_add_co_i32 s41, s40, 1
	s_wait_alu 0xfffe
	s_cmp_ge_u32 s1, s42
	s_cselect_b32 s1, s41, s40
	s_wait_alu 0xfffe
	s_mul_i32 s40, s1, s42
	s_wait_alu 0xfffe
	s_sub_co_i32 s40, s10, s40
	s_wait_alu 0xfffe
	s_cmp_lt_u32 s44, s40
	s_cselect_b32 s41, -1, 0
	s_wait_alu 0xfffe
	s_cmp_lg_u32 s41, 0
	s_add_co_ci_u32 s46, s1, 0
	s_delay_alu instid0(SALU_CYCLE_1)
	s_cmp_eq_u32 s46, 0
	s_cbranch_scc1 .LBB59_3
; %bb.6:                                ;   in Loop: Header=BB59_4 Depth=1
	s_cmp_lt_i32 s46, 1
	s_cbranch_scc1 .LBB59_12
; %bb.7:                                ;   in Loop: Header=BB59_4 Depth=1
	v_cvt_f64_u32_e32 v[0:1], s40
	s_mul_i32 s1, s1, s44
	s_mul_u64 s[42:43], s[4:5], s[2:3]
	s_wait_alu 0xfffe
	v_cvt_f64_u32_e32 v[2:3], s1
	s_lshl_b64 s[42:43], s[42:43], 3
	v_mov_b32_e32 v104, 0
	s_wait_alu 0xfffe
	s_add_nc_u64 s[42:43], s[20:21], s[42:43]
	v_dual_mov_b32 v105, 0 :: v_dual_mov_b32 v106, 0
	v_mov_b32_e32 v107, 0
	v_min_num_f64_e32 v[0:1], v[64:65], v[0:1]
	s_delay_alu instid0(VALU_DEP_1) | instskip(NEXT) | instid1(VALU_DEP_1)
	v_add_f64_e32 v[0:1], v[0:1], v[2:3]
	v_cvt_i32_f64_e32 v0, v[0:1]
	s_delay_alu instid0(VALU_DEP_1)
	v_readfirstlane_b32 s1, v0
	s_lshl_b32 s40, s1, 7
	s_wait_alu 0xfffe
	s_ashr_i32 s41, s40, 31
	s_wait_alu 0xfffe
	s_mul_u64 s[48:49], s[40:41], s[24:25]
	s_lshl_b64 s[40:41], s[40:41], 3
	s_wait_alu 0xfffe
	s_lshl_b64 s[48:49], s[48:49], 3
	v_add_co_u32 v32, s1, v177, s40
	s_wait_alu 0xfffe
	s_add_nc_u64 s[42:43], s[42:43], s[48:49]
	v_add_co_ci_u32_e64 v33, null, 0, s41, s1
	s_wait_alu 0xfffe
	v_add_co_u32 v0, vcc_lo, s42, v66
	s_wait_alu 0xfffd
	v_add_co_ci_u32_e64 v1, null, s43, v67, vcc_lo
	s_mul_u64 s[42:43], s[36:37], s[2:3]
	v_add_co_u32 v2, vcc_lo, v0, s18
	s_wait_alu 0xfffd
	v_add_co_ci_u32_e64 v3, null, s19, v1, vcc_lo
	s_wait_alu 0xfffe
	s_add_nc_u64 s[48:49], s[34:35], s[42:43]
	v_add_co_u32 v4, vcc_lo, v2, s18
	s_wait_alu 0xfffd
	v_add_co_ci_u32_e64 v5, null, s19, v3, vcc_lo
	s_add_nc_u64 s[42:43], s[12:13], s[42:43]
	v_add_co_u32 v6, vcc_lo, v4, s18
	s_wait_alu 0xfffd
	v_add_co_ci_u32_e64 v7, null, s19, v5, vcc_lo
	v_mul_lo_u32 v34, s24, v33
	s_delay_alu instid0(VALU_DEP_3) | instskip(SKIP_1) | instid1(VALU_DEP_3)
	v_add_co_u32 v8, vcc_lo, v6, s18
	s_wait_alu 0xfffd
	v_add_co_ci_u32_e64 v9, null, s19, v7, vcc_lo
	s_clause 0x3
	global_load_b64 v[0:1], v[0:1], off
	global_load_b64 v[2:3], v[2:3], off
	;; [unrolled: 1-line block ×4, first 2 shown]
	v_add_co_u32 v10, vcc_lo, v8, s18
	s_wait_alu 0xfffd
	v_add_co_ci_u32_e64 v11, null, s19, v9, vcc_lo
	v_mul_lo_u32 v37, s25, v32
	s_delay_alu instid0(VALU_DEP_3) | instskip(SKIP_1) | instid1(VALU_DEP_3)
	v_add_co_u32 v12, vcc_lo, v10, s18
	s_wait_alu 0xfffd
	v_add_co_ci_u32_e64 v13, null, s19, v11, vcc_lo
	s_clause 0x1
	global_load_b64 v[8:9], v[8:9], off
	global_load_b64 v[10:11], v[10:11], off
	v_add_co_u32 v14, vcc_lo, v12, s18
	s_wait_alu 0xfffd
	v_add_co_ci_u32_e64 v15, null, s19, v13, vcc_lo
	global_load_b64 v[12:13], v[12:13], off
	v_add_co_u32 v16, vcc_lo, v14, s18
	s_wait_alu 0xfffd
	v_add_co_ci_u32_e64 v17, null, s19, v15, vcc_lo
	;; [unrolled: 4-line block ×6, first 2 shown]
	s_wait_alu 0xfffe
	v_mad_co_u64_u32 v[68:69], null, s24, v32, s[48:49]
	v_add_co_u32 v26, vcc_lo, v24, s18
	s_wait_alu 0xfffd
	v_add_co_ci_u32_e64 v27, null, s19, v25, vcc_lo
	v_mul_lo_u32 v108, s30, v33
	s_delay_alu instid0(VALU_DEP_3) | instskip(SKIP_1) | instid1(VALU_DEP_3)
	v_add_co_u32 v28, vcc_lo, v26, s18
	s_wait_alu 0xfffd
	v_add_co_ci_u32_e64 v29, null, s19, v27, vcc_lo
	v_add3_u32 v69, v37, v69, v34
	s_delay_alu instid0(VALU_DEP_3) | instskip(SKIP_1) | instid1(VALU_DEP_3)
	v_add_co_u32 v30, vcc_lo, v28, s18
	s_wait_alu 0xfffd
	v_add_co_ci_u32_e64 v31, null, s19, v29, vcc_lo
	global_load_b64 v[22:23], v[22:23], off
	global_load_b64 v[24:25], v[24:25], off
	global_load_b64 v[26:27], v[26:27], off
	global_load_b64 v[28:29], v[28:29], off
	global_load_b64 v[30:31], v[30:31], off
	v_add_co_u32 v35, vcc_lo, v178, s40
	s_wait_alu 0xfffd
	v_add_co_ci_u32_e64 v36, null, s41, v179, vcc_lo
	v_add_co_u32 v38, vcc_lo, v180, s40
	s_wait_alu 0xfffd
	v_add_co_ci_u32_e64 v39, null, s41, v181, vcc_lo
	v_mul_lo_u32 v40, s25, v35
	v_mad_co_u64_u32 v[70:71], null, s24, v35, s[42:43]
	s_delay_alu instid0(VALU_DEP_3)
	v_mul_lo_u32 v35, s24, v39
	v_mul_lo_u32 v39, s25, v38
	v_mad_co_u64_u32 v[72:73], null, s24, v38, s[42:43]
	v_add_co_u32 v38, vcc_lo, v182, s40
	v_mul_lo_u32 v36, s24, v36
	s_wait_alu 0xfffd
	v_add_co_ci_u32_e64 v41, null, s41, v183, vcc_lo
	v_add_co_u32 v42, vcc_lo, v184, s40
	s_wait_alu 0xfffd
	v_add_co_ci_u32_e64 v43, null, s41, v185, vcc_lo
	v_add_co_u32 v34, vcc_lo, v186, s40
	v_mul_lo_u32 v44, s25, v38
	v_mad_co_u64_u32 v[74:75], null, s24, v38, s[42:43]
	s_delay_alu instid0(VALU_DEP_4)
	v_mul_lo_u32 v38, s24, v43
	v_mul_lo_u32 v43, s25, v42
	v_mad_co_u64_u32 v[76:77], null, s24, v42, s[42:43]
	v_add3_u32 v71, v40, v71, v36
	v_add3_u32 v73, v39, v73, v35
	s_wait_alu 0xfffd
	v_add_co_ci_u32_e64 v35, null, s41, v187, vcc_lo
	v_add_co_u32 v36, vcc_lo, v188, s40
	s_wait_alu 0xfffd
	v_add_co_ci_u32_e64 v37, null, s41, v189, vcc_lo
	v_mul_lo_u32 v41, s24, v41
	v_add3_u32 v77, v43, v77, v38
	v_mul_lo_u32 v38, s25, v34
	v_mad_co_u64_u32 v[78:79], null, s24, v34, s[42:43]
	v_mul_lo_u32 v34, s24, v37
	v_mul_lo_u32 v37, s25, v36
	v_mad_co_u64_u32 v[80:81], null, s24, v36, s[42:43]
	v_add_co_u32 v36, vcc_lo, v190, s40
	s_wait_alu 0xfffd
	v_add_co_ci_u32_e64 v39, null, s41, v191, vcc_lo
	v_add_co_u32 v40, vcc_lo, v192, s40
	v_add3_u32 v75, v44, v75, v41
	s_wait_alu 0xfffd
	v_add_co_ci_u32_e64 v41, null, s41, v193, vcc_lo
	v_mul_lo_u32 v42, s25, v36
	v_mad_co_u64_u32 v[82:83], null, s24, v36, s[42:43]
	s_delay_alu instid0(VALU_DEP_3)
	v_mul_lo_u32 v36, s24, v41
	v_mul_lo_u32 v41, s25, v40
	v_mad_co_u64_u32 v[84:85], null, s24, v40, s[42:43]
	v_add_co_u32 v40, vcc_lo, v194, s40
	s_wait_alu 0xfffd
	v_add_co_ci_u32_e64 v43, null, s41, v195, vcc_lo
	v_add_co_u32 v44, vcc_lo, v196, s40
	s_wait_alu 0xfffd
	v_add_co_ci_u32_e64 v45, null, s41, v197, vcc_lo
	v_mul_lo_u32 v35, s24, v35
	v_mul_lo_u32 v46, s25, v40
	v_mad_co_u64_u32 v[86:87], null, s24, v40, s[42:43]
	s_delay_alu instid0(VALU_DEP_4)
	v_mul_lo_u32 v40, s24, v45
	v_mul_lo_u32 v45, s25, v44
	v_mad_co_u64_u32 v[88:89], null, s24, v44, s[42:43]
	v_add_co_u32 v44, vcc_lo, v198, s40
	s_wait_alu 0xfffd
	v_add_co_ci_u32_e64 v47, null, s41, v199, vcc_lo
	v_add_co_u32 v48, vcc_lo, v200, s40
	s_wait_alu 0xfffd
	v_add_co_ci_u32_e64 v49, null, s41, v201, vcc_lo
	v_add3_u32 v81, v37, v81, v34
	v_add_co_u32 v34, vcc_lo, v202, s40
	v_add3_u32 v79, v38, v79, v35
	v_add3_u32 v85, v41, v85, v36
	s_wait_alu 0xfffd
	v_add_co_ci_u32_e64 v35, null, s41, v203, vcc_lo
	v_add_co_u32 v36, vcc_lo, v204, s40
	v_mul_lo_u32 v39, s24, v39
	s_wait_alu 0xfffd
	v_add_co_ci_u32_e64 v37, null, s41, v205, vcc_lo
	v_mul_lo_u32 v38, s25, v34
	v_mad_co_u64_u32 v[94:95], null, s24, v34, s[42:43]
	s_delay_alu instid0(VALU_DEP_3)
	v_mul_lo_u32 v34, s24, v37
	v_mul_lo_u32 v37, s25, v36
	v_mad_co_u64_u32 v[96:97], null, s24, v36, s[42:43]
	v_add_co_u32 v36, vcc_lo, v206, s40
	v_add3_u32 v83, v42, v83, v39
	v_add3_u32 v89, v45, v89, v40
	s_wait_alu 0xfffd
	v_add_co_ci_u32_e64 v39, null, s41, v207, vcc_lo
	v_add_co_u32 v40, vcc_lo, v208, s40
	s_wait_alu 0xfffd
	v_add_co_ci_u32_e64 v41, null, s41, v209, vcc_lo
	s_mul_u64 s[40:41], s[8:9], s[2:3]
	v_mul_lo_u32 v43, s24, v43
	s_wait_alu 0xfffe
	s_add_nc_u64 s[40:41], s[6:7], s[40:41]
	v_mul_lo_u32 v47, s24, v47
	v_mul_lo_u32 v50, s25, v44
	v_mad_co_u64_u32 v[90:91], null, s24, v44, s[42:43]
	v_mul_lo_u32 v44, s24, v49
	v_mul_lo_u32 v49, s25, v48
	v_mad_co_u64_u32 v[92:93], null, s24, v48, s[42:43]
	v_mul_lo_u32 v35, s24, v35
	v_mul_lo_u32 v39, s24, v39
	;; [unrolled: 1-line block ×3, first 2 shown]
	v_mad_co_u64_u32 v[98:99], null, s24, v36, s[42:43]
	v_mul_lo_u32 v36, s24, v41
	v_mul_lo_u32 v41, s25, v40
	v_mad_co_u64_u32 v[100:101], null, s24, v40, s[42:43]
	v_mul_lo_u32 v109, s31, v32
	s_wait_alu 0xfffe
	v_mad_co_u64_u32 v[102:103], null, s30, v32, s[40:41]
	v_add3_u32 v87, v46, v87, v43
	v_add3_u32 v91, v50, v91, v47
	v_add3_u32 v93, v49, v93, v44
	v_add3_u32 v95, v38, v95, v35
	v_add3_u32 v97, v37, v97, v34
	v_add3_u32 v99, v42, v99, v39
	v_add3_u32 v101, v41, v101, v36
	v_add3_u32 v103, v109, v103, v108
	s_add_co_i32 s40, s46, -1
	s_mov_b32 s41, 0
	s_wait_loadcnt 0x0
	v_dual_mov_b32 v63, v31 :: v_dual_mov_b32 v62, v30
	v_dual_mov_b32 v61, v29 :: v_dual_mov_b32 v60, v28
	v_dual_mov_b32 v59, v27 :: v_dual_mov_b32 v58, v26
	v_dual_mov_b32 v57, v25 :: v_dual_mov_b32 v56, v24
	v_dual_mov_b32 v55, v23 :: v_dual_mov_b32 v54, v22
	v_dual_mov_b32 v53, v21 :: v_dual_mov_b32 v52, v20
	v_dual_mov_b32 v51, v19 :: v_dual_mov_b32 v50, v18
	v_dual_mov_b32 v49, v17 :: v_dual_mov_b32 v48, v16
	v_dual_mov_b32 v47, v15 :: v_dual_mov_b32 v46, v14
	v_dual_mov_b32 v45, v13 :: v_dual_mov_b32 v44, v12
	v_dual_mov_b32 v43, v11 :: v_dual_mov_b32 v42, v10
	v_dual_mov_b32 v41, v9 :: v_dual_mov_b32 v40, v8
	v_dual_mov_b32 v39, v7 :: v_dual_mov_b32 v38, v6
	v_dual_mov_b32 v37, v5 :: v_dual_mov_b32 v36, v4
	v_dual_mov_b32 v35, v3 :: v_dual_mov_b32 v34, v2
	v_dual_mov_b32 v33, v1 :: v_dual_mov_b32 v32, v0
.LBB59_8:                               ;   Parent Loop BB59_4 Depth=1
                                        ; =>  This Inner Loop Header: Depth=2
	v_add_co_u32 v108, vcc_lo, v68, v172
	s_wait_alu 0xfffd
	v_add_co_ci_u32_e64 v109, null, 0, v69, vcc_lo
	s_wait_alu 0xfffe
	s_cmp_eq_u32 s40, s41
	v_add_co_u32 v110, vcc_lo, v108, s18
	s_wait_alu 0xfffd
	v_add_co_ci_u32_e64 v111, null, s19, v109, vcc_lo
	global_load_b64 v[108:109], v[108:109], off
	v_add_co_u32 v112, vcc_lo, v110, s18
	s_wait_alu 0xfffd
	v_add_co_ci_u32_e64 v113, null, s19, v111, vcc_lo
	global_load_b64 v[110:111], v[110:111], off
	;; [unrolled: 4-line block ×3, first 2 shown]
	v_add_co_u32 v118, s1, v114, s18
	s_wait_alu 0xf1ff
	v_add_co_ci_u32_e64 v119, null, s19, v115, s1
	global_load_b64 v[116:117], v[114:115], off
	v_add_co_u32 v122, s1, v118, s18
	s_wait_alu 0xf1ff
	v_add_co_ci_u32_e64 v123, null, s19, v119, s1
	global_load_b64 v[120:121], v[118:119], off
	;; [unrolled: 4-line block ×3, first 2 shown]
	v_add_co_u32 v130, s1, v126, s18
	s_wait_alu 0xf1ff
	v_add_co_ci_u32_e64 v131, null, s19, v127, s1
	v_add_co_u32 v140, vcc_lo, v102, s38
	s_delay_alu instid0(VALU_DEP_3) | instskip(SKIP_1) | instid1(VALU_DEP_3)
	v_add_co_u32 v114, s1, v130, s18
	s_wait_alu 0xf1ff
	v_add_co_ci_u32_e64 v115, null, s19, v131, s1
	s_wait_alu 0xfffd
	v_add_co_ci_u32_e64 v141, null, s39, v103, vcc_lo
	v_add_co_u32 v118, s1, v114, s18
	s_wait_alu 0xf1ff
	v_add_co_ci_u32_e64 v119, null, s19, v115, s1
	s_delay_alu instid0(VALU_DEP_2) | instskip(SKIP_1) | instid1(VALU_DEP_2)
	v_add_co_u32 v132, s1, v118, s18
	s_wait_alu 0xf1ff
	v_add_co_ci_u32_e64 v133, null, s19, v119, s1
	s_clause 0x3
	global_load_b64 v[128:129], v[126:127], off
	global_load_b64 v[126:127], v[130:131], off
	;; [unrolled: 1-line block ×5, first 2 shown]
	v_add_co_u32 v132, vcc_lo, v132, s18
	s_wait_alu 0xfffd
	v_add_co_ci_u32_e64 v133, null, s19, v133, vcc_lo
	v_add_co_u32 v144, vcc_lo, v140, s38
	s_wait_alu 0xfffd
	v_add_co_ci_u32_e64 v145, null, s39, v141, vcc_lo
	global_load_b64 v[130:131], v[132:133], off
	v_add_co_u32 v146, vcc_lo, v144, s38
	s_wait_alu 0xfffd
	v_add_co_ci_u32_e64 v147, null, s39, v145, vcc_lo
	v_add_co_u32 v132, vcc_lo, v132, s18
	s_wait_alu 0xfffd
	v_add_co_ci_u32_e64 v133, null, s19, v133, vcc_lo
	v_add_co_u32 v148, vcc_lo, v146, s38
	s_wait_alu 0xfffd
	v_add_co_ci_u32_e64 v149, null, s39, v147, vcc_lo
	global_load_b64 v[134:135], v[132:133], off
	v_add_co_u32 v152, vcc_lo, v148, s38
	s_wait_alu 0xfffd
	v_add_co_ci_u32_e64 v153, null, s39, v149, vcc_lo
	;; [unrolled: 10-line block ×5, first 2 shown]
	global_load_b64 v[142:143], v[102:103], off
	v_add_co_u32 v210, vcc_lo, v170, s38
	s_wait_alu 0xfffd
	v_add_co_ci_u32_e64 v211, null, s39, v171, vcc_lo
	s_clause 0x3
	global_load_b64 v[156:157], v[140:141], off
	global_load_b64 v[150:151], v[144:145], off
	;; [unrolled: 1-line block ×4, first 2 shown]
	v_add_co_u32 v140, vcc_lo, v210, s38
	s_wait_alu 0xfffd
	v_add_co_ci_u32_e64 v141, null, s39, v211, vcc_lo
	s_clause 0x3
	global_load_b64 v[160:161], v[152:153], off
	global_load_b64 v[158:159], v[154:155], off
	;; [unrolled: 1-line block ×4, first 2 shown]
	v_add_co_u32 v154, vcc_lo, v140, s38
	s_wait_alu 0xfffd
	v_add_co_ci_u32_e64 v155, null, s39, v141, vcc_lo
	s_clause 0x1
	global_load_b64 v[164:165], v[166:167], off
	global_load_b64 v[162:163], v[168:169], off
	v_add_co_u32 v212, vcc_lo, v154, s38
	s_wait_alu 0xfffd
	v_add_co_ci_u32_e64 v213, null, s39, v155, vcc_lo
	global_load_b64 v[170:171], v[170:171], off
	global_load_b64 v[168:169], v[210:211], off
	;; [unrolled: 1-line block ×5, first 2 shown]
	s_cbranch_scc1 .LBB59_10
; %bb.9:                                ;   in Loop: Header=BB59_8 Depth=2
	v_add_co_u32 v32, vcc_lo, v70, v172
	s_wait_alu 0xfffd
	v_add_co_ci_u32_e64 v33, null, 0, v71, vcc_lo
	v_add_co_u32 v34, vcc_lo, v100, v172
	s_wait_alu 0xfffd
	v_add_co_ci_u32_e64 v35, null, 0, v101, vcc_lo
	v_add_co_u32 v36, vcc_lo, v72, v172
	s_wait_alu 0xfffd
	v_add_co_ci_u32_e64 v37, null, 0, v73, vcc_lo
	v_add_co_u32 v38, vcc_lo, v74, v172
	s_wait_alu 0xfffd
	v_add_co_ci_u32_e64 v39, null, 0, v75, vcc_lo
	v_add_co_u32 v40, vcc_lo, v76, v172
	s_wait_alu 0xfffd
	v_add_co_ci_u32_e64 v41, null, 0, v77, vcc_lo
	v_add_co_u32 v42, vcc_lo, v78, v172
	s_wait_alu 0xfffd
	v_add_co_ci_u32_e64 v43, null, 0, v79, vcc_lo
	v_add_co_u32 v44, vcc_lo, v80, v172
	s_wait_alu 0xfffd
	v_add_co_ci_u32_e64 v45, null, 0, v81, vcc_lo
	v_add_co_u32 v46, vcc_lo, v82, v172
	s_wait_alu 0xfffd
	v_add_co_ci_u32_e64 v47, null, 0, v83, vcc_lo
	v_add_co_u32 v48, vcc_lo, v84, v172
	s_wait_alu 0xfffd
	v_add_co_ci_u32_e64 v49, null, 0, v85, vcc_lo
	v_add_co_u32 v50, vcc_lo, v86, v172
	s_wait_alu 0xfffd
	v_add_co_ci_u32_e64 v51, null, 0, v87, vcc_lo
	v_add_co_u32 v52, vcc_lo, v88, v172
	s_wait_alu 0xfffd
	v_add_co_ci_u32_e64 v53, null, 0, v89, vcc_lo
	v_add_co_u32 v54, vcc_lo, v90, v172
	s_wait_alu 0xfffd
	v_add_co_ci_u32_e64 v55, null, 0, v91, vcc_lo
	v_add_co_u32 v56, vcc_lo, v92, v172
	s_wait_alu 0xfffd
	v_add_co_ci_u32_e64 v57, null, 0, v93, vcc_lo
	v_add_co_u32 v58, vcc_lo, v94, v172
	s_wait_alu 0xfffd
	v_add_co_ci_u32_e64 v59, null, 0, v95, vcc_lo
	v_add_co_u32 v60, vcc_lo, v96, v172
	s_wait_alu 0xfffd
	v_add_co_ci_u32_e64 v61, null, 0, v97, vcc_lo
	v_add_co_u32 v62, vcc_lo, v98, v172
	s_wait_alu 0xfffd
	v_add_co_ci_u32_e64 v63, null, 0, v99, vcc_lo
	global_load_b64 v[32:33], v[32:33], off
	global_load_b64 v[34:35], v[34:35], off
	;; [unrolled: 1-line block ×16, first 2 shown]
.LBB59_10:                              ;   in Loop: Header=BB59_8 Depth=2
	s_wait_loadcnt 0xf
	v_fma_f64 v[0:1], v[0:1], v[142:143], v[106:107]
	v_fma_f64 v[104:105], v[108:109], v[142:143], v[104:105]
	v_add_co_u32 v68, vcc_lo, v68, s22
	s_wait_alu 0xfffd
	v_add_co_ci_u32_e64 v69, null, s23, v69, vcc_lo
	v_add_co_u32 v70, vcc_lo, v70, s22
	s_wait_alu 0xfffd
	v_add_co_ci_u32_e64 v71, null, s23, v71, vcc_lo
	;; [unrolled: 3-line block ×9, first 2 shown]
	s_wait_loadcnt 0xe
	v_fma_f64 v[0:1], v[2:3], v[156:157], v[0:1]
	v_fma_f64 v[2:3], v[110:111], v[156:157], v[104:105]
	v_add_co_u32 v86, vcc_lo, v86, s22
	s_wait_alu 0xfffd
	v_add_co_ci_u32_e64 v87, null, s23, v87, vcc_lo
	v_add_co_u32 v88, vcc_lo, v88, s22
	s_wait_alu 0xfffd
	v_add_co_ci_u32_e64 v89, null, s23, v89, vcc_lo
	;; [unrolled: 3-line block ×9, first 2 shown]
	s_wait_loadcnt 0xd
	v_fma_f64 v[0:1], v[4:5], v[150:151], v[0:1]
	v_fma_f64 v[2:3], v[112:113], v[150:151], v[2:3]
	s_add_co_i32 s41, s41, 1
	s_wait_alu 0xfffe
	s_cmp_lt_i32 s41, s46
	s_wait_loadcnt 0xc
	s_delay_alu instid0(VALU_DEP_2) | instskip(NEXT) | instid1(VALU_DEP_2)
	v_fma_f64 v[0:1], v[6:7], v[146:147], v[0:1]
	v_fma_f64 v[2:3], v[116:117], v[146:147], v[2:3]
	s_wait_loadcnt 0xb
	s_delay_alu instid0(VALU_DEP_2) | instskip(NEXT) | instid1(VALU_DEP_2)
	v_fma_f64 v[0:1], v[8:9], v[144:145], v[0:1]
	v_fma_f64 v[2:3], v[120:121], v[144:145], v[2:3]
	;; [unrolled: 4-line block ×13, first 2 shown]
	s_cbranch_scc0 .LBB59_13
; %bb.11:                               ;   in Loop: Header=BB59_8 Depth=2
	v_dual_mov_b32 v0, v32 :: v_dual_mov_b32 v1, v33
	v_dual_mov_b32 v2, v34 :: v_dual_mov_b32 v3, v35
	;; [unrolled: 1-line block ×16, first 2 shown]
	s_branch .LBB59_8
.LBB59_12:                              ;   in Loop: Header=BB59_4 Depth=1
	v_mov_b32_e32 v104, 0
	v_dual_mov_b32 v105, 0 :: v_dual_mov_b32 v106, 0
	v_mov_b32_e32 v107, 0
.LBB59_13:                              ;   in Loop: Header=BB59_4 Depth=1
	ds_store_2addr_stride64_b64 v173, v[106:107], v[104:105] offset1:1
	s_wait_dscnt 0x0
	s_barrier_signal -1
	s_barrier_wait -1
	global_inv scope:SCOPE_SE
	s_and_saveexec_b32 s1, s0
	s_cbranch_execz .LBB59_2
; %bb.14:                               ;   in Loop: Header=BB59_4 Depth=1
	ds_load_2addr_stride64_b64 v[4:7], v174 offset1:2
	s_mul_u64 s[40:41], s[28:29], s[2:3]
	s_wait_alu 0xfffe
	s_lshl_b64 s[40:41], s[40:41], 3
	s_wait_dscnt 0x0
	v_add_f64_e32 v[0:1], 0, v[4:5]
	s_wait_alu 0xfffe
	v_add_co_u32 v4, vcc_lo, v175, s40
	s_wait_alu 0xfffd
	v_add_co_ci_u32_e64 v5, null, s41, v176, vcc_lo
	s_mov_b32 s40, 0
	global_load_b64 v[2:3], v[4:5], off
	v_add_f64_e32 v[0:1], v[0:1], v[6:7]
	ds_load_2addr_stride64_b64 v[6:9], v174 offset0:4 offset1:6
	s_wait_dscnt 0x0
	v_add_f64_e32 v[0:1], v[0:1], v[6:7]
	s_delay_alu instid0(VALU_DEP_1) | instskip(SKIP_3) | instid1(VALU_DEP_1)
	v_add_f64_e32 v[0:1], v[0:1], v[8:9]
	ds_load_2addr_stride64_b64 v[6:9], v174 offset0:8 offset1:10
	s_wait_dscnt 0x0
	v_add_f64_e32 v[0:1], v[0:1], v[6:7]
	v_add_f64_e32 v[0:1], v[0:1], v[8:9]
	ds_load_2addr_stride64_b64 v[6:9], v174 offset0:12 offset1:14
	s_wait_dscnt 0x0
	v_add_f64_e32 v[0:1], v[0:1], v[6:7]
	s_delay_alu instid0(VALU_DEP_1) | instskip(NEXT) | instid1(VALU_DEP_1)
	v_add_f64_e32 v[0:1], v[0:1], v[8:9]
	v_mul_f64_e32 v[6:7], s[26:27], v[0:1]
.LBB59_15:                              ;   Parent Loop BB59_4 Depth=1
                                        ; =>  This Inner Loop Header: Depth=2
	s_wait_loadcnt 0x0
	s_delay_alu instid0(VALU_DEP_1)
	v_add_f64_e32 v[0:1], v[2:3], v[6:7]
	global_atomic_cmpswap_b64 v[0:1], v[4:5], v[0:3], off th:TH_ATOMIC_RETURN scope:SCOPE_DEV
	s_wait_loadcnt 0x0
	v_cmp_eq_u64_e32 vcc_lo, v[0:1], v[2:3]
	v_dual_mov_b32 v3, v1 :: v_dual_mov_b32 v2, v0
	s_wait_alu 0xfffe
	s_or_b32 s40, vcc_lo, s40
	s_wait_alu 0xfffe
	s_and_not1_b32 exec_lo, exec_lo, s40
	s_cbranch_execnz .LBB59_15
	s_branch .LBB59_2
.LBB59_16:
	s_endpgm
	.section	.rodata,"a",@progbits
	.p2align	6, 0x0
	.amdhsa_kernel _ZL36rocblas_gemvn_double_buffered_kernelILi128ELi4ELi16EdddEviiT3_lPKT2_lilS3_lilPT4_lili
		.amdhsa_group_segment_fixed_size 8192
		.amdhsa_private_segment_fixed_size 0
		.amdhsa_kernarg_size 384
		.amdhsa_user_sgpr_count 2
		.amdhsa_user_sgpr_dispatch_ptr 0
		.amdhsa_user_sgpr_queue_ptr 0
		.amdhsa_user_sgpr_kernarg_segment_ptr 1
		.amdhsa_user_sgpr_dispatch_id 0
		.amdhsa_user_sgpr_private_segment_size 0
		.amdhsa_wavefront_size32 1
		.amdhsa_uses_dynamic_stack 0
		.amdhsa_enable_private_segment 0
		.amdhsa_system_sgpr_workgroup_id_x 1
		.amdhsa_system_sgpr_workgroup_id_y 1
		.amdhsa_system_sgpr_workgroup_id_z 1
		.amdhsa_system_sgpr_workgroup_info 0
		.amdhsa_system_vgpr_workitem_id 1
		.amdhsa_next_free_vgpr 214
		.amdhsa_next_free_sgpr 50
		.amdhsa_reserve_vcc 1
		.amdhsa_float_round_mode_32 0
		.amdhsa_float_round_mode_16_64 0
		.amdhsa_float_denorm_mode_32 3
		.amdhsa_float_denorm_mode_16_64 3
		.amdhsa_fp16_overflow 0
		.amdhsa_workgroup_processor_mode 1
		.amdhsa_memory_ordered 1
		.amdhsa_forward_progress 1
		.amdhsa_inst_pref_size 43
		.amdhsa_round_robin_scheduling 0
		.amdhsa_exception_fp_ieee_invalid_op 0
		.amdhsa_exception_fp_denorm_src 0
		.amdhsa_exception_fp_ieee_div_zero 0
		.amdhsa_exception_fp_ieee_overflow 0
		.amdhsa_exception_fp_ieee_underflow 0
		.amdhsa_exception_fp_ieee_inexact 0
		.amdhsa_exception_int_div_zero 0
	.end_amdhsa_kernel
	.section	.text._ZL36rocblas_gemvn_double_buffered_kernelILi128ELi4ELi16EdddEviiT3_lPKT2_lilS3_lilPT4_lili,"axG",@progbits,_ZL36rocblas_gemvn_double_buffered_kernelILi128ELi4ELi16EdddEviiT3_lPKT2_lilS3_lilPT4_lili,comdat
.Lfunc_end59:
	.size	_ZL36rocblas_gemvn_double_buffered_kernelILi128ELi4ELi16EdddEviiT3_lPKT2_lilS3_lilPT4_lili, .Lfunc_end59-_ZL36rocblas_gemvn_double_buffered_kernelILi128ELi4ELi16EdddEviiT3_lPKT2_lilS3_lilPT4_lili
                                        ; -- End function
	.set _ZL36rocblas_gemvn_double_buffered_kernelILi128ELi4ELi16EdddEviiT3_lPKT2_lilS3_lilPT4_lili.num_vgpr, 214
	.set _ZL36rocblas_gemvn_double_buffered_kernelILi128ELi4ELi16EdddEviiT3_lPKT2_lilS3_lilPT4_lili.num_agpr, 0
	.set _ZL36rocblas_gemvn_double_buffered_kernelILi128ELi4ELi16EdddEviiT3_lPKT2_lilS3_lilPT4_lili.numbered_sgpr, 50
	.set _ZL36rocblas_gemvn_double_buffered_kernelILi128ELi4ELi16EdddEviiT3_lPKT2_lilS3_lilPT4_lili.num_named_barrier, 0
	.set _ZL36rocblas_gemvn_double_buffered_kernelILi128ELi4ELi16EdddEviiT3_lPKT2_lilS3_lilPT4_lili.private_seg_size, 0
	.set _ZL36rocblas_gemvn_double_buffered_kernelILi128ELi4ELi16EdddEviiT3_lPKT2_lilS3_lilPT4_lili.uses_vcc, 1
	.set _ZL36rocblas_gemvn_double_buffered_kernelILi128ELi4ELi16EdddEviiT3_lPKT2_lilS3_lilPT4_lili.uses_flat_scratch, 0
	.set _ZL36rocblas_gemvn_double_buffered_kernelILi128ELi4ELi16EdddEviiT3_lPKT2_lilS3_lilPT4_lili.has_dyn_sized_stack, 0
	.set _ZL36rocblas_gemvn_double_buffered_kernelILi128ELi4ELi16EdddEviiT3_lPKT2_lilS3_lilPT4_lili.has_recursion, 0
	.set _ZL36rocblas_gemvn_double_buffered_kernelILi128ELi4ELi16EdddEviiT3_lPKT2_lilS3_lilPT4_lili.has_indirect_call, 0
	.section	.AMDGPU.csdata,"",@progbits
; Kernel info:
; codeLenInByte = 5500
; TotalNumSgprs: 52
; NumVgprs: 214
; ScratchSize: 0
; MemoryBound: 1
; FloatMode: 240
; IeeeMode: 1
; LDSByteSize: 8192 bytes/workgroup (compile time only)
; SGPRBlocks: 0
; VGPRBlocks: 26
; NumSGPRsForWavesPerEU: 52
; NumVGPRsForWavesPerEU: 214
; Occupancy: 7
; WaveLimiterHint : 0
; COMPUTE_PGM_RSRC2:SCRATCH_EN: 0
; COMPUTE_PGM_RSRC2:USER_SGPR: 2
; COMPUTE_PGM_RSRC2:TRAP_HANDLER: 0
; COMPUTE_PGM_RSRC2:TGID_X_EN: 1
; COMPUTE_PGM_RSRC2:TGID_Y_EN: 1
; COMPUTE_PGM_RSRC2:TGID_Z_EN: 1
; COMPUTE_PGM_RSRC2:TIDIG_COMP_CNT: 1
	.section	.text._ZL20rocblas_gemvn_kernelILi32ELi16EidPKddEviiT3_lPKT2_lT1_lS5_lS6_lS2_lPT4_lS6_li,"axG",@progbits,_ZL20rocblas_gemvn_kernelILi32ELi16EidPKddEviiT3_lPKT2_lT1_lS5_lS6_lS2_lPT4_lS6_li,comdat
	.globl	_ZL20rocblas_gemvn_kernelILi32ELi16EidPKddEviiT3_lPKT2_lT1_lS5_lS6_lS2_lPT4_lS6_li ; -- Begin function _ZL20rocblas_gemvn_kernelILi32ELi16EidPKddEviiT3_lPKT2_lT1_lS5_lS6_lS2_lPT4_lS6_li
	.p2align	8
	.type	_ZL20rocblas_gemvn_kernelILi32ELi16EidPKddEviiT3_lPKT2_lT1_lS5_lS6_lS2_lPT4_lS6_li,@function
_ZL20rocblas_gemvn_kernelILi32ELi16EidPKddEviiT3_lPKT2_lT1_lS5_lS6_lS2_lPT4_lS6_li: ; @_ZL20rocblas_gemvn_kernelILi32ELi16EidPKddEviiT3_lPKT2_lT1_lS5_lS6_lS2_lPT4_lS6_li
; %bb.0:
	s_load_b64 s[2:3], s[0:1], 0x9c
	s_wait_kmcnt 0x0
	s_lshr_b32 s4, s2, 16
	s_and_b32 s2, s2, 0xffff
	s_and_b32 s3, s3, 0xffff
	s_mul_i32 s2, s4, s2
	s_delay_alu instid0(SALU_CYCLE_1) | instskip(NEXT) | instid1(SALU_CYCLE_1)
	s_mul_i32 s2, s2, s3
	s_cmp_lg_u32 s2, 0x200
	s_cbranch_scc1 .LBB60_52
; %bb.1:
	s_load_b32 s31, s[0:1], 0x88
	s_lshr_b32 s34, ttmp7, 16
	s_wait_kmcnt 0x0
	s_cmp_ge_u32 s34, s31
	s_cbranch_scc1 .LBB60_52
; %bb.2:
	s_clause 0x3
	s_load_b96 s[4:6], s[0:1], 0x70
	s_load_b256 s[8:15], s[0:1], 0x8
	s_load_b96 s[28:30], s[0:1], 0x40
	s_load_b64 s[36:37], s[0:1], 0x0
	v_and_b32_e32 v9, 0x3ff, v0
	v_bfe_u32 v8, v0, 10, 10
	s_clause 0x2
	s_load_b32 s33, s[0:1], 0x28
	s_load_b128 s[24:27], s[0:1], 0x30
	s_load_b256 s[16:23], s[0:1], 0x50
	s_lshl_b32 s42, ttmp9, 7
	v_mov_b32_e32 v1, 0
	v_add_nc_u32_e32 v63, s42, v9
	v_lshl_add_u32 v5, v8, 5, v9
	v_lshlrev_b32_e32 v64, 2, v8
	s_load_b64 s[38:39], s[0:1], 0x80
	s_mov_b32 s35, 0
	v_add_nc_u32_e32 v7, 64, v63
	v_add_nc_u32_e32 v0, s42, v5
	v_or_b32_e32 v11, s42, v5
	v_add_nc_u32_e32 v6, 32, v63
	v_add_nc_u32_e32 v10, 0x60, v63
	v_or_b32_e32 v12, 3, v64
	s_wait_kmcnt 0x0
	v_mad_co_u64_u32 v[2:3], null, s6, v0, 0
	s_lshl_b64 s[2:3], s[14:15], 3
	s_ashr_i32 s1, s6, 31
	s_ashr_i32 s7, s37, 31
	s_add_nc_u64 s[12:13], s[12:13], s[2:3]
	v_cmp_gt_i32_e64 s3, s36, v7
	v_mul_lo_u32 v7, s33, v64
	s_lshl_b64 s[4:5], s[4:5], 3
	s_wait_alu 0xfffe
	s_lshr_b32 s2, s7, 26
	v_mad_co_u64_u32 v[3:4], null, s1, v0, v[3:4]
	v_mul_lo_u32 v4, s6, v11
	v_cmp_gt_i32_e64 s6, s36, v11
	v_mul_lo_u32 v11, v8, s33
	s_add_co_i32 s43, s37, s2
	s_add_nc_u64 s[22:23], s[22:23], s[4:5]
	v_cmp_gt_i32_e64 s2, s36, v6
	v_cmp_gt_i32_e64 s4, s36, v10
	v_lshlrev_b32_e32 v6, 3, v9
	v_or_b32_e32 v10, 2, v64
	v_mul_lo_u32 v13, v8, s30
	s_lshl_b64 s[14:15], s[28:29], 3
	s_ashr_i32 s29, s36, 31
	s_mov_b32 s28, s36
	s_wait_alu 0xfffe
	s_and_not1_b32 s43, s43, 63
	s_add_nc_u64 s[14:15], s[26:27], s[14:15]
	v_cmp_gt_i64_e32 vcc_lo, s[28:29], v[0:1]
	v_lshl_add_u32 v0, v8, 10, v6
	v_lshl_add_u32 v65, v8, 8, v6
	v_add3_u32 v66, v7, s33, v9
	v_mad_co_u64_u32 v[6:7], null, s33, v10, v[9:10]
	s_mov_b32 s26, s30
	s_wait_alu 0xfffe
	s_sub_co_i32 s5, s37, s43
	v_mad_co_u64_u32 v[7:8], null, s33, v12, v[9:10]
	v_lshl_add_u32 v67, v11, 2, v9
	v_mad_co_u64_u32 v[8:9], null, s30, v64, s[26:27]
	v_mul_lo_u32 v68, s30, v10
	v_mul_lo_u32 v69, s30, v12
	s_cmp_gt_i32 s5, 0
	v_cmp_gt_u32_e64 s5, 0x80, v5
	v_lshlrev_b64_e32 v[9:10], 3, v[2:3]
	v_cmp_gt_i32_e64 s0, s36, v63
	v_cmp_gt_i32_e64 s1, s43, v64
	v_ashrrev_i32_e32 v5, 31, v4
	v_lshlrev_b32_e32 v70, 2, v13
	s_cselect_b32 s36, -1, 0
	s_and_b32 s44, s5, vcc_lo
	s_lshl_b32 s45, s33, 6
	s_lshl_b32 s46, s30, 6
	s_branch .LBB60_5
.LBB60_3:                               ;   in Loop: Header=BB60_5 Depth=1
	s_wait_alu 0xfffe
	s_or_b32 exec_lo, exec_lo, s7
.LBB60_4:                               ;   in Loop: Header=BB60_5 Depth=1
	s_add_co_i32 s34, s34, 0x10000
	s_delay_alu instid0(SALU_CYCLE_1)
	s_cmp_lt_u32 s34, s31
	s_cbranch_scc0 .LBB60_52
.LBB60_5:                               ; =>This Loop Header: Depth=1
                                        ;     Child Loop BB60_18 Depth 2
	s_mul_u64 s[26:27], s[10:11], s[34:35]
	s_mul_u64 s[28:29], s[20:21], s[34:35]
	s_wait_alu 0xfffe
	s_lshl_b64 s[26:27], s[26:27], 3
	s_lshl_b64 s[28:29], s[28:29], 3
	s_wait_alu 0xfffe
	s_add_nc_u64 s[26:27], s[8:9], s[26:27]
	s_add_nc_u64 s[28:29], s[18:19], s[28:29]
	s_clause 0x1
	global_load_b64 v[13:14], v1, s[26:27]
	global_load_b64 v[11:12], v1, s[28:29]
	s_wait_loadcnt 0x1
	v_cmp_eq_f64_e32 vcc_lo, 0, v[13:14]
	s_wait_loadcnt 0x0
	v_cmp_eq_f64_e64 s7, 1.0, v[11:12]
	s_and_b32 s7, vcc_lo, s7
	s_wait_alu 0xfffe
	s_and_b32 vcc_lo, exec_lo, s7
	s_wait_alu 0xfffe
	s_cbranch_vccnz .LBB60_4
; %bb.6:                                ;   in Loop: Header=BB60_5 Depth=1
	v_cmp_neq_f64_e32 vcc_lo, 0, v[13:14]
	s_mul_u64 s[26:27], s[38:39], s[34:35]
	s_wait_alu 0xfffe
	s_lshl_b64 s[26:27], s[26:27], 3
	s_wait_alu 0xfffe
	s_add_nc_u64 s[26:27], s[22:23], s[26:27]
	s_cbranch_vccnz .LBB60_11
; %bb.7:                                ;   in Loop: Header=BB60_5 Depth=1
	s_mov_b32 s7, 0
	s_mov_b32 s47, 0
                                        ; implicit-def: $vgpr15_vgpr16
	s_and_saveexec_b32 s28, s44
	s_cbranch_execz .LBB60_23
; %bb.8:                                ;   in Loop: Header=BB60_5 Depth=1
	v_cmp_eq_f64_e32 vcc_lo, 0, v[11:12]
	v_mov_b32_e32 v15, 0
	v_mov_b32_e32 v16, 0
	s_cbranch_vccnz .LBB60_10
; %bb.9:                                ;   in Loop: Header=BB60_5 Depth=1
	s_wait_alu 0xfffe
	v_add_co_u32 v15, vcc_lo, s26, v9
	s_wait_alu 0xfffd
	v_add_co_ci_u32_e64 v16, null, s27, v10, vcc_lo
	global_load_b64 v[15:16], v[15:16], off
	s_wait_loadcnt 0x0
	v_mul_f64_e32 v[15:16], v[11:12], v[15:16]
.LBB60_10:                              ;   in Loop: Header=BB60_5 Depth=1
	s_mov_b32 s47, exec_lo
	s_wait_alu 0xfffe
	s_or_b32 exec_lo, exec_lo, s28
	s_delay_alu instid0(SALU_CYCLE_1)
	s_and_b32 vcc_lo, exec_lo, s7
	s_wait_alu 0xfffe
	s_cbranch_vccnz .LBB60_12
	s_branch .LBB60_24
.LBB60_11:                              ;   in Loop: Header=BB60_5 Depth=1
	s_mov_b32 s47, 0
                                        ; implicit-def: $vgpr15_vgpr16
	s_cbranch_execz .LBB60_24
.LBB60_12:                              ;   in Loop: Header=BB60_5 Depth=1
	v_mov_b32_e32 v15, 0
	v_mov_b32_e32 v19, 0
	s_mul_u64 s[28:29], s[24:25], s[34:35]
	s_mul_u64 s[40:41], s[16:17], s[34:35]
	v_dual_mov_b32 v16, 0 :: v_dual_mov_b32 v17, 0
	v_dual_mov_b32 v20, 0 :: v_dual_mov_b32 v21, 0
	v_mov_b32_e32 v18, 0
	v_dual_mov_b32 v22, 0 :: v_dual_mov_b32 v71, v64
	s_wait_alu 0xfffe
	s_lshl_b64 s[28:29], s[28:29], 3
	s_lshl_b64 s[40:41], s[40:41], 3
	s_wait_alu 0xfffe
	s_add_nc_u64 s[28:29], s[12:13], s[28:29]
	s_add_nc_u64 s[40:41], s[14:15], s[40:41]
	s_and_saveexec_b32 s7, s1
	s_cbranch_execz .LBB60_26
; %bb.13:                               ;   in Loop: Header=BB60_5 Depth=1
	v_mov_b32_e32 v17, 0
	v_dual_mov_b32 v15, 0 :: v_dual_mov_b32 v72, v67
	v_dual_mov_b32 v18, 0 :: v_dual_mov_b32 v19, 0
	;; [unrolled: 1-line block ×6, first 2 shown]
	s_mov_b32 s48, 0
	s_mov_b32 s49, 0
	s_branch .LBB60_18
.LBB60_14:                              ;   in Loop: Header=BB60_18 Depth=2
	s_or_b32 exec_lo, exec_lo, s53
	s_wait_loadcnt 0x3
	v_fma_f64 v[19:20], v[23:24], v[55:56], v[19:20]
	s_wait_loadcnt 0x2
	s_delay_alu instid0(VALU_DEP_1) | instskip(SKIP_1) | instid1(VALU_DEP_1)
	v_fma_f64 v[19:20], v[25:26], v[57:58], v[19:20]
	s_wait_loadcnt 0x1
	v_fma_f64 v[19:20], v[27:28], v[59:60], v[19:20]
	s_wait_loadcnt 0x0
	s_delay_alu instid0(VALU_DEP_1)
	v_fma_f64 v[19:20], v[29:30], v[61:62], v[19:20]
.LBB60_15:                              ;   in Loop: Header=BB60_18 Depth=2
	s_or_b32 exec_lo, exec_lo, s52
	s_wait_loadcnt 0x3
	v_fma_f64 v[17:18], v[23:24], v[47:48], v[17:18]
	s_wait_loadcnt 0x2
	s_delay_alu instid0(VALU_DEP_1) | instskip(SKIP_1) | instid1(VALU_DEP_1)
	v_fma_f64 v[17:18], v[25:26], v[49:50], v[17:18]
	s_wait_loadcnt 0x1
	v_fma_f64 v[17:18], v[27:28], v[51:52], v[17:18]
	s_wait_loadcnt 0x0
	s_delay_alu instid0(VALU_DEP_1)
	v_fma_f64 v[17:18], v[29:30], v[53:54], v[17:18]
.LBB60_16:                              ;   in Loop: Header=BB60_18 Depth=2
	s_or_b32 exec_lo, exec_lo, s51
	s_wait_loadcnt 0x3
	v_fma_f64 v[15:16], v[23:24], v[31:32], v[15:16]
	s_wait_loadcnt 0x2
	s_delay_alu instid0(VALU_DEP_1) | instskip(SKIP_1) | instid1(VALU_DEP_1)
	v_fma_f64 v[15:16], v[25:26], v[33:34], v[15:16]
	s_wait_loadcnt 0x1
	v_fma_f64 v[15:16], v[27:28], v[35:36], v[15:16]
	s_wait_loadcnt 0x0
	s_delay_alu instid0(VALU_DEP_1)
	v_fma_f64 v[15:16], v[29:30], v[37:38], v[15:16]
.LBB60_17:                              ;   in Loop: Header=BB60_18 Depth=2
	s_or_b32 exec_lo, exec_lo, s50
	v_add_nc_u32_e32 v71, 64, v71
	v_add_nc_u32_e32 v75, s45, v75
	;; [unrolled: 1-line block ×5, first 2 shown]
	v_cmp_le_i32_e32 vcc_lo, s43, v71
	s_wait_alu 0xfffe
	s_add_co_i32 s49, s49, s46
	s_or_b32 s48, vcc_lo, s48
	s_wait_alu 0xfffe
	s_and_not1_b32 exec_lo, exec_lo, s48
	s_cbranch_execz .LBB60_25
.LBB60_18:                              ;   Parent Loop BB60_5 Depth=1
                                        ; =>  This Inner Loop Header: Depth=2
	s_and_saveexec_b32 s50, s0
	s_cbranch_execz .LBB60_17
; %bb.19:                               ;   in Loop: Header=BB60_18 Depth=2
	s_wait_alu 0xfffe
	v_add_nc_u32_e32 v23, s49, v70
	v_add_nc_u32_e32 v25, s49, v8
	;; [unrolled: 1-line block ×5, first 2 shown]
	v_ashrrev_i32_e32 v24, 31, v23
	v_ashrrev_i32_e32 v26, 31, v25
	;; [unrolled: 1-line block ×3, first 2 shown]
	v_add_nc_u32_e32 v33, s42, v75
	v_ashrrev_i32_e32 v30, 31, v29
	v_lshlrev_b64_e32 v[23:24], 3, v[23:24]
	v_lshlrev_b64_e32 v[25:26], 3, v[25:26]
	v_ashrrev_i32_e32 v32, 31, v31
	v_lshlrev_b64_e32 v[27:28], 3, v[27:28]
	v_ashrrev_i32_e32 v34, 31, v33
	v_lshlrev_b64_e32 v[29:30], 3, v[29:30]
	v_add_co_u32 v23, vcc_lo, s40, v23
	v_add_nc_u32_e32 v35, s42, v74
	s_wait_alu 0xfffd
	v_add_co_ci_u32_e64 v24, null, s41, v24, vcc_lo
	v_add_co_u32 v25, vcc_lo, s40, v25
	v_lshlrev_b64_e32 v[31:32], 3, v[31:32]
	v_add_nc_u32_e32 v37, s42, v73
	s_wait_alu 0xfffd
	v_add_co_ci_u32_e64 v26, null, s41, v26, vcc_lo
	v_add_co_u32 v27, vcc_lo, s40, v27
	v_lshlrev_b64_e32 v[33:34], 3, v[33:34]
	v_ashrrev_i32_e32 v36, 31, v35
	s_wait_alu 0xfffd
	v_add_co_ci_u32_e64 v28, null, s41, v28, vcc_lo
	v_add_co_u32 v29, vcc_lo, s40, v29
	v_ashrrev_i32_e32 v38, 31, v37
	s_wait_alu 0xfffd
	v_add_co_ci_u32_e64 v30, null, s41, v30, vcc_lo
	v_add_co_u32 v39, vcc_lo, s28, v31
	s_wait_alu 0xfffd
	v_add_co_ci_u32_e64 v40, null, s29, v32, vcc_lo
	v_lshlrev_b64_e32 v[31:32], 3, v[35:36]
	v_add_co_u32 v41, vcc_lo, s28, v33
	s_wait_alu 0xfffd
	v_add_co_ci_u32_e64 v42, null, s29, v34, vcc_lo
	v_lshlrev_b64_e32 v[33:34], 3, v[37:38]
	s_delay_alu instid0(VALU_DEP_4) | instskip(SKIP_2) | instid1(VALU_DEP_3)
	v_add_co_u32 v43, vcc_lo, s28, v31
	s_wait_alu 0xfffd
	v_add_co_ci_u32_e64 v44, null, s29, v32, vcc_lo
	v_add_co_u32 v45, vcc_lo, s28, v33
	s_wait_alu 0xfffd
	v_add_co_ci_u32_e64 v46, null, s29, v34, vcc_lo
	s_clause 0x3
	global_load_b64 v[23:24], v[23:24], off
	global_load_b64 v[25:26], v[25:26], off
	;; [unrolled: 1-line block ×4, first 2 shown]
	s_clause 0x3
	global_load_b64 v[31:32], v[39:40], off
	global_load_b64 v[33:34], v[41:42], off
	;; [unrolled: 1-line block ×4, first 2 shown]
	s_and_saveexec_b32 s51, s2
	s_cbranch_execz .LBB60_16
; %bb.20:                               ;   in Loop: Header=BB60_18 Depth=2
	s_clause 0x3
	global_load_b64 v[47:48], v[39:40], off offset:256
	global_load_b64 v[49:50], v[41:42], off offset:256
	global_load_b64 v[51:52], v[43:44], off offset:256
	global_load_b64 v[53:54], v[45:46], off offset:256
	s_and_saveexec_b32 s52, s3
	s_cbranch_execz .LBB60_15
; %bb.21:                               ;   in Loop: Header=BB60_18 Depth=2
	s_clause 0x3
	global_load_b64 v[55:56], v[39:40], off offset:512
	global_load_b64 v[57:58], v[41:42], off offset:512
	global_load_b64 v[59:60], v[43:44], off offset:512
	global_load_b64 v[61:62], v[45:46], off offset:512
	;; [unrolled: 8-line block ×3, first 2 shown]
	s_wait_loadcnt 0x3
	v_fma_f64 v[21:22], v[23:24], v[39:40], v[21:22]
	s_wait_loadcnt 0x2
	s_delay_alu instid0(VALU_DEP_1) | instskip(SKIP_1) | instid1(VALU_DEP_1)
	v_fma_f64 v[21:22], v[25:26], v[41:42], v[21:22]
	s_wait_loadcnt 0x1
	v_fma_f64 v[21:22], v[27:28], v[43:44], v[21:22]
	s_wait_loadcnt 0x0
	s_delay_alu instid0(VALU_DEP_1)
	v_fma_f64 v[21:22], v[29:30], v[45:46], v[21:22]
	s_branch .LBB60_14
.LBB60_23:                              ;   in Loop: Header=BB60_5 Depth=1
	s_wait_alu 0xfffe
	s_or_b32 exec_lo, exec_lo, s28
	s_delay_alu instid0(SALU_CYCLE_1)
	s_and_b32 vcc_lo, exec_lo, s7
	s_wait_alu 0xfffe
	s_cbranch_vccnz .LBB60_12
.LBB60_24:                              ;   in Loop: Header=BB60_5 Depth=1
	v_dual_mov_b32 v12, v3 :: v_dual_mov_b32 v11, v2
	s_and_saveexec_b32 s7, s47
	s_cbranch_execz .LBB60_3
	s_branch .LBB60_51
.LBB60_25:                              ;   in Loop: Header=BB60_5 Depth=1
	s_or_b32 exec_lo, exec_lo, s48
.LBB60_26:                              ;   in Loop: Header=BB60_5 Depth=1
	s_wait_alu 0xfffe
	s_or_b32 exec_lo, exec_lo, s7
	s_delay_alu instid0(SALU_CYCLE_1)
	s_and_not1_b32 vcc_lo, exec_lo, s36
	s_wait_alu 0xfffe
	s_cbranch_vccnz .LBB60_44
; %bb.27:                               ;   in Loop: Header=BB60_5 Depth=1
	v_mov_b32_e32 v29, 0
	v_dual_mov_b32 v25, 0 :: v_dual_mov_b32 v30, 0
	v_dual_mov_b32 v27, 0 :: v_dual_mov_b32 v26, 0
	v_mov_b32_e32 v23, 0
	v_cmp_gt_i32_e32 vcc_lo, s37, v71
	v_mov_b32_e32 v28, 0
	v_mov_b32_e32 v24, 0
	v_or_b32_e32 v31, 1, v71
	s_and_saveexec_b32 s48, vcc_lo
	s_cbranch_execz .LBB60_35
; %bb.28:                               ;   in Loop: Header=BB60_5 Depth=1
	v_mul_lo_u32 v23, v71, s30
	v_mov_b32_e32 v25, 0
	v_dual_mov_b32 v26, 0 :: v_dual_mov_b32 v27, 0
	v_dual_mov_b32 v29, 0 :: v_dual_mov_b32 v28, 0
	v_mov_b32_e32 v30, 0
	s_mov_b32 s49, exec_lo
	v_ashrrev_i32_e32 v24, 31, v23
	s_delay_alu instid0(VALU_DEP_1) | instskip(NEXT) | instid1(VALU_DEP_1)
	v_lshlrev_b64_e32 v[23:24], 3, v[23:24]
	v_add_co_u32 v23, s7, s40, v23
	s_wait_alu 0xf1ff
	s_delay_alu instid0(VALU_DEP_2)
	v_add_co_ci_u32_e64 v24, null, s41, v24, s7
	global_load_b64 v[23:24], v[23:24], off
	v_cmpx_gt_i32_e64 s37, v31
	s_cbranch_execz .LBB60_34
; %bb.29:                               ;   in Loop: Header=BB60_5 Depth=1
	v_mul_lo_u32 v25, v31, s30
	v_mov_b32_e32 v27, 0
	v_dual_mov_b32 v28, 0 :: v_dual_mov_b32 v29, 0
	v_or_b32_e32 v32, 2, v71
	v_mov_b32_e32 v30, 0
	s_mov_b32 s50, exec_lo
	v_ashrrev_i32_e32 v26, 31, v25
	s_delay_alu instid0(VALU_DEP_1) | instskip(NEXT) | instid1(VALU_DEP_1)
	v_lshlrev_b64_e32 v[25:26], 3, v[25:26]
	v_add_co_u32 v25, s7, s40, v25
	s_wait_alu 0xf1ff
	s_delay_alu instid0(VALU_DEP_2)
	v_add_co_ci_u32_e64 v26, null, s41, v26, s7
	global_load_b64 v[25:26], v[25:26], off
	v_cmpx_gt_i32_e64 s37, v32
	s_cbranch_execz .LBB60_33
; %bb.30:                               ;   in Loop: Header=BB60_5 Depth=1
	v_mul_lo_u32 v27, v32, s30
	v_mov_b32_e32 v29, 0
	v_or_b32_e32 v32, 3, v71
	v_mov_b32_e32 v30, 0
	s_mov_b32 s51, exec_lo
	s_delay_alu instid0(VALU_DEP_4) | instskip(NEXT) | instid1(VALU_DEP_1)
	v_ashrrev_i32_e32 v28, 31, v27
	v_lshlrev_b64_e32 v[27:28], 3, v[27:28]
	s_delay_alu instid0(VALU_DEP_1) | instskip(SKIP_1) | instid1(VALU_DEP_2)
	v_add_co_u32 v27, s7, s40, v27
	s_wait_alu 0xf1ff
	v_add_co_ci_u32_e64 v28, null, s41, v28, s7
	global_load_b64 v[27:28], v[27:28], off
	v_cmpx_gt_i32_e64 s37, v32
	s_cbranch_execz .LBB60_32
; %bb.31:                               ;   in Loop: Header=BB60_5 Depth=1
	v_mul_lo_u32 v29, v32, s30
	s_delay_alu instid0(VALU_DEP_1) | instskip(NEXT) | instid1(VALU_DEP_1)
	v_ashrrev_i32_e32 v30, 31, v29
	v_lshlrev_b64_e32 v[29:30], 3, v[29:30]
	s_delay_alu instid0(VALU_DEP_1) | instskip(SKIP_1) | instid1(VALU_DEP_2)
	v_add_co_u32 v29, s7, s40, v29
	s_wait_alu 0xf1ff
	v_add_co_ci_u32_e64 v30, null, s41, v30, s7
	global_load_b64 v[29:30], v[29:30], off
.LBB60_32:                              ;   in Loop: Header=BB60_5 Depth=1
	s_or_b32 exec_lo, exec_lo, s51
.LBB60_33:                              ;   in Loop: Header=BB60_5 Depth=1
	s_delay_alu instid0(SALU_CYCLE_1)
	s_or_b32 exec_lo, exec_lo, s50
.LBB60_34:                              ;   in Loop: Header=BB60_5 Depth=1
	s_wait_alu 0xfffe
	s_or_b32 exec_lo, exec_lo, s49
.LBB60_35:                              ;   in Loop: Header=BB60_5 Depth=1
	s_wait_alu 0xfffe
	s_or_b32 exec_lo, exec_lo, s48
	s_and_saveexec_b32 s7, s0
	s_cbranch_execz .LBB60_43
; %bb.36:                               ;   in Loop: Header=BB60_5 Depth=1
	v_mul_lo_u32 v33, v71, s33
	v_or_b32_e32 v32, 2, v71
	v_mul_lo_u32 v35, v31, s33
	v_or_b32_e32 v34, 3, v71
	s_delay_alu instid0(VALU_DEP_3) | instskip(NEXT) | instid1(VALU_DEP_2)
	v_mul_lo_u32 v36, v32, s33
	v_mul_lo_u32 v37, v34, s33
	v_cndmask_b32_e32 v33, 0, v33, vcc_lo
	v_cmp_gt_i32_e32 vcc_lo, s37, v31
	s_wait_alu 0xfffd
	v_cndmask_b32_e32 v35, 0, v35, vcc_lo
	v_cmp_gt_i32_e32 vcc_lo, s37, v32
	s_wait_alu 0xfffd
	;; [unrolled: 3-line block ×3, first 2 shown]
	v_dual_cndmask_b32 v34, 0, v37 :: v_dual_add_nc_u32 v31, v33, v63
	v_add_nc_u32_e32 v33, v35, v63
	v_add_nc_u32_e32 v35, v32, v63
	s_delay_alu instid0(VALU_DEP_3) | instskip(NEXT) | instid1(VALU_DEP_4)
	v_ashrrev_i32_e32 v32, 31, v31
	v_add_nc_u32_e32 v37, v34, v63
	s_delay_alu instid0(VALU_DEP_4) | instskip(NEXT) | instid1(VALU_DEP_4)
	v_ashrrev_i32_e32 v34, 31, v33
	v_ashrrev_i32_e32 v36, 31, v35
	s_delay_alu instid0(VALU_DEP_4) | instskip(NEXT) | instid1(VALU_DEP_4)
	v_lshlrev_b64_e32 v[31:32], 3, v[31:32]
	v_ashrrev_i32_e32 v38, 31, v37
	s_delay_alu instid0(VALU_DEP_4) | instskip(NEXT) | instid1(VALU_DEP_4)
	v_lshlrev_b64_e32 v[33:34], 3, v[33:34]
	v_lshlrev_b64_e32 v[35:36], 3, v[35:36]
	s_delay_alu instid0(VALU_DEP_4) | instskip(NEXT) | instid1(VALU_DEP_4)
	v_add_co_u32 v47, vcc_lo, s28, v31
	v_lshlrev_b64_e32 v[37:38], 3, v[37:38]
	s_wait_alu 0xfffd
	v_add_co_ci_u32_e64 v48, null, s29, v32, vcc_lo
	v_add_co_u32 v49, vcc_lo, s28, v33
	s_wait_alu 0xfffd
	v_add_co_ci_u32_e64 v50, null, s29, v34, vcc_lo
	v_add_co_u32 v51, vcc_lo, s28, v35
	;; [unrolled: 3-line block ×3, first 2 shown]
	s_wait_alu 0xfffd
	v_add_co_ci_u32_e64 v54, null, s29, v38, vcc_lo
	s_clause 0x3
	global_load_b64 v[31:32], v[47:48], off
	global_load_b64 v[33:34], v[49:50], off
	;; [unrolled: 1-line block ×4, first 2 shown]
	s_and_saveexec_b32 s28, s2
	s_cbranch_execz .LBB60_42
; %bb.37:                               ;   in Loop: Header=BB60_5 Depth=1
	s_clause 0x3
	global_load_b64 v[39:40], v[47:48], off offset:256
	global_load_b64 v[41:42], v[49:50], off offset:256
	global_load_b64 v[43:44], v[51:52], off offset:256
	global_load_b64 v[45:46], v[53:54], off offset:256
	s_and_saveexec_b32 s29, s3
	s_cbranch_execz .LBB60_41
; %bb.38:                               ;   in Loop: Header=BB60_5 Depth=1
	s_clause 0x3
	global_load_b64 v[55:56], v[47:48], off offset:512
	global_load_b64 v[57:58], v[49:50], off offset:512
	global_load_b64 v[59:60], v[51:52], off offset:512
	global_load_b64 v[61:62], v[53:54], off offset:512
	;; [unrolled: 8-line block ×3, first 2 shown]
	s_wait_loadcnt 0x3
	v_fma_f64 v[21:22], v[23:24], v[47:48], v[21:22]
	s_wait_loadcnt 0x2
	s_delay_alu instid0(VALU_DEP_1) | instskip(SKIP_1) | instid1(VALU_DEP_1)
	v_fma_f64 v[21:22], v[25:26], v[49:50], v[21:22]
	s_wait_loadcnt 0x1
	v_fma_f64 v[21:22], v[27:28], v[51:52], v[21:22]
	s_wait_loadcnt 0x0
	s_delay_alu instid0(VALU_DEP_1)
	v_fma_f64 v[21:22], v[29:30], v[53:54], v[21:22]
.LBB60_40:                              ;   in Loop: Header=BB60_5 Depth=1
	s_wait_alu 0xfffe
	s_or_b32 exec_lo, exec_lo, s40
	s_wait_loadcnt 0x3
	v_fma_f64 v[19:20], v[23:24], v[55:56], v[19:20]
	s_wait_loadcnt 0x2
	s_delay_alu instid0(VALU_DEP_1) | instskip(SKIP_1) | instid1(VALU_DEP_1)
	v_fma_f64 v[19:20], v[25:26], v[57:58], v[19:20]
	s_wait_loadcnt 0x1
	v_fma_f64 v[19:20], v[27:28], v[59:60], v[19:20]
	s_wait_loadcnt 0x0
	s_delay_alu instid0(VALU_DEP_1)
	v_fma_f64 v[19:20], v[29:30], v[61:62], v[19:20]
.LBB60_41:                              ;   in Loop: Header=BB60_5 Depth=1
	s_wait_alu 0xfffe
	s_or_b32 exec_lo, exec_lo, s29
	s_wait_loadcnt 0x3
	v_fma_f64 v[17:18], v[23:24], v[39:40], v[17:18]
	s_wait_loadcnt 0x2
	s_delay_alu instid0(VALU_DEP_1) | instskip(SKIP_1) | instid1(VALU_DEP_1)
	v_fma_f64 v[17:18], v[25:26], v[41:42], v[17:18]
	s_wait_loadcnt 0x1
	v_fma_f64 v[17:18], v[27:28], v[43:44], v[17:18]
	s_wait_loadcnt 0x0
	s_delay_alu instid0(VALU_DEP_1)
	v_fma_f64 v[17:18], v[29:30], v[45:46], v[17:18]
.LBB60_42:                              ;   in Loop: Header=BB60_5 Depth=1
	s_wait_alu 0xfffe
	s_or_b32 exec_lo, exec_lo, s28
	s_wait_loadcnt 0x3
	v_fma_f64 v[15:16], v[23:24], v[31:32], v[15:16]
	s_wait_loadcnt 0x2
	s_delay_alu instid0(VALU_DEP_1) | instskip(SKIP_1) | instid1(VALU_DEP_1)
	v_fma_f64 v[15:16], v[25:26], v[33:34], v[15:16]
	s_wait_loadcnt 0x1
	v_fma_f64 v[15:16], v[27:28], v[35:36], v[15:16]
	s_wait_loadcnt 0x0
	s_delay_alu instid0(VALU_DEP_1)
	v_fma_f64 v[15:16], v[29:30], v[37:38], v[15:16]
.LBB60_43:                              ;   in Loop: Header=BB60_5 Depth=1
	s_wait_alu 0xfffe
	s_or_b32 exec_lo, exec_lo, s7
.LBB60_44:                              ;   in Loop: Header=BB60_5 Depth=1
	ds_store_2addr_b64 v0, v[15:16], v[17:18] offset1:32
	ds_store_2addr_b64 v0, v[19:20], v[21:22] offset0:64 offset1:96
	s_wait_loadcnt_dscnt 0x0
	s_barrier_signal -1
	s_barrier_wait -1
	global_inv scope:SCOPE_SE
                                        ; implicit-def: $vgpr15_vgpr16
	s_and_saveexec_b32 s7, s5
	s_cbranch_execz .LBB60_50
; %bb.45:                               ;   in Loop: Header=BB60_5 Depth=1
	ds_load_2addr_stride64_b64 v[15:18], v65 offset1:2
	s_mov_b32 s29, s47
	s_wait_dscnt 0x0
	v_add_f64_e32 v[19:20], v[15:16], v[17:18]
	ds_load_2addr_stride64_b64 v[15:18], v65 offset0:4 offset1:6
	s_wait_dscnt 0x0
	v_add_f64_e32 v[15:16], v[15:16], v[19:20]
	s_delay_alu instid0(VALU_DEP_1) | instskip(SKIP_3) | instid1(VALU_DEP_1)
	v_add_f64_e32 v[19:20], v[17:18], v[15:16]
	ds_load_2addr_stride64_b64 v[15:18], v65 offset0:8 offset1:10
	s_wait_dscnt 0x0
	v_add_f64_e32 v[15:16], v[15:16], v[19:20]
	v_add_f64_e32 v[19:20], v[17:18], v[15:16]
	ds_load_2addr_stride64_b64 v[15:18], v65 offset0:12 offset1:14
	s_wait_dscnt 0x0
	v_add_f64_e32 v[15:16], v[15:16], v[19:20]
	s_delay_alu instid0(VALU_DEP_1) | instskip(SKIP_3) | instid1(VALU_DEP_1)
	v_add_f64_e32 v[19:20], v[17:18], v[15:16]
	ds_load_2addr_stride64_b64 v[15:18], v65 offset0:16 offset1:18
	s_wait_dscnt 0x0
	v_add_f64_e32 v[15:16], v[15:16], v[19:20]
	;; [unrolled: 9-line block ×3, first 2 shown]
	v_add_f64_e32 v[19:20], v[17:18], v[15:16]
	ds_load_2addr_stride64_b64 v[15:18], v65 offset0:28 offset1:30
	s_wait_dscnt 0x0
	v_add_f64_e32 v[15:16], v[15:16], v[19:20]
	s_delay_alu instid0(VALU_DEP_1)
	v_add_f64_e32 v[17:18], v[17:18], v[15:16]
                                        ; implicit-def: $vgpr15_vgpr16
	ds_store_b64 v65, v[17:18]
	s_and_saveexec_b32 s28, s6
	s_cbranch_execz .LBB60_49
; %bb.46:                               ;   in Loop: Header=BB60_5 Depth=1
	v_cmp_eq_f64_e32 vcc_lo, 0, v[11:12]
	v_mul_f64_e32 v[15:16], v[13:14], v[17:18]
	s_cbranch_vccnz .LBB60_48
; %bb.47:                               ;   in Loop: Header=BB60_5 Depth=1
	v_lshlrev_b64_e32 v[13:14], 3, v[4:5]
	s_delay_alu instid0(VALU_DEP_1) | instskip(SKIP_1) | instid1(VALU_DEP_2)
	v_add_co_u32 v13, vcc_lo, s26, v13
	s_wait_alu 0xfffd
	v_add_co_ci_u32_e64 v14, null, s27, v14, vcc_lo
	global_load_b64 v[13:14], v[13:14], off
	s_wait_loadcnt 0x0
	v_fma_f64 v[15:16], v[11:12], v[13:14], v[15:16]
.LBB60_48:                              ;   in Loop: Header=BB60_5 Depth=1
	s_or_b32 s29, s47, exec_lo
.LBB60_49:                              ;   in Loop: Header=BB60_5 Depth=1
	s_wait_alu 0xfffe
	s_or_b32 exec_lo, exec_lo, s28
	s_delay_alu instid0(SALU_CYCLE_1)
	s_and_not1_b32 s28, s47, exec_lo
	s_and_b32 s29, s29, exec_lo
	s_wait_alu 0xfffe
	s_or_b32 s47, s28, s29
.LBB60_50:                              ;   in Loop: Header=BB60_5 Depth=1
	s_wait_alu 0xfffe
	s_or_b32 exec_lo, exec_lo, s7
	v_dual_mov_b32 v12, v5 :: v_dual_mov_b32 v11, v4
	s_and_saveexec_b32 s7, s47
	s_cbranch_execz .LBB60_3
.LBB60_51:                              ;   in Loop: Header=BB60_5 Depth=1
	s_delay_alu instid0(VALU_DEP_1) | instskip(SKIP_1) | instid1(VALU_DEP_1)
	v_lshlrev_b64_e32 v[11:12], 3, v[11:12]
	s_wait_alu 0xfffe
	v_add_co_u32 v11, vcc_lo, s26, v11
	s_wait_alu 0xfffd
	s_delay_alu instid0(VALU_DEP_2)
	v_add_co_ci_u32_e64 v12, null, s27, v12, vcc_lo
	global_store_b64 v[11:12], v[15:16], off
	s_branch .LBB60_3
.LBB60_52:
	s_endpgm
	.section	.rodata,"a",@progbits
	.p2align	6, 0x0
	.amdhsa_kernel _ZL20rocblas_gemvn_kernelILi32ELi16EidPKddEviiT3_lPKT2_lT1_lS5_lS6_lS2_lPT4_lS6_li
		.amdhsa_group_segment_fixed_size 16384
		.amdhsa_private_segment_fixed_size 0
		.amdhsa_kernarg_size 400
		.amdhsa_user_sgpr_count 2
		.amdhsa_user_sgpr_dispatch_ptr 0
		.amdhsa_user_sgpr_queue_ptr 0
		.amdhsa_user_sgpr_kernarg_segment_ptr 1
		.amdhsa_user_sgpr_dispatch_id 0
		.amdhsa_user_sgpr_private_segment_size 0
		.amdhsa_wavefront_size32 1
		.amdhsa_uses_dynamic_stack 0
		.amdhsa_enable_private_segment 0
		.amdhsa_system_sgpr_workgroup_id_x 1
		.amdhsa_system_sgpr_workgroup_id_y 0
		.amdhsa_system_sgpr_workgroup_id_z 1
		.amdhsa_system_sgpr_workgroup_info 0
		.amdhsa_system_vgpr_workitem_id 1
		.amdhsa_next_free_vgpr 76
		.amdhsa_next_free_sgpr 54
		.amdhsa_reserve_vcc 1
		.amdhsa_float_round_mode_32 0
		.amdhsa_float_round_mode_16_64 0
		.amdhsa_float_denorm_mode_32 3
		.amdhsa_float_denorm_mode_16_64 3
		.amdhsa_fp16_overflow 0
		.amdhsa_workgroup_processor_mode 1
		.amdhsa_memory_ordered 1
		.amdhsa_forward_progress 1
		.amdhsa_inst_pref_size 27
		.amdhsa_round_robin_scheduling 0
		.amdhsa_exception_fp_ieee_invalid_op 0
		.amdhsa_exception_fp_denorm_src 0
		.amdhsa_exception_fp_ieee_div_zero 0
		.amdhsa_exception_fp_ieee_overflow 0
		.amdhsa_exception_fp_ieee_underflow 0
		.amdhsa_exception_fp_ieee_inexact 0
		.amdhsa_exception_int_div_zero 0
	.end_amdhsa_kernel
	.section	.text._ZL20rocblas_gemvn_kernelILi32ELi16EidPKddEviiT3_lPKT2_lT1_lS5_lS6_lS2_lPT4_lS6_li,"axG",@progbits,_ZL20rocblas_gemvn_kernelILi32ELi16EidPKddEviiT3_lPKT2_lT1_lS5_lS6_lS2_lPT4_lS6_li,comdat
.Lfunc_end60:
	.size	_ZL20rocblas_gemvn_kernelILi32ELi16EidPKddEviiT3_lPKT2_lT1_lS5_lS6_lS2_lPT4_lS6_li, .Lfunc_end60-_ZL20rocblas_gemvn_kernelILi32ELi16EidPKddEviiT3_lPKT2_lT1_lS5_lS6_lS2_lPT4_lS6_li
                                        ; -- End function
	.set _ZL20rocblas_gemvn_kernelILi32ELi16EidPKddEviiT3_lPKT2_lT1_lS5_lS6_lS2_lPT4_lS6_li.num_vgpr, 76
	.set _ZL20rocblas_gemvn_kernelILi32ELi16EidPKddEviiT3_lPKT2_lT1_lS5_lS6_lS2_lPT4_lS6_li.num_agpr, 0
	.set _ZL20rocblas_gemvn_kernelILi32ELi16EidPKddEviiT3_lPKT2_lT1_lS5_lS6_lS2_lPT4_lS6_li.numbered_sgpr, 54
	.set _ZL20rocblas_gemvn_kernelILi32ELi16EidPKddEviiT3_lPKT2_lT1_lS5_lS6_lS2_lPT4_lS6_li.num_named_barrier, 0
	.set _ZL20rocblas_gemvn_kernelILi32ELi16EidPKddEviiT3_lPKT2_lT1_lS5_lS6_lS2_lPT4_lS6_li.private_seg_size, 0
	.set _ZL20rocblas_gemvn_kernelILi32ELi16EidPKddEviiT3_lPKT2_lT1_lS5_lS6_lS2_lPT4_lS6_li.uses_vcc, 1
	.set _ZL20rocblas_gemvn_kernelILi32ELi16EidPKddEviiT3_lPKT2_lT1_lS5_lS6_lS2_lPT4_lS6_li.uses_flat_scratch, 0
	.set _ZL20rocblas_gemvn_kernelILi32ELi16EidPKddEviiT3_lPKT2_lT1_lS5_lS6_lS2_lPT4_lS6_li.has_dyn_sized_stack, 0
	.set _ZL20rocblas_gemvn_kernelILi32ELi16EidPKddEviiT3_lPKT2_lT1_lS5_lS6_lS2_lPT4_lS6_li.has_recursion, 0
	.set _ZL20rocblas_gemvn_kernelILi32ELi16EidPKddEviiT3_lPKT2_lT1_lS5_lS6_lS2_lPT4_lS6_li.has_indirect_call, 0
	.section	.AMDGPU.csdata,"",@progbits
; Kernel info:
; codeLenInByte = 3408
; TotalNumSgprs: 56
; NumVgprs: 76
; ScratchSize: 0
; MemoryBound: 0
; FloatMode: 240
; IeeeMode: 1
; LDSByteSize: 16384 bytes/workgroup (compile time only)
; SGPRBlocks: 0
; VGPRBlocks: 9
; NumSGPRsForWavesPerEU: 56
; NumVGPRsForWavesPerEU: 76
; Occupancy: 16
; WaveLimiterHint : 1
; COMPUTE_PGM_RSRC2:SCRATCH_EN: 0
; COMPUTE_PGM_RSRC2:USER_SGPR: 2
; COMPUTE_PGM_RSRC2:TRAP_HANDLER: 0
; COMPUTE_PGM_RSRC2:TGID_X_EN: 1
; COMPUTE_PGM_RSRC2:TGID_Y_EN: 0
; COMPUTE_PGM_RSRC2:TGID_Z_EN: 1
; COMPUTE_PGM_RSRC2:TIDIG_COMP_CNT: 1
	.section	.text._ZL20rocblas_gemvn_kernelILi32ELi16EldPKddEviiT3_lPKT2_lT1_lS5_lS6_lS2_lPT4_lS6_li,"axG",@progbits,_ZL20rocblas_gemvn_kernelILi32ELi16EldPKddEviiT3_lPKT2_lT1_lS5_lS6_lS2_lPT4_lS6_li,comdat
	.globl	_ZL20rocblas_gemvn_kernelILi32ELi16EldPKddEviiT3_lPKT2_lT1_lS5_lS6_lS2_lPT4_lS6_li ; -- Begin function _ZL20rocblas_gemvn_kernelILi32ELi16EldPKddEviiT3_lPKT2_lT1_lS5_lS6_lS2_lPT4_lS6_li
	.p2align	8
	.type	_ZL20rocblas_gemvn_kernelILi32ELi16EldPKddEviiT3_lPKT2_lT1_lS5_lS6_lS2_lPT4_lS6_li,@function
_ZL20rocblas_gemvn_kernelILi32ELi16EldPKddEviiT3_lPKT2_lT1_lS5_lS6_lS2_lPT4_lS6_li: ; @_ZL20rocblas_gemvn_kernelILi32ELi16EldPKddEviiT3_lPKT2_lT1_lS5_lS6_lS2_lPT4_lS6_li
; %bb.0:
	s_load_b64 s[2:3], s[0:1], 0x9c
	s_wait_kmcnt 0x0
	s_lshr_b32 s4, s2, 16
	s_and_b32 s2, s2, 0xffff
	s_and_b32 s3, s3, 0xffff
	s_mul_i32 s2, s4, s2
	s_delay_alu instid0(SALU_CYCLE_1) | instskip(NEXT) | instid1(SALU_CYCLE_1)
	s_mul_i32 s2, s2, s3
	s_cmp_lg_u32 s2, 0x200
	s_cbranch_scc1 .LBB61_52
; %bb.1:
	s_load_b32 s33, s[0:1], 0x88
	s_lshr_b32 s10, ttmp7, 16
	s_wait_kmcnt 0x0
	s_cmp_ge_u32 s10, s33
	s_cbranch_scc1 .LBB61_52
; %bb.2:
	s_clause 0x2
	s_load_b512 s[12:27], s[0:1], 0x8
	s_load_b512 s[36:51], s[0:1], 0x48
	s_load_b64 s[8:9], s[0:1], 0x0
	v_and_b32_e32 v5, 0x3ff, v0
	v_bfe_u32 v17, v0, 10, 10
	s_lshl_b32 s34, ttmp9, 7
	s_mov_b32 s11, 0
	s_delay_alu instid0(VALU_DEP_2) | instskip(NEXT) | instid1(VALU_DEP_2)
	v_dual_mov_b32 v1, 0 :: v_dual_add_nc_u32 v6, s34, v5
	v_lshlrev_b32_e32 v62, 2, v17
	v_lshl_add_u32 v10, v17, 5, v5
	s_delay_alu instid0(VALU_DEP_3) | instskip(SKIP_1) | instid1(VALU_DEP_4)
	v_add_nc_u32_e32 v8, 64, v6
	v_add_nc_u32_e32 v9, 0x60, v6
	v_or_b32_e32 v18, 3, v62
	s_delay_alu instid0(VALU_DEP_4)
	v_add_nc_u32_e32 v0, s34, v10
	v_or_b32_e32 v19, s34, v10
	v_ashrrev_i32_e32 v7, 31, v6
	s_wait_kmcnt 0x0
	s_lshl_b64 s[4:5], s[18:19], 3
	s_lshl_b64 s[18:19], s[26:27], 3
	s_ashr_i32 s28, s9, 31
	s_add_nc_u64 s[16:17], s[16:17], s[4:5]
	s_lshr_b32 s4, s28, 26
	s_lshl_b64 s[6:7], s[46:47], 3
	s_add_co_i32 s52, s9, s4
	s_ashr_i32 s31, s8, 31
	s_and_not1_b32 s52, s52, 63
	v_cmp_gt_i32_e64 s2, s8, v8
	s_sub_co_i32 s5, s9, s52
	v_cmp_gt_i32_e64 s3, s8, v9
	s_cmp_gt_i32 s5, 0
	v_mad_co_u64_u32 v[8:9], null, s36, v17, 0
	v_cmp_gt_u32_e64 s5, 0x80, v10
	v_mad_co_u64_u32 v[10:11], null, s20, v18, 0
	s_mov_b32 s30, s8
	s_cselect_b32 s53, -1, 0
	v_mul_lo_u32 v20, s49, v19
	s_add_nc_u64 s[28:29], s[44:45], s[6:7]
	s_ashr_i32 s6, s34, 31
	v_cmp_gt_i32_e64 s0, s8, v6
	v_mad_co_u64_u32 v[12:13], null, s37, v17, v[9:10]
	v_mov_b32_e32 v9, v11
	v_mad_co_u64_u32 v[13:14], null, s36, v18, 0
	v_or_b32_e32 v21, 2, v62
	s_mul_i32 s7, s48, s6
	s_delay_alu instid0(VALU_DEP_3)
	v_mad_co_u64_u32 v[15:16], null, s21, v18, v[9:10]
	v_mov_b32_e32 v9, v12
	v_cmp_gt_i64_e32 vcc_lo, s[30:31], v[0:1]
	v_mov_b32_e32 v12, v14
	v_add_nc_u32_e32 v4, 32, v6
	v_mad_co_u64_u32 v[2:3], null, s48, v0, 0
	v_lshlrev_b64_e32 v[8:9], 5, v[8:9]
	v_mov_b32_e32 v11, v15
	v_mad_co_u64_u32 v[14:15], null, s37, v18, v[12:13]
	v_mad_co_u64_u32 v[15:16], null, s20, v17, 0
	s_and_b32 s54, s5, vcc_lo
	v_add_co_u32 v64, vcc_lo, s24, v8
	s_delay_alu instid0(VALU_DEP_1)
	v_add_co_ci_u32_e64 v65, null, s25, v9, vcc_lo
	v_lshlrev_b64_e32 v[8:9], 3, v[10:11]
	v_mad_co_u64_u32 v[11:12], null, s20, v21, 0
	v_cmp_gt_i32_e64 s1, s8, v4
	v_mad_co_u64_u32 v[3:4], null, s49, v0, v[3:4]
	v_lshlrev_b32_e32 v4, 3, v5
	v_mov_b32_e32 v10, v16
	v_add_co_u32 v66, vcc_lo, s16, v8
	s_wait_alu 0xfffd
	v_add_co_ci_u32_e64 v67, null, s17, v9, vcc_lo
	v_lshl_add_u32 v0, v17, 10, v4
	v_lshl_add_u32 v63, v17, 8, v4
	v_mad_co_u64_u32 v[16:17], null, s21, v17, v[10:11]
	v_lshlrev_b64_e32 v[9:10], 3, v[13:14]
	v_mad_co_u64_u32 v[4:5], null, s48, v19, 0
	v_mad_co_u64_u32 v[17:18], null, s36, v21, 0
	v_mov_b32_e32 v8, v12
	v_cmp_gt_i32_e64 s6, s8, v19
	v_add_co_u32 v68, vcc_lo, s24, v9
	v_add3_u32 v5, v5, s7, v20
	s_delay_alu instid0(VALU_DEP_4)
	v_mad_co_u64_u32 v[13:14], null, s21, v21, v[8:9]
	v_mov_b32_e32 v12, v18
	v_mad_co_u64_u32 v[19:20], null, s36, v62, s[36:37]
	s_wait_alu 0xfffd
	v_add_co_ci_u32_e64 v69, null, s25, v10, vcc_lo
	v_lshlrev_b64_e32 v[9:10], 5, v[15:16]
	v_mad_co_u64_u32 v[21:22], null, s37, v21, v[12:13]
	v_mad_co_u64_u32 v[22:23], null, s20, v62, s[20:21]
	v_mov_b32_e32 v8, v20
	v_mov_b32_e32 v12, v13
	v_add_co_u32 v70, vcc_lo, s16, v9
	s_wait_alu 0xfffd
	v_add_co_ci_u32_e64 v71, null, s17, v10, vcc_lo
	v_mad_co_u64_u32 v[13:14], null, s37, v62, v[8:9]
	v_lshlrev_b64_e32 v[9:10], 3, v[11:12]
	v_mov_b32_e32 v8, v23
	v_mov_b32_e32 v18, v21
	v_lshlrev_b64_e32 v[6:7], 3, v[6:7]
	v_cmp_gt_i32_e64 s4, s52, v62
	s_add_nc_u64 s[26:27], s[24:25], s[18:19]
	v_mad_co_u64_u32 v[11:12], null, s21, v62, v[8:9]
	v_mov_b32_e32 v20, v13
	v_lshlrev_b64_e32 v[14:15], 3, v[17:18]
	v_add_co_u32 v72, vcc_lo, s16, v9
	s_wait_alu 0xfffd
	v_add_co_ci_u32_e64 v73, null, s17, v10, vcc_lo
	v_mov_b32_e32 v23, v11
	v_lshlrev_b64_e32 v[8:9], 3, v[19:20]
	v_add_co_u32 v74, vcc_lo, s24, v14
	s_wait_alu 0xfffd
	v_add_co_ci_u32_e64 v75, null, s25, v15, vcc_lo
	v_lshlrev_b64_e32 v[10:11], 3, v[22:23]
	s_delay_alu instid0(VALU_DEP_4) | instskip(SKIP_3) | instid1(VALU_DEP_4)
	v_add_co_u32 v76, vcc_lo, s24, v8
	s_wait_alu 0xfffd
	v_add_co_ci_u32_e64 v77, null, s25, v9, vcc_lo
	v_lshlrev_b64_e32 v[8:9], 3, v[2:3]
	v_add_co_u32 v78, vcc_lo, s16, v10
	s_wait_alu 0xfffd
	v_add_co_ci_u32_e64 v79, null, s17, v11, vcc_lo
	s_lshl_b64 s[30:31], s[38:39], 3
	s_lshl_b64 s[24:25], s[36:37], 9
	;; [unrolled: 1-line block ×4, first 2 shown]
	s_branch .LBB61_5
.LBB61_3:                               ;   in Loop: Header=BB61_5 Depth=1
	s_wait_alu 0xfffe
	s_or_b32 exec_lo, exec_lo, s7
.LBB61_4:                               ;   in Loop: Header=BB61_5 Depth=1
	s_add_co_i32 s10, s10, 0x10000
	s_delay_alu instid0(SALU_CYCLE_1)
	s_cmp_lt_u32 s10, s33
	s_cbranch_scc0 .LBB61_52
.LBB61_5:                               ; =>This Loop Header: Depth=1
                                        ;     Child Loop BB61_18 Depth 2
	s_mul_u64 s[46:47], s[14:15], s[10:11]
	s_mul_u64 s[48:49], s[42:43], s[10:11]
	s_wait_alu 0xfffe
	s_lshl_b64 s[46:47], s[46:47], 3
	s_lshl_b64 s[48:49], s[48:49], 3
	s_wait_alu 0xfffe
	s_add_nc_u64 s[46:47], s[12:13], s[46:47]
	s_add_nc_u64 s[48:49], s[40:41], s[48:49]
	s_clause 0x1
	global_load_b64 v[12:13], v1, s[46:47]
	global_load_b64 v[10:11], v1, s[48:49]
	s_wait_loadcnt 0x1
	v_cmp_eq_f64_e32 vcc_lo, 0, v[12:13]
	s_wait_loadcnt 0x0
	v_cmp_eq_f64_e64 s7, 1.0, v[10:11]
	s_and_b32 s7, vcc_lo, s7
	s_wait_alu 0xfffe
	s_and_b32 vcc_lo, exec_lo, s7
	s_wait_alu 0xfffe
	s_cbranch_vccnz .LBB61_4
; %bb.6:                                ;   in Loop: Header=BB61_5 Depth=1
	v_cmp_neq_f64_e32 vcc_lo, 0, v[12:13]
	s_mul_u64 s[46:47], s[50:51], s[10:11]
	s_wait_alu 0xfffe
	s_lshl_b64 s[46:47], s[46:47], 3
	s_wait_alu 0xfffe
	s_add_nc_u64 s[46:47], s[28:29], s[46:47]
	s_cbranch_vccnz .LBB61_11
; %bb.7:                                ;   in Loop: Header=BB61_5 Depth=1
	s_mov_b32 s7, 0
	s_mov_b32 s55, 0
                                        ; implicit-def: $vgpr14_vgpr15
	s_and_saveexec_b32 s8, s54
	s_cbranch_execz .LBB61_23
; %bb.8:                                ;   in Loop: Header=BB61_5 Depth=1
	v_cmp_eq_f64_e32 vcc_lo, 0, v[10:11]
	v_mov_b32_e32 v14, 0
	v_mov_b32_e32 v15, 0
	s_cbranch_vccnz .LBB61_10
; %bb.9:                                ;   in Loop: Header=BB61_5 Depth=1
	s_wait_alu 0xfffe
	v_add_co_u32 v14, vcc_lo, s46, v8
	s_wait_alu 0xfffd
	v_add_co_ci_u32_e64 v15, null, s47, v9, vcc_lo
	global_load_b64 v[14:15], v[14:15], off
	s_wait_loadcnt 0x0
	v_mul_f64_e32 v[14:15], v[10:11], v[14:15]
.LBB61_10:                              ;   in Loop: Header=BB61_5 Depth=1
	s_mov_b32 s55, exec_lo
	s_wait_alu 0xfffe
	s_or_b32 exec_lo, exec_lo, s8
	s_delay_alu instid0(SALU_CYCLE_1)
	s_and_b32 vcc_lo, exec_lo, s7
	s_wait_alu 0xfffe
	s_cbranch_vccnz .LBB61_12
	s_branch .LBB61_24
.LBB61_11:                              ;   in Loop: Header=BB61_5 Depth=1
	s_mov_b32 s55, 0
                                        ; implicit-def: $vgpr14_vgpr15
	s_cbranch_execz .LBB61_24
.LBB61_12:                              ;   in Loop: Header=BB61_5 Depth=1
	v_mov_b32_e32 v14, 0
	v_dual_mov_b32 v18, 0 :: v_dual_mov_b32 v15, 0
	v_dual_mov_b32 v16, 0 :: v_dual_mov_b32 v19, 0
	;; [unrolled: 1-line block ×4, first 2 shown]
	s_and_saveexec_b32 s8, s4
	s_cbranch_execz .LBB61_26
; %bb.13:                               ;   in Loop: Header=BB61_5 Depth=1
	s_mul_u64 s[48:49], s[30:31], s[10:11]
	s_mul_u64 s[56:57], s[34:35], s[10:11]
	s_wait_alu 0xfffe
	v_add_co_u32 v81, vcc_lo, v64, s48
	s_wait_alu 0xfffd
	v_add_co_ci_u32_e64 v82, null, s49, v65, vcc_lo
	v_add_co_u32 v83, vcc_lo, v66, s56
	s_wait_alu 0xfffd
	v_add_co_ci_u32_e64 v84, null, s57, v67, vcc_lo
	v_add_co_u32 v85, vcc_lo, v68, s48
	s_wait_alu 0xfffd
	v_add_co_ci_u32_e64 v86, null, s49, v69, vcc_lo
	v_add_co_u32 v87, vcc_lo, v70, s56
	s_wait_alu 0xfffd
	v_add_co_ci_u32_e64 v88, null, s57, v71, vcc_lo
	v_add_co_u32 v89, vcc_lo, v72, s56
	s_wait_alu 0xfffd
	v_add_co_ci_u32_e64 v90, null, s57, v73, vcc_lo
	v_add_co_u32 v91, vcc_lo, v74, s48
	s_wait_alu 0xfffd
	v_add_co_ci_u32_e64 v92, null, s49, v75, vcc_lo
	v_add_co_u32 v93, vcc_lo, v76, s48
	s_wait_alu 0xfffd
	v_add_co_ci_u32_e64 v94, null, s49, v77, vcc_lo
	v_add_co_u32 v95, vcc_lo, v78, s56
	v_mov_b32_e32 v14, 0
	v_dual_mov_b32 v18, 0 :: v_dual_mov_b32 v15, 0
	v_dual_mov_b32 v16, 0 :: v_dual_mov_b32 v19, 0
	v_mov_b32_e32 v20, 0
	s_wait_alu 0xfffd
	v_add_co_ci_u32_e64 v96, null, s57, v79, vcc_lo
	v_mov_b32_e32 v17, 0
	v_dual_mov_b32 v21, 0 :: v_dual_mov_b32 v80, v62
	s_mov_b32 s48, 0
	s_branch .LBB61_18
.LBB61_14:                              ;   in Loop: Header=BB61_18 Depth=2
	s_wait_alu 0xfffe
	s_or_b32 exec_lo, exec_lo, s57
	s_wait_loadcnt 0x3
	v_fma_f64 v[18:19], v[22:23], v[54:55], v[18:19]
	s_wait_loadcnt 0x2
	s_delay_alu instid0(VALU_DEP_1) | instskip(SKIP_1) | instid1(VALU_DEP_1)
	v_fma_f64 v[18:19], v[24:25], v[56:57], v[18:19]
	s_wait_loadcnt 0x1
	v_fma_f64 v[18:19], v[26:27], v[58:59], v[18:19]
	s_wait_loadcnt 0x0
	s_delay_alu instid0(VALU_DEP_1)
	v_fma_f64 v[18:19], v[28:29], v[60:61], v[18:19]
.LBB61_15:                              ;   in Loop: Header=BB61_18 Depth=2
	s_wait_alu 0xfffe
	s_or_b32 exec_lo, exec_lo, s56
	s_wait_loadcnt 0x3
	v_fma_f64 v[16:17], v[22:23], v[44:45], v[16:17]
	s_wait_loadcnt 0x2
	s_delay_alu instid0(VALU_DEP_1) | instskip(SKIP_1) | instid1(VALU_DEP_1)
	v_fma_f64 v[16:17], v[24:25], v[46:47], v[16:17]
	s_wait_loadcnt 0x1
	v_fma_f64 v[16:17], v[26:27], v[48:49], v[16:17]
	s_wait_loadcnt 0x0
	s_delay_alu instid0(VALU_DEP_1)
	v_fma_f64 v[16:17], v[28:29], v[50:51], v[16:17]
.LBB61_16:                              ;   in Loop: Header=BB61_18 Depth=2
	s_wait_alu 0xfffe
	s_or_b32 exec_lo, exec_lo, s49
	s_wait_loadcnt 0x3
	v_fma_f64 v[14:15], v[22:23], v[30:31], v[14:15]
	s_wait_loadcnt 0x2
	s_delay_alu instid0(VALU_DEP_1) | instskip(SKIP_1) | instid1(VALU_DEP_1)
	v_fma_f64 v[14:15], v[24:25], v[32:33], v[14:15]
	s_wait_loadcnt 0x1
	v_fma_f64 v[14:15], v[26:27], v[34:35], v[14:15]
	s_wait_loadcnt 0x0
	s_delay_alu instid0(VALU_DEP_1)
	v_fma_f64 v[14:15], v[28:29], v[36:37], v[14:15]
.LBB61_17:                              ;   in Loop: Header=BB61_18 Depth=2
	s_wait_alu 0xfffe
	s_or_b32 exec_lo, exec_lo, s7
	v_add_co_u32 v81, vcc_lo, v81, s24
	s_wait_alu 0xfffd
	v_add_co_ci_u32_e64 v82, null, s25, v82, vcc_lo
	v_add_co_u32 v83, vcc_lo, v83, s44
	s_wait_alu 0xfffd
	v_add_co_ci_u32_e64 v84, null, s45, v84, vcc_lo
	;; [unrolled: 3-line block ×4, first 2 shown]
	v_add_co_u32 v89, vcc_lo, v89, s44
	v_add_nc_u32_e32 v80, 64, v80
	s_wait_alu 0xfffd
	v_add_co_ci_u32_e64 v90, null, s45, v90, vcc_lo
	v_add_co_u32 v91, vcc_lo, v91, s24
	s_wait_alu 0xfffd
	v_add_co_ci_u32_e64 v92, null, s25, v92, vcc_lo
	v_add_co_u32 v93, vcc_lo, v93, s24
	s_wait_alu 0xfffd
	v_add_co_ci_u32_e64 v94, null, s25, v94, vcc_lo
	v_cmp_le_i32_e32 vcc_lo, s52, v80
	v_add_co_u32 v95, s7, v95, s44
	s_wait_alu 0xf1ff
	v_add_co_ci_u32_e64 v96, null, s45, v96, s7
	s_or_b32 s48, vcc_lo, s48
	s_wait_alu 0xfffe
	s_and_not1_b32 exec_lo, exec_lo, s48
	s_cbranch_execz .LBB61_25
.LBB61_18:                              ;   Parent Loop BB61_5 Depth=1
                                        ; =>  This Inner Loop Header: Depth=2
	s_and_saveexec_b32 s7, s0
	s_cbranch_execz .LBB61_17
; %bb.19:                               ;   in Loop: Header=BB61_18 Depth=2
	v_add_co_u32 v22, vcc_lo, v81, s18
	s_wait_alu 0xfffd
	v_add_co_ci_u32_e64 v23, null, s19, v82, vcc_lo
	v_add_co_u32 v24, vcc_lo, v93, s18
	s_wait_alu 0xfffd
	v_add_co_ci_u32_e64 v25, null, s19, v94, vcc_lo
	;; [unrolled: 3-line block ×8, first 2 shown]
	global_load_b64 v[22:23], v[22:23], off
	global_load_b64 v[24:25], v[24:25], off
	global_load_b64 v[26:27], v[26:27], off
	global_load_b64 v[28:29], v[28:29], off
	global_load_b64 v[30:31], v[38:39], off
	global_load_b64 v[32:33], v[40:41], off
	global_load_b64 v[34:35], v[42:43], off
	global_load_b64 v[36:37], v[52:53], off
	s_and_saveexec_b32 s49, s1
	s_cbranch_execz .LBB61_16
; %bb.20:                               ;   in Loop: Header=BB61_18 Depth=2
	global_load_b64 v[44:45], v[38:39], off offset:256
	global_load_b64 v[46:47], v[40:41], off offset:256
	global_load_b64 v[48:49], v[42:43], off offset:256
	global_load_b64 v[50:51], v[52:53], off offset:256
	s_and_saveexec_b32 s56, s2
	s_cbranch_execz .LBB61_15
; %bb.21:                               ;   in Loop: Header=BB61_18 Depth=2
	global_load_b64 v[54:55], v[38:39], off offset:512
	global_load_b64 v[56:57], v[40:41], off offset:512
	global_load_b64 v[58:59], v[42:43], off offset:512
	global_load_b64 v[60:61], v[52:53], off offset:512
	;; [unrolled: 7-line block ×3, first 2 shown]
	s_wait_loadcnt 0x3
	v_fma_f64 v[20:21], v[22:23], v[38:39], v[20:21]
	s_wait_loadcnt 0x2
	s_delay_alu instid0(VALU_DEP_1) | instskip(SKIP_1) | instid1(VALU_DEP_1)
	v_fma_f64 v[20:21], v[24:25], v[40:41], v[20:21]
	s_wait_loadcnt 0x1
	v_fma_f64 v[20:21], v[26:27], v[42:43], v[20:21]
	s_wait_loadcnt 0x0
	s_delay_alu instid0(VALU_DEP_1)
	v_fma_f64 v[20:21], v[28:29], v[52:53], v[20:21]
	s_branch .LBB61_14
.LBB61_23:                              ;   in Loop: Header=BB61_5 Depth=1
	s_wait_alu 0xfffe
	s_or_b32 exec_lo, exec_lo, s8
	s_delay_alu instid0(SALU_CYCLE_1)
	s_and_b32 vcc_lo, exec_lo, s7
	s_wait_alu 0xfffe
	s_cbranch_vccnz .LBB61_12
.LBB61_24:                              ;   in Loop: Header=BB61_5 Depth=1
	v_dual_mov_b32 v11, v3 :: v_dual_mov_b32 v10, v2
	s_and_saveexec_b32 s7, s55
	s_cbranch_execz .LBB61_3
	s_branch .LBB61_51
.LBB61_25:                              ;   in Loop: Header=BB61_5 Depth=1
	s_or_b32 exec_lo, exec_lo, s48
.LBB61_26:                              ;   in Loop: Header=BB61_5 Depth=1
	s_wait_alu 0xfffe
	s_or_b32 exec_lo, exec_lo, s8
	s_delay_alu instid0(SALU_CYCLE_1)
	s_and_not1_b32 vcc_lo, exec_lo, s53
	s_wait_alu 0xfffe
	s_cbranch_vccnz .LBB61_44
; %bb.27:                               ;   in Loop: Header=BB61_5 Depth=1
	v_mov_b32_e32 v28, 0
	v_dual_mov_b32 v24, 0 :: v_dual_mov_b32 v29, 0
	v_dual_mov_b32 v26, 0 :: v_dual_mov_b32 v25, 0
	v_mov_b32_e32 v22, 0
	v_cmp_gt_i32_e32 vcc_lo, s9, v80
	v_mov_b32_e32 v27, 0
	v_mov_b32_e32 v23, 0
	v_or_b32_e32 v30, 1, v80
	s_and_saveexec_b32 s8, vcc_lo
	s_cbranch_execz .LBB61_35
; %bb.28:                               ;   in Loop: Header=BB61_5 Depth=1
	v_mad_co_u64_u32 v[22:23], null, s36, v80, 0
	s_mul_u64 s[48:49], s[38:39], s[10:11]
	v_mov_b32_e32 v28, 0
	s_wait_alu 0xfffe
	s_lshl_b64 s[48:49], s[48:49], 3
	v_mov_b32_e32 v29, 0
	s_wait_alu 0xfffe
	s_add_nc_u64 s[48:49], s[26:27], s[48:49]
	s_mov_b32 s56, exec_lo
	v_mad_co_u64_u32 v[23:24], null, s37, v80, v[23:24]
	v_mov_b32_e32 v24, 0
	v_dual_mov_b32 v25, 0 :: v_dual_mov_b32 v26, 0
	v_mov_b32_e32 v27, 0
	s_delay_alu instid0(VALU_DEP_4) | instskip(SKIP_1) | instid1(VALU_DEP_1)
	v_lshlrev_b64_e32 v[22:23], 3, v[22:23]
	s_wait_alu 0xfffe
	v_add_co_u32 v22, s7, s48, v22
	s_wait_alu 0xf1ff
	s_delay_alu instid0(VALU_DEP_2)
	v_add_co_ci_u32_e64 v23, null, s49, v23, s7
	global_load_b64 v[22:23], v[22:23], off
	v_cmpx_gt_i32_e64 s9, v30
	s_cbranch_execz .LBB61_34
; %bb.29:                               ;   in Loop: Header=BB61_5 Depth=1
	v_mad_co_u64_u32 v[24:25], null, s36, v30, 0
	v_or_b32_e32 v31, 2, v80
	s_mov_b32 s57, exec_lo
	v_mov_b32_e32 v28, 0
	v_mov_b32_e32 v29, 0
	s_delay_alu instid0(VALU_DEP_4) | instskip(SKIP_2) | instid1(VALU_DEP_3)
	v_mad_co_u64_u32 v[25:26], null, s37, v30, v[25:26]
	v_mov_b32_e32 v26, 0
	v_mov_b32_e32 v27, 0
	v_lshlrev_b64_e32 v[24:25], 3, v[24:25]
	s_delay_alu instid0(VALU_DEP_1) | instskip(SKIP_1) | instid1(VALU_DEP_2)
	v_add_co_u32 v24, s7, s48, v24
	s_wait_alu 0xf1ff
	v_add_co_ci_u32_e64 v25, null, s49, v25, s7
	global_load_b64 v[24:25], v[24:25], off
	v_cmpx_gt_i32_e64 s9, v31
	s_cbranch_execz .LBB61_33
; %bb.30:                               ;   in Loop: Header=BB61_5 Depth=1
	v_mad_co_u64_u32 v[26:27], null, s36, v31, 0
	s_mov_b32 s58, exec_lo
	v_mad_co_u64_u32 v[27:28], null, s37, v31, v[27:28]
	v_mov_b32_e32 v28, 0
	v_or_b32_e32 v31, 3, v80
	v_mov_b32_e32 v29, 0
	s_delay_alu instid0(VALU_DEP_4) | instskip(NEXT) | instid1(VALU_DEP_1)
	v_lshlrev_b64_e32 v[26:27], 3, v[26:27]
	v_add_co_u32 v26, s7, s48, v26
	s_wait_alu 0xf1ff
	s_delay_alu instid0(VALU_DEP_2)
	v_add_co_ci_u32_e64 v27, null, s49, v27, s7
	global_load_b64 v[26:27], v[26:27], off
	v_cmpx_gt_i32_e64 s9, v31
	s_cbranch_execz .LBB61_32
; %bb.31:                               ;   in Loop: Header=BB61_5 Depth=1
	v_mad_co_u64_u32 v[28:29], null, s36, v31, 0
	s_delay_alu instid0(VALU_DEP_1) | instskip(NEXT) | instid1(VALU_DEP_1)
	v_mad_co_u64_u32 v[31:32], null, s37, v31, v[29:30]
	v_mov_b32_e32 v29, v31
	s_delay_alu instid0(VALU_DEP_1) | instskip(NEXT) | instid1(VALU_DEP_1)
	v_lshlrev_b64_e32 v[28:29], 3, v[28:29]
	v_add_co_u32 v28, s7, s48, v28
	s_wait_alu 0xf1ff
	s_delay_alu instid0(VALU_DEP_2)
	v_add_co_ci_u32_e64 v29, null, s49, v29, s7
	global_load_b64 v[28:29], v[28:29], off
.LBB61_32:                              ;   in Loop: Header=BB61_5 Depth=1
	s_or_b32 exec_lo, exec_lo, s58
.LBB61_33:                              ;   in Loop: Header=BB61_5 Depth=1
	s_wait_alu 0xfffe
	s_or_b32 exec_lo, exec_lo, s57
.LBB61_34:                              ;   in Loop: Header=BB61_5 Depth=1
	s_delay_alu instid0(SALU_CYCLE_1)
	s_or_b32 exec_lo, exec_lo, s56
.LBB61_35:                              ;   in Loop: Header=BB61_5 Depth=1
	s_wait_alu 0xfffe
	s_or_b32 exec_lo, exec_lo, s8
	s_and_saveexec_b32 s48, s0
	s_cbranch_execz .LBB61_43
; %bb.36:                               ;   in Loop: Header=BB61_5 Depth=1
	v_mad_co_u64_u32 v[31:32], null, s20, v80, 0
	v_mad_co_u64_u32 v[33:34], null, s20, v30, 0
	v_or_b32_e32 v39, 2, v80
	v_or_b32_e32 v43, 3, v80
	s_mul_u64 s[56:57], s[22:23], s[10:11]
	s_wait_alu 0xfffe
	s_lshl_b64 s[56:57], s[56:57], 3
	v_cmp_gt_i32_e64 s7, s9, v39
	s_delay_alu instid0(VALU_DEP_4)
	v_mad_co_u64_u32 v[35:36], null, s21, v80, v[32:33]
	v_mad_co_u64_u32 v[36:37], null, s20, v39, 0
	v_mad_co_u64_u32 v[40:41], null, s20, v43, 0
	v_cndmask_b32_e32 v31, 0, v31, vcc_lo
	s_wait_alu 0xfffe
	s_add_nc_u64 s[56:57], s[16:17], s[56:57]
	s_delay_alu instid0(VALU_DEP_4) | instskip(SKIP_4) | instid1(VALU_DEP_2)
	v_cndmask_b32_e32 v32, 0, v35, vcc_lo
	v_cmp_gt_i32_e32 vcc_lo, s9, v30
	v_mov_b32_e32 v35, v37
	s_wait_alu 0xfffd
	v_cndmask_b32_e32 v33, 0, v33, vcc_lo
	v_mad_co_u64_u32 v[37:38], null, s21, v30, v[34:35]
	v_mov_b32_e32 v30, v41
	v_lshlrev_b64_e32 v[31:32], 3, v[31:32]
	s_delay_alu instid0(VALU_DEP_3) | instskip(SKIP_1) | instid1(VALU_DEP_2)
	v_cndmask_b32_e32 v34, 0, v37, vcc_lo
	s_wait_alu 0xfffe
	v_add_co_u32 v31, s8, s56, v31
	s_wait_alu 0xf1ff
	s_delay_alu instid0(VALU_DEP_3) | instskip(SKIP_1) | instid1(VALU_DEP_3)
	v_add_co_ci_u32_e64 v32, null, s57, v32, s8
	v_mad_co_u64_u32 v[41:42], null, s21, v39, v[35:36]
	v_add_co_u32 v38, vcc_lo, v31, v6
	s_wait_alu 0xfffd
	s_delay_alu instid0(VALU_DEP_3) | instskip(SKIP_4) | instid1(VALU_DEP_4)
	v_add_co_ci_u32_e64 v39, null, v32, v7, vcc_lo
	v_lshlrev_b64_e32 v[31:32], 3, v[33:34]
	v_cndmask_b32_e64 v33, 0, v36, s7
	v_cndmask_b32_e64 v34, 0, v41, s7
	v_cmp_gt_i32_e32 vcc_lo, s9, v43
	v_mad_co_u64_u32 v[35:36], null, s21, v43, v[30:31]
	v_add_co_u32 v36, s7, s56, v31
	s_wait_alu 0xf1ff
	v_add_co_ci_u32_e64 v37, null, s57, v32, s7
	v_lshlrev_b64_e32 v[30:31], 3, v[33:34]
	s_wait_alu 0xfffd
	s_delay_alu instid0(VALU_DEP_4) | instskip(SKIP_3) | instid1(VALU_DEP_3)
	v_dual_cndmask_b32 v32, 0, v40 :: v_dual_cndmask_b32 v33, 0, v35
	v_add_co_u32 v40, vcc_lo, v36, v6
	s_wait_alu 0xfffd
	v_add_co_ci_u32_e64 v41, null, v37, v7, vcc_lo
	v_lshlrev_b64_e32 v[32:33], 3, v[32:33]
	v_add_co_u32 v30, vcc_lo, s56, v30
	s_wait_alu 0xfffd
	v_add_co_ci_u32_e64 v31, null, s57, v31, vcc_lo
	s_delay_alu instid0(VALU_DEP_3)
	v_add_co_u32 v32, vcc_lo, s56, v32
	s_wait_alu 0xfffd
	v_add_co_ci_u32_e64 v33, null, s57, v33, vcc_lo
	v_add_co_u32 v50, vcc_lo, v30, v6
	s_wait_alu 0xfffd
	v_add_co_ci_u32_e64 v51, null, v31, v7, vcc_lo
	;; [unrolled: 3-line block ×3, first 2 shown]
	s_clause 0x3
	global_load_b64 v[30:31], v[38:39], off
	global_load_b64 v[32:33], v[40:41], off
	;; [unrolled: 1-line block ×4, first 2 shown]
	s_and_saveexec_b32 s7, s1
	s_cbranch_execz .LBB61_42
; %bb.37:                               ;   in Loop: Header=BB61_5 Depth=1
	s_clause 0x3
	global_load_b64 v[42:43], v[38:39], off offset:256
	global_load_b64 v[44:45], v[40:41], off offset:256
	global_load_b64 v[46:47], v[50:51], off offset:256
	global_load_b64 v[48:49], v[52:53], off offset:256
	s_and_saveexec_b32 s8, s2
	s_cbranch_execz .LBB61_41
; %bb.38:                               ;   in Loop: Header=BB61_5 Depth=1
	s_clause 0x3
	global_load_b64 v[54:55], v[38:39], off offset:512
	global_load_b64 v[56:57], v[40:41], off offset:512
	global_load_b64 v[58:59], v[50:51], off offset:512
	global_load_b64 v[60:61], v[52:53], off offset:512
	;; [unrolled: 8-line block ×3, first 2 shown]
	s_wait_loadcnt 0x3
	v_fma_f64 v[20:21], v[22:23], v[38:39], v[20:21]
	s_wait_loadcnt 0x2
	s_delay_alu instid0(VALU_DEP_1) | instskip(SKIP_1) | instid1(VALU_DEP_1)
	v_fma_f64 v[20:21], v[24:25], v[40:41], v[20:21]
	s_wait_loadcnt 0x1
	v_fma_f64 v[20:21], v[26:27], v[50:51], v[20:21]
	s_wait_loadcnt 0x0
	s_delay_alu instid0(VALU_DEP_1)
	v_fma_f64 v[20:21], v[28:29], v[52:53], v[20:21]
.LBB61_40:                              ;   in Loop: Header=BB61_5 Depth=1
	s_wait_alu 0xfffe
	s_or_b32 exec_lo, exec_lo, s49
	s_wait_loadcnt 0x3
	v_fma_f64 v[18:19], v[22:23], v[54:55], v[18:19]
	s_wait_loadcnt 0x2
	s_delay_alu instid0(VALU_DEP_1) | instskip(SKIP_1) | instid1(VALU_DEP_1)
	v_fma_f64 v[18:19], v[24:25], v[56:57], v[18:19]
	s_wait_loadcnt 0x1
	v_fma_f64 v[18:19], v[26:27], v[58:59], v[18:19]
	s_wait_loadcnt 0x0
	s_delay_alu instid0(VALU_DEP_1)
	v_fma_f64 v[18:19], v[28:29], v[60:61], v[18:19]
.LBB61_41:                              ;   in Loop: Header=BB61_5 Depth=1
	s_wait_alu 0xfffe
	s_or_b32 exec_lo, exec_lo, s8
	s_wait_loadcnt 0x3
	v_fma_f64 v[16:17], v[22:23], v[42:43], v[16:17]
	s_wait_loadcnt 0x2
	s_delay_alu instid0(VALU_DEP_1) | instskip(SKIP_1) | instid1(VALU_DEP_1)
	v_fma_f64 v[16:17], v[24:25], v[44:45], v[16:17]
	s_wait_loadcnt 0x1
	v_fma_f64 v[16:17], v[26:27], v[46:47], v[16:17]
	s_wait_loadcnt 0x0
	s_delay_alu instid0(VALU_DEP_1)
	v_fma_f64 v[16:17], v[28:29], v[48:49], v[16:17]
.LBB61_42:                              ;   in Loop: Header=BB61_5 Depth=1
	s_wait_alu 0xfffe
	s_or_b32 exec_lo, exec_lo, s7
	s_wait_loadcnt 0x3
	v_fma_f64 v[14:15], v[22:23], v[30:31], v[14:15]
	s_wait_loadcnt 0x2
	s_delay_alu instid0(VALU_DEP_1) | instskip(SKIP_1) | instid1(VALU_DEP_1)
	v_fma_f64 v[14:15], v[24:25], v[32:33], v[14:15]
	s_wait_loadcnt 0x1
	v_fma_f64 v[14:15], v[26:27], v[34:35], v[14:15]
	s_wait_loadcnt 0x0
	s_delay_alu instid0(VALU_DEP_1)
	v_fma_f64 v[14:15], v[28:29], v[36:37], v[14:15]
.LBB61_43:                              ;   in Loop: Header=BB61_5 Depth=1
	s_wait_alu 0xfffe
	s_or_b32 exec_lo, exec_lo, s48
.LBB61_44:                              ;   in Loop: Header=BB61_5 Depth=1
	ds_store_2addr_b64 v0, v[14:15], v[16:17] offset1:32
	ds_store_2addr_b64 v0, v[18:19], v[20:21] offset0:64 offset1:96
	s_wait_loadcnt_dscnt 0x0
	s_barrier_signal -1
	s_barrier_wait -1
	global_inv scope:SCOPE_SE
                                        ; implicit-def: $vgpr14_vgpr15
	s_and_saveexec_b32 s7, s5
	s_cbranch_execz .LBB61_50
; %bb.45:                               ;   in Loop: Header=BB61_5 Depth=1
	ds_load_2addr_stride64_b64 v[14:17], v63 offset1:2
	s_mov_b32 s48, s55
	s_wait_dscnt 0x0
	v_add_f64_e32 v[18:19], v[14:15], v[16:17]
	ds_load_2addr_stride64_b64 v[14:17], v63 offset0:4 offset1:6
	s_wait_dscnt 0x0
	v_add_f64_e32 v[14:15], v[14:15], v[18:19]
	s_delay_alu instid0(VALU_DEP_1) | instskip(SKIP_3) | instid1(VALU_DEP_1)
	v_add_f64_e32 v[18:19], v[16:17], v[14:15]
	ds_load_2addr_stride64_b64 v[14:17], v63 offset0:8 offset1:10
	s_wait_dscnt 0x0
	v_add_f64_e32 v[14:15], v[14:15], v[18:19]
	v_add_f64_e32 v[18:19], v[16:17], v[14:15]
	ds_load_2addr_stride64_b64 v[14:17], v63 offset0:12 offset1:14
	s_wait_dscnt 0x0
	v_add_f64_e32 v[14:15], v[14:15], v[18:19]
	s_delay_alu instid0(VALU_DEP_1) | instskip(SKIP_3) | instid1(VALU_DEP_1)
	v_add_f64_e32 v[18:19], v[16:17], v[14:15]
	ds_load_2addr_stride64_b64 v[14:17], v63 offset0:16 offset1:18
	s_wait_dscnt 0x0
	v_add_f64_e32 v[14:15], v[14:15], v[18:19]
	;; [unrolled: 9-line block ×3, first 2 shown]
	v_add_f64_e32 v[18:19], v[16:17], v[14:15]
	ds_load_2addr_stride64_b64 v[14:17], v63 offset0:28 offset1:30
	s_wait_dscnt 0x0
	v_add_f64_e32 v[14:15], v[14:15], v[18:19]
	s_delay_alu instid0(VALU_DEP_1)
	v_add_f64_e32 v[16:17], v[16:17], v[14:15]
                                        ; implicit-def: $vgpr14_vgpr15
	ds_store_b64 v63, v[16:17]
	s_and_saveexec_b32 s8, s6
	s_cbranch_execz .LBB61_49
; %bb.46:                               ;   in Loop: Header=BB61_5 Depth=1
	v_cmp_eq_f64_e32 vcc_lo, 0, v[10:11]
	v_mul_f64_e32 v[14:15], v[12:13], v[16:17]
	s_cbranch_vccnz .LBB61_48
; %bb.47:                               ;   in Loop: Header=BB61_5 Depth=1
	v_lshlrev_b64_e32 v[12:13], 3, v[4:5]
	s_delay_alu instid0(VALU_DEP_1) | instskip(SKIP_1) | instid1(VALU_DEP_2)
	v_add_co_u32 v12, vcc_lo, s46, v12
	s_wait_alu 0xfffd
	v_add_co_ci_u32_e64 v13, null, s47, v13, vcc_lo
	global_load_b64 v[12:13], v[12:13], off
	s_wait_loadcnt 0x0
	v_fma_f64 v[14:15], v[10:11], v[12:13], v[14:15]
.LBB61_48:                              ;   in Loop: Header=BB61_5 Depth=1
	s_or_b32 s48, s55, exec_lo
.LBB61_49:                              ;   in Loop: Header=BB61_5 Depth=1
	s_wait_alu 0xfffe
	s_or_b32 exec_lo, exec_lo, s8
	s_delay_alu instid0(SALU_CYCLE_1)
	s_and_not1_b32 s8, s55, exec_lo
	s_and_b32 s48, s48, exec_lo
	s_wait_alu 0xfffe
	s_or_b32 s55, s8, s48
.LBB61_50:                              ;   in Loop: Header=BB61_5 Depth=1
	s_wait_alu 0xfffe
	s_or_b32 exec_lo, exec_lo, s7
	v_dual_mov_b32 v11, v5 :: v_dual_mov_b32 v10, v4
	s_and_saveexec_b32 s7, s55
	s_cbranch_execz .LBB61_3
.LBB61_51:                              ;   in Loop: Header=BB61_5 Depth=1
	s_delay_alu instid0(VALU_DEP_1) | instskip(SKIP_1) | instid1(VALU_DEP_1)
	v_lshlrev_b64_e32 v[10:11], 3, v[10:11]
	s_wait_alu 0xfffe
	v_add_co_u32 v10, vcc_lo, s46, v10
	s_wait_alu 0xfffd
	s_delay_alu instid0(VALU_DEP_2)
	v_add_co_ci_u32_e64 v11, null, s47, v11, vcc_lo
	global_store_b64 v[10:11], v[14:15], off
	s_branch .LBB61_3
.LBB61_52:
	s_nop 0
	s_sendmsg sendmsg(MSG_DEALLOC_VGPRS)
	s_endpgm
	.section	.rodata,"a",@progbits
	.p2align	6, 0x0
	.amdhsa_kernel _ZL20rocblas_gemvn_kernelILi32ELi16EldPKddEviiT3_lPKT2_lT1_lS5_lS6_lS2_lPT4_lS6_li
		.amdhsa_group_segment_fixed_size 16384
		.amdhsa_private_segment_fixed_size 0
		.amdhsa_kernarg_size 400
		.amdhsa_user_sgpr_count 2
		.amdhsa_user_sgpr_dispatch_ptr 0
		.amdhsa_user_sgpr_queue_ptr 0
		.amdhsa_user_sgpr_kernarg_segment_ptr 1
		.amdhsa_user_sgpr_dispatch_id 0
		.amdhsa_user_sgpr_private_segment_size 0
		.amdhsa_wavefront_size32 1
		.amdhsa_uses_dynamic_stack 0
		.amdhsa_enable_private_segment 0
		.amdhsa_system_sgpr_workgroup_id_x 1
		.amdhsa_system_sgpr_workgroup_id_y 0
		.amdhsa_system_sgpr_workgroup_id_z 1
		.amdhsa_system_sgpr_workgroup_info 0
		.amdhsa_system_vgpr_workitem_id 1
		.amdhsa_next_free_vgpr 97
		.amdhsa_next_free_sgpr 59
		.amdhsa_reserve_vcc 1
		.amdhsa_float_round_mode_32 0
		.amdhsa_float_round_mode_16_64 0
		.amdhsa_float_denorm_mode_32 3
		.amdhsa_float_denorm_mode_16_64 3
		.amdhsa_fp16_overflow 0
		.amdhsa_workgroup_processor_mode 1
		.amdhsa_memory_ordered 1
		.amdhsa_forward_progress 1
		.amdhsa_inst_pref_size 32
		.amdhsa_round_robin_scheduling 0
		.amdhsa_exception_fp_ieee_invalid_op 0
		.amdhsa_exception_fp_denorm_src 0
		.amdhsa_exception_fp_ieee_div_zero 0
		.amdhsa_exception_fp_ieee_overflow 0
		.amdhsa_exception_fp_ieee_underflow 0
		.amdhsa_exception_fp_ieee_inexact 0
		.amdhsa_exception_int_div_zero 0
	.end_amdhsa_kernel
	.section	.text._ZL20rocblas_gemvn_kernelILi32ELi16EldPKddEviiT3_lPKT2_lT1_lS5_lS6_lS2_lPT4_lS6_li,"axG",@progbits,_ZL20rocblas_gemvn_kernelILi32ELi16EldPKddEviiT3_lPKT2_lT1_lS5_lS6_lS2_lPT4_lS6_li,comdat
.Lfunc_end61:
	.size	_ZL20rocblas_gemvn_kernelILi32ELi16EldPKddEviiT3_lPKT2_lT1_lS5_lS6_lS2_lPT4_lS6_li, .Lfunc_end61-_ZL20rocblas_gemvn_kernelILi32ELi16EldPKddEviiT3_lPKT2_lT1_lS5_lS6_lS2_lPT4_lS6_li
                                        ; -- End function
	.set _ZL20rocblas_gemvn_kernelILi32ELi16EldPKddEviiT3_lPKT2_lT1_lS5_lS6_lS2_lPT4_lS6_li.num_vgpr, 97
	.set _ZL20rocblas_gemvn_kernelILi32ELi16EldPKddEviiT3_lPKT2_lT1_lS5_lS6_lS2_lPT4_lS6_li.num_agpr, 0
	.set _ZL20rocblas_gemvn_kernelILi32ELi16EldPKddEviiT3_lPKT2_lT1_lS5_lS6_lS2_lPT4_lS6_li.numbered_sgpr, 59
	.set _ZL20rocblas_gemvn_kernelILi32ELi16EldPKddEviiT3_lPKT2_lT1_lS5_lS6_lS2_lPT4_lS6_li.num_named_barrier, 0
	.set _ZL20rocblas_gemvn_kernelILi32ELi16EldPKddEviiT3_lPKT2_lT1_lS5_lS6_lS2_lPT4_lS6_li.private_seg_size, 0
	.set _ZL20rocblas_gemvn_kernelILi32ELi16EldPKddEviiT3_lPKT2_lT1_lS5_lS6_lS2_lPT4_lS6_li.uses_vcc, 1
	.set _ZL20rocblas_gemvn_kernelILi32ELi16EldPKddEviiT3_lPKT2_lT1_lS5_lS6_lS2_lPT4_lS6_li.uses_flat_scratch, 0
	.set _ZL20rocblas_gemvn_kernelILi32ELi16EldPKddEviiT3_lPKT2_lT1_lS5_lS6_lS2_lPT4_lS6_li.has_dyn_sized_stack, 0
	.set _ZL20rocblas_gemvn_kernelILi32ELi16EldPKddEviiT3_lPKT2_lT1_lS5_lS6_lS2_lPT4_lS6_li.has_recursion, 0
	.set _ZL20rocblas_gemvn_kernelILi32ELi16EldPKddEviiT3_lPKT2_lT1_lS5_lS6_lS2_lPT4_lS6_li.has_indirect_call, 0
	.section	.AMDGPU.csdata,"",@progbits
; Kernel info:
; codeLenInByte = 4036
; TotalNumSgprs: 61
; NumVgprs: 97
; ScratchSize: 0
; MemoryBound: 1
; FloatMode: 240
; IeeeMode: 1
; LDSByteSize: 16384 bytes/workgroup (compile time only)
; SGPRBlocks: 0
; VGPRBlocks: 12
; NumSGPRsForWavesPerEU: 61
; NumVGPRsForWavesPerEU: 97
; Occupancy: 12
; WaveLimiterHint : 1
; COMPUTE_PGM_RSRC2:SCRATCH_EN: 0
; COMPUTE_PGM_RSRC2:USER_SGPR: 2
; COMPUTE_PGM_RSRC2:TRAP_HANDLER: 0
; COMPUTE_PGM_RSRC2:TGID_X_EN: 1
; COMPUTE_PGM_RSRC2:TGID_Y_EN: 0
; COMPUTE_PGM_RSRC2:TGID_Z_EN: 1
; COMPUTE_PGM_RSRC2:TIDIG_COMP_CNT: 1
	.section	.text._ZL20rocblas_gemvn_kernelILi32ELi16EidddEviiT3_lPKT2_lT1_lS3_lS4_lS0_lPT4_lS4_li,"axG",@progbits,_ZL20rocblas_gemvn_kernelILi32ELi16EidddEviiT3_lPKT2_lT1_lS3_lS4_lS0_lPT4_lS4_li,comdat
	.globl	_ZL20rocblas_gemvn_kernelILi32ELi16EidddEviiT3_lPKT2_lT1_lS3_lS4_lS0_lPT4_lS4_li ; -- Begin function _ZL20rocblas_gemvn_kernelILi32ELi16EidddEviiT3_lPKT2_lT1_lS3_lS4_lS0_lPT4_lS4_li
	.p2align	8
	.type	_ZL20rocblas_gemvn_kernelILi32ELi16EidddEviiT3_lPKT2_lT1_lS3_lS4_lS0_lPT4_lS4_li,@function
_ZL20rocblas_gemvn_kernelILi32ELi16EidddEviiT3_lPKT2_lT1_lS3_lS4_lS0_lPT4_lS4_li: ; @_ZL20rocblas_gemvn_kernelILi32ELi16EidddEviiT3_lPKT2_lT1_lS3_lS4_lS0_lPT4_lS4_li
; %bb.0:
	s_load_b64 s[2:3], s[0:1], 0x9c
	s_wait_kmcnt 0x0
	s_lshr_b32 s4, s2, 16
	s_and_b32 s2, s2, 0xffff
	s_and_b32 s3, s3, 0xffff
	s_mul_i32 s2, s4, s2
	s_delay_alu instid0(SALU_CYCLE_1) | instskip(NEXT) | instid1(SALU_CYCLE_1)
	s_mul_i32 s2, s2, s3
	s_cmp_lg_u32 s2, 0x200
	s_cbranch_scc1 .LBB62_53
; %bb.1:
	s_load_b32 s31, s[0:1], 0x88
	s_lshr_b32 s34, ttmp7, 16
	s_wait_kmcnt 0x0
	s_cmp_ge_u32 s34, s31
	s_cbranch_scc1 .LBB62_53
; %bb.2:
	s_clause 0x8
	s_load_b128 s[8:11], s[0:1], 0x0
	s_load_b128 s[12:15], s[0:1], 0x50
	s_load_b96 s[28:30], s[0:1], 0x40
	s_load_b128 s[20:23], s[0:1], 0x18
	s_load_b32 s33, s[0:1], 0x28
	s_load_b128 s[16:19], s[0:1], 0x30
	s_load_b128 s[24:27], s[0:1], 0x68
	s_load_b32 s39, s[0:1], 0x78
	s_load_b64 s[36:37], s[0:1], 0x80
	v_dual_mov_b32 v4, 0 :: v_dual_and_b32 v7, 0x3ff, v0
	v_bfe_u32 v8, v0, 10, 10
	s_lshl_b32 s38, ttmp9, 7
	s_mov_b32 s35, 0
	s_delay_alu instid0(VALU_DEP_2) | instskip(SKIP_2) | instid1(VALU_DEP_3)
	v_add_nc_u32_e32 v57, s38, v7
	v_lshlrev_b32_e32 v1, 3, v7
	v_lshl_add_u32 v0, v8, 5, v7
	v_add_nc_u32_e32 v2, 32, v57
	s_delay_alu instid0(VALU_DEP_3) | instskip(NEXT) | instid1(VALU_DEP_3)
	v_lshl_add_u32 v59, v8, 10, v1
	v_add_nc_u32_e32 v3, s38, v0
	s_wait_kmcnt 0x0
	v_cmp_neq_f64_e64 s40, s[10:11], 0
	v_cmp_neq_f64_e64 s41, s[14:15], 1.0
	v_or_b32_e32 v9, s38, v0
	v_cmp_gt_u32_e64 s0, 0x80, v0
	v_lshl_add_u32 v60, v8, 8, v1
	s_ashr_i32 s42, s39, 31
	v_mad_co_u64_u32 v[0:1], null, s39, v3, 0
	v_cmp_gt_i32_e64 s2, s8, v2
	v_mul_lo_u32 v2, s39, v9
	v_add_nc_u32_e32 v5, 64, v57
	v_add_nc_u32_e32 v6, 0x60, v57
	v_cmp_gt_i32_e64 s5, s8, v9
	s_lshl_b64 s[6:7], s[22:23], 3
	s_lshl_b64 s[22:23], s[28:29], 3
	v_cmp_gt_i32_e64 s3, s8, v5
	v_cmp_gt_i32_e64 s4, s8, v6
	v_mad_co_u64_u32 v[5:6], null, s42, v3, v[1:2]
	v_lshlrev_b32_e32 v58, 2, v8
	s_ashr_i32 s29, s8, 31
	s_mov_b32 s28, s8
	v_mul_lo_u32 v11, v8, s33
	v_cmp_gt_i64_e32 vcc_lo, s[28:29], v[3:4]
	s_ashr_i32 s43, s9, 31
	s_delay_alu instid0(VALU_DEP_4)
	v_mov_b32_e32 v1, v5
	v_mul_lo_u32 v9, s33, v58
	v_or_b32_e32 v10, 2, v58
	s_lshl_b64 s[26:27], s[26:27], 3
	s_add_nc_u64 s[20:21], s[20:21], s[6:7]
	s_wait_alu 0xfffe
	s_lshr_b32 s6, s43, 26
	v_cmp_gt_i32_e64 s1, s8, v57
	v_mad_co_u64_u32 v[4:5], null, s33, v10, v[7:8]
	v_mul_lo_u32 v8, v8, s30
	v_add3_u32 v61, v9, s33, v7
	v_or_b32_e32 v9, 3, v58
	s_add_nc_u64 s[18:19], s[18:19], s[22:23]
	s_add_co_i32 s8, s9, s6
	s_or_b32 s39, s40, s41
	v_cmp_eq_f64_e64 s40, s[10:11], 0
	v_cmp_neq_f64_e64 s41, s[14:15], 0
	s_add_nc_u64 s[22:23], s[24:25], s[26:27]
	s_mov_b32 s24, s30
	v_mad_co_u64_u32 v[5:6], null, s33, v9, v[7:8]
	s_wait_alu 0xfffe
	s_and_not1_b32 s8, s8, 63
	v_lshl_add_u32 v62, v11, 2, v7
	v_mad_co_u64_u32 v[6:7], null, s30, v58, s[24:25]
	v_mul_lo_u32 v63, s30, v10
	v_mul_lo_u32 v64, s30, v9
	s_wait_alu 0xfffe
	s_sub_co_i32 s7, s9, s8
	v_lshlrev_b32_e32 v65, 2, v8
	v_lshlrev_b64_e32 v[7:8], 3, v[0:1]
	v_cmp_gt_i32_e64 s6, s8, v58
	v_ashrrev_i32_e32 v3, 31, v2
	s_cmp_gt_i32 s7, 0
	s_cselect_b32 s42, -1, 0
	s_and_b32 s43, s0, vcc_lo
	s_lshl_b32 s44, s33, 6
	s_lshl_b32 s45, s30, 6
	s_branch .LBB62_5
.LBB62_3:                               ;   in Loop: Header=BB62_5 Depth=1
	s_wait_alu 0xfffe
	s_or_b32 exec_lo, exec_lo, s7
.LBB62_4:                               ;   in Loop: Header=BB62_5 Depth=1
	s_add_co_i32 s34, s34, 0x10000
	s_delay_alu instid0(SALU_CYCLE_1)
	s_cmp_lt_u32 s34, s31
	s_cbranch_scc0 .LBB62_53
.LBB62_5:                               ; =>This Loop Header: Depth=1
                                        ;     Child Loop BB62_21 Depth 2
	s_and_not1_b32 vcc_lo, exec_lo, s39
	s_wait_alu 0xfffe
	s_cbranch_vccnz .LBB62_4
; %bb.6:                                ;   in Loop: Header=BB62_5 Depth=1
	s_mul_u64 s[24:25], s[36:37], s[34:35]
	s_and_not1_b32 vcc_lo, exec_lo, s40
	s_wait_alu 0xfffe
	s_lshl_b64 s[24:25], s[24:25], 3
	s_wait_alu 0xfffe
	s_add_nc_u64 s[24:25], s[22:23], s[24:25]
	s_cbranch_vccnz .LBB62_10
; %bb.7:                                ;   in Loop: Header=BB62_5 Depth=1
	s_mov_b32 s7, 0
	s_mov_b32 s46, 0
                                        ; implicit-def: $vgpr9_vgpr10
	s_and_saveexec_b32 s26, s43
	s_cbranch_execz .LBB62_11
; %bb.8:                                ;   in Loop: Header=BB62_5 Depth=1
	s_and_not1_b32 vcc_lo, exec_lo, s41
	s_wait_alu 0xfffe
	s_cbranch_vccnz .LBB62_13
; %bb.9:                                ;   in Loop: Header=BB62_5 Depth=1
	v_add_co_u32 v9, vcc_lo, s24, v7
	s_wait_alu 0xfffd
	v_add_co_ci_u32_e64 v10, null, s25, v8, vcc_lo
	global_load_b64 v[9:10], v[9:10], off
	s_wait_loadcnt 0x0
	v_mul_f64_e32 v[9:10], s[14:15], v[9:10]
	s_branch .LBB62_14
.LBB62_10:                              ;   in Loop: Header=BB62_5 Depth=1
	s_mov_b32 s46, 0
                                        ; implicit-def: $vgpr9_vgpr10
	s_cbranch_execz .LBB62_12
	s_branch .LBB62_15
.LBB62_11:                              ;   in Loop: Header=BB62_5 Depth=1
	s_wait_alu 0xfffe
	s_or_b32 exec_lo, exec_lo, s26
	s_delay_alu instid0(SALU_CYCLE_1)
	s_and_b32 vcc_lo, exec_lo, s7
	s_wait_alu 0xfffe
	s_cbranch_vccnz .LBB62_15
.LBB62_12:                              ;   in Loop: Header=BB62_5 Depth=1
	v_dual_mov_b32 v12, v1 :: v_dual_mov_b32 v11, v0
	s_and_saveexec_b32 s7, s46
	s_cbranch_execz .LBB62_3
	s_branch .LBB62_52
.LBB62_13:                              ;   in Loop: Header=BB62_5 Depth=1
	v_mov_b32_e32 v9, 0
	v_mov_b32_e32 v10, 0
.LBB62_14:                              ;   in Loop: Header=BB62_5 Depth=1
	s_mov_b32 s46, exec_lo
	s_or_b32 exec_lo, exec_lo, s26
	s_delay_alu instid0(SALU_CYCLE_1)
	s_and_b32 vcc_lo, exec_lo, s7
	s_wait_alu 0xfffe
	s_cbranch_vccz .LBB62_12
.LBB62_15:                              ;   in Loop: Header=BB62_5 Depth=1
	v_mov_b32_e32 v9, 0
	v_mov_b32_e32 v13, 0
	s_mul_u64 s[26:27], s[16:17], s[34:35]
	s_mul_u64 s[28:29], s[12:13], s[34:35]
	v_dual_mov_b32 v10, 0 :: v_dual_mov_b32 v11, 0
	v_dual_mov_b32 v14, 0 :: v_dual_mov_b32 v15, 0
	v_mov_b32_e32 v12, 0
	v_mov_b32_e32 v16, 0
	;; [unrolled: 1-line block ×3, first 2 shown]
	s_wait_alu 0xfffe
	s_lshl_b64 s[26:27], s[26:27], 3
	s_lshl_b64 s[28:29], s[28:29], 3
	s_wait_alu 0xfffe
	s_add_nc_u64 s[26:27], s[20:21], s[26:27]
	s_add_nc_u64 s[28:29], s[18:19], s[28:29]
	s_and_saveexec_b32 s7, s6
	s_cbranch_execz .LBB62_27
; %bb.16:                               ;   in Loop: Header=BB62_5 Depth=1
	v_mov_b32_e32 v11, 0
	v_dual_mov_b32 v9, 0 :: v_dual_mov_b32 v68, v5
	v_dual_mov_b32 v12, 0 :: v_dual_mov_b32 v13, 0
	;; [unrolled: 1-line block ×5, first 2 shown]
	v_mov_b32_e32 v14, 0
	v_mov_b32_e32 v16, 0
	s_mov_b32 s47, 0
	s_mov_b32 s48, 0
	s_branch .LBB62_21
.LBB62_17:                              ;   in Loop: Header=BB62_21 Depth=2
	s_or_b32 exec_lo, exec_lo, s52
	s_wait_loadcnt 0x3
	v_fma_f64 v[13:14], v[17:18], v[49:50], v[13:14]
	s_wait_loadcnt 0x2
	s_delay_alu instid0(VALU_DEP_1) | instskip(SKIP_1) | instid1(VALU_DEP_1)
	v_fma_f64 v[13:14], v[19:20], v[51:52], v[13:14]
	s_wait_loadcnt 0x1
	v_fma_f64 v[13:14], v[21:22], v[53:54], v[13:14]
	s_wait_loadcnt 0x0
	s_delay_alu instid0(VALU_DEP_1)
	v_fma_f64 v[13:14], v[23:24], v[55:56], v[13:14]
.LBB62_18:                              ;   in Loop: Header=BB62_21 Depth=2
	s_or_b32 exec_lo, exec_lo, s51
	s_wait_loadcnt 0x3
	v_fma_f64 v[11:12], v[17:18], v[41:42], v[11:12]
	s_wait_loadcnt 0x2
	s_delay_alu instid0(VALU_DEP_1) | instskip(SKIP_1) | instid1(VALU_DEP_1)
	v_fma_f64 v[11:12], v[19:20], v[43:44], v[11:12]
	s_wait_loadcnt 0x1
	v_fma_f64 v[11:12], v[21:22], v[45:46], v[11:12]
	s_wait_loadcnt 0x0
	s_delay_alu instid0(VALU_DEP_1)
	v_fma_f64 v[11:12], v[23:24], v[47:48], v[11:12]
.LBB62_19:                              ;   in Loop: Header=BB62_21 Depth=2
	s_or_b32 exec_lo, exec_lo, s50
	s_wait_loadcnt 0x3
	v_fma_f64 v[9:10], v[17:18], v[25:26], v[9:10]
	s_wait_loadcnt 0x2
	s_delay_alu instid0(VALU_DEP_1) | instskip(SKIP_1) | instid1(VALU_DEP_1)
	v_fma_f64 v[9:10], v[19:20], v[27:28], v[9:10]
	s_wait_loadcnt 0x1
	v_fma_f64 v[9:10], v[21:22], v[29:30], v[9:10]
	s_wait_loadcnt 0x0
	s_delay_alu instid0(VALU_DEP_1)
	v_fma_f64 v[9:10], v[23:24], v[31:32], v[9:10]
.LBB62_20:                              ;   in Loop: Header=BB62_21 Depth=2
	s_wait_alu 0xfffe
	s_or_b32 exec_lo, exec_lo, s49
	v_add_nc_u32_e32 v66, 64, v66
	v_add_nc_u32_e32 v70, s44, v70
	;; [unrolled: 1-line block ×5, first 2 shown]
	v_cmp_le_i32_e32 vcc_lo, s8, v66
	s_add_co_i32 s48, s48, s45
	s_or_b32 s47, vcc_lo, s47
	s_delay_alu instid0(SALU_CYCLE_1)
	s_and_not1_b32 exec_lo, exec_lo, s47
	s_cbranch_execz .LBB62_26
.LBB62_21:                              ;   Parent Loop BB62_5 Depth=1
                                        ; =>  This Inner Loop Header: Depth=2
	s_and_saveexec_b32 s49, s1
	s_cbranch_execz .LBB62_20
; %bb.22:                               ;   in Loop: Header=BB62_21 Depth=2
	s_wait_alu 0xfffe
	v_add_nc_u32_e32 v17, s48, v65
	v_add_nc_u32_e32 v19, s48, v6
	;; [unrolled: 1-line block ×5, first 2 shown]
	v_ashrrev_i32_e32 v18, 31, v17
	v_ashrrev_i32_e32 v20, 31, v19
	;; [unrolled: 1-line block ×3, first 2 shown]
	v_add_nc_u32_e32 v27, s38, v70
	v_ashrrev_i32_e32 v24, 31, v23
	v_lshlrev_b64_e32 v[17:18], 3, v[17:18]
	v_lshlrev_b64_e32 v[19:20], 3, v[19:20]
	v_ashrrev_i32_e32 v26, 31, v25
	v_lshlrev_b64_e32 v[21:22], 3, v[21:22]
	v_ashrrev_i32_e32 v28, 31, v27
	v_lshlrev_b64_e32 v[23:24], 3, v[23:24]
	v_add_co_u32 v17, vcc_lo, s28, v17
	v_add_nc_u32_e32 v29, s38, v69
	s_wait_alu 0xfffd
	v_add_co_ci_u32_e64 v18, null, s29, v18, vcc_lo
	v_add_co_u32 v19, vcc_lo, s28, v19
	v_lshlrev_b64_e32 v[25:26], 3, v[25:26]
	v_add_nc_u32_e32 v31, s38, v68
	s_wait_alu 0xfffd
	v_add_co_ci_u32_e64 v20, null, s29, v20, vcc_lo
	v_add_co_u32 v21, vcc_lo, s28, v21
	v_lshlrev_b64_e32 v[27:28], 3, v[27:28]
	v_ashrrev_i32_e32 v30, 31, v29
	s_wait_alu 0xfffd
	v_add_co_ci_u32_e64 v22, null, s29, v22, vcc_lo
	v_add_co_u32 v23, vcc_lo, s28, v23
	v_ashrrev_i32_e32 v32, 31, v31
	s_wait_alu 0xfffd
	v_add_co_ci_u32_e64 v24, null, s29, v24, vcc_lo
	v_add_co_u32 v33, vcc_lo, s26, v25
	s_wait_alu 0xfffd
	v_add_co_ci_u32_e64 v34, null, s27, v26, vcc_lo
	v_lshlrev_b64_e32 v[25:26], 3, v[29:30]
	v_add_co_u32 v35, vcc_lo, s26, v27
	s_wait_alu 0xfffd
	v_add_co_ci_u32_e64 v36, null, s27, v28, vcc_lo
	v_lshlrev_b64_e32 v[27:28], 3, v[31:32]
	s_delay_alu instid0(VALU_DEP_4) | instskip(SKIP_2) | instid1(VALU_DEP_3)
	v_add_co_u32 v37, vcc_lo, s26, v25
	s_wait_alu 0xfffd
	v_add_co_ci_u32_e64 v38, null, s27, v26, vcc_lo
	v_add_co_u32 v39, vcc_lo, s26, v27
	s_wait_alu 0xfffd
	v_add_co_ci_u32_e64 v40, null, s27, v28, vcc_lo
	s_clause 0x3
	global_load_b64 v[17:18], v[17:18], off
	global_load_b64 v[19:20], v[19:20], off
	;; [unrolled: 1-line block ×4, first 2 shown]
	s_clause 0x3
	global_load_b64 v[25:26], v[33:34], off
	global_load_b64 v[27:28], v[35:36], off
	global_load_b64 v[29:30], v[37:38], off
	global_load_b64 v[31:32], v[39:40], off
	s_and_saveexec_b32 s50, s2
	s_cbranch_execz .LBB62_19
; %bb.23:                               ;   in Loop: Header=BB62_21 Depth=2
	s_clause 0x3
	global_load_b64 v[41:42], v[33:34], off offset:256
	global_load_b64 v[43:44], v[35:36], off offset:256
	global_load_b64 v[45:46], v[37:38], off offset:256
	global_load_b64 v[47:48], v[39:40], off offset:256
	s_and_saveexec_b32 s51, s3
	s_cbranch_execz .LBB62_18
; %bb.24:                               ;   in Loop: Header=BB62_21 Depth=2
	s_clause 0x3
	global_load_b64 v[49:50], v[33:34], off offset:512
	global_load_b64 v[51:52], v[35:36], off offset:512
	global_load_b64 v[53:54], v[37:38], off offset:512
	global_load_b64 v[55:56], v[39:40], off offset:512
	;; [unrolled: 8-line block ×3, first 2 shown]
	s_wait_loadcnt 0x3
	v_fma_f64 v[15:16], v[17:18], v[33:34], v[15:16]
	s_wait_loadcnt 0x2
	s_delay_alu instid0(VALU_DEP_1) | instskip(SKIP_1) | instid1(VALU_DEP_1)
	v_fma_f64 v[15:16], v[19:20], v[35:36], v[15:16]
	s_wait_loadcnt 0x1
	v_fma_f64 v[15:16], v[21:22], v[37:38], v[15:16]
	s_wait_loadcnt 0x0
	s_delay_alu instid0(VALU_DEP_1)
	v_fma_f64 v[15:16], v[23:24], v[39:40], v[15:16]
	s_branch .LBB62_17
.LBB62_26:                              ;   in Loop: Header=BB62_5 Depth=1
	s_or_b32 exec_lo, exec_lo, s47
.LBB62_27:                              ;   in Loop: Header=BB62_5 Depth=1
	s_wait_alu 0xfffe
	s_or_b32 exec_lo, exec_lo, s7
	s_delay_alu instid0(SALU_CYCLE_1)
	s_and_not1_b32 vcc_lo, exec_lo, s42
	s_wait_alu 0xfffe
	s_cbranch_vccnz .LBB62_45
; %bb.28:                               ;   in Loop: Header=BB62_5 Depth=1
	v_mov_b32_e32 v23, 0
	v_dual_mov_b32 v19, 0 :: v_dual_mov_b32 v24, 0
	v_dual_mov_b32 v21, 0 :: v_dual_mov_b32 v20, 0
	v_mov_b32_e32 v17, 0
	v_cmp_gt_i32_e32 vcc_lo, s9, v66
	v_mov_b32_e32 v22, 0
	v_mov_b32_e32 v18, 0
	v_or_b32_e32 v25, 1, v66
	s_and_saveexec_b32 s47, vcc_lo
	s_cbranch_execz .LBB62_36
; %bb.29:                               ;   in Loop: Header=BB62_5 Depth=1
	v_mul_lo_u32 v17, v66, s30
	v_mov_b32_e32 v19, 0
	v_dual_mov_b32 v20, 0 :: v_dual_mov_b32 v21, 0
	v_dual_mov_b32 v23, 0 :: v_dual_mov_b32 v22, 0
	v_mov_b32_e32 v24, 0
	s_mov_b32 s48, exec_lo
	v_ashrrev_i32_e32 v18, 31, v17
	s_delay_alu instid0(VALU_DEP_1) | instskip(NEXT) | instid1(VALU_DEP_1)
	v_lshlrev_b64_e32 v[17:18], 3, v[17:18]
	v_add_co_u32 v17, s7, s28, v17
	s_wait_alu 0xf1ff
	s_delay_alu instid0(VALU_DEP_2)
	v_add_co_ci_u32_e64 v18, null, s29, v18, s7
	global_load_b64 v[17:18], v[17:18], off
	v_cmpx_gt_i32_e64 s9, v25
	s_cbranch_execz .LBB62_35
; %bb.30:                               ;   in Loop: Header=BB62_5 Depth=1
	v_mul_lo_u32 v19, v25, s30
	v_mov_b32_e32 v21, 0
	v_dual_mov_b32 v22, 0 :: v_dual_mov_b32 v23, 0
	v_or_b32_e32 v26, 2, v66
	v_mov_b32_e32 v24, 0
	s_mov_b32 s49, exec_lo
	v_ashrrev_i32_e32 v20, 31, v19
	s_delay_alu instid0(VALU_DEP_1) | instskip(NEXT) | instid1(VALU_DEP_1)
	v_lshlrev_b64_e32 v[19:20], 3, v[19:20]
	v_add_co_u32 v19, s7, s28, v19
	s_wait_alu 0xf1ff
	s_delay_alu instid0(VALU_DEP_2)
	v_add_co_ci_u32_e64 v20, null, s29, v20, s7
	global_load_b64 v[19:20], v[19:20], off
	v_cmpx_gt_i32_e64 s9, v26
	s_cbranch_execz .LBB62_34
; %bb.31:                               ;   in Loop: Header=BB62_5 Depth=1
	v_mul_lo_u32 v21, v26, s30
	v_mov_b32_e32 v23, 0
	v_or_b32_e32 v26, 3, v66
	v_mov_b32_e32 v24, 0
	s_mov_b32 s50, exec_lo
	s_delay_alu instid0(VALU_DEP_4) | instskip(NEXT) | instid1(VALU_DEP_1)
	v_ashrrev_i32_e32 v22, 31, v21
	v_lshlrev_b64_e32 v[21:22], 3, v[21:22]
	s_delay_alu instid0(VALU_DEP_1) | instskip(SKIP_1) | instid1(VALU_DEP_2)
	v_add_co_u32 v21, s7, s28, v21
	s_wait_alu 0xf1ff
	v_add_co_ci_u32_e64 v22, null, s29, v22, s7
	global_load_b64 v[21:22], v[21:22], off
	v_cmpx_gt_i32_e64 s9, v26
	s_cbranch_execz .LBB62_33
; %bb.32:                               ;   in Loop: Header=BB62_5 Depth=1
	v_mul_lo_u32 v23, v26, s30
	s_delay_alu instid0(VALU_DEP_1) | instskip(NEXT) | instid1(VALU_DEP_1)
	v_ashrrev_i32_e32 v24, 31, v23
	v_lshlrev_b64_e32 v[23:24], 3, v[23:24]
	s_delay_alu instid0(VALU_DEP_1) | instskip(SKIP_1) | instid1(VALU_DEP_2)
	v_add_co_u32 v23, s7, s28, v23
	s_wait_alu 0xf1ff
	v_add_co_ci_u32_e64 v24, null, s29, v24, s7
	global_load_b64 v[23:24], v[23:24], off
.LBB62_33:                              ;   in Loop: Header=BB62_5 Depth=1
	s_or_b32 exec_lo, exec_lo, s50
.LBB62_34:                              ;   in Loop: Header=BB62_5 Depth=1
	s_wait_alu 0xfffe
	s_or_b32 exec_lo, exec_lo, s49
.LBB62_35:                              ;   in Loop: Header=BB62_5 Depth=1
	s_wait_alu 0xfffe
	s_or_b32 exec_lo, exec_lo, s48
.LBB62_36:                              ;   in Loop: Header=BB62_5 Depth=1
	s_delay_alu instid0(SALU_CYCLE_1)
	s_or_b32 exec_lo, exec_lo, s47
	s_and_saveexec_b32 s7, s1
	s_cbranch_execz .LBB62_44
; %bb.37:                               ;   in Loop: Header=BB62_5 Depth=1
	v_mul_lo_u32 v27, v66, s33
	v_or_b32_e32 v26, 2, v66
	v_mul_lo_u32 v29, v25, s33
	v_or_b32_e32 v28, 3, v66
	s_delay_alu instid0(VALU_DEP_3) | instskip(NEXT) | instid1(VALU_DEP_2)
	v_mul_lo_u32 v30, v26, s33
	v_mul_lo_u32 v31, v28, s33
	v_cndmask_b32_e32 v27, 0, v27, vcc_lo
	v_cmp_gt_i32_e32 vcc_lo, s9, v25
	s_wait_alu 0xfffd
	v_cndmask_b32_e32 v29, 0, v29, vcc_lo
	v_cmp_gt_i32_e32 vcc_lo, s9, v26
	s_wait_alu 0xfffd
	;; [unrolled: 3-line block ×3, first 2 shown]
	v_dual_cndmask_b32 v28, 0, v31 :: v_dual_add_nc_u32 v25, v27, v57
	v_add_nc_u32_e32 v27, v29, v57
	v_add_nc_u32_e32 v29, v26, v57
	s_delay_alu instid0(VALU_DEP_3) | instskip(NEXT) | instid1(VALU_DEP_4)
	v_ashrrev_i32_e32 v26, 31, v25
	v_add_nc_u32_e32 v31, v28, v57
	s_delay_alu instid0(VALU_DEP_4) | instskip(NEXT) | instid1(VALU_DEP_4)
	v_ashrrev_i32_e32 v28, 31, v27
	v_ashrrev_i32_e32 v30, 31, v29
	s_delay_alu instid0(VALU_DEP_4) | instskip(NEXT) | instid1(VALU_DEP_4)
	v_lshlrev_b64_e32 v[25:26], 3, v[25:26]
	v_ashrrev_i32_e32 v32, 31, v31
	s_delay_alu instid0(VALU_DEP_4) | instskip(NEXT) | instid1(VALU_DEP_4)
	v_lshlrev_b64_e32 v[27:28], 3, v[27:28]
	v_lshlrev_b64_e32 v[29:30], 3, v[29:30]
	s_delay_alu instid0(VALU_DEP_4) | instskip(NEXT) | instid1(VALU_DEP_4)
	v_add_co_u32 v41, vcc_lo, s26, v25
	v_lshlrev_b64_e32 v[31:32], 3, v[31:32]
	s_wait_alu 0xfffd
	v_add_co_ci_u32_e64 v42, null, s27, v26, vcc_lo
	v_add_co_u32 v43, vcc_lo, s26, v27
	s_wait_alu 0xfffd
	v_add_co_ci_u32_e64 v44, null, s27, v28, vcc_lo
	v_add_co_u32 v45, vcc_lo, s26, v29
	;; [unrolled: 3-line block ×3, first 2 shown]
	s_wait_alu 0xfffd
	v_add_co_ci_u32_e64 v48, null, s27, v32, vcc_lo
	s_clause 0x3
	global_load_b64 v[25:26], v[41:42], off
	global_load_b64 v[27:28], v[43:44], off
	;; [unrolled: 1-line block ×4, first 2 shown]
	s_and_saveexec_b32 s26, s2
	s_cbranch_execz .LBB62_43
; %bb.38:                               ;   in Loop: Header=BB62_5 Depth=1
	s_clause 0x3
	global_load_b64 v[33:34], v[41:42], off offset:256
	global_load_b64 v[35:36], v[43:44], off offset:256
	global_load_b64 v[37:38], v[45:46], off offset:256
	global_load_b64 v[39:40], v[47:48], off offset:256
	s_and_saveexec_b32 s27, s3
	s_cbranch_execz .LBB62_42
; %bb.39:                               ;   in Loop: Header=BB62_5 Depth=1
	s_clause 0x3
	global_load_b64 v[49:50], v[41:42], off offset:512
	global_load_b64 v[51:52], v[43:44], off offset:512
	global_load_b64 v[53:54], v[45:46], off offset:512
	global_load_b64 v[55:56], v[47:48], off offset:512
	;; [unrolled: 8-line block ×3, first 2 shown]
	s_wait_loadcnt 0x3
	v_fma_f64 v[15:16], v[17:18], v[41:42], v[15:16]
	s_wait_loadcnt 0x2
	s_delay_alu instid0(VALU_DEP_1) | instskip(SKIP_1) | instid1(VALU_DEP_1)
	v_fma_f64 v[15:16], v[19:20], v[43:44], v[15:16]
	s_wait_loadcnt 0x1
	v_fma_f64 v[15:16], v[21:22], v[45:46], v[15:16]
	s_wait_loadcnt 0x0
	s_delay_alu instid0(VALU_DEP_1)
	v_fma_f64 v[15:16], v[23:24], v[47:48], v[15:16]
.LBB62_41:                              ;   in Loop: Header=BB62_5 Depth=1
	s_wait_alu 0xfffe
	s_or_b32 exec_lo, exec_lo, s28
	s_wait_loadcnt 0x3
	v_fma_f64 v[13:14], v[17:18], v[49:50], v[13:14]
	s_wait_loadcnt 0x2
	s_delay_alu instid0(VALU_DEP_1) | instskip(SKIP_1) | instid1(VALU_DEP_1)
	v_fma_f64 v[13:14], v[19:20], v[51:52], v[13:14]
	s_wait_loadcnt 0x1
	v_fma_f64 v[13:14], v[21:22], v[53:54], v[13:14]
	s_wait_loadcnt 0x0
	s_delay_alu instid0(VALU_DEP_1)
	v_fma_f64 v[13:14], v[23:24], v[55:56], v[13:14]
.LBB62_42:                              ;   in Loop: Header=BB62_5 Depth=1
	s_wait_alu 0xfffe
	s_or_b32 exec_lo, exec_lo, s27
	s_wait_loadcnt 0x3
	v_fma_f64 v[11:12], v[17:18], v[33:34], v[11:12]
	s_wait_loadcnt 0x2
	s_delay_alu instid0(VALU_DEP_1) | instskip(SKIP_1) | instid1(VALU_DEP_1)
	v_fma_f64 v[11:12], v[19:20], v[35:36], v[11:12]
	s_wait_loadcnt 0x1
	v_fma_f64 v[11:12], v[21:22], v[37:38], v[11:12]
	s_wait_loadcnt 0x0
	s_delay_alu instid0(VALU_DEP_1)
	v_fma_f64 v[11:12], v[23:24], v[39:40], v[11:12]
.LBB62_43:                              ;   in Loop: Header=BB62_5 Depth=1
	s_wait_alu 0xfffe
	s_or_b32 exec_lo, exec_lo, s26
	s_wait_loadcnt 0x3
	v_fma_f64 v[9:10], v[17:18], v[25:26], v[9:10]
	s_wait_loadcnt 0x2
	s_delay_alu instid0(VALU_DEP_1) | instskip(SKIP_1) | instid1(VALU_DEP_1)
	v_fma_f64 v[9:10], v[19:20], v[27:28], v[9:10]
	s_wait_loadcnt 0x1
	v_fma_f64 v[9:10], v[21:22], v[29:30], v[9:10]
	s_wait_loadcnt 0x0
	s_delay_alu instid0(VALU_DEP_1)
	v_fma_f64 v[9:10], v[23:24], v[31:32], v[9:10]
.LBB62_44:                              ;   in Loop: Header=BB62_5 Depth=1
	s_wait_alu 0xfffe
	s_or_b32 exec_lo, exec_lo, s7
.LBB62_45:                              ;   in Loop: Header=BB62_5 Depth=1
	ds_store_2addr_b64 v59, v[9:10], v[11:12] offset1:32
	ds_store_2addr_b64 v59, v[13:14], v[15:16] offset0:64 offset1:96
	s_wait_loadcnt_dscnt 0x0
	s_barrier_signal -1
	s_barrier_wait -1
	global_inv scope:SCOPE_SE
                                        ; implicit-def: $vgpr9_vgpr10
	s_and_saveexec_b32 s7, s0
	s_cbranch_execz .LBB62_51
; %bb.46:                               ;   in Loop: Header=BB62_5 Depth=1
	ds_load_2addr_stride64_b64 v[9:12], v60 offset1:2
	s_mov_b32 s27, s46
	s_wait_dscnt 0x0
	v_add_f64_e32 v[13:14], v[9:10], v[11:12]
	ds_load_2addr_stride64_b64 v[9:12], v60 offset0:4 offset1:6
	s_wait_dscnt 0x0
	v_add_f64_e32 v[9:10], v[9:10], v[13:14]
	s_delay_alu instid0(VALU_DEP_1) | instskip(SKIP_3) | instid1(VALU_DEP_1)
	v_add_f64_e32 v[13:14], v[11:12], v[9:10]
	ds_load_2addr_stride64_b64 v[9:12], v60 offset0:8 offset1:10
	s_wait_dscnt 0x0
	v_add_f64_e32 v[9:10], v[9:10], v[13:14]
	v_add_f64_e32 v[13:14], v[11:12], v[9:10]
	ds_load_2addr_stride64_b64 v[9:12], v60 offset0:12 offset1:14
	s_wait_dscnt 0x0
	v_add_f64_e32 v[9:10], v[9:10], v[13:14]
	s_delay_alu instid0(VALU_DEP_1) | instskip(SKIP_3) | instid1(VALU_DEP_1)
	v_add_f64_e32 v[13:14], v[11:12], v[9:10]
	ds_load_2addr_stride64_b64 v[9:12], v60 offset0:16 offset1:18
	s_wait_dscnt 0x0
	v_add_f64_e32 v[9:10], v[9:10], v[13:14]
	;; [unrolled: 9-line block ×3, first 2 shown]
	v_add_f64_e32 v[13:14], v[11:12], v[9:10]
	ds_load_2addr_stride64_b64 v[9:12], v60 offset0:28 offset1:30
	s_wait_dscnt 0x0
	v_add_f64_e32 v[9:10], v[9:10], v[13:14]
	s_delay_alu instid0(VALU_DEP_1)
	v_add_f64_e32 v[11:12], v[11:12], v[9:10]
                                        ; implicit-def: $vgpr9_vgpr10
	ds_store_b64 v60, v[11:12]
	s_and_saveexec_b32 s26, s5
	s_cbranch_execz .LBB62_50
; %bb.47:                               ;   in Loop: Header=BB62_5 Depth=1
	v_mul_f64_e32 v[9:10], s[10:11], v[11:12]
	s_and_not1_b32 vcc_lo, exec_lo, s41
	s_wait_alu 0xfffe
	s_cbranch_vccnz .LBB62_49
; %bb.48:                               ;   in Loop: Header=BB62_5 Depth=1
	v_lshlrev_b64_e32 v[11:12], 3, v[2:3]
	s_delay_alu instid0(VALU_DEP_1) | instskip(SKIP_1) | instid1(VALU_DEP_2)
	v_add_co_u32 v11, vcc_lo, s24, v11
	s_wait_alu 0xfffd
	v_add_co_ci_u32_e64 v12, null, s25, v12, vcc_lo
	global_load_b64 v[11:12], v[11:12], off
	s_wait_loadcnt 0x0
	v_fma_f64 v[9:10], s[14:15], v[11:12], v[9:10]
.LBB62_49:                              ;   in Loop: Header=BB62_5 Depth=1
	s_or_b32 s27, s46, exec_lo
.LBB62_50:                              ;   in Loop: Header=BB62_5 Depth=1
	s_wait_alu 0xfffe
	s_or_b32 exec_lo, exec_lo, s26
	s_delay_alu instid0(SALU_CYCLE_1)
	s_and_not1_b32 s26, s46, exec_lo
	s_and_b32 s27, s27, exec_lo
	s_wait_alu 0xfffe
	s_or_b32 s46, s26, s27
.LBB62_51:                              ;   in Loop: Header=BB62_5 Depth=1
	s_wait_alu 0xfffe
	s_or_b32 exec_lo, exec_lo, s7
	v_dual_mov_b32 v12, v3 :: v_dual_mov_b32 v11, v2
	s_and_saveexec_b32 s7, s46
	s_cbranch_execz .LBB62_3
.LBB62_52:                              ;   in Loop: Header=BB62_5 Depth=1
	s_delay_alu instid0(VALU_DEP_1) | instskip(SKIP_1) | instid1(VALU_DEP_1)
	v_lshlrev_b64_e32 v[11:12], 3, v[11:12]
	s_wait_alu 0xfffe
	v_add_co_u32 v11, vcc_lo, s24, v11
	s_wait_alu 0xfffd
	s_delay_alu instid0(VALU_DEP_2)
	v_add_co_ci_u32_e64 v12, null, s25, v12, vcc_lo
	global_store_b64 v[11:12], v[9:10], off
	s_branch .LBB62_3
.LBB62_53:
	s_endpgm
	.section	.rodata,"a",@progbits
	.p2align	6, 0x0
	.amdhsa_kernel _ZL20rocblas_gemvn_kernelILi32ELi16EidddEviiT3_lPKT2_lT1_lS3_lS4_lS0_lPT4_lS4_li
		.amdhsa_group_segment_fixed_size 16384
		.amdhsa_private_segment_fixed_size 0
		.amdhsa_kernarg_size 400
		.amdhsa_user_sgpr_count 2
		.amdhsa_user_sgpr_dispatch_ptr 0
		.amdhsa_user_sgpr_queue_ptr 0
		.amdhsa_user_sgpr_kernarg_segment_ptr 1
		.amdhsa_user_sgpr_dispatch_id 0
		.amdhsa_user_sgpr_private_segment_size 0
		.amdhsa_wavefront_size32 1
		.amdhsa_uses_dynamic_stack 0
		.amdhsa_enable_private_segment 0
		.amdhsa_system_sgpr_workgroup_id_x 1
		.amdhsa_system_sgpr_workgroup_id_y 0
		.amdhsa_system_sgpr_workgroup_id_z 1
		.amdhsa_system_sgpr_workgroup_info 0
		.amdhsa_system_vgpr_workitem_id 1
		.amdhsa_next_free_vgpr 71
		.amdhsa_next_free_sgpr 53
		.amdhsa_reserve_vcc 1
		.amdhsa_float_round_mode_32 0
		.amdhsa_float_round_mode_16_64 0
		.amdhsa_float_denorm_mode_32 3
		.amdhsa_float_denorm_mode_16_64 3
		.amdhsa_fp16_overflow 0
		.amdhsa_workgroup_processor_mode 1
		.amdhsa_memory_ordered 1
		.amdhsa_forward_progress 1
		.amdhsa_inst_pref_size 27
		.amdhsa_round_robin_scheduling 0
		.amdhsa_exception_fp_ieee_invalid_op 0
		.amdhsa_exception_fp_denorm_src 0
		.amdhsa_exception_fp_ieee_div_zero 0
		.amdhsa_exception_fp_ieee_overflow 0
		.amdhsa_exception_fp_ieee_underflow 0
		.amdhsa_exception_fp_ieee_inexact 0
		.amdhsa_exception_int_div_zero 0
	.end_amdhsa_kernel
	.section	.text._ZL20rocblas_gemvn_kernelILi32ELi16EidddEviiT3_lPKT2_lT1_lS3_lS4_lS0_lPT4_lS4_li,"axG",@progbits,_ZL20rocblas_gemvn_kernelILi32ELi16EidddEviiT3_lPKT2_lT1_lS3_lS4_lS0_lPT4_lS4_li,comdat
.Lfunc_end62:
	.size	_ZL20rocblas_gemvn_kernelILi32ELi16EidddEviiT3_lPKT2_lT1_lS3_lS4_lS0_lPT4_lS4_li, .Lfunc_end62-_ZL20rocblas_gemvn_kernelILi32ELi16EidddEviiT3_lPKT2_lT1_lS3_lS4_lS0_lPT4_lS4_li
                                        ; -- End function
	.set _ZL20rocblas_gemvn_kernelILi32ELi16EidddEviiT3_lPKT2_lT1_lS3_lS4_lS0_lPT4_lS4_li.num_vgpr, 71
	.set _ZL20rocblas_gemvn_kernelILi32ELi16EidddEviiT3_lPKT2_lT1_lS3_lS4_lS0_lPT4_lS4_li.num_agpr, 0
	.set _ZL20rocblas_gemvn_kernelILi32ELi16EidddEviiT3_lPKT2_lT1_lS3_lS4_lS0_lPT4_lS4_li.numbered_sgpr, 53
	.set _ZL20rocblas_gemvn_kernelILi32ELi16EidddEviiT3_lPKT2_lT1_lS3_lS4_lS0_lPT4_lS4_li.num_named_barrier, 0
	.set _ZL20rocblas_gemvn_kernelILi32ELi16EidddEviiT3_lPKT2_lT1_lS3_lS4_lS0_lPT4_lS4_li.private_seg_size, 0
	.set _ZL20rocblas_gemvn_kernelILi32ELi16EidddEviiT3_lPKT2_lT1_lS3_lS4_lS0_lPT4_lS4_li.uses_vcc, 1
	.set _ZL20rocblas_gemvn_kernelILi32ELi16EidddEviiT3_lPKT2_lT1_lS3_lS4_lS0_lPT4_lS4_li.uses_flat_scratch, 0
	.set _ZL20rocblas_gemvn_kernelILi32ELi16EidddEviiT3_lPKT2_lT1_lS3_lS4_lS0_lPT4_lS4_li.has_dyn_sized_stack, 0
	.set _ZL20rocblas_gemvn_kernelILi32ELi16EidddEviiT3_lPKT2_lT1_lS3_lS4_lS0_lPT4_lS4_li.has_recursion, 0
	.set _ZL20rocblas_gemvn_kernelILi32ELi16EidddEviiT3_lPKT2_lT1_lS3_lS4_lS0_lPT4_lS4_li.has_indirect_call, 0
	.section	.AMDGPU.csdata,"",@progbits
; Kernel info:
; codeLenInByte = 3380
; TotalNumSgprs: 55
; NumVgprs: 71
; ScratchSize: 0
; MemoryBound: 0
; FloatMode: 240
; IeeeMode: 1
; LDSByteSize: 16384 bytes/workgroup (compile time only)
; SGPRBlocks: 0
; VGPRBlocks: 8
; NumSGPRsForWavesPerEU: 55
; NumVGPRsForWavesPerEU: 71
; Occupancy: 16
; WaveLimiterHint : 1
; COMPUTE_PGM_RSRC2:SCRATCH_EN: 0
; COMPUTE_PGM_RSRC2:USER_SGPR: 2
; COMPUTE_PGM_RSRC2:TRAP_HANDLER: 0
; COMPUTE_PGM_RSRC2:TGID_X_EN: 1
; COMPUTE_PGM_RSRC2:TGID_Y_EN: 0
; COMPUTE_PGM_RSRC2:TGID_Z_EN: 1
; COMPUTE_PGM_RSRC2:TIDIG_COMP_CNT: 1
	.section	.text._ZL20rocblas_gemvn_kernelILi32ELi16EldddEviiT3_lPKT2_lT1_lS3_lS4_lS0_lPT4_lS4_li,"axG",@progbits,_ZL20rocblas_gemvn_kernelILi32ELi16EldddEviiT3_lPKT2_lT1_lS3_lS4_lS0_lPT4_lS4_li,comdat
	.globl	_ZL20rocblas_gemvn_kernelILi32ELi16EldddEviiT3_lPKT2_lT1_lS3_lS4_lS0_lPT4_lS4_li ; -- Begin function _ZL20rocblas_gemvn_kernelILi32ELi16EldddEviiT3_lPKT2_lT1_lS3_lS4_lS0_lPT4_lS4_li
	.p2align	8
	.type	_ZL20rocblas_gemvn_kernelILi32ELi16EldddEviiT3_lPKT2_lT1_lS3_lS4_lS0_lPT4_lS4_li,@function
_ZL20rocblas_gemvn_kernelILi32ELi16EldddEviiT3_lPKT2_lT1_lS3_lS4_lS0_lPT4_lS4_li: ; @_ZL20rocblas_gemvn_kernelILi32ELi16EldddEviiT3_lPKT2_lT1_lS3_lS4_lS0_lPT4_lS4_li
; %bb.0:
	s_load_b64 s[2:3], s[0:1], 0x9c
	s_wait_kmcnt 0x0
	s_lshr_b32 s4, s2, 16
	s_and_b32 s2, s2, 0xffff
	s_and_b32 s3, s3, 0xffff
	s_mul_i32 s2, s4, s2
	s_delay_alu instid0(SALU_CYCLE_1) | instskip(NEXT) | instid1(SALU_CYCLE_1)
	s_mul_i32 s2, s2, s3
	s_cmp_lg_u32 s2, 0x200
	s_cbranch_scc1 .LBB63_53
; %bb.1:
	s_load_b32 s33, s[0:1], 0x88
	s_lshr_b32 s34, ttmp7, 16
	s_wait_kmcnt 0x0
	s_cmp_ge_u32 s34, s33
	s_cbranch_scc1 .LBB63_53
; %bb.2:
	s_clause 0x3
	s_load_b128 s[36:39], s[0:1], 0x0
	s_load_b64 s[40:41], s[0:1], 0x58
	s_load_b512 s[8:23], s[0:1], 0x18
	s_load_b256 s[24:31], s[0:1], 0x68
	v_and_b32_e32 v1, 0x3ff, v0
	v_bfe_u32 v16, v0, 10, 10
	s_lshl_b32 s46, ttmp9, 7
	v_mov_b32_e32 v5, 0
	s_mov_b32 s35, 0
	v_add_nc_u32_e32 v6, s46, v1
	v_lshl_add_u32 v0, v16, 5, v1
	v_lshlrev_b32_e32 v1, 3, v1
	s_delay_alu instid0(VALU_DEP_3) | instskip(NEXT) | instid1(VALU_DEP_3)
	v_add_nc_u32_e32 v2, 32, v6
	v_add_nc_u32_e32 v4, s46, v0
	v_add_nc_u32_e32 v3, 64, v6
	v_or_b32_e32 v17, s46, v0
	v_lshl_add_u32 v57, v16, 10, v1
	v_cmp_gt_u32_e64 s0, 0x80, v0
	v_lshl_add_u32 v58, v16, 8, v1
	s_wait_kmcnt 0x0
	v_cmp_gt_i32_e64 s2, s36, v2
	v_cmp_gt_i32_e64 s3, s36, v3
	v_mad_co_u64_u32 v[0:1], null, s28, v4, 0
	v_mad_co_u64_u32 v[2:3], null, s28, v17, 0
	v_cmp_neq_f64_e64 s47, s[38:39], 0
	v_cmp_neq_f64_e64 s49, s[40:41], 1.0
	v_add_nc_u32_e32 v8, 0x60, v6
	s_ashr_i32 s45, s36, 31
	s_mov_b32 s44, s36
	s_ashr_i32 s5, s37, 31
	v_mad_co_u64_u32 v[12:13], null, s29, v4, v[1:2]
	v_lshlrev_b32_e32 v56, 2, v16
	v_cmp_gt_i32_e64 s4, s36, v8
	v_mad_co_u64_u32 v[8:9], null, s20, v16, 0
	v_cmp_gt_i64_e32 vcc_lo, s[44:45], v[4:5]
	s_lshr_b32 s5, s5, 26
	v_mov_b32_e32 v1, v12
	v_or_b32_e32 v18, 3, v56
	s_add_co_i32 s48, s37, s5
	s_lshl_b64 s[6:7], s[10:11], 3
	s_delay_alu instid0(VALU_DEP_4) | instskip(SKIP_3) | instid1(VALU_DEP_3)
	v_mov_b32_e32 v4, v9
	s_and_not1_b32 s48, s48, 63
	v_mad_co_u64_u32 v[10:11], null, s12, v18, 0
	v_mad_co_u64_u32 v[12:13], null, s20, v18, 0
	;; [unrolled: 1-line block ×3, first 2 shown]
	s_lshl_b64 s[10:11], s[18:19], 3
	s_add_nc_u64 s[18:19], s[8:9], s[6:7]
	v_mov_b32_e32 v5, v11
	s_sub_co_i32 s6, s37, s48
	s_lshl_b64 s[42:43], s[26:27], 3
	v_ashrrev_i32_e32 v7, 31, v6
	v_mov_b32_e32 v9, v4
	v_mad_co_u64_u32 v[14:15], null, s13, v18, v[5:6]
	v_mov_b32_e32 v4, v13
	v_cmp_gt_i32_e64 s1, s36, v6
	s_delay_alu instid0(VALU_DEP_4)
	v_lshlrev_b64_e32 v[8:9], 5, v[8:9]
	v_mul_lo_u32 v19, s29, v17
	s_or_b32 s49, s47, s49
	s_cmp_gt_i32 s6, 0
	v_mov_b32_e32 v11, v14
	v_mad_co_u64_u32 v[13:14], null, s21, v18, v[4:5]
	v_mad_co_u64_u32 v[14:15], null, s12, v16, 0
	v_or_b32_e32 v18, 2, v56
	s_cselect_b32 s50, -1, 0
	s_ashr_i32 s6, s46, 31
	v_lshlrev_b64_e32 v[4:5], 3, v[6:7]
	s_mul_i32 s7, s28, s6
	v_cmp_gt_i32_e64 s6, s36, v17
	s_and_b32 s36, s0, vcc_lo
	v_add_co_u32 v59, vcc_lo, s16, v8
	s_delay_alu instid0(VALU_DEP_1)
	v_add_co_ci_u32_e64 v60, null, s17, v9, vcc_lo
	v_lshlrev_b64_e32 v[6:7], 3, v[10:11]
	v_mad_co_u64_u32 v[9:10], null, s12, v18, 0
	v_mov_b32_e32 v8, v15
	v_add3_u32 v3, v3, s7, v19
	v_cmp_eq_f64_e64 s51, s[38:39], 0
	v_add_co_u32 v61, vcc_lo, s18, v6
	s_wait_alu 0xfffd
	v_add_co_ci_u32_e64 v62, null, s19, v7, vcc_lo
	v_mad_co_u64_u32 v[15:16], null, s13, v16, v[8:9]
	v_lshlrev_b64_e32 v[7:8], 3, v[12:13]
	v_mad_co_u64_u32 v[16:17], null, s20, v18, 0
	v_mov_b32_e32 v6, v10
	v_cmp_neq_f64_e64 s52, s[40:41], 0
	v_cmp_gt_i32_e64 s5, s48, v56
	v_add_co_u32 v63, vcc_lo, s16, v7
	s_delay_alu instid0(VALU_DEP_4)
	v_mad_co_u64_u32 v[11:12], null, s13, v18, v[6:7]
	v_mov_b32_e32 v10, v17
	v_mad_co_u64_u32 v[12:13], null, s20, v56, s[20:21]
	s_wait_alu 0xfffd
	v_add_co_ci_u32_e64 v64, null, s17, v8, vcc_lo
	v_lshlrev_b64_e32 v[7:8], 5, v[14:15]
	v_mad_co_u64_u32 v[17:18], null, s21, v18, v[10:11]
	v_mad_co_u64_u32 v[18:19], null, s12, v56, s[12:13]
	v_mov_b32_e32 v6, v13
	v_mov_b32_e32 v10, v11
	v_add_co_u32 v65, vcc_lo, s18, v7
	s_wait_alu 0xfffd
	v_add_co_ci_u32_e64 v66, null, s19, v8, vcc_lo
	v_mad_co_u64_u32 v[13:14], null, s21, v56, v[6:7]
	v_lshlrev_b64_e32 v[7:8], 3, v[9:10]
	v_mov_b32_e32 v6, v19
	s_add_nc_u64 s[26:27], s[16:17], s[10:11]
	s_add_nc_u64 s[24:25], s[24:25], s[42:43]
	s_lshl_b64 s[28:29], s[22:23], 3
	s_lshl_b64 s[42:43], s[14:15], 3
	v_mad_co_u64_u32 v[9:10], null, s13, v56, v[6:7]
	v_lshlrev_b64_e32 v[10:11], 3, v[16:17]
	v_add_co_u32 v67, vcc_lo, s18, v7
	v_lshlrev_b64_e32 v[6:7], 3, v[12:13]
	s_wait_alu 0xfffd
	v_add_co_ci_u32_e64 v68, null, s19, v8, vcc_lo
	v_mov_b32_e32 v19, v9
	v_add_co_u32 v69, vcc_lo, s16, v10
	s_wait_alu 0xfffd
	v_add_co_ci_u32_e64 v70, null, s17, v11, vcc_lo
	s_delay_alu instid0(VALU_DEP_3) | instskip(SKIP_4) | instid1(VALU_DEP_4)
	v_lshlrev_b64_e32 v[8:9], 3, v[18:19]
	v_add_co_u32 v71, vcc_lo, s16, v6
	s_wait_alu 0xfffd
	v_add_co_ci_u32_e64 v72, null, s17, v7, vcc_lo
	v_lshlrev_b64_e32 v[6:7], 3, v[0:1]
	v_add_co_u32 v73, vcc_lo, s18, v8
	s_wait_alu 0xfffd
	v_add_co_ci_u32_e64 v74, null, s19, v9, vcc_lo
	s_lshl_b64 s[16:17], s[20:21], 9
	s_lshl_b64 s[44:45], s[12:13], 9
	s_branch .LBB63_5
.LBB63_3:                               ;   in Loop: Header=BB63_5 Depth=1
	s_wait_alu 0xfffe
	s_or_b32 exec_lo, exec_lo, s7
.LBB63_4:                               ;   in Loop: Header=BB63_5 Depth=1
	s_add_co_i32 s34, s34, 0x10000
	s_delay_alu instid0(SALU_CYCLE_1)
	s_cmp_lt_u32 s34, s33
	s_cbranch_scc0 .LBB63_53
.LBB63_5:                               ; =>This Loop Header: Depth=1
                                        ;     Child Loop BB63_21 Depth 2
	s_and_not1_b32 vcc_lo, exec_lo, s49
	s_wait_alu 0xfffe
	s_cbranch_vccnz .LBB63_4
; %bb.6:                                ;   in Loop: Header=BB63_5 Depth=1
	s_mul_u64 s[8:9], s[30:31], s[34:35]
	s_and_not1_b32 vcc_lo, exec_lo, s51
	s_wait_alu 0xfffe
	s_lshl_b64 s[8:9], s[8:9], 3
	s_wait_alu 0xfffe
	s_add_nc_u64 s[46:47], s[24:25], s[8:9]
	s_cbranch_vccnz .LBB63_10
; %bb.7:                                ;   in Loop: Header=BB63_5 Depth=1
	s_mov_b32 s7, 0
	s_mov_b32 s53, 0
                                        ; implicit-def: $vgpr8_vgpr9
	s_and_saveexec_b32 s8, s36
	s_cbranch_execz .LBB63_11
; %bb.8:                                ;   in Loop: Header=BB63_5 Depth=1
	s_and_not1_b32 vcc_lo, exec_lo, s52
	s_wait_alu 0xfffe
	s_cbranch_vccnz .LBB63_13
; %bb.9:                                ;   in Loop: Header=BB63_5 Depth=1
	v_add_co_u32 v8, vcc_lo, s46, v6
	s_wait_alu 0xfffd
	v_add_co_ci_u32_e64 v9, null, s47, v7, vcc_lo
	global_load_b64 v[8:9], v[8:9], off
	s_wait_loadcnt 0x0
	v_mul_f64_e32 v[8:9], s[40:41], v[8:9]
	s_branch .LBB63_14
.LBB63_10:                              ;   in Loop: Header=BB63_5 Depth=1
	s_mov_b32 s53, 0
                                        ; implicit-def: $vgpr8_vgpr9
	s_cbranch_execz .LBB63_12
	s_branch .LBB63_15
.LBB63_11:                              ;   in Loop: Header=BB63_5 Depth=1
	s_wait_alu 0xfffe
	s_or_b32 exec_lo, exec_lo, s8
	s_delay_alu instid0(SALU_CYCLE_1)
	s_and_b32 vcc_lo, exec_lo, s7
	s_wait_alu 0xfffe
	s_cbranch_vccnz .LBB63_15
.LBB63_12:                              ;   in Loop: Header=BB63_5 Depth=1
	v_dual_mov_b32 v11, v1 :: v_dual_mov_b32 v10, v0
	s_and_saveexec_b32 s7, s53
	s_cbranch_execz .LBB63_3
	s_branch .LBB63_52
.LBB63_13:                              ;   in Loop: Header=BB63_5 Depth=1
	v_mov_b32_e32 v8, 0
	v_mov_b32_e32 v9, 0
.LBB63_14:                              ;   in Loop: Header=BB63_5 Depth=1
	s_mov_b32 s53, exec_lo
	s_or_b32 exec_lo, exec_lo, s8
	s_delay_alu instid0(SALU_CYCLE_1)
	s_and_b32 vcc_lo, exec_lo, s7
	s_wait_alu 0xfffe
	s_cbranch_vccz .LBB63_12
.LBB63_15:                              ;   in Loop: Header=BB63_5 Depth=1
	v_mov_b32_e32 v8, 0
	v_dual_mov_b32 v12, 0 :: v_dual_mov_b32 v9, 0
	v_dual_mov_b32 v10, 0 :: v_dual_mov_b32 v13, 0
	;; [unrolled: 1-line block ×3, first 2 shown]
	v_mov_b32_e32 v15, 0
	v_mov_b32_e32 v75, v56
	s_and_saveexec_b32 s8, s5
	s_cbranch_execz .LBB63_27
; %bb.16:                               ;   in Loop: Header=BB63_5 Depth=1
	s_mul_u64 s[54:55], s[28:29], s[34:35]
	s_mul_u64 s[56:57], s[42:43], s[34:35]
	s_wait_alu 0xfffe
	v_add_co_u32 v76, vcc_lo, v59, s54
	s_wait_alu 0xfffd
	v_add_co_ci_u32_e64 v77, null, s55, v60, vcc_lo
	v_add_co_u32 v78, vcc_lo, v61, s56
	s_wait_alu 0xfffd
	v_add_co_ci_u32_e64 v79, null, s57, v62, vcc_lo
	;; [unrolled: 3-line block ×7, first 2 shown]
	v_add_co_u32 v90, vcc_lo, v73, s56
	v_mov_b32_e32 v8, 0
	v_dual_mov_b32 v12, 0 :: v_dual_mov_b32 v9, 0
	v_dual_mov_b32 v10, 0 :: v_dual_mov_b32 v13, 0
	v_mov_b32_e32 v14, 0
	s_wait_alu 0xfffd
	v_add_co_ci_u32_e64 v91, null, s57, v74, vcc_lo
	v_mov_b32_e32 v11, 0
	v_mov_b32_e32 v15, 0
	;; [unrolled: 1-line block ×3, first 2 shown]
	s_mov_b32 s9, 0
	s_branch .LBB63_21
.LBB63_17:                              ;   in Loop: Header=BB63_21 Depth=2
	s_wait_alu 0xfffe
	s_or_b32 exec_lo, exec_lo, s56
	s_wait_loadcnt 0x3
	v_fma_f64 v[12:13], v[16:17], v[48:49], v[12:13]
	s_wait_loadcnt 0x2
	s_delay_alu instid0(VALU_DEP_1) | instskip(SKIP_1) | instid1(VALU_DEP_1)
	v_fma_f64 v[12:13], v[18:19], v[50:51], v[12:13]
	s_wait_loadcnt 0x1
	v_fma_f64 v[12:13], v[20:21], v[52:53], v[12:13]
	s_wait_loadcnt 0x0
	s_delay_alu instid0(VALU_DEP_1)
	v_fma_f64 v[12:13], v[22:23], v[54:55], v[12:13]
.LBB63_18:                              ;   in Loop: Header=BB63_21 Depth=2
	s_wait_alu 0xfffe
	s_or_b32 exec_lo, exec_lo, s55
	s_wait_loadcnt 0x3
	v_fma_f64 v[10:11], v[16:17], v[38:39], v[10:11]
	s_wait_loadcnt 0x2
	s_delay_alu instid0(VALU_DEP_1) | instskip(SKIP_1) | instid1(VALU_DEP_1)
	v_fma_f64 v[10:11], v[18:19], v[40:41], v[10:11]
	s_wait_loadcnt 0x1
	v_fma_f64 v[10:11], v[20:21], v[42:43], v[10:11]
	s_wait_loadcnt 0x0
	s_delay_alu instid0(VALU_DEP_1)
	v_fma_f64 v[10:11], v[22:23], v[44:45], v[10:11]
.LBB63_19:                              ;   in Loop: Header=BB63_21 Depth=2
	s_wait_alu 0xfffe
	s_or_b32 exec_lo, exec_lo, s54
	s_wait_loadcnt 0x3
	v_fma_f64 v[8:9], v[16:17], v[24:25], v[8:9]
	s_wait_loadcnt 0x2
	s_delay_alu instid0(VALU_DEP_1) | instskip(SKIP_1) | instid1(VALU_DEP_1)
	v_fma_f64 v[8:9], v[18:19], v[26:27], v[8:9]
	s_wait_loadcnt 0x1
	v_fma_f64 v[8:9], v[20:21], v[28:29], v[8:9]
	s_wait_loadcnt 0x0
	s_delay_alu instid0(VALU_DEP_1)
	v_fma_f64 v[8:9], v[22:23], v[30:31], v[8:9]
.LBB63_20:                              ;   in Loop: Header=BB63_21 Depth=2
	s_wait_alu 0xfffe
	s_or_b32 exec_lo, exec_lo, s7
	v_add_co_u32 v76, vcc_lo, v76, s16
	s_wait_alu 0xfffd
	v_add_co_ci_u32_e64 v77, null, s17, v77, vcc_lo
	v_add_co_u32 v78, vcc_lo, v78, s44
	s_wait_alu 0xfffd
	v_add_co_ci_u32_e64 v79, null, s45, v79, vcc_lo
	;; [unrolled: 3-line block ×4, first 2 shown]
	v_add_co_u32 v84, vcc_lo, v84, s44
	v_add_nc_u32_e32 v75, 64, v75
	s_wait_alu 0xfffd
	v_add_co_ci_u32_e64 v85, null, s45, v85, vcc_lo
	v_add_co_u32 v86, vcc_lo, v86, s16
	s_wait_alu 0xfffd
	v_add_co_ci_u32_e64 v87, null, s17, v87, vcc_lo
	v_add_co_u32 v88, vcc_lo, v88, s16
	s_wait_alu 0xfffd
	v_add_co_ci_u32_e64 v89, null, s17, v89, vcc_lo
	v_cmp_le_i32_e32 vcc_lo, s48, v75
	v_add_co_u32 v90, s7, v90, s44
	s_wait_alu 0xf1ff
	v_add_co_ci_u32_e64 v91, null, s45, v91, s7
	s_or_b32 s9, vcc_lo, s9
	s_wait_alu 0xfffe
	s_and_not1_b32 exec_lo, exec_lo, s9
	s_cbranch_execz .LBB63_26
.LBB63_21:                              ;   Parent Loop BB63_5 Depth=1
                                        ; =>  This Inner Loop Header: Depth=2
	s_and_saveexec_b32 s7, s1
	s_cbranch_execz .LBB63_20
; %bb.22:                               ;   in Loop: Header=BB63_21 Depth=2
	v_add_co_u32 v16, vcc_lo, v76, s10
	s_wait_alu 0xfffd
	v_add_co_ci_u32_e64 v17, null, s11, v77, vcc_lo
	v_add_co_u32 v18, vcc_lo, v88, s10
	s_wait_alu 0xfffd
	v_add_co_ci_u32_e64 v19, null, s11, v89, vcc_lo
	;; [unrolled: 3-line block ×8, first 2 shown]
	global_load_b64 v[16:17], v[16:17], off
	global_load_b64 v[18:19], v[18:19], off
	;; [unrolled: 1-line block ×8, first 2 shown]
	s_and_saveexec_b32 s54, s2
	s_cbranch_execz .LBB63_19
; %bb.23:                               ;   in Loop: Header=BB63_21 Depth=2
	global_load_b64 v[38:39], v[32:33], off offset:256
	global_load_b64 v[40:41], v[34:35], off offset:256
	global_load_b64 v[42:43], v[36:37], off offset:256
	global_load_b64 v[44:45], v[46:47], off offset:256
	s_and_saveexec_b32 s55, s3
	s_cbranch_execz .LBB63_18
; %bb.24:                               ;   in Loop: Header=BB63_21 Depth=2
	global_load_b64 v[48:49], v[32:33], off offset:512
	global_load_b64 v[50:51], v[34:35], off offset:512
	global_load_b64 v[52:53], v[36:37], off offset:512
	global_load_b64 v[54:55], v[46:47], off offset:512
	;; [unrolled: 7-line block ×3, first 2 shown]
	s_wait_loadcnt 0x3
	v_fma_f64 v[14:15], v[16:17], v[32:33], v[14:15]
	s_wait_loadcnt 0x2
	s_delay_alu instid0(VALU_DEP_1) | instskip(SKIP_1) | instid1(VALU_DEP_1)
	v_fma_f64 v[14:15], v[18:19], v[34:35], v[14:15]
	s_wait_loadcnt 0x1
	v_fma_f64 v[14:15], v[20:21], v[36:37], v[14:15]
	s_wait_loadcnt 0x0
	s_delay_alu instid0(VALU_DEP_1)
	v_fma_f64 v[14:15], v[22:23], v[46:47], v[14:15]
	s_branch .LBB63_17
.LBB63_26:                              ;   in Loop: Header=BB63_5 Depth=1
	s_or_b32 exec_lo, exec_lo, s9
.LBB63_27:                              ;   in Loop: Header=BB63_5 Depth=1
	s_wait_alu 0xfffe
	s_or_b32 exec_lo, exec_lo, s8
	s_delay_alu instid0(SALU_CYCLE_1)
	s_and_not1_b32 vcc_lo, exec_lo, s50
	s_wait_alu 0xfffe
	s_cbranch_vccnz .LBB63_45
; %bb.28:                               ;   in Loop: Header=BB63_5 Depth=1
	v_mov_b32_e32 v22, 0
	v_dual_mov_b32 v18, 0 :: v_dual_mov_b32 v23, 0
	v_dual_mov_b32 v20, 0 :: v_dual_mov_b32 v19, 0
	v_mov_b32_e32 v16, 0
	v_cmp_gt_i32_e32 vcc_lo, s37, v75
	v_mov_b32_e32 v21, 0
	v_mov_b32_e32 v17, 0
	v_or_b32_e32 v24, 1, v75
	s_and_saveexec_b32 s54, vcc_lo
	s_cbranch_execz .LBB63_36
; %bb.29:                               ;   in Loop: Header=BB63_5 Depth=1
	v_mad_co_u64_u32 v[16:17], null, s20, v75, 0
	s_mul_u64 s[8:9], s[22:23], s[34:35]
	v_mov_b32_e32 v22, 0
	s_wait_alu 0xfffe
	s_lshl_b64 s[8:9], s[8:9], 3
	v_mov_b32_e32 v23, 0
	s_wait_alu 0xfffe
	s_add_nc_u64 s[8:9], s[26:27], s[8:9]
	s_mov_b32 s55, exec_lo
	v_mad_co_u64_u32 v[17:18], null, s21, v75, v[17:18]
	v_mov_b32_e32 v18, 0
	v_dual_mov_b32 v19, 0 :: v_dual_mov_b32 v20, 0
	v_mov_b32_e32 v21, 0
	s_delay_alu instid0(VALU_DEP_4) | instskip(SKIP_1) | instid1(VALU_DEP_1)
	v_lshlrev_b64_e32 v[16:17], 3, v[16:17]
	s_wait_alu 0xfffe
	v_add_co_u32 v16, s7, s8, v16
	s_wait_alu 0xf1ff
	s_delay_alu instid0(VALU_DEP_2)
	v_add_co_ci_u32_e64 v17, null, s9, v17, s7
	global_load_b64 v[16:17], v[16:17], off
	v_cmpx_gt_i32_e64 s37, v24
	s_cbranch_execz .LBB63_35
; %bb.30:                               ;   in Loop: Header=BB63_5 Depth=1
	v_mad_co_u64_u32 v[18:19], null, s20, v24, 0
	v_or_b32_e32 v25, 2, v75
	s_mov_b32 s56, exec_lo
	v_mov_b32_e32 v22, 0
	v_mov_b32_e32 v23, 0
	s_delay_alu instid0(VALU_DEP_4) | instskip(SKIP_2) | instid1(VALU_DEP_3)
	v_mad_co_u64_u32 v[19:20], null, s21, v24, v[19:20]
	v_mov_b32_e32 v20, 0
	v_mov_b32_e32 v21, 0
	v_lshlrev_b64_e32 v[18:19], 3, v[18:19]
	s_delay_alu instid0(VALU_DEP_1) | instskip(SKIP_1) | instid1(VALU_DEP_2)
	v_add_co_u32 v18, s7, s8, v18
	s_wait_alu 0xf1ff
	v_add_co_ci_u32_e64 v19, null, s9, v19, s7
	global_load_b64 v[18:19], v[18:19], off
	v_cmpx_gt_i32_e64 s37, v25
	s_cbranch_execz .LBB63_34
; %bb.31:                               ;   in Loop: Header=BB63_5 Depth=1
	v_mad_co_u64_u32 v[20:21], null, s20, v25, 0
	s_mov_b32 s57, exec_lo
	v_mad_co_u64_u32 v[21:22], null, s21, v25, v[21:22]
	v_mov_b32_e32 v22, 0
	v_or_b32_e32 v25, 3, v75
	v_mov_b32_e32 v23, 0
	s_delay_alu instid0(VALU_DEP_4) | instskip(NEXT) | instid1(VALU_DEP_1)
	v_lshlrev_b64_e32 v[20:21], 3, v[20:21]
	v_add_co_u32 v20, s7, s8, v20
	s_wait_alu 0xf1ff
	s_delay_alu instid0(VALU_DEP_2)
	v_add_co_ci_u32_e64 v21, null, s9, v21, s7
	global_load_b64 v[20:21], v[20:21], off
	v_cmpx_gt_i32_e64 s37, v25
	s_cbranch_execz .LBB63_33
; %bb.32:                               ;   in Loop: Header=BB63_5 Depth=1
	v_mad_co_u64_u32 v[22:23], null, s20, v25, 0
	s_delay_alu instid0(VALU_DEP_1) | instskip(NEXT) | instid1(VALU_DEP_1)
	v_mad_co_u64_u32 v[25:26], null, s21, v25, v[23:24]
	v_mov_b32_e32 v23, v25
	s_delay_alu instid0(VALU_DEP_1) | instskip(NEXT) | instid1(VALU_DEP_1)
	v_lshlrev_b64_e32 v[22:23], 3, v[22:23]
	v_add_co_u32 v22, s7, s8, v22
	s_wait_alu 0xf1ff
	s_delay_alu instid0(VALU_DEP_2)
	v_add_co_ci_u32_e64 v23, null, s9, v23, s7
	global_load_b64 v[22:23], v[22:23], off
.LBB63_33:                              ;   in Loop: Header=BB63_5 Depth=1
	s_wait_alu 0xfffe
	s_or_b32 exec_lo, exec_lo, s57
.LBB63_34:                              ;   in Loop: Header=BB63_5 Depth=1
	s_wait_alu 0xfffe
	s_or_b32 exec_lo, exec_lo, s56
.LBB63_35:                              ;   in Loop: Header=BB63_5 Depth=1
	s_wait_alu 0xfffe
	s_or_b32 exec_lo, exec_lo, s55
.LBB63_36:                              ;   in Loop: Header=BB63_5 Depth=1
	s_wait_alu 0xfffe
	s_or_b32 exec_lo, exec_lo, s54
	s_and_saveexec_b32 s9, s1
	s_cbranch_execz .LBB63_44
; %bb.37:                               ;   in Loop: Header=BB63_5 Depth=1
	v_mad_co_u64_u32 v[25:26], null, s12, v75, 0
	v_mad_co_u64_u32 v[27:28], null, s12, v24, 0
	v_or_b32_e32 v33, 2, v75
	v_or_b32_e32 v37, 3, v75
	s_mul_u64 s[54:55], s[14:15], s[34:35]
	s_wait_alu 0xfffe
	s_lshl_b64 s[54:55], s[54:55], 3
	v_cmp_gt_i32_e64 s7, s37, v33
	s_delay_alu instid0(VALU_DEP_4)
	v_mad_co_u64_u32 v[29:30], null, s13, v75, v[26:27]
	v_mad_co_u64_u32 v[30:31], null, s12, v33, 0
	;; [unrolled: 1-line block ×3, first 2 shown]
	v_cndmask_b32_e32 v25, 0, v25, vcc_lo
	s_wait_alu 0xfffe
	s_add_nc_u64 s[54:55], s[18:19], s[54:55]
	s_delay_alu instid0(VALU_DEP_4) | instskip(SKIP_4) | instid1(VALU_DEP_2)
	v_cndmask_b32_e32 v26, 0, v29, vcc_lo
	v_cmp_gt_i32_e32 vcc_lo, s37, v24
	v_mov_b32_e32 v29, v31
	s_wait_alu 0xfffd
	v_cndmask_b32_e32 v27, 0, v27, vcc_lo
	v_mad_co_u64_u32 v[31:32], null, s13, v24, v[28:29]
	v_mov_b32_e32 v24, v35
	v_lshlrev_b64_e32 v[25:26], 3, v[25:26]
	s_delay_alu instid0(VALU_DEP_3) | instskip(SKIP_1) | instid1(VALU_DEP_2)
	v_cndmask_b32_e32 v28, 0, v31, vcc_lo
	s_wait_alu 0xfffe
	v_add_co_u32 v25, s8, s54, v25
	s_wait_alu 0xf1ff
	s_delay_alu instid0(VALU_DEP_3) | instskip(SKIP_1) | instid1(VALU_DEP_3)
	v_add_co_ci_u32_e64 v26, null, s55, v26, s8
	v_mad_co_u64_u32 v[35:36], null, s13, v33, v[29:30]
	v_add_co_u32 v32, vcc_lo, v25, v4
	s_wait_alu 0xfffd
	s_delay_alu instid0(VALU_DEP_3) | instskip(SKIP_4) | instid1(VALU_DEP_4)
	v_add_co_ci_u32_e64 v33, null, v26, v5, vcc_lo
	v_lshlrev_b64_e32 v[25:26], 3, v[27:28]
	v_cndmask_b32_e64 v27, 0, v30, s7
	v_cndmask_b32_e64 v28, 0, v35, s7
	v_cmp_gt_i32_e32 vcc_lo, s37, v37
	v_mad_co_u64_u32 v[29:30], null, s13, v37, v[24:25]
	v_add_co_u32 v30, s7, s54, v25
	s_wait_alu 0xf1ff
	v_add_co_ci_u32_e64 v31, null, s55, v26, s7
	v_lshlrev_b64_e32 v[24:25], 3, v[27:28]
	s_wait_alu 0xfffd
	s_delay_alu instid0(VALU_DEP_4) | instskip(SKIP_3) | instid1(VALU_DEP_3)
	v_dual_cndmask_b32 v26, 0, v34 :: v_dual_cndmask_b32 v27, 0, v29
	v_add_co_u32 v34, vcc_lo, v30, v4
	s_wait_alu 0xfffd
	v_add_co_ci_u32_e64 v35, null, v31, v5, vcc_lo
	v_lshlrev_b64_e32 v[26:27], 3, v[26:27]
	v_add_co_u32 v24, vcc_lo, s54, v24
	s_wait_alu 0xfffd
	v_add_co_ci_u32_e64 v25, null, s55, v25, vcc_lo
	s_delay_alu instid0(VALU_DEP_3)
	v_add_co_u32 v26, vcc_lo, s54, v26
	s_wait_alu 0xfffd
	v_add_co_ci_u32_e64 v27, null, s55, v27, vcc_lo
	v_add_co_u32 v44, vcc_lo, v24, v4
	s_wait_alu 0xfffd
	v_add_co_ci_u32_e64 v45, null, v25, v5, vcc_lo
	;; [unrolled: 3-line block ×3, first 2 shown]
	s_clause 0x3
	global_load_b64 v[24:25], v[32:33], off
	global_load_b64 v[26:27], v[34:35], off
	;; [unrolled: 1-line block ×4, first 2 shown]
	s_and_saveexec_b32 s7, s2
	s_cbranch_execz .LBB63_43
; %bb.38:                               ;   in Loop: Header=BB63_5 Depth=1
	s_clause 0x3
	global_load_b64 v[36:37], v[32:33], off offset:256
	global_load_b64 v[38:39], v[34:35], off offset:256
	global_load_b64 v[40:41], v[44:45], off offset:256
	global_load_b64 v[42:43], v[46:47], off offset:256
	s_and_saveexec_b32 s8, s3
	s_cbranch_execz .LBB63_42
; %bb.39:                               ;   in Loop: Header=BB63_5 Depth=1
	s_clause 0x3
	global_load_b64 v[48:49], v[32:33], off offset:512
	global_load_b64 v[50:51], v[34:35], off offset:512
	global_load_b64 v[52:53], v[44:45], off offset:512
	global_load_b64 v[54:55], v[46:47], off offset:512
	;; [unrolled: 8-line block ×3, first 2 shown]
	s_wait_loadcnt 0x3
	v_fma_f64 v[14:15], v[16:17], v[32:33], v[14:15]
	s_wait_loadcnt 0x2
	s_delay_alu instid0(VALU_DEP_1) | instskip(SKIP_1) | instid1(VALU_DEP_1)
	v_fma_f64 v[14:15], v[18:19], v[34:35], v[14:15]
	s_wait_loadcnt 0x1
	v_fma_f64 v[14:15], v[20:21], v[44:45], v[14:15]
	s_wait_loadcnt 0x0
	s_delay_alu instid0(VALU_DEP_1)
	v_fma_f64 v[14:15], v[22:23], v[46:47], v[14:15]
.LBB63_41:                              ;   in Loop: Header=BB63_5 Depth=1
	s_wait_alu 0xfffe
	s_or_b32 exec_lo, exec_lo, s54
	s_wait_loadcnt 0x3
	v_fma_f64 v[12:13], v[16:17], v[48:49], v[12:13]
	s_wait_loadcnt 0x2
	s_delay_alu instid0(VALU_DEP_1) | instskip(SKIP_1) | instid1(VALU_DEP_1)
	v_fma_f64 v[12:13], v[18:19], v[50:51], v[12:13]
	s_wait_loadcnt 0x1
	v_fma_f64 v[12:13], v[20:21], v[52:53], v[12:13]
	s_wait_loadcnt 0x0
	s_delay_alu instid0(VALU_DEP_1)
	v_fma_f64 v[12:13], v[22:23], v[54:55], v[12:13]
.LBB63_42:                              ;   in Loop: Header=BB63_5 Depth=1
	s_wait_alu 0xfffe
	s_or_b32 exec_lo, exec_lo, s8
	s_wait_loadcnt 0x3
	v_fma_f64 v[10:11], v[16:17], v[36:37], v[10:11]
	s_wait_loadcnt 0x2
	s_delay_alu instid0(VALU_DEP_1) | instskip(SKIP_1) | instid1(VALU_DEP_1)
	v_fma_f64 v[10:11], v[18:19], v[38:39], v[10:11]
	s_wait_loadcnt 0x1
	v_fma_f64 v[10:11], v[20:21], v[40:41], v[10:11]
	s_wait_loadcnt 0x0
	s_delay_alu instid0(VALU_DEP_1)
	v_fma_f64 v[10:11], v[22:23], v[42:43], v[10:11]
.LBB63_43:                              ;   in Loop: Header=BB63_5 Depth=1
	s_wait_alu 0xfffe
	s_or_b32 exec_lo, exec_lo, s7
	s_wait_loadcnt 0x3
	v_fma_f64 v[8:9], v[16:17], v[24:25], v[8:9]
	s_wait_loadcnt 0x2
	s_delay_alu instid0(VALU_DEP_1) | instskip(SKIP_1) | instid1(VALU_DEP_1)
	v_fma_f64 v[8:9], v[18:19], v[26:27], v[8:9]
	s_wait_loadcnt 0x1
	v_fma_f64 v[8:9], v[20:21], v[28:29], v[8:9]
	s_wait_loadcnt 0x0
	s_delay_alu instid0(VALU_DEP_1)
	v_fma_f64 v[8:9], v[22:23], v[30:31], v[8:9]
.LBB63_44:                              ;   in Loop: Header=BB63_5 Depth=1
	s_wait_alu 0xfffe
	s_or_b32 exec_lo, exec_lo, s9
.LBB63_45:                              ;   in Loop: Header=BB63_5 Depth=1
	ds_store_2addr_b64 v57, v[8:9], v[10:11] offset1:32
	ds_store_2addr_b64 v57, v[12:13], v[14:15] offset0:64 offset1:96
	s_wait_loadcnt_dscnt 0x0
	s_barrier_signal -1
	s_barrier_wait -1
	global_inv scope:SCOPE_SE
                                        ; implicit-def: $vgpr8_vgpr9
	s_and_saveexec_b32 s7, s0
	s_cbranch_execz .LBB63_51
; %bb.46:                               ;   in Loop: Header=BB63_5 Depth=1
	ds_load_2addr_stride64_b64 v[8:11], v58 offset1:2
	s_mov_b32 s9, s53
	s_wait_dscnt 0x0
	v_add_f64_e32 v[12:13], v[8:9], v[10:11]
	ds_load_2addr_stride64_b64 v[8:11], v58 offset0:4 offset1:6
	s_wait_dscnt 0x0
	v_add_f64_e32 v[8:9], v[8:9], v[12:13]
	s_delay_alu instid0(VALU_DEP_1) | instskip(SKIP_3) | instid1(VALU_DEP_1)
	v_add_f64_e32 v[12:13], v[10:11], v[8:9]
	ds_load_2addr_stride64_b64 v[8:11], v58 offset0:8 offset1:10
	s_wait_dscnt 0x0
	v_add_f64_e32 v[8:9], v[8:9], v[12:13]
	v_add_f64_e32 v[12:13], v[10:11], v[8:9]
	ds_load_2addr_stride64_b64 v[8:11], v58 offset0:12 offset1:14
	s_wait_dscnt 0x0
	v_add_f64_e32 v[8:9], v[8:9], v[12:13]
	s_delay_alu instid0(VALU_DEP_1) | instskip(SKIP_3) | instid1(VALU_DEP_1)
	v_add_f64_e32 v[12:13], v[10:11], v[8:9]
	ds_load_2addr_stride64_b64 v[8:11], v58 offset0:16 offset1:18
	s_wait_dscnt 0x0
	v_add_f64_e32 v[8:9], v[8:9], v[12:13]
	;; [unrolled: 9-line block ×3, first 2 shown]
	v_add_f64_e32 v[12:13], v[10:11], v[8:9]
	ds_load_2addr_stride64_b64 v[8:11], v58 offset0:28 offset1:30
	s_wait_dscnt 0x0
	v_add_f64_e32 v[8:9], v[8:9], v[12:13]
	s_delay_alu instid0(VALU_DEP_1)
	v_add_f64_e32 v[10:11], v[10:11], v[8:9]
                                        ; implicit-def: $vgpr8_vgpr9
	ds_store_b64 v58, v[10:11]
	s_and_saveexec_b32 s8, s6
	s_cbranch_execz .LBB63_50
; %bb.47:                               ;   in Loop: Header=BB63_5 Depth=1
	v_mul_f64_e32 v[8:9], s[38:39], v[10:11]
	s_and_not1_b32 vcc_lo, exec_lo, s52
	s_wait_alu 0xfffe
	s_cbranch_vccnz .LBB63_49
; %bb.48:                               ;   in Loop: Header=BB63_5 Depth=1
	v_lshlrev_b64_e32 v[10:11], 3, v[2:3]
	s_delay_alu instid0(VALU_DEP_1) | instskip(SKIP_1) | instid1(VALU_DEP_2)
	v_add_co_u32 v10, vcc_lo, s46, v10
	s_wait_alu 0xfffd
	v_add_co_ci_u32_e64 v11, null, s47, v11, vcc_lo
	global_load_b64 v[10:11], v[10:11], off
	s_wait_loadcnt 0x0
	v_fma_f64 v[8:9], s[40:41], v[10:11], v[8:9]
.LBB63_49:                              ;   in Loop: Header=BB63_5 Depth=1
	s_or_b32 s9, s53, exec_lo
.LBB63_50:                              ;   in Loop: Header=BB63_5 Depth=1
	s_wait_alu 0xfffe
	s_or_b32 exec_lo, exec_lo, s8
	s_delay_alu instid0(SALU_CYCLE_1)
	s_and_not1_b32 s8, s53, exec_lo
	s_and_b32 s9, s9, exec_lo
	s_wait_alu 0xfffe
	s_or_b32 s53, s8, s9
.LBB63_51:                              ;   in Loop: Header=BB63_5 Depth=1
	s_wait_alu 0xfffe
	s_or_b32 exec_lo, exec_lo, s7
	v_dual_mov_b32 v11, v3 :: v_dual_mov_b32 v10, v2
	s_and_saveexec_b32 s7, s53
	s_cbranch_execz .LBB63_3
.LBB63_52:                              ;   in Loop: Header=BB63_5 Depth=1
	s_delay_alu instid0(VALU_DEP_1) | instskip(SKIP_1) | instid1(VALU_DEP_1)
	v_lshlrev_b64_e32 v[10:11], 3, v[10:11]
	s_wait_alu 0xfffe
	v_add_co_u32 v10, vcc_lo, s46, v10
	s_wait_alu 0xfffd
	s_delay_alu instid0(VALU_DEP_2)
	v_add_co_ci_u32_e64 v11, null, s47, v11, vcc_lo
	global_store_b64 v[10:11], v[8:9], off
	s_branch .LBB63_3
.LBB63_53:
	s_endpgm
	.section	.rodata,"a",@progbits
	.p2align	6, 0x0
	.amdhsa_kernel _ZL20rocblas_gemvn_kernelILi32ELi16EldddEviiT3_lPKT2_lT1_lS3_lS4_lS0_lPT4_lS4_li
		.amdhsa_group_segment_fixed_size 16384
		.amdhsa_private_segment_fixed_size 0
		.amdhsa_kernarg_size 400
		.amdhsa_user_sgpr_count 2
		.amdhsa_user_sgpr_dispatch_ptr 0
		.amdhsa_user_sgpr_queue_ptr 0
		.amdhsa_user_sgpr_kernarg_segment_ptr 1
		.amdhsa_user_sgpr_dispatch_id 0
		.amdhsa_user_sgpr_private_segment_size 0
		.amdhsa_wavefront_size32 1
		.amdhsa_uses_dynamic_stack 0
		.amdhsa_enable_private_segment 0
		.amdhsa_system_sgpr_workgroup_id_x 1
		.amdhsa_system_sgpr_workgroup_id_y 0
		.amdhsa_system_sgpr_workgroup_id_z 1
		.amdhsa_system_sgpr_workgroup_info 0
		.amdhsa_system_vgpr_workitem_id 1
		.amdhsa_next_free_vgpr 92
		.amdhsa_next_free_sgpr 58
		.amdhsa_reserve_vcc 1
		.amdhsa_float_round_mode_32 0
		.amdhsa_float_round_mode_16_64 0
		.amdhsa_float_denorm_mode_32 3
		.amdhsa_float_denorm_mode_16_64 3
		.amdhsa_fp16_overflow 0
		.amdhsa_workgroup_processor_mode 1
		.amdhsa_memory_ordered 1
		.amdhsa_forward_progress 1
		.amdhsa_inst_pref_size 32
		.amdhsa_round_robin_scheduling 0
		.amdhsa_exception_fp_ieee_invalid_op 0
		.amdhsa_exception_fp_denorm_src 0
		.amdhsa_exception_fp_ieee_div_zero 0
		.amdhsa_exception_fp_ieee_overflow 0
		.amdhsa_exception_fp_ieee_underflow 0
		.amdhsa_exception_fp_ieee_inexact 0
		.amdhsa_exception_int_div_zero 0
	.end_amdhsa_kernel
	.section	.text._ZL20rocblas_gemvn_kernelILi32ELi16EldddEviiT3_lPKT2_lT1_lS3_lS4_lS0_lPT4_lS4_li,"axG",@progbits,_ZL20rocblas_gemvn_kernelILi32ELi16EldddEviiT3_lPKT2_lT1_lS3_lS4_lS0_lPT4_lS4_li,comdat
.Lfunc_end63:
	.size	_ZL20rocblas_gemvn_kernelILi32ELi16EldddEviiT3_lPKT2_lT1_lS3_lS4_lS0_lPT4_lS4_li, .Lfunc_end63-_ZL20rocblas_gemvn_kernelILi32ELi16EldddEviiT3_lPKT2_lT1_lS3_lS4_lS0_lPT4_lS4_li
                                        ; -- End function
	.set _ZL20rocblas_gemvn_kernelILi32ELi16EldddEviiT3_lPKT2_lT1_lS3_lS4_lS0_lPT4_lS4_li.num_vgpr, 92
	.set _ZL20rocblas_gemvn_kernelILi32ELi16EldddEviiT3_lPKT2_lT1_lS3_lS4_lS0_lPT4_lS4_li.num_agpr, 0
	.set _ZL20rocblas_gemvn_kernelILi32ELi16EldddEviiT3_lPKT2_lT1_lS3_lS4_lS0_lPT4_lS4_li.numbered_sgpr, 58
	.set _ZL20rocblas_gemvn_kernelILi32ELi16EldddEviiT3_lPKT2_lT1_lS3_lS4_lS0_lPT4_lS4_li.num_named_barrier, 0
	.set _ZL20rocblas_gemvn_kernelILi32ELi16EldddEviiT3_lPKT2_lT1_lS3_lS4_lS0_lPT4_lS4_li.private_seg_size, 0
	.set _ZL20rocblas_gemvn_kernelILi32ELi16EldddEviiT3_lPKT2_lT1_lS3_lS4_lS0_lPT4_lS4_li.uses_vcc, 1
	.set _ZL20rocblas_gemvn_kernelILi32ELi16EldddEviiT3_lPKT2_lT1_lS3_lS4_lS0_lPT4_lS4_li.uses_flat_scratch, 0
	.set _ZL20rocblas_gemvn_kernelILi32ELi16EldddEviiT3_lPKT2_lT1_lS3_lS4_lS0_lPT4_lS4_li.has_dyn_sized_stack, 0
	.set _ZL20rocblas_gemvn_kernelILi32ELi16EldddEviiT3_lPKT2_lT1_lS3_lS4_lS0_lPT4_lS4_li.has_recursion, 0
	.set _ZL20rocblas_gemvn_kernelILi32ELi16EldddEviiT3_lPKT2_lT1_lS3_lS4_lS0_lPT4_lS4_li.has_indirect_call, 0
	.section	.AMDGPU.csdata,"",@progbits
; Kernel info:
; codeLenInByte = 3988
; TotalNumSgprs: 60
; NumVgprs: 92
; ScratchSize: 0
; MemoryBound: 1
; FloatMode: 240
; IeeeMode: 1
; LDSByteSize: 16384 bytes/workgroup (compile time only)
; SGPRBlocks: 0
; VGPRBlocks: 11
; NumSGPRsForWavesPerEU: 60
; NumVGPRsForWavesPerEU: 92
; Occupancy: 16
; WaveLimiterHint : 1
; COMPUTE_PGM_RSRC2:SCRATCH_EN: 0
; COMPUTE_PGM_RSRC2:USER_SGPR: 2
; COMPUTE_PGM_RSRC2:TRAP_HANDLER: 0
; COMPUTE_PGM_RSRC2:TGID_X_EN: 1
; COMPUTE_PGM_RSRC2:TGID_Y_EN: 0
; COMPUTE_PGM_RSRC2:TGID_Z_EN: 1
; COMPUTE_PGM_RSRC2:TIDIG_COMP_CNT: 1
	.section	.text._ZL20rocblas_gemvn_kernelILi64ELi16EidPKddEviiT3_lPKT2_lT1_lS5_lS6_lS2_lPT4_lS6_li,"axG",@progbits,_ZL20rocblas_gemvn_kernelILi64ELi16EidPKddEviiT3_lPKT2_lT1_lS5_lS6_lS2_lPT4_lS6_li,comdat
	.globl	_ZL20rocblas_gemvn_kernelILi64ELi16EidPKddEviiT3_lPKT2_lT1_lS5_lS6_lS2_lPT4_lS6_li ; -- Begin function _ZL20rocblas_gemvn_kernelILi64ELi16EidPKddEviiT3_lPKT2_lT1_lS5_lS6_lS2_lPT4_lS6_li
	.p2align	8
	.type	_ZL20rocblas_gemvn_kernelILi64ELi16EidPKddEviiT3_lPKT2_lT1_lS5_lS6_lS2_lPT4_lS6_li,@function
_ZL20rocblas_gemvn_kernelILi64ELi16EidPKddEviiT3_lPKT2_lT1_lS5_lS6_lS2_lPT4_lS6_li: ; @_ZL20rocblas_gemvn_kernelILi64ELi16EidPKddEviiT3_lPKT2_lT1_lS5_lS6_lS2_lPT4_lS6_li
; %bb.0:
	s_load_b64 s[2:3], s[0:1], 0x9c
	s_wait_kmcnt 0x0
	s_lshr_b32 s4, s2, 16
	s_and_b32 s2, s2, 0xffff
	s_and_b32 s3, s3, 0xffff
	s_mul_i32 s2, s4, s2
	s_delay_alu instid0(SALU_CYCLE_1) | instskip(NEXT) | instid1(SALU_CYCLE_1)
	s_mul_i32 s2, s2, s3
	s_cmp_lg_u32 s2, 0x400
	s_cbranch_scc1 .LBB64_52
; %bb.1:
	s_load_b32 s31, s[0:1], 0x88
	s_lshr_b32 s34, ttmp7, 16
	s_wait_kmcnt 0x0
	s_cmp_ge_u32 s34, s31
	s_cbranch_scc1 .LBB64_52
; %bb.2:
	s_clause 0x3
	s_load_b96 s[4:6], s[0:1], 0x70
	s_load_b256 s[8:15], s[0:1], 0x8
	s_load_b96 s[28:30], s[0:1], 0x40
	s_load_b64 s[36:37], s[0:1], 0x0
	v_and_b32_e32 v9, 0x3ff, v0
	v_bfe_u32 v8, v0, 10, 10
	s_clause 0x2
	s_load_b32 s33, s[0:1], 0x28
	s_load_b128 s[24:27], s[0:1], 0x30
	s_load_b256 s[16:23], s[0:1], 0x50
	s_lshl_b32 s42, ttmp9, 8
	v_mov_b32_e32 v1, 0
	v_add_nc_u32_e32 v63, s42, v9
	v_lshl_add_u32 v5, v8, 6, v9
	v_lshlrev_b32_e32 v64, 2, v8
	s_load_b64 s[38:39], s[0:1], 0x80
	s_mov_b32 s35, 0
	v_add_nc_u32_e32 v7, 0x80, v63
	v_add_nc_u32_e32 v0, s42, v5
	v_or_b32_e32 v11, s42, v5
	v_add_nc_u32_e32 v6, 64, v63
	v_add_nc_u32_e32 v10, 0xc0, v63
	v_or_b32_e32 v12, 3, v64
	s_wait_kmcnt 0x0
	v_mad_co_u64_u32 v[2:3], null, s6, v0, 0
	s_lshl_b64 s[2:3], s[14:15], 3
	s_ashr_i32 s1, s6, 31
	s_ashr_i32 s7, s37, 31
	s_add_nc_u64 s[12:13], s[12:13], s[2:3]
	v_cmp_gt_i32_e64 s3, s36, v7
	v_mul_lo_u32 v7, s33, v64
	s_lshl_b64 s[4:5], s[4:5], 3
	s_wait_alu 0xfffe
	s_lshr_b32 s2, s7, 26
	v_mad_co_u64_u32 v[3:4], null, s1, v0, v[3:4]
	v_mul_lo_u32 v4, s6, v11
	v_cmp_gt_i32_e64 s6, s36, v11
	v_mul_lo_u32 v11, v8, s33
	s_add_co_i32 s43, s37, s2
	s_add_nc_u64 s[22:23], s[22:23], s[4:5]
	v_cmp_gt_i32_e64 s2, s36, v6
	v_cmp_gt_i32_e64 s4, s36, v10
	v_lshlrev_b32_e32 v6, 3, v9
	v_or_b32_e32 v10, 2, v64
	v_mul_lo_u32 v13, v8, s30
	s_lshl_b64 s[14:15], s[28:29], 3
	s_ashr_i32 s29, s36, 31
	s_mov_b32 s28, s36
	s_wait_alu 0xfffe
	s_and_not1_b32 s43, s43, 63
	s_add_nc_u64 s[14:15], s[26:27], s[14:15]
	v_cmp_gt_i64_e32 vcc_lo, s[28:29], v[0:1]
	v_lshl_add_u32 v0, v8, 11, v6
	v_lshl_add_u32 v65, v8, 9, v6
	v_add3_u32 v66, v7, s33, v9
	v_mad_co_u64_u32 v[6:7], null, s33, v10, v[9:10]
	s_mov_b32 s26, s30
	s_wait_alu 0xfffe
	s_sub_co_i32 s5, s37, s43
	v_mad_co_u64_u32 v[7:8], null, s33, v12, v[9:10]
	v_lshl_add_u32 v67, v11, 2, v9
	v_mad_co_u64_u32 v[8:9], null, s30, v64, s[26:27]
	v_mul_lo_u32 v68, s30, v10
	v_mul_lo_u32 v69, s30, v12
	s_cmp_gt_i32 s5, 0
	v_cmp_gt_u32_e64 s5, 0x100, v5
	v_lshlrev_b64_e32 v[9:10], 3, v[2:3]
	v_cmp_gt_i32_e64 s0, s36, v63
	v_cmp_gt_i32_e64 s1, s43, v64
	v_ashrrev_i32_e32 v5, 31, v4
	v_lshlrev_b32_e32 v70, 2, v13
	s_cselect_b32 s36, -1, 0
	s_and_b32 s44, s5, vcc_lo
	s_lshl_b32 s45, s33, 6
	s_lshl_b32 s46, s30, 6
	s_branch .LBB64_5
.LBB64_3:                               ;   in Loop: Header=BB64_5 Depth=1
	s_wait_alu 0xfffe
	s_or_b32 exec_lo, exec_lo, s7
.LBB64_4:                               ;   in Loop: Header=BB64_5 Depth=1
	s_add_co_i32 s34, s34, 0x10000
	s_delay_alu instid0(SALU_CYCLE_1)
	s_cmp_lt_u32 s34, s31
	s_cbranch_scc0 .LBB64_52
.LBB64_5:                               ; =>This Loop Header: Depth=1
                                        ;     Child Loop BB64_18 Depth 2
	s_mul_u64 s[26:27], s[10:11], s[34:35]
	s_mul_u64 s[28:29], s[20:21], s[34:35]
	s_wait_alu 0xfffe
	s_lshl_b64 s[26:27], s[26:27], 3
	s_lshl_b64 s[28:29], s[28:29], 3
	s_wait_alu 0xfffe
	s_add_nc_u64 s[26:27], s[8:9], s[26:27]
	s_add_nc_u64 s[28:29], s[18:19], s[28:29]
	s_clause 0x1
	global_load_b64 v[13:14], v1, s[26:27]
	global_load_b64 v[11:12], v1, s[28:29]
	s_wait_loadcnt 0x1
	v_cmp_eq_f64_e32 vcc_lo, 0, v[13:14]
	s_wait_loadcnt 0x0
	v_cmp_eq_f64_e64 s7, 1.0, v[11:12]
	s_and_b32 s7, vcc_lo, s7
	s_wait_alu 0xfffe
	s_and_b32 vcc_lo, exec_lo, s7
	s_wait_alu 0xfffe
	s_cbranch_vccnz .LBB64_4
; %bb.6:                                ;   in Loop: Header=BB64_5 Depth=1
	v_cmp_neq_f64_e32 vcc_lo, 0, v[13:14]
	s_mul_u64 s[26:27], s[38:39], s[34:35]
	s_wait_alu 0xfffe
	s_lshl_b64 s[26:27], s[26:27], 3
	s_wait_alu 0xfffe
	s_add_nc_u64 s[26:27], s[22:23], s[26:27]
	s_cbranch_vccnz .LBB64_11
; %bb.7:                                ;   in Loop: Header=BB64_5 Depth=1
	s_mov_b32 s7, 0
	s_mov_b32 s47, 0
                                        ; implicit-def: $vgpr15_vgpr16
	s_and_saveexec_b32 s28, s44
	s_cbranch_execz .LBB64_23
; %bb.8:                                ;   in Loop: Header=BB64_5 Depth=1
	v_cmp_eq_f64_e32 vcc_lo, 0, v[11:12]
	v_mov_b32_e32 v15, 0
	v_mov_b32_e32 v16, 0
	s_cbranch_vccnz .LBB64_10
; %bb.9:                                ;   in Loop: Header=BB64_5 Depth=1
	s_wait_alu 0xfffe
	v_add_co_u32 v15, vcc_lo, s26, v9
	s_wait_alu 0xfffd
	v_add_co_ci_u32_e64 v16, null, s27, v10, vcc_lo
	global_load_b64 v[15:16], v[15:16], off
	s_wait_loadcnt 0x0
	v_mul_f64_e32 v[15:16], v[11:12], v[15:16]
.LBB64_10:                              ;   in Loop: Header=BB64_5 Depth=1
	s_mov_b32 s47, exec_lo
	s_wait_alu 0xfffe
	s_or_b32 exec_lo, exec_lo, s28
	s_delay_alu instid0(SALU_CYCLE_1)
	s_and_b32 vcc_lo, exec_lo, s7
	s_wait_alu 0xfffe
	s_cbranch_vccnz .LBB64_12
	s_branch .LBB64_24
.LBB64_11:                              ;   in Loop: Header=BB64_5 Depth=1
	s_mov_b32 s47, 0
                                        ; implicit-def: $vgpr15_vgpr16
	s_cbranch_execz .LBB64_24
.LBB64_12:                              ;   in Loop: Header=BB64_5 Depth=1
	v_mov_b32_e32 v15, 0
	v_mov_b32_e32 v19, 0
	s_mul_u64 s[28:29], s[24:25], s[34:35]
	s_mul_u64 s[40:41], s[16:17], s[34:35]
	v_dual_mov_b32 v16, 0 :: v_dual_mov_b32 v17, 0
	v_dual_mov_b32 v20, 0 :: v_dual_mov_b32 v21, 0
	v_mov_b32_e32 v18, 0
	v_dual_mov_b32 v22, 0 :: v_dual_mov_b32 v71, v64
	s_wait_alu 0xfffe
	s_lshl_b64 s[28:29], s[28:29], 3
	s_lshl_b64 s[40:41], s[40:41], 3
	s_wait_alu 0xfffe
	s_add_nc_u64 s[28:29], s[12:13], s[28:29]
	s_add_nc_u64 s[40:41], s[14:15], s[40:41]
	s_and_saveexec_b32 s7, s1
	s_cbranch_execz .LBB64_26
; %bb.13:                               ;   in Loop: Header=BB64_5 Depth=1
	v_mov_b32_e32 v17, 0
	v_dual_mov_b32 v15, 0 :: v_dual_mov_b32 v72, v67
	v_dual_mov_b32 v18, 0 :: v_dual_mov_b32 v19, 0
	;; [unrolled: 1-line block ×6, first 2 shown]
	s_mov_b32 s48, 0
	s_mov_b32 s49, 0
	s_branch .LBB64_18
.LBB64_14:                              ;   in Loop: Header=BB64_18 Depth=2
	s_or_b32 exec_lo, exec_lo, s53
	s_wait_loadcnt 0x3
	v_fma_f64 v[19:20], v[23:24], v[55:56], v[19:20]
	s_wait_loadcnt 0x2
	s_delay_alu instid0(VALU_DEP_1) | instskip(SKIP_1) | instid1(VALU_DEP_1)
	v_fma_f64 v[19:20], v[25:26], v[57:58], v[19:20]
	s_wait_loadcnt 0x1
	v_fma_f64 v[19:20], v[27:28], v[59:60], v[19:20]
	s_wait_loadcnt 0x0
	s_delay_alu instid0(VALU_DEP_1)
	v_fma_f64 v[19:20], v[29:30], v[61:62], v[19:20]
.LBB64_15:                              ;   in Loop: Header=BB64_18 Depth=2
	s_or_b32 exec_lo, exec_lo, s52
	s_wait_loadcnt 0x3
	v_fma_f64 v[17:18], v[23:24], v[47:48], v[17:18]
	s_wait_loadcnt 0x2
	s_delay_alu instid0(VALU_DEP_1) | instskip(SKIP_1) | instid1(VALU_DEP_1)
	v_fma_f64 v[17:18], v[25:26], v[49:50], v[17:18]
	s_wait_loadcnt 0x1
	v_fma_f64 v[17:18], v[27:28], v[51:52], v[17:18]
	s_wait_loadcnt 0x0
	s_delay_alu instid0(VALU_DEP_1)
	v_fma_f64 v[17:18], v[29:30], v[53:54], v[17:18]
.LBB64_16:                              ;   in Loop: Header=BB64_18 Depth=2
	s_or_b32 exec_lo, exec_lo, s51
	s_wait_loadcnt 0x3
	v_fma_f64 v[15:16], v[23:24], v[31:32], v[15:16]
	s_wait_loadcnt 0x2
	s_delay_alu instid0(VALU_DEP_1) | instskip(SKIP_1) | instid1(VALU_DEP_1)
	v_fma_f64 v[15:16], v[25:26], v[33:34], v[15:16]
	s_wait_loadcnt 0x1
	v_fma_f64 v[15:16], v[27:28], v[35:36], v[15:16]
	s_wait_loadcnt 0x0
	s_delay_alu instid0(VALU_DEP_1)
	v_fma_f64 v[15:16], v[29:30], v[37:38], v[15:16]
.LBB64_17:                              ;   in Loop: Header=BB64_18 Depth=2
	s_or_b32 exec_lo, exec_lo, s50
	v_add_nc_u32_e32 v71, 64, v71
	v_add_nc_u32_e32 v75, s45, v75
	;; [unrolled: 1-line block ×5, first 2 shown]
	v_cmp_le_i32_e32 vcc_lo, s43, v71
	s_wait_alu 0xfffe
	s_add_co_i32 s49, s49, s46
	s_or_b32 s48, vcc_lo, s48
	s_wait_alu 0xfffe
	s_and_not1_b32 exec_lo, exec_lo, s48
	s_cbranch_execz .LBB64_25
.LBB64_18:                              ;   Parent Loop BB64_5 Depth=1
                                        ; =>  This Inner Loop Header: Depth=2
	s_and_saveexec_b32 s50, s0
	s_cbranch_execz .LBB64_17
; %bb.19:                               ;   in Loop: Header=BB64_18 Depth=2
	s_wait_alu 0xfffe
	v_add_nc_u32_e32 v23, s49, v70
	v_add_nc_u32_e32 v25, s49, v8
	;; [unrolled: 1-line block ×5, first 2 shown]
	v_ashrrev_i32_e32 v24, 31, v23
	v_ashrrev_i32_e32 v26, 31, v25
	;; [unrolled: 1-line block ×3, first 2 shown]
	v_add_nc_u32_e32 v33, s42, v75
	v_ashrrev_i32_e32 v30, 31, v29
	v_lshlrev_b64_e32 v[23:24], 3, v[23:24]
	v_lshlrev_b64_e32 v[25:26], 3, v[25:26]
	v_ashrrev_i32_e32 v32, 31, v31
	v_lshlrev_b64_e32 v[27:28], 3, v[27:28]
	v_ashrrev_i32_e32 v34, 31, v33
	v_lshlrev_b64_e32 v[29:30], 3, v[29:30]
	v_add_co_u32 v23, vcc_lo, s40, v23
	v_add_nc_u32_e32 v35, s42, v74
	s_wait_alu 0xfffd
	v_add_co_ci_u32_e64 v24, null, s41, v24, vcc_lo
	v_add_co_u32 v25, vcc_lo, s40, v25
	v_lshlrev_b64_e32 v[31:32], 3, v[31:32]
	v_add_nc_u32_e32 v37, s42, v73
	s_wait_alu 0xfffd
	v_add_co_ci_u32_e64 v26, null, s41, v26, vcc_lo
	v_add_co_u32 v27, vcc_lo, s40, v27
	v_lshlrev_b64_e32 v[33:34], 3, v[33:34]
	v_ashrrev_i32_e32 v36, 31, v35
	s_wait_alu 0xfffd
	v_add_co_ci_u32_e64 v28, null, s41, v28, vcc_lo
	v_add_co_u32 v29, vcc_lo, s40, v29
	v_ashrrev_i32_e32 v38, 31, v37
	s_wait_alu 0xfffd
	v_add_co_ci_u32_e64 v30, null, s41, v30, vcc_lo
	v_add_co_u32 v39, vcc_lo, s28, v31
	s_wait_alu 0xfffd
	v_add_co_ci_u32_e64 v40, null, s29, v32, vcc_lo
	v_lshlrev_b64_e32 v[31:32], 3, v[35:36]
	v_add_co_u32 v41, vcc_lo, s28, v33
	s_wait_alu 0xfffd
	v_add_co_ci_u32_e64 v42, null, s29, v34, vcc_lo
	v_lshlrev_b64_e32 v[33:34], 3, v[37:38]
	s_delay_alu instid0(VALU_DEP_4) | instskip(SKIP_2) | instid1(VALU_DEP_3)
	v_add_co_u32 v43, vcc_lo, s28, v31
	s_wait_alu 0xfffd
	v_add_co_ci_u32_e64 v44, null, s29, v32, vcc_lo
	v_add_co_u32 v45, vcc_lo, s28, v33
	s_wait_alu 0xfffd
	v_add_co_ci_u32_e64 v46, null, s29, v34, vcc_lo
	s_clause 0x3
	global_load_b64 v[23:24], v[23:24], off
	global_load_b64 v[25:26], v[25:26], off
	;; [unrolled: 1-line block ×4, first 2 shown]
	s_clause 0x3
	global_load_b64 v[31:32], v[39:40], off
	global_load_b64 v[33:34], v[41:42], off
	;; [unrolled: 1-line block ×4, first 2 shown]
	s_and_saveexec_b32 s51, s2
	s_cbranch_execz .LBB64_16
; %bb.20:                               ;   in Loop: Header=BB64_18 Depth=2
	s_clause 0x3
	global_load_b64 v[47:48], v[39:40], off offset:512
	global_load_b64 v[49:50], v[41:42], off offset:512
	global_load_b64 v[51:52], v[43:44], off offset:512
	global_load_b64 v[53:54], v[45:46], off offset:512
	s_and_saveexec_b32 s52, s3
	s_cbranch_execz .LBB64_15
; %bb.21:                               ;   in Loop: Header=BB64_18 Depth=2
	s_clause 0x3
	global_load_b64 v[55:56], v[39:40], off offset:1024
	global_load_b64 v[57:58], v[41:42], off offset:1024
	global_load_b64 v[59:60], v[43:44], off offset:1024
	global_load_b64 v[61:62], v[45:46], off offset:1024
	;; [unrolled: 8-line block ×3, first 2 shown]
	s_wait_loadcnt 0x3
	v_fma_f64 v[21:22], v[23:24], v[39:40], v[21:22]
	s_wait_loadcnt 0x2
	s_delay_alu instid0(VALU_DEP_1) | instskip(SKIP_1) | instid1(VALU_DEP_1)
	v_fma_f64 v[21:22], v[25:26], v[41:42], v[21:22]
	s_wait_loadcnt 0x1
	v_fma_f64 v[21:22], v[27:28], v[43:44], v[21:22]
	s_wait_loadcnt 0x0
	s_delay_alu instid0(VALU_DEP_1)
	v_fma_f64 v[21:22], v[29:30], v[45:46], v[21:22]
	s_branch .LBB64_14
.LBB64_23:                              ;   in Loop: Header=BB64_5 Depth=1
	s_wait_alu 0xfffe
	s_or_b32 exec_lo, exec_lo, s28
	s_delay_alu instid0(SALU_CYCLE_1)
	s_and_b32 vcc_lo, exec_lo, s7
	s_wait_alu 0xfffe
	s_cbranch_vccnz .LBB64_12
.LBB64_24:                              ;   in Loop: Header=BB64_5 Depth=1
	v_dual_mov_b32 v12, v3 :: v_dual_mov_b32 v11, v2
	s_and_saveexec_b32 s7, s47
	s_cbranch_execz .LBB64_3
	s_branch .LBB64_51
.LBB64_25:                              ;   in Loop: Header=BB64_5 Depth=1
	s_or_b32 exec_lo, exec_lo, s48
.LBB64_26:                              ;   in Loop: Header=BB64_5 Depth=1
	s_wait_alu 0xfffe
	s_or_b32 exec_lo, exec_lo, s7
	s_delay_alu instid0(SALU_CYCLE_1)
	s_and_not1_b32 vcc_lo, exec_lo, s36
	s_wait_alu 0xfffe
	s_cbranch_vccnz .LBB64_44
; %bb.27:                               ;   in Loop: Header=BB64_5 Depth=1
	v_mov_b32_e32 v29, 0
	v_dual_mov_b32 v25, 0 :: v_dual_mov_b32 v30, 0
	v_dual_mov_b32 v27, 0 :: v_dual_mov_b32 v26, 0
	v_mov_b32_e32 v23, 0
	v_cmp_gt_i32_e32 vcc_lo, s37, v71
	v_mov_b32_e32 v28, 0
	v_mov_b32_e32 v24, 0
	v_or_b32_e32 v31, 1, v71
	s_and_saveexec_b32 s48, vcc_lo
	s_cbranch_execz .LBB64_35
; %bb.28:                               ;   in Loop: Header=BB64_5 Depth=1
	v_mul_lo_u32 v23, v71, s30
	v_mov_b32_e32 v25, 0
	v_dual_mov_b32 v26, 0 :: v_dual_mov_b32 v27, 0
	v_dual_mov_b32 v29, 0 :: v_dual_mov_b32 v28, 0
	v_mov_b32_e32 v30, 0
	s_mov_b32 s49, exec_lo
	v_ashrrev_i32_e32 v24, 31, v23
	s_delay_alu instid0(VALU_DEP_1) | instskip(NEXT) | instid1(VALU_DEP_1)
	v_lshlrev_b64_e32 v[23:24], 3, v[23:24]
	v_add_co_u32 v23, s7, s40, v23
	s_wait_alu 0xf1ff
	s_delay_alu instid0(VALU_DEP_2)
	v_add_co_ci_u32_e64 v24, null, s41, v24, s7
	global_load_b64 v[23:24], v[23:24], off
	v_cmpx_gt_i32_e64 s37, v31
	s_cbranch_execz .LBB64_34
; %bb.29:                               ;   in Loop: Header=BB64_5 Depth=1
	v_mul_lo_u32 v25, v31, s30
	v_mov_b32_e32 v27, 0
	v_dual_mov_b32 v28, 0 :: v_dual_mov_b32 v29, 0
	v_or_b32_e32 v32, 2, v71
	v_mov_b32_e32 v30, 0
	s_mov_b32 s50, exec_lo
	v_ashrrev_i32_e32 v26, 31, v25
	s_delay_alu instid0(VALU_DEP_1) | instskip(NEXT) | instid1(VALU_DEP_1)
	v_lshlrev_b64_e32 v[25:26], 3, v[25:26]
	v_add_co_u32 v25, s7, s40, v25
	s_wait_alu 0xf1ff
	s_delay_alu instid0(VALU_DEP_2)
	v_add_co_ci_u32_e64 v26, null, s41, v26, s7
	global_load_b64 v[25:26], v[25:26], off
	v_cmpx_gt_i32_e64 s37, v32
	s_cbranch_execz .LBB64_33
; %bb.30:                               ;   in Loop: Header=BB64_5 Depth=1
	v_mul_lo_u32 v27, v32, s30
	v_mov_b32_e32 v29, 0
	v_or_b32_e32 v32, 3, v71
	v_mov_b32_e32 v30, 0
	s_mov_b32 s51, exec_lo
	s_delay_alu instid0(VALU_DEP_4) | instskip(NEXT) | instid1(VALU_DEP_1)
	v_ashrrev_i32_e32 v28, 31, v27
	v_lshlrev_b64_e32 v[27:28], 3, v[27:28]
	s_delay_alu instid0(VALU_DEP_1) | instskip(SKIP_1) | instid1(VALU_DEP_2)
	v_add_co_u32 v27, s7, s40, v27
	s_wait_alu 0xf1ff
	v_add_co_ci_u32_e64 v28, null, s41, v28, s7
	global_load_b64 v[27:28], v[27:28], off
	v_cmpx_gt_i32_e64 s37, v32
	s_cbranch_execz .LBB64_32
; %bb.31:                               ;   in Loop: Header=BB64_5 Depth=1
	v_mul_lo_u32 v29, v32, s30
	s_delay_alu instid0(VALU_DEP_1) | instskip(NEXT) | instid1(VALU_DEP_1)
	v_ashrrev_i32_e32 v30, 31, v29
	v_lshlrev_b64_e32 v[29:30], 3, v[29:30]
	s_delay_alu instid0(VALU_DEP_1) | instskip(SKIP_1) | instid1(VALU_DEP_2)
	v_add_co_u32 v29, s7, s40, v29
	s_wait_alu 0xf1ff
	v_add_co_ci_u32_e64 v30, null, s41, v30, s7
	global_load_b64 v[29:30], v[29:30], off
.LBB64_32:                              ;   in Loop: Header=BB64_5 Depth=1
	s_or_b32 exec_lo, exec_lo, s51
.LBB64_33:                              ;   in Loop: Header=BB64_5 Depth=1
	s_delay_alu instid0(SALU_CYCLE_1)
	s_or_b32 exec_lo, exec_lo, s50
.LBB64_34:                              ;   in Loop: Header=BB64_5 Depth=1
	s_wait_alu 0xfffe
	s_or_b32 exec_lo, exec_lo, s49
.LBB64_35:                              ;   in Loop: Header=BB64_5 Depth=1
	s_wait_alu 0xfffe
	s_or_b32 exec_lo, exec_lo, s48
	s_and_saveexec_b32 s7, s0
	s_cbranch_execz .LBB64_43
; %bb.36:                               ;   in Loop: Header=BB64_5 Depth=1
	v_mul_lo_u32 v33, v71, s33
	v_or_b32_e32 v32, 2, v71
	v_mul_lo_u32 v35, v31, s33
	v_or_b32_e32 v34, 3, v71
	s_delay_alu instid0(VALU_DEP_3) | instskip(NEXT) | instid1(VALU_DEP_2)
	v_mul_lo_u32 v36, v32, s33
	v_mul_lo_u32 v37, v34, s33
	v_cndmask_b32_e32 v33, 0, v33, vcc_lo
	v_cmp_gt_i32_e32 vcc_lo, s37, v31
	s_wait_alu 0xfffd
	v_cndmask_b32_e32 v35, 0, v35, vcc_lo
	v_cmp_gt_i32_e32 vcc_lo, s37, v32
	s_wait_alu 0xfffd
	v_cndmask_b32_e32 v32, 0, v36, vcc_lo
	v_cmp_gt_i32_e32 vcc_lo, s37, v34
	s_wait_alu 0xfffd
	v_dual_cndmask_b32 v34, 0, v37 :: v_dual_add_nc_u32 v31, v33, v63
	v_add_nc_u32_e32 v33, v35, v63
	v_add_nc_u32_e32 v35, v32, v63
	s_delay_alu instid0(VALU_DEP_3) | instskip(NEXT) | instid1(VALU_DEP_4)
	v_ashrrev_i32_e32 v32, 31, v31
	v_add_nc_u32_e32 v37, v34, v63
	s_delay_alu instid0(VALU_DEP_4) | instskip(NEXT) | instid1(VALU_DEP_4)
	v_ashrrev_i32_e32 v34, 31, v33
	v_ashrrev_i32_e32 v36, 31, v35
	s_delay_alu instid0(VALU_DEP_4) | instskip(NEXT) | instid1(VALU_DEP_4)
	v_lshlrev_b64_e32 v[31:32], 3, v[31:32]
	v_ashrrev_i32_e32 v38, 31, v37
	s_delay_alu instid0(VALU_DEP_4) | instskip(NEXT) | instid1(VALU_DEP_4)
	v_lshlrev_b64_e32 v[33:34], 3, v[33:34]
	v_lshlrev_b64_e32 v[35:36], 3, v[35:36]
	s_delay_alu instid0(VALU_DEP_4) | instskip(NEXT) | instid1(VALU_DEP_4)
	v_add_co_u32 v47, vcc_lo, s28, v31
	v_lshlrev_b64_e32 v[37:38], 3, v[37:38]
	s_wait_alu 0xfffd
	v_add_co_ci_u32_e64 v48, null, s29, v32, vcc_lo
	v_add_co_u32 v49, vcc_lo, s28, v33
	s_wait_alu 0xfffd
	v_add_co_ci_u32_e64 v50, null, s29, v34, vcc_lo
	v_add_co_u32 v51, vcc_lo, s28, v35
	;; [unrolled: 3-line block ×3, first 2 shown]
	s_wait_alu 0xfffd
	v_add_co_ci_u32_e64 v54, null, s29, v38, vcc_lo
	s_clause 0x3
	global_load_b64 v[31:32], v[47:48], off
	global_load_b64 v[33:34], v[49:50], off
	;; [unrolled: 1-line block ×4, first 2 shown]
	s_and_saveexec_b32 s28, s2
	s_cbranch_execz .LBB64_42
; %bb.37:                               ;   in Loop: Header=BB64_5 Depth=1
	s_clause 0x3
	global_load_b64 v[39:40], v[47:48], off offset:512
	global_load_b64 v[41:42], v[49:50], off offset:512
	global_load_b64 v[43:44], v[51:52], off offset:512
	global_load_b64 v[45:46], v[53:54], off offset:512
	s_and_saveexec_b32 s29, s3
	s_cbranch_execz .LBB64_41
; %bb.38:                               ;   in Loop: Header=BB64_5 Depth=1
	s_clause 0x3
	global_load_b64 v[55:56], v[47:48], off offset:1024
	global_load_b64 v[57:58], v[49:50], off offset:1024
	global_load_b64 v[59:60], v[51:52], off offset:1024
	global_load_b64 v[61:62], v[53:54], off offset:1024
	;; [unrolled: 8-line block ×3, first 2 shown]
	s_wait_loadcnt 0x3
	v_fma_f64 v[21:22], v[23:24], v[47:48], v[21:22]
	s_wait_loadcnt 0x2
	s_delay_alu instid0(VALU_DEP_1) | instskip(SKIP_1) | instid1(VALU_DEP_1)
	v_fma_f64 v[21:22], v[25:26], v[49:50], v[21:22]
	s_wait_loadcnt 0x1
	v_fma_f64 v[21:22], v[27:28], v[51:52], v[21:22]
	s_wait_loadcnt 0x0
	s_delay_alu instid0(VALU_DEP_1)
	v_fma_f64 v[21:22], v[29:30], v[53:54], v[21:22]
.LBB64_40:                              ;   in Loop: Header=BB64_5 Depth=1
	s_wait_alu 0xfffe
	s_or_b32 exec_lo, exec_lo, s40
	s_wait_loadcnt 0x3
	v_fma_f64 v[19:20], v[23:24], v[55:56], v[19:20]
	s_wait_loadcnt 0x2
	s_delay_alu instid0(VALU_DEP_1) | instskip(SKIP_1) | instid1(VALU_DEP_1)
	v_fma_f64 v[19:20], v[25:26], v[57:58], v[19:20]
	s_wait_loadcnt 0x1
	v_fma_f64 v[19:20], v[27:28], v[59:60], v[19:20]
	s_wait_loadcnt 0x0
	s_delay_alu instid0(VALU_DEP_1)
	v_fma_f64 v[19:20], v[29:30], v[61:62], v[19:20]
.LBB64_41:                              ;   in Loop: Header=BB64_5 Depth=1
	s_wait_alu 0xfffe
	s_or_b32 exec_lo, exec_lo, s29
	s_wait_loadcnt 0x3
	v_fma_f64 v[17:18], v[23:24], v[39:40], v[17:18]
	s_wait_loadcnt 0x2
	s_delay_alu instid0(VALU_DEP_1) | instskip(SKIP_1) | instid1(VALU_DEP_1)
	v_fma_f64 v[17:18], v[25:26], v[41:42], v[17:18]
	s_wait_loadcnt 0x1
	v_fma_f64 v[17:18], v[27:28], v[43:44], v[17:18]
	s_wait_loadcnt 0x0
	s_delay_alu instid0(VALU_DEP_1)
	v_fma_f64 v[17:18], v[29:30], v[45:46], v[17:18]
.LBB64_42:                              ;   in Loop: Header=BB64_5 Depth=1
	s_wait_alu 0xfffe
	s_or_b32 exec_lo, exec_lo, s28
	s_wait_loadcnt 0x3
	v_fma_f64 v[15:16], v[23:24], v[31:32], v[15:16]
	s_wait_loadcnt 0x2
	s_delay_alu instid0(VALU_DEP_1) | instskip(SKIP_1) | instid1(VALU_DEP_1)
	v_fma_f64 v[15:16], v[25:26], v[33:34], v[15:16]
	s_wait_loadcnt 0x1
	v_fma_f64 v[15:16], v[27:28], v[35:36], v[15:16]
	s_wait_loadcnt 0x0
	s_delay_alu instid0(VALU_DEP_1)
	v_fma_f64 v[15:16], v[29:30], v[37:38], v[15:16]
.LBB64_43:                              ;   in Loop: Header=BB64_5 Depth=1
	s_wait_alu 0xfffe
	s_or_b32 exec_lo, exec_lo, s7
.LBB64_44:                              ;   in Loop: Header=BB64_5 Depth=1
	ds_store_2addr_stride64_b64 v0, v[15:16], v[17:18] offset1:1
	ds_store_2addr_stride64_b64 v0, v[19:20], v[21:22] offset0:2 offset1:3
	s_wait_loadcnt_dscnt 0x0
	s_barrier_signal -1
	s_barrier_wait -1
	global_inv scope:SCOPE_SE
                                        ; implicit-def: $vgpr15_vgpr16
	s_and_saveexec_b32 s7, s5
	s_cbranch_execz .LBB64_50
; %bb.45:                               ;   in Loop: Header=BB64_5 Depth=1
	ds_load_2addr_stride64_b64 v[15:18], v65 offset1:4
	s_mov_b32 s29, s47
	s_wait_dscnt 0x0
	v_add_f64_e32 v[19:20], v[15:16], v[17:18]
	ds_load_2addr_stride64_b64 v[15:18], v65 offset0:8 offset1:12
	s_wait_dscnt 0x0
	v_add_f64_e32 v[15:16], v[15:16], v[19:20]
	s_delay_alu instid0(VALU_DEP_1) | instskip(SKIP_3) | instid1(VALU_DEP_1)
	v_add_f64_e32 v[19:20], v[17:18], v[15:16]
	ds_load_2addr_stride64_b64 v[15:18], v65 offset0:16 offset1:20
	s_wait_dscnt 0x0
	v_add_f64_e32 v[15:16], v[15:16], v[19:20]
	v_add_f64_e32 v[19:20], v[17:18], v[15:16]
	ds_load_2addr_stride64_b64 v[15:18], v65 offset0:24 offset1:28
	s_wait_dscnt 0x0
	v_add_f64_e32 v[15:16], v[15:16], v[19:20]
	s_delay_alu instid0(VALU_DEP_1) | instskip(SKIP_3) | instid1(VALU_DEP_1)
	v_add_f64_e32 v[19:20], v[17:18], v[15:16]
	ds_load_2addr_stride64_b64 v[15:18], v65 offset0:32 offset1:36
	s_wait_dscnt 0x0
	v_add_f64_e32 v[15:16], v[15:16], v[19:20]
	;; [unrolled: 9-line block ×3, first 2 shown]
	v_add_f64_e32 v[19:20], v[17:18], v[15:16]
	ds_load_2addr_stride64_b64 v[15:18], v65 offset0:56 offset1:60
	s_wait_dscnt 0x0
	v_add_f64_e32 v[15:16], v[15:16], v[19:20]
	s_delay_alu instid0(VALU_DEP_1)
	v_add_f64_e32 v[17:18], v[17:18], v[15:16]
                                        ; implicit-def: $vgpr15_vgpr16
	ds_store_b64 v65, v[17:18]
	s_and_saveexec_b32 s28, s6
	s_cbranch_execz .LBB64_49
; %bb.46:                               ;   in Loop: Header=BB64_5 Depth=1
	v_cmp_eq_f64_e32 vcc_lo, 0, v[11:12]
	v_mul_f64_e32 v[15:16], v[13:14], v[17:18]
	s_cbranch_vccnz .LBB64_48
; %bb.47:                               ;   in Loop: Header=BB64_5 Depth=1
	v_lshlrev_b64_e32 v[13:14], 3, v[4:5]
	s_delay_alu instid0(VALU_DEP_1) | instskip(SKIP_1) | instid1(VALU_DEP_2)
	v_add_co_u32 v13, vcc_lo, s26, v13
	s_wait_alu 0xfffd
	v_add_co_ci_u32_e64 v14, null, s27, v14, vcc_lo
	global_load_b64 v[13:14], v[13:14], off
	s_wait_loadcnt 0x0
	v_fma_f64 v[15:16], v[11:12], v[13:14], v[15:16]
.LBB64_48:                              ;   in Loop: Header=BB64_5 Depth=1
	s_or_b32 s29, s47, exec_lo
.LBB64_49:                              ;   in Loop: Header=BB64_5 Depth=1
	s_wait_alu 0xfffe
	s_or_b32 exec_lo, exec_lo, s28
	s_delay_alu instid0(SALU_CYCLE_1)
	s_and_not1_b32 s28, s47, exec_lo
	s_and_b32 s29, s29, exec_lo
	s_wait_alu 0xfffe
	s_or_b32 s47, s28, s29
.LBB64_50:                              ;   in Loop: Header=BB64_5 Depth=1
	s_wait_alu 0xfffe
	s_or_b32 exec_lo, exec_lo, s7
	v_dual_mov_b32 v12, v5 :: v_dual_mov_b32 v11, v4
	s_and_saveexec_b32 s7, s47
	s_cbranch_execz .LBB64_3
.LBB64_51:                              ;   in Loop: Header=BB64_5 Depth=1
	s_delay_alu instid0(VALU_DEP_1) | instskip(SKIP_1) | instid1(VALU_DEP_1)
	v_lshlrev_b64_e32 v[11:12], 3, v[11:12]
	s_wait_alu 0xfffe
	v_add_co_u32 v11, vcc_lo, s26, v11
	s_wait_alu 0xfffd
	s_delay_alu instid0(VALU_DEP_2)
	v_add_co_ci_u32_e64 v12, null, s27, v12, vcc_lo
	global_store_b64 v[11:12], v[15:16], off
	s_branch .LBB64_3
.LBB64_52:
	s_endpgm
	.section	.rodata,"a",@progbits
	.p2align	6, 0x0
	.amdhsa_kernel _ZL20rocblas_gemvn_kernelILi64ELi16EidPKddEviiT3_lPKT2_lT1_lS5_lS6_lS2_lPT4_lS6_li
		.amdhsa_group_segment_fixed_size 32768
		.amdhsa_private_segment_fixed_size 0
		.amdhsa_kernarg_size 400
		.amdhsa_user_sgpr_count 2
		.amdhsa_user_sgpr_dispatch_ptr 0
		.amdhsa_user_sgpr_queue_ptr 0
		.amdhsa_user_sgpr_kernarg_segment_ptr 1
		.amdhsa_user_sgpr_dispatch_id 0
		.amdhsa_user_sgpr_private_segment_size 0
		.amdhsa_wavefront_size32 1
		.amdhsa_uses_dynamic_stack 0
		.amdhsa_enable_private_segment 0
		.amdhsa_system_sgpr_workgroup_id_x 1
		.amdhsa_system_sgpr_workgroup_id_y 0
		.amdhsa_system_sgpr_workgroup_id_z 1
		.amdhsa_system_sgpr_workgroup_info 0
		.amdhsa_system_vgpr_workitem_id 1
		.amdhsa_next_free_vgpr 76
		.amdhsa_next_free_sgpr 54
		.amdhsa_reserve_vcc 1
		.amdhsa_float_round_mode_32 0
		.amdhsa_float_round_mode_16_64 0
		.amdhsa_float_denorm_mode_32 3
		.amdhsa_float_denorm_mode_16_64 3
		.amdhsa_fp16_overflow 0
		.amdhsa_workgroup_processor_mode 1
		.amdhsa_memory_ordered 1
		.amdhsa_forward_progress 1
		.amdhsa_inst_pref_size 27
		.amdhsa_round_robin_scheduling 0
		.amdhsa_exception_fp_ieee_invalid_op 0
		.amdhsa_exception_fp_denorm_src 0
		.amdhsa_exception_fp_ieee_div_zero 0
		.amdhsa_exception_fp_ieee_overflow 0
		.amdhsa_exception_fp_ieee_underflow 0
		.amdhsa_exception_fp_ieee_inexact 0
		.amdhsa_exception_int_div_zero 0
	.end_amdhsa_kernel
	.section	.text._ZL20rocblas_gemvn_kernelILi64ELi16EidPKddEviiT3_lPKT2_lT1_lS5_lS6_lS2_lPT4_lS6_li,"axG",@progbits,_ZL20rocblas_gemvn_kernelILi64ELi16EidPKddEviiT3_lPKT2_lT1_lS5_lS6_lS2_lPT4_lS6_li,comdat
.Lfunc_end64:
	.size	_ZL20rocblas_gemvn_kernelILi64ELi16EidPKddEviiT3_lPKT2_lT1_lS5_lS6_lS2_lPT4_lS6_li, .Lfunc_end64-_ZL20rocblas_gemvn_kernelILi64ELi16EidPKddEviiT3_lPKT2_lT1_lS5_lS6_lS2_lPT4_lS6_li
                                        ; -- End function
	.set _ZL20rocblas_gemvn_kernelILi64ELi16EidPKddEviiT3_lPKT2_lT1_lS5_lS6_lS2_lPT4_lS6_li.num_vgpr, 76
	.set _ZL20rocblas_gemvn_kernelILi64ELi16EidPKddEviiT3_lPKT2_lT1_lS5_lS6_lS2_lPT4_lS6_li.num_agpr, 0
	.set _ZL20rocblas_gemvn_kernelILi64ELi16EidPKddEviiT3_lPKT2_lT1_lS5_lS6_lS2_lPT4_lS6_li.numbered_sgpr, 54
	.set _ZL20rocblas_gemvn_kernelILi64ELi16EidPKddEviiT3_lPKT2_lT1_lS5_lS6_lS2_lPT4_lS6_li.num_named_barrier, 0
	.set _ZL20rocblas_gemvn_kernelILi64ELi16EidPKddEviiT3_lPKT2_lT1_lS5_lS6_lS2_lPT4_lS6_li.private_seg_size, 0
	.set _ZL20rocblas_gemvn_kernelILi64ELi16EidPKddEviiT3_lPKT2_lT1_lS5_lS6_lS2_lPT4_lS6_li.uses_vcc, 1
	.set _ZL20rocblas_gemvn_kernelILi64ELi16EidPKddEviiT3_lPKT2_lT1_lS5_lS6_lS2_lPT4_lS6_li.uses_flat_scratch, 0
	.set _ZL20rocblas_gemvn_kernelILi64ELi16EidPKddEviiT3_lPKT2_lT1_lS5_lS6_lS2_lPT4_lS6_li.has_dyn_sized_stack, 0
	.set _ZL20rocblas_gemvn_kernelILi64ELi16EidPKddEviiT3_lPKT2_lT1_lS5_lS6_lS2_lPT4_lS6_li.has_recursion, 0
	.set _ZL20rocblas_gemvn_kernelILi64ELi16EidPKddEviiT3_lPKT2_lT1_lS5_lS6_lS2_lPT4_lS6_li.has_indirect_call, 0
	.section	.AMDGPU.csdata,"",@progbits
; Kernel info:
; codeLenInByte = 3412
; TotalNumSgprs: 56
; NumVgprs: 76
; ScratchSize: 0
; MemoryBound: 0
; FloatMode: 240
; IeeeMode: 1
; LDSByteSize: 32768 bytes/workgroup (compile time only)
; SGPRBlocks: 0
; VGPRBlocks: 9
; NumSGPRsForWavesPerEU: 56
; NumVGPRsForWavesPerEU: 76
; Occupancy: 16
; WaveLimiterHint : 1
; COMPUTE_PGM_RSRC2:SCRATCH_EN: 0
; COMPUTE_PGM_RSRC2:USER_SGPR: 2
; COMPUTE_PGM_RSRC2:TRAP_HANDLER: 0
; COMPUTE_PGM_RSRC2:TGID_X_EN: 1
; COMPUTE_PGM_RSRC2:TGID_Y_EN: 0
; COMPUTE_PGM_RSRC2:TGID_Z_EN: 1
; COMPUTE_PGM_RSRC2:TIDIG_COMP_CNT: 1
	.section	.text._ZL20rocblas_gemvn_kernelILi64ELi16EldPKddEviiT3_lPKT2_lT1_lS5_lS6_lS2_lPT4_lS6_li,"axG",@progbits,_ZL20rocblas_gemvn_kernelILi64ELi16EldPKddEviiT3_lPKT2_lT1_lS5_lS6_lS2_lPT4_lS6_li,comdat
	.globl	_ZL20rocblas_gemvn_kernelILi64ELi16EldPKddEviiT3_lPKT2_lT1_lS5_lS6_lS2_lPT4_lS6_li ; -- Begin function _ZL20rocblas_gemvn_kernelILi64ELi16EldPKddEviiT3_lPKT2_lT1_lS5_lS6_lS2_lPT4_lS6_li
	.p2align	8
	.type	_ZL20rocblas_gemvn_kernelILi64ELi16EldPKddEviiT3_lPKT2_lT1_lS5_lS6_lS2_lPT4_lS6_li,@function
_ZL20rocblas_gemvn_kernelILi64ELi16EldPKddEviiT3_lPKT2_lT1_lS5_lS6_lS2_lPT4_lS6_li: ; @_ZL20rocblas_gemvn_kernelILi64ELi16EldPKddEviiT3_lPKT2_lT1_lS5_lS6_lS2_lPT4_lS6_li
; %bb.0:
	s_load_b64 s[2:3], s[0:1], 0x9c
	s_wait_kmcnt 0x0
	s_lshr_b32 s4, s2, 16
	s_and_b32 s2, s2, 0xffff
	s_and_b32 s3, s3, 0xffff
	s_mul_i32 s2, s4, s2
	s_delay_alu instid0(SALU_CYCLE_1) | instskip(NEXT) | instid1(SALU_CYCLE_1)
	s_mul_i32 s2, s2, s3
	s_cmp_lg_u32 s2, 0x400
	s_cbranch_scc1 .LBB65_52
; %bb.1:
	s_load_b32 s33, s[0:1], 0x88
	s_lshr_b32 s10, ttmp7, 16
	s_wait_kmcnt 0x0
	s_cmp_ge_u32 s10, s33
	s_cbranch_scc1 .LBB65_52
; %bb.2:
	s_clause 0x2
	s_load_b512 s[12:27], s[0:1], 0x8
	s_load_b512 s[36:51], s[0:1], 0x48
	s_load_b64 s[8:9], s[0:1], 0x0
	v_and_b32_e32 v5, 0x3ff, v0
	v_bfe_u32 v17, v0, 10, 10
	s_lshl_b32 s34, ttmp9, 8
	s_mov_b32 s11, 0
	s_delay_alu instid0(VALU_DEP_2) | instskip(NEXT) | instid1(VALU_DEP_2)
	v_dual_mov_b32 v1, 0 :: v_dual_add_nc_u32 v6, s34, v5
	v_lshlrev_b32_e32 v62, 2, v17
	v_lshl_add_u32 v10, v17, 6, v5
	s_delay_alu instid0(VALU_DEP_3) | instskip(SKIP_1) | instid1(VALU_DEP_4)
	v_add_nc_u32_e32 v8, 0x80, v6
	v_add_nc_u32_e32 v9, 0xc0, v6
	v_or_b32_e32 v18, 3, v62
	s_delay_alu instid0(VALU_DEP_4)
	v_add_nc_u32_e32 v0, s34, v10
	v_or_b32_e32 v19, s34, v10
	v_ashrrev_i32_e32 v7, 31, v6
	s_wait_kmcnt 0x0
	s_lshl_b64 s[4:5], s[18:19], 3
	s_lshl_b64 s[18:19], s[26:27], 3
	s_ashr_i32 s28, s9, 31
	s_add_nc_u64 s[16:17], s[16:17], s[4:5]
	s_lshr_b32 s4, s28, 26
	s_lshl_b64 s[6:7], s[46:47], 3
	s_add_co_i32 s52, s9, s4
	s_ashr_i32 s31, s8, 31
	s_and_not1_b32 s52, s52, 63
	v_cmp_gt_i32_e64 s2, s8, v8
	s_sub_co_i32 s5, s9, s52
	v_cmp_gt_i32_e64 s3, s8, v9
	s_cmp_gt_i32 s5, 0
	v_mad_co_u64_u32 v[8:9], null, s36, v17, 0
	v_cmp_gt_u32_e64 s5, 0x100, v10
	v_mad_co_u64_u32 v[10:11], null, s20, v18, 0
	s_mov_b32 s30, s8
	s_cselect_b32 s53, -1, 0
	v_mul_lo_u32 v20, s49, v19
	s_add_nc_u64 s[28:29], s[44:45], s[6:7]
	s_ashr_i32 s6, s34, 31
	v_cmp_gt_i32_e64 s0, s8, v6
	v_mad_co_u64_u32 v[12:13], null, s37, v17, v[9:10]
	v_mov_b32_e32 v9, v11
	v_mad_co_u64_u32 v[13:14], null, s36, v18, 0
	v_or_b32_e32 v21, 2, v62
	s_mul_i32 s7, s48, s6
	s_delay_alu instid0(VALU_DEP_3)
	v_mad_co_u64_u32 v[15:16], null, s21, v18, v[9:10]
	v_mov_b32_e32 v9, v12
	v_cmp_gt_i64_e32 vcc_lo, s[30:31], v[0:1]
	v_mov_b32_e32 v12, v14
	v_add_nc_u32_e32 v4, 64, v6
	v_mad_co_u64_u32 v[2:3], null, s48, v0, 0
	v_lshlrev_b64_e32 v[8:9], 5, v[8:9]
	v_mov_b32_e32 v11, v15
	v_mad_co_u64_u32 v[14:15], null, s37, v18, v[12:13]
	v_mad_co_u64_u32 v[15:16], null, s20, v17, 0
	s_and_b32 s54, s5, vcc_lo
	v_add_co_u32 v64, vcc_lo, s24, v8
	s_delay_alu instid0(VALU_DEP_1)
	v_add_co_ci_u32_e64 v65, null, s25, v9, vcc_lo
	v_lshlrev_b64_e32 v[8:9], 3, v[10:11]
	v_mad_co_u64_u32 v[11:12], null, s20, v21, 0
	v_cmp_gt_i32_e64 s1, s8, v4
	v_mad_co_u64_u32 v[3:4], null, s49, v0, v[3:4]
	v_lshlrev_b32_e32 v4, 3, v5
	v_mov_b32_e32 v10, v16
	v_add_co_u32 v66, vcc_lo, s16, v8
	s_wait_alu 0xfffd
	v_add_co_ci_u32_e64 v67, null, s17, v9, vcc_lo
	v_lshl_add_u32 v0, v17, 11, v4
	v_lshl_add_u32 v63, v17, 9, v4
	v_mad_co_u64_u32 v[16:17], null, s21, v17, v[10:11]
	v_lshlrev_b64_e32 v[9:10], 3, v[13:14]
	v_mad_co_u64_u32 v[4:5], null, s48, v19, 0
	v_mad_co_u64_u32 v[17:18], null, s36, v21, 0
	v_mov_b32_e32 v8, v12
	v_cmp_gt_i32_e64 s6, s8, v19
	v_add_co_u32 v68, vcc_lo, s24, v9
	v_add3_u32 v5, v5, s7, v20
	s_delay_alu instid0(VALU_DEP_4)
	v_mad_co_u64_u32 v[13:14], null, s21, v21, v[8:9]
	v_mov_b32_e32 v12, v18
	v_mad_co_u64_u32 v[19:20], null, s36, v62, s[36:37]
	s_wait_alu 0xfffd
	v_add_co_ci_u32_e64 v69, null, s25, v10, vcc_lo
	v_lshlrev_b64_e32 v[9:10], 5, v[15:16]
	v_mad_co_u64_u32 v[21:22], null, s37, v21, v[12:13]
	v_mad_co_u64_u32 v[22:23], null, s20, v62, s[20:21]
	v_mov_b32_e32 v8, v20
	v_mov_b32_e32 v12, v13
	v_add_co_u32 v70, vcc_lo, s16, v9
	s_wait_alu 0xfffd
	v_add_co_ci_u32_e64 v71, null, s17, v10, vcc_lo
	v_mad_co_u64_u32 v[13:14], null, s37, v62, v[8:9]
	v_lshlrev_b64_e32 v[9:10], 3, v[11:12]
	v_mov_b32_e32 v8, v23
	v_mov_b32_e32 v18, v21
	v_lshlrev_b64_e32 v[6:7], 3, v[6:7]
	v_cmp_gt_i32_e64 s4, s52, v62
	s_add_nc_u64 s[26:27], s[24:25], s[18:19]
	v_mad_co_u64_u32 v[11:12], null, s21, v62, v[8:9]
	v_mov_b32_e32 v20, v13
	v_lshlrev_b64_e32 v[14:15], 3, v[17:18]
	v_add_co_u32 v72, vcc_lo, s16, v9
	s_wait_alu 0xfffd
	v_add_co_ci_u32_e64 v73, null, s17, v10, vcc_lo
	v_mov_b32_e32 v23, v11
	v_lshlrev_b64_e32 v[8:9], 3, v[19:20]
	v_add_co_u32 v74, vcc_lo, s24, v14
	s_wait_alu 0xfffd
	v_add_co_ci_u32_e64 v75, null, s25, v15, vcc_lo
	v_lshlrev_b64_e32 v[10:11], 3, v[22:23]
	s_delay_alu instid0(VALU_DEP_4) | instskip(SKIP_3) | instid1(VALU_DEP_4)
	v_add_co_u32 v76, vcc_lo, s24, v8
	s_wait_alu 0xfffd
	v_add_co_ci_u32_e64 v77, null, s25, v9, vcc_lo
	v_lshlrev_b64_e32 v[8:9], 3, v[2:3]
	v_add_co_u32 v78, vcc_lo, s16, v10
	s_wait_alu 0xfffd
	v_add_co_ci_u32_e64 v79, null, s17, v11, vcc_lo
	s_lshl_b64 s[30:31], s[38:39], 3
	s_lshl_b64 s[24:25], s[36:37], 9
	;; [unrolled: 1-line block ×4, first 2 shown]
	s_branch .LBB65_5
.LBB65_3:                               ;   in Loop: Header=BB65_5 Depth=1
	s_wait_alu 0xfffe
	s_or_b32 exec_lo, exec_lo, s7
.LBB65_4:                               ;   in Loop: Header=BB65_5 Depth=1
	s_add_co_i32 s10, s10, 0x10000
	s_delay_alu instid0(SALU_CYCLE_1)
	s_cmp_lt_u32 s10, s33
	s_cbranch_scc0 .LBB65_52
.LBB65_5:                               ; =>This Loop Header: Depth=1
                                        ;     Child Loop BB65_18 Depth 2
	s_mul_u64 s[46:47], s[14:15], s[10:11]
	s_mul_u64 s[48:49], s[42:43], s[10:11]
	s_wait_alu 0xfffe
	s_lshl_b64 s[46:47], s[46:47], 3
	s_lshl_b64 s[48:49], s[48:49], 3
	s_wait_alu 0xfffe
	s_add_nc_u64 s[46:47], s[12:13], s[46:47]
	s_add_nc_u64 s[48:49], s[40:41], s[48:49]
	s_clause 0x1
	global_load_b64 v[12:13], v1, s[46:47]
	global_load_b64 v[10:11], v1, s[48:49]
	s_wait_loadcnt 0x1
	v_cmp_eq_f64_e32 vcc_lo, 0, v[12:13]
	s_wait_loadcnt 0x0
	v_cmp_eq_f64_e64 s7, 1.0, v[10:11]
	s_and_b32 s7, vcc_lo, s7
	s_wait_alu 0xfffe
	s_and_b32 vcc_lo, exec_lo, s7
	s_wait_alu 0xfffe
	s_cbranch_vccnz .LBB65_4
; %bb.6:                                ;   in Loop: Header=BB65_5 Depth=1
	v_cmp_neq_f64_e32 vcc_lo, 0, v[12:13]
	s_mul_u64 s[46:47], s[50:51], s[10:11]
	s_wait_alu 0xfffe
	s_lshl_b64 s[46:47], s[46:47], 3
	s_wait_alu 0xfffe
	s_add_nc_u64 s[46:47], s[28:29], s[46:47]
	s_cbranch_vccnz .LBB65_11
; %bb.7:                                ;   in Loop: Header=BB65_5 Depth=1
	s_mov_b32 s7, 0
	s_mov_b32 s55, 0
                                        ; implicit-def: $vgpr14_vgpr15
	s_and_saveexec_b32 s8, s54
	s_cbranch_execz .LBB65_23
; %bb.8:                                ;   in Loop: Header=BB65_5 Depth=1
	v_cmp_eq_f64_e32 vcc_lo, 0, v[10:11]
	v_mov_b32_e32 v14, 0
	v_mov_b32_e32 v15, 0
	s_cbranch_vccnz .LBB65_10
; %bb.9:                                ;   in Loop: Header=BB65_5 Depth=1
	s_wait_alu 0xfffe
	v_add_co_u32 v14, vcc_lo, s46, v8
	s_wait_alu 0xfffd
	v_add_co_ci_u32_e64 v15, null, s47, v9, vcc_lo
	global_load_b64 v[14:15], v[14:15], off
	s_wait_loadcnt 0x0
	v_mul_f64_e32 v[14:15], v[10:11], v[14:15]
.LBB65_10:                              ;   in Loop: Header=BB65_5 Depth=1
	s_mov_b32 s55, exec_lo
	s_wait_alu 0xfffe
	s_or_b32 exec_lo, exec_lo, s8
	s_delay_alu instid0(SALU_CYCLE_1)
	s_and_b32 vcc_lo, exec_lo, s7
	s_wait_alu 0xfffe
	s_cbranch_vccnz .LBB65_12
	s_branch .LBB65_24
.LBB65_11:                              ;   in Loop: Header=BB65_5 Depth=1
	s_mov_b32 s55, 0
                                        ; implicit-def: $vgpr14_vgpr15
	s_cbranch_execz .LBB65_24
.LBB65_12:                              ;   in Loop: Header=BB65_5 Depth=1
	v_mov_b32_e32 v14, 0
	v_dual_mov_b32 v18, 0 :: v_dual_mov_b32 v15, 0
	v_dual_mov_b32 v16, 0 :: v_dual_mov_b32 v19, 0
	;; [unrolled: 1-line block ×4, first 2 shown]
	s_and_saveexec_b32 s8, s4
	s_cbranch_execz .LBB65_26
; %bb.13:                               ;   in Loop: Header=BB65_5 Depth=1
	s_mul_u64 s[48:49], s[30:31], s[10:11]
	s_mul_u64 s[56:57], s[34:35], s[10:11]
	s_wait_alu 0xfffe
	v_add_co_u32 v81, vcc_lo, v64, s48
	s_wait_alu 0xfffd
	v_add_co_ci_u32_e64 v82, null, s49, v65, vcc_lo
	v_add_co_u32 v83, vcc_lo, v66, s56
	s_wait_alu 0xfffd
	v_add_co_ci_u32_e64 v84, null, s57, v67, vcc_lo
	;; [unrolled: 3-line block ×7, first 2 shown]
	v_add_co_u32 v95, vcc_lo, v78, s56
	v_mov_b32_e32 v14, 0
	v_dual_mov_b32 v18, 0 :: v_dual_mov_b32 v15, 0
	v_dual_mov_b32 v16, 0 :: v_dual_mov_b32 v19, 0
	v_mov_b32_e32 v20, 0
	s_wait_alu 0xfffd
	v_add_co_ci_u32_e64 v96, null, s57, v79, vcc_lo
	v_mov_b32_e32 v17, 0
	v_dual_mov_b32 v21, 0 :: v_dual_mov_b32 v80, v62
	s_mov_b32 s48, 0
	s_branch .LBB65_18
.LBB65_14:                              ;   in Loop: Header=BB65_18 Depth=2
	s_wait_alu 0xfffe
	s_or_b32 exec_lo, exec_lo, s57
	s_wait_loadcnt 0x3
	v_fma_f64 v[18:19], v[22:23], v[54:55], v[18:19]
	s_wait_loadcnt 0x2
	s_delay_alu instid0(VALU_DEP_1) | instskip(SKIP_1) | instid1(VALU_DEP_1)
	v_fma_f64 v[18:19], v[24:25], v[56:57], v[18:19]
	s_wait_loadcnt 0x1
	v_fma_f64 v[18:19], v[26:27], v[58:59], v[18:19]
	s_wait_loadcnt 0x0
	s_delay_alu instid0(VALU_DEP_1)
	v_fma_f64 v[18:19], v[28:29], v[60:61], v[18:19]
.LBB65_15:                              ;   in Loop: Header=BB65_18 Depth=2
	s_wait_alu 0xfffe
	s_or_b32 exec_lo, exec_lo, s56
	s_wait_loadcnt 0x3
	v_fma_f64 v[16:17], v[22:23], v[44:45], v[16:17]
	s_wait_loadcnt 0x2
	s_delay_alu instid0(VALU_DEP_1) | instskip(SKIP_1) | instid1(VALU_DEP_1)
	v_fma_f64 v[16:17], v[24:25], v[46:47], v[16:17]
	s_wait_loadcnt 0x1
	v_fma_f64 v[16:17], v[26:27], v[48:49], v[16:17]
	s_wait_loadcnt 0x0
	s_delay_alu instid0(VALU_DEP_1)
	v_fma_f64 v[16:17], v[28:29], v[50:51], v[16:17]
.LBB65_16:                              ;   in Loop: Header=BB65_18 Depth=2
	s_wait_alu 0xfffe
	s_or_b32 exec_lo, exec_lo, s49
	s_wait_loadcnt 0x3
	v_fma_f64 v[14:15], v[22:23], v[30:31], v[14:15]
	s_wait_loadcnt 0x2
	s_delay_alu instid0(VALU_DEP_1) | instskip(SKIP_1) | instid1(VALU_DEP_1)
	v_fma_f64 v[14:15], v[24:25], v[32:33], v[14:15]
	s_wait_loadcnt 0x1
	v_fma_f64 v[14:15], v[26:27], v[34:35], v[14:15]
	s_wait_loadcnt 0x0
	s_delay_alu instid0(VALU_DEP_1)
	v_fma_f64 v[14:15], v[28:29], v[36:37], v[14:15]
.LBB65_17:                              ;   in Loop: Header=BB65_18 Depth=2
	s_wait_alu 0xfffe
	s_or_b32 exec_lo, exec_lo, s7
	v_add_co_u32 v81, vcc_lo, v81, s24
	s_wait_alu 0xfffd
	v_add_co_ci_u32_e64 v82, null, s25, v82, vcc_lo
	v_add_co_u32 v83, vcc_lo, v83, s44
	s_wait_alu 0xfffd
	v_add_co_ci_u32_e64 v84, null, s45, v84, vcc_lo
	;; [unrolled: 3-line block ×4, first 2 shown]
	v_add_co_u32 v89, vcc_lo, v89, s44
	v_add_nc_u32_e32 v80, 64, v80
	s_wait_alu 0xfffd
	v_add_co_ci_u32_e64 v90, null, s45, v90, vcc_lo
	v_add_co_u32 v91, vcc_lo, v91, s24
	s_wait_alu 0xfffd
	v_add_co_ci_u32_e64 v92, null, s25, v92, vcc_lo
	v_add_co_u32 v93, vcc_lo, v93, s24
	s_wait_alu 0xfffd
	v_add_co_ci_u32_e64 v94, null, s25, v94, vcc_lo
	v_cmp_le_i32_e32 vcc_lo, s52, v80
	v_add_co_u32 v95, s7, v95, s44
	s_wait_alu 0xf1ff
	v_add_co_ci_u32_e64 v96, null, s45, v96, s7
	s_or_b32 s48, vcc_lo, s48
	s_wait_alu 0xfffe
	s_and_not1_b32 exec_lo, exec_lo, s48
	s_cbranch_execz .LBB65_25
.LBB65_18:                              ;   Parent Loop BB65_5 Depth=1
                                        ; =>  This Inner Loop Header: Depth=2
	s_and_saveexec_b32 s7, s0
	s_cbranch_execz .LBB65_17
; %bb.19:                               ;   in Loop: Header=BB65_18 Depth=2
	v_add_co_u32 v22, vcc_lo, v81, s18
	s_wait_alu 0xfffd
	v_add_co_ci_u32_e64 v23, null, s19, v82, vcc_lo
	v_add_co_u32 v24, vcc_lo, v93, s18
	s_wait_alu 0xfffd
	v_add_co_ci_u32_e64 v25, null, s19, v94, vcc_lo
	;; [unrolled: 3-line block ×8, first 2 shown]
	global_load_b64 v[22:23], v[22:23], off
	global_load_b64 v[24:25], v[24:25], off
	;; [unrolled: 1-line block ×8, first 2 shown]
	s_and_saveexec_b32 s49, s1
	s_cbranch_execz .LBB65_16
; %bb.20:                               ;   in Loop: Header=BB65_18 Depth=2
	global_load_b64 v[44:45], v[38:39], off offset:512
	global_load_b64 v[46:47], v[40:41], off offset:512
	global_load_b64 v[48:49], v[42:43], off offset:512
	global_load_b64 v[50:51], v[52:53], off offset:512
	s_and_saveexec_b32 s56, s2
	s_cbranch_execz .LBB65_15
; %bb.21:                               ;   in Loop: Header=BB65_18 Depth=2
	global_load_b64 v[54:55], v[38:39], off offset:1024
	global_load_b64 v[56:57], v[40:41], off offset:1024
	global_load_b64 v[58:59], v[42:43], off offset:1024
	global_load_b64 v[60:61], v[52:53], off offset:1024
	s_and_saveexec_b32 s57, s3
	s_cbranch_execz .LBB65_14
; %bb.22:                               ;   in Loop: Header=BB65_18 Depth=2
	global_load_b64 v[38:39], v[38:39], off offset:1536
	global_load_b64 v[40:41], v[40:41], off offset:1536
	global_load_b64 v[42:43], v[42:43], off offset:1536
	global_load_b64 v[52:53], v[52:53], off offset:1536
	s_wait_loadcnt 0x3
	v_fma_f64 v[20:21], v[22:23], v[38:39], v[20:21]
	s_wait_loadcnt 0x2
	s_delay_alu instid0(VALU_DEP_1) | instskip(SKIP_1) | instid1(VALU_DEP_1)
	v_fma_f64 v[20:21], v[24:25], v[40:41], v[20:21]
	s_wait_loadcnt 0x1
	v_fma_f64 v[20:21], v[26:27], v[42:43], v[20:21]
	s_wait_loadcnt 0x0
	s_delay_alu instid0(VALU_DEP_1)
	v_fma_f64 v[20:21], v[28:29], v[52:53], v[20:21]
	s_branch .LBB65_14
.LBB65_23:                              ;   in Loop: Header=BB65_5 Depth=1
	s_wait_alu 0xfffe
	s_or_b32 exec_lo, exec_lo, s8
	s_delay_alu instid0(SALU_CYCLE_1)
	s_and_b32 vcc_lo, exec_lo, s7
	s_wait_alu 0xfffe
	s_cbranch_vccnz .LBB65_12
.LBB65_24:                              ;   in Loop: Header=BB65_5 Depth=1
	v_dual_mov_b32 v11, v3 :: v_dual_mov_b32 v10, v2
	s_and_saveexec_b32 s7, s55
	s_cbranch_execz .LBB65_3
	s_branch .LBB65_51
.LBB65_25:                              ;   in Loop: Header=BB65_5 Depth=1
	s_or_b32 exec_lo, exec_lo, s48
.LBB65_26:                              ;   in Loop: Header=BB65_5 Depth=1
	s_wait_alu 0xfffe
	s_or_b32 exec_lo, exec_lo, s8
	s_delay_alu instid0(SALU_CYCLE_1)
	s_and_not1_b32 vcc_lo, exec_lo, s53
	s_wait_alu 0xfffe
	s_cbranch_vccnz .LBB65_44
; %bb.27:                               ;   in Loop: Header=BB65_5 Depth=1
	v_mov_b32_e32 v28, 0
	v_dual_mov_b32 v24, 0 :: v_dual_mov_b32 v29, 0
	v_dual_mov_b32 v26, 0 :: v_dual_mov_b32 v25, 0
	v_mov_b32_e32 v22, 0
	v_cmp_gt_i32_e32 vcc_lo, s9, v80
	v_mov_b32_e32 v27, 0
	v_mov_b32_e32 v23, 0
	v_or_b32_e32 v30, 1, v80
	s_and_saveexec_b32 s8, vcc_lo
	s_cbranch_execz .LBB65_35
; %bb.28:                               ;   in Loop: Header=BB65_5 Depth=1
	v_mad_co_u64_u32 v[22:23], null, s36, v80, 0
	s_mul_u64 s[48:49], s[38:39], s[10:11]
	v_mov_b32_e32 v28, 0
	s_wait_alu 0xfffe
	s_lshl_b64 s[48:49], s[48:49], 3
	v_mov_b32_e32 v29, 0
	s_wait_alu 0xfffe
	s_add_nc_u64 s[48:49], s[26:27], s[48:49]
	s_mov_b32 s56, exec_lo
	v_mad_co_u64_u32 v[23:24], null, s37, v80, v[23:24]
	v_mov_b32_e32 v24, 0
	v_dual_mov_b32 v25, 0 :: v_dual_mov_b32 v26, 0
	v_mov_b32_e32 v27, 0
	s_delay_alu instid0(VALU_DEP_4) | instskip(SKIP_1) | instid1(VALU_DEP_1)
	v_lshlrev_b64_e32 v[22:23], 3, v[22:23]
	s_wait_alu 0xfffe
	v_add_co_u32 v22, s7, s48, v22
	s_wait_alu 0xf1ff
	s_delay_alu instid0(VALU_DEP_2)
	v_add_co_ci_u32_e64 v23, null, s49, v23, s7
	global_load_b64 v[22:23], v[22:23], off
	v_cmpx_gt_i32_e64 s9, v30
	s_cbranch_execz .LBB65_34
; %bb.29:                               ;   in Loop: Header=BB65_5 Depth=1
	v_mad_co_u64_u32 v[24:25], null, s36, v30, 0
	v_or_b32_e32 v31, 2, v80
	s_mov_b32 s57, exec_lo
	v_mov_b32_e32 v28, 0
	v_mov_b32_e32 v29, 0
	s_delay_alu instid0(VALU_DEP_4) | instskip(SKIP_2) | instid1(VALU_DEP_3)
	v_mad_co_u64_u32 v[25:26], null, s37, v30, v[25:26]
	v_mov_b32_e32 v26, 0
	v_mov_b32_e32 v27, 0
	v_lshlrev_b64_e32 v[24:25], 3, v[24:25]
	s_delay_alu instid0(VALU_DEP_1) | instskip(SKIP_1) | instid1(VALU_DEP_2)
	v_add_co_u32 v24, s7, s48, v24
	s_wait_alu 0xf1ff
	v_add_co_ci_u32_e64 v25, null, s49, v25, s7
	global_load_b64 v[24:25], v[24:25], off
	v_cmpx_gt_i32_e64 s9, v31
	s_cbranch_execz .LBB65_33
; %bb.30:                               ;   in Loop: Header=BB65_5 Depth=1
	v_mad_co_u64_u32 v[26:27], null, s36, v31, 0
	s_mov_b32 s58, exec_lo
	v_mad_co_u64_u32 v[27:28], null, s37, v31, v[27:28]
	v_mov_b32_e32 v28, 0
	v_or_b32_e32 v31, 3, v80
	v_mov_b32_e32 v29, 0
	s_delay_alu instid0(VALU_DEP_4) | instskip(NEXT) | instid1(VALU_DEP_1)
	v_lshlrev_b64_e32 v[26:27], 3, v[26:27]
	v_add_co_u32 v26, s7, s48, v26
	s_wait_alu 0xf1ff
	s_delay_alu instid0(VALU_DEP_2)
	v_add_co_ci_u32_e64 v27, null, s49, v27, s7
	global_load_b64 v[26:27], v[26:27], off
	v_cmpx_gt_i32_e64 s9, v31
	s_cbranch_execz .LBB65_32
; %bb.31:                               ;   in Loop: Header=BB65_5 Depth=1
	v_mad_co_u64_u32 v[28:29], null, s36, v31, 0
	s_delay_alu instid0(VALU_DEP_1) | instskip(NEXT) | instid1(VALU_DEP_1)
	v_mad_co_u64_u32 v[31:32], null, s37, v31, v[29:30]
	v_mov_b32_e32 v29, v31
	s_delay_alu instid0(VALU_DEP_1) | instskip(NEXT) | instid1(VALU_DEP_1)
	v_lshlrev_b64_e32 v[28:29], 3, v[28:29]
	v_add_co_u32 v28, s7, s48, v28
	s_wait_alu 0xf1ff
	s_delay_alu instid0(VALU_DEP_2)
	v_add_co_ci_u32_e64 v29, null, s49, v29, s7
	global_load_b64 v[28:29], v[28:29], off
.LBB65_32:                              ;   in Loop: Header=BB65_5 Depth=1
	s_or_b32 exec_lo, exec_lo, s58
.LBB65_33:                              ;   in Loop: Header=BB65_5 Depth=1
	s_wait_alu 0xfffe
	s_or_b32 exec_lo, exec_lo, s57
.LBB65_34:                              ;   in Loop: Header=BB65_5 Depth=1
	s_delay_alu instid0(SALU_CYCLE_1)
	s_or_b32 exec_lo, exec_lo, s56
.LBB65_35:                              ;   in Loop: Header=BB65_5 Depth=1
	s_wait_alu 0xfffe
	s_or_b32 exec_lo, exec_lo, s8
	s_and_saveexec_b32 s48, s0
	s_cbranch_execz .LBB65_43
; %bb.36:                               ;   in Loop: Header=BB65_5 Depth=1
	v_mad_co_u64_u32 v[31:32], null, s20, v80, 0
	v_mad_co_u64_u32 v[33:34], null, s20, v30, 0
	v_or_b32_e32 v39, 2, v80
	v_or_b32_e32 v43, 3, v80
	s_mul_u64 s[56:57], s[22:23], s[10:11]
	s_wait_alu 0xfffe
	s_lshl_b64 s[56:57], s[56:57], 3
	v_cmp_gt_i32_e64 s7, s9, v39
	s_delay_alu instid0(VALU_DEP_4)
	v_mad_co_u64_u32 v[35:36], null, s21, v80, v[32:33]
	v_mad_co_u64_u32 v[36:37], null, s20, v39, 0
	;; [unrolled: 1-line block ×3, first 2 shown]
	v_cndmask_b32_e32 v31, 0, v31, vcc_lo
	s_wait_alu 0xfffe
	s_add_nc_u64 s[56:57], s[16:17], s[56:57]
	s_delay_alu instid0(VALU_DEP_4) | instskip(SKIP_4) | instid1(VALU_DEP_2)
	v_cndmask_b32_e32 v32, 0, v35, vcc_lo
	v_cmp_gt_i32_e32 vcc_lo, s9, v30
	v_mov_b32_e32 v35, v37
	s_wait_alu 0xfffd
	v_cndmask_b32_e32 v33, 0, v33, vcc_lo
	v_mad_co_u64_u32 v[37:38], null, s21, v30, v[34:35]
	v_mov_b32_e32 v30, v41
	v_lshlrev_b64_e32 v[31:32], 3, v[31:32]
	s_delay_alu instid0(VALU_DEP_3) | instskip(SKIP_1) | instid1(VALU_DEP_2)
	v_cndmask_b32_e32 v34, 0, v37, vcc_lo
	s_wait_alu 0xfffe
	v_add_co_u32 v31, s8, s56, v31
	s_wait_alu 0xf1ff
	s_delay_alu instid0(VALU_DEP_3) | instskip(SKIP_1) | instid1(VALU_DEP_3)
	v_add_co_ci_u32_e64 v32, null, s57, v32, s8
	v_mad_co_u64_u32 v[41:42], null, s21, v39, v[35:36]
	v_add_co_u32 v38, vcc_lo, v31, v6
	s_wait_alu 0xfffd
	s_delay_alu instid0(VALU_DEP_3) | instskip(SKIP_4) | instid1(VALU_DEP_4)
	v_add_co_ci_u32_e64 v39, null, v32, v7, vcc_lo
	v_lshlrev_b64_e32 v[31:32], 3, v[33:34]
	v_cndmask_b32_e64 v33, 0, v36, s7
	v_cndmask_b32_e64 v34, 0, v41, s7
	v_cmp_gt_i32_e32 vcc_lo, s9, v43
	v_mad_co_u64_u32 v[35:36], null, s21, v43, v[30:31]
	v_add_co_u32 v36, s7, s56, v31
	s_wait_alu 0xf1ff
	v_add_co_ci_u32_e64 v37, null, s57, v32, s7
	v_lshlrev_b64_e32 v[30:31], 3, v[33:34]
	s_wait_alu 0xfffd
	s_delay_alu instid0(VALU_DEP_4) | instskip(SKIP_3) | instid1(VALU_DEP_3)
	v_dual_cndmask_b32 v32, 0, v40 :: v_dual_cndmask_b32 v33, 0, v35
	v_add_co_u32 v40, vcc_lo, v36, v6
	s_wait_alu 0xfffd
	v_add_co_ci_u32_e64 v41, null, v37, v7, vcc_lo
	v_lshlrev_b64_e32 v[32:33], 3, v[32:33]
	v_add_co_u32 v30, vcc_lo, s56, v30
	s_wait_alu 0xfffd
	v_add_co_ci_u32_e64 v31, null, s57, v31, vcc_lo
	s_delay_alu instid0(VALU_DEP_3)
	v_add_co_u32 v32, vcc_lo, s56, v32
	s_wait_alu 0xfffd
	v_add_co_ci_u32_e64 v33, null, s57, v33, vcc_lo
	v_add_co_u32 v50, vcc_lo, v30, v6
	s_wait_alu 0xfffd
	v_add_co_ci_u32_e64 v51, null, v31, v7, vcc_lo
	;; [unrolled: 3-line block ×3, first 2 shown]
	s_clause 0x3
	global_load_b64 v[30:31], v[38:39], off
	global_load_b64 v[32:33], v[40:41], off
	;; [unrolled: 1-line block ×4, first 2 shown]
	s_and_saveexec_b32 s7, s1
	s_cbranch_execz .LBB65_42
; %bb.37:                               ;   in Loop: Header=BB65_5 Depth=1
	s_clause 0x3
	global_load_b64 v[42:43], v[38:39], off offset:512
	global_load_b64 v[44:45], v[40:41], off offset:512
	global_load_b64 v[46:47], v[50:51], off offset:512
	global_load_b64 v[48:49], v[52:53], off offset:512
	s_and_saveexec_b32 s8, s2
	s_cbranch_execz .LBB65_41
; %bb.38:                               ;   in Loop: Header=BB65_5 Depth=1
	s_clause 0x3
	global_load_b64 v[54:55], v[38:39], off offset:1024
	global_load_b64 v[56:57], v[40:41], off offset:1024
	global_load_b64 v[58:59], v[50:51], off offset:1024
	global_load_b64 v[60:61], v[52:53], off offset:1024
	;; [unrolled: 8-line block ×3, first 2 shown]
	s_wait_loadcnt 0x3
	v_fma_f64 v[20:21], v[22:23], v[38:39], v[20:21]
	s_wait_loadcnt 0x2
	s_delay_alu instid0(VALU_DEP_1) | instskip(SKIP_1) | instid1(VALU_DEP_1)
	v_fma_f64 v[20:21], v[24:25], v[40:41], v[20:21]
	s_wait_loadcnt 0x1
	v_fma_f64 v[20:21], v[26:27], v[50:51], v[20:21]
	s_wait_loadcnt 0x0
	s_delay_alu instid0(VALU_DEP_1)
	v_fma_f64 v[20:21], v[28:29], v[52:53], v[20:21]
.LBB65_40:                              ;   in Loop: Header=BB65_5 Depth=1
	s_wait_alu 0xfffe
	s_or_b32 exec_lo, exec_lo, s49
	s_wait_loadcnt 0x3
	v_fma_f64 v[18:19], v[22:23], v[54:55], v[18:19]
	s_wait_loadcnt 0x2
	s_delay_alu instid0(VALU_DEP_1) | instskip(SKIP_1) | instid1(VALU_DEP_1)
	v_fma_f64 v[18:19], v[24:25], v[56:57], v[18:19]
	s_wait_loadcnt 0x1
	v_fma_f64 v[18:19], v[26:27], v[58:59], v[18:19]
	s_wait_loadcnt 0x0
	s_delay_alu instid0(VALU_DEP_1)
	v_fma_f64 v[18:19], v[28:29], v[60:61], v[18:19]
.LBB65_41:                              ;   in Loop: Header=BB65_5 Depth=1
	s_wait_alu 0xfffe
	s_or_b32 exec_lo, exec_lo, s8
	s_wait_loadcnt 0x3
	v_fma_f64 v[16:17], v[22:23], v[42:43], v[16:17]
	s_wait_loadcnt 0x2
	s_delay_alu instid0(VALU_DEP_1) | instskip(SKIP_1) | instid1(VALU_DEP_1)
	v_fma_f64 v[16:17], v[24:25], v[44:45], v[16:17]
	s_wait_loadcnt 0x1
	v_fma_f64 v[16:17], v[26:27], v[46:47], v[16:17]
	s_wait_loadcnt 0x0
	s_delay_alu instid0(VALU_DEP_1)
	v_fma_f64 v[16:17], v[28:29], v[48:49], v[16:17]
.LBB65_42:                              ;   in Loop: Header=BB65_5 Depth=1
	s_wait_alu 0xfffe
	s_or_b32 exec_lo, exec_lo, s7
	s_wait_loadcnt 0x3
	v_fma_f64 v[14:15], v[22:23], v[30:31], v[14:15]
	s_wait_loadcnt 0x2
	s_delay_alu instid0(VALU_DEP_1) | instskip(SKIP_1) | instid1(VALU_DEP_1)
	v_fma_f64 v[14:15], v[24:25], v[32:33], v[14:15]
	s_wait_loadcnt 0x1
	v_fma_f64 v[14:15], v[26:27], v[34:35], v[14:15]
	s_wait_loadcnt 0x0
	s_delay_alu instid0(VALU_DEP_1)
	v_fma_f64 v[14:15], v[28:29], v[36:37], v[14:15]
.LBB65_43:                              ;   in Loop: Header=BB65_5 Depth=1
	s_wait_alu 0xfffe
	s_or_b32 exec_lo, exec_lo, s48
.LBB65_44:                              ;   in Loop: Header=BB65_5 Depth=1
	ds_store_2addr_stride64_b64 v0, v[14:15], v[16:17] offset1:1
	ds_store_2addr_stride64_b64 v0, v[18:19], v[20:21] offset0:2 offset1:3
	s_wait_loadcnt_dscnt 0x0
	s_barrier_signal -1
	s_barrier_wait -1
	global_inv scope:SCOPE_SE
                                        ; implicit-def: $vgpr14_vgpr15
	s_and_saveexec_b32 s7, s5
	s_cbranch_execz .LBB65_50
; %bb.45:                               ;   in Loop: Header=BB65_5 Depth=1
	ds_load_2addr_stride64_b64 v[14:17], v63 offset1:4
	s_mov_b32 s48, s55
	s_wait_dscnt 0x0
	v_add_f64_e32 v[18:19], v[14:15], v[16:17]
	ds_load_2addr_stride64_b64 v[14:17], v63 offset0:8 offset1:12
	s_wait_dscnt 0x0
	v_add_f64_e32 v[14:15], v[14:15], v[18:19]
	s_delay_alu instid0(VALU_DEP_1) | instskip(SKIP_3) | instid1(VALU_DEP_1)
	v_add_f64_e32 v[18:19], v[16:17], v[14:15]
	ds_load_2addr_stride64_b64 v[14:17], v63 offset0:16 offset1:20
	s_wait_dscnt 0x0
	v_add_f64_e32 v[14:15], v[14:15], v[18:19]
	v_add_f64_e32 v[18:19], v[16:17], v[14:15]
	ds_load_2addr_stride64_b64 v[14:17], v63 offset0:24 offset1:28
	s_wait_dscnt 0x0
	v_add_f64_e32 v[14:15], v[14:15], v[18:19]
	s_delay_alu instid0(VALU_DEP_1) | instskip(SKIP_3) | instid1(VALU_DEP_1)
	v_add_f64_e32 v[18:19], v[16:17], v[14:15]
	ds_load_2addr_stride64_b64 v[14:17], v63 offset0:32 offset1:36
	s_wait_dscnt 0x0
	v_add_f64_e32 v[14:15], v[14:15], v[18:19]
	;; [unrolled: 9-line block ×3, first 2 shown]
	v_add_f64_e32 v[18:19], v[16:17], v[14:15]
	ds_load_2addr_stride64_b64 v[14:17], v63 offset0:56 offset1:60
	s_wait_dscnt 0x0
	v_add_f64_e32 v[14:15], v[14:15], v[18:19]
	s_delay_alu instid0(VALU_DEP_1)
	v_add_f64_e32 v[16:17], v[16:17], v[14:15]
                                        ; implicit-def: $vgpr14_vgpr15
	ds_store_b64 v63, v[16:17]
	s_and_saveexec_b32 s8, s6
	s_cbranch_execz .LBB65_49
; %bb.46:                               ;   in Loop: Header=BB65_5 Depth=1
	v_cmp_eq_f64_e32 vcc_lo, 0, v[10:11]
	v_mul_f64_e32 v[14:15], v[12:13], v[16:17]
	s_cbranch_vccnz .LBB65_48
; %bb.47:                               ;   in Loop: Header=BB65_5 Depth=1
	v_lshlrev_b64_e32 v[12:13], 3, v[4:5]
	s_delay_alu instid0(VALU_DEP_1) | instskip(SKIP_1) | instid1(VALU_DEP_2)
	v_add_co_u32 v12, vcc_lo, s46, v12
	s_wait_alu 0xfffd
	v_add_co_ci_u32_e64 v13, null, s47, v13, vcc_lo
	global_load_b64 v[12:13], v[12:13], off
	s_wait_loadcnt 0x0
	v_fma_f64 v[14:15], v[10:11], v[12:13], v[14:15]
.LBB65_48:                              ;   in Loop: Header=BB65_5 Depth=1
	s_or_b32 s48, s55, exec_lo
.LBB65_49:                              ;   in Loop: Header=BB65_5 Depth=1
	s_wait_alu 0xfffe
	s_or_b32 exec_lo, exec_lo, s8
	s_delay_alu instid0(SALU_CYCLE_1)
	s_and_not1_b32 s8, s55, exec_lo
	s_and_b32 s48, s48, exec_lo
	s_wait_alu 0xfffe
	s_or_b32 s55, s8, s48
.LBB65_50:                              ;   in Loop: Header=BB65_5 Depth=1
	s_wait_alu 0xfffe
	s_or_b32 exec_lo, exec_lo, s7
	v_dual_mov_b32 v11, v5 :: v_dual_mov_b32 v10, v4
	s_and_saveexec_b32 s7, s55
	s_cbranch_execz .LBB65_3
.LBB65_51:                              ;   in Loop: Header=BB65_5 Depth=1
	s_delay_alu instid0(VALU_DEP_1) | instskip(SKIP_1) | instid1(VALU_DEP_1)
	v_lshlrev_b64_e32 v[10:11], 3, v[10:11]
	s_wait_alu 0xfffe
	v_add_co_u32 v10, vcc_lo, s46, v10
	s_wait_alu 0xfffd
	s_delay_alu instid0(VALU_DEP_2)
	v_add_co_ci_u32_e64 v11, null, s47, v11, vcc_lo
	global_store_b64 v[10:11], v[14:15], off
	s_branch .LBB65_3
.LBB65_52:
	s_nop 0
	s_sendmsg sendmsg(MSG_DEALLOC_VGPRS)
	s_endpgm
	.section	.rodata,"a",@progbits
	.p2align	6, 0x0
	.amdhsa_kernel _ZL20rocblas_gemvn_kernelILi64ELi16EldPKddEviiT3_lPKT2_lT1_lS5_lS6_lS2_lPT4_lS6_li
		.amdhsa_group_segment_fixed_size 32768
		.amdhsa_private_segment_fixed_size 0
		.amdhsa_kernarg_size 400
		.amdhsa_user_sgpr_count 2
		.amdhsa_user_sgpr_dispatch_ptr 0
		.amdhsa_user_sgpr_queue_ptr 0
		.amdhsa_user_sgpr_kernarg_segment_ptr 1
		.amdhsa_user_sgpr_dispatch_id 0
		.amdhsa_user_sgpr_private_segment_size 0
		.amdhsa_wavefront_size32 1
		.amdhsa_uses_dynamic_stack 0
		.amdhsa_enable_private_segment 0
		.amdhsa_system_sgpr_workgroup_id_x 1
		.amdhsa_system_sgpr_workgroup_id_y 0
		.amdhsa_system_sgpr_workgroup_id_z 1
		.amdhsa_system_sgpr_workgroup_info 0
		.amdhsa_system_vgpr_workitem_id 1
		.amdhsa_next_free_vgpr 97
		.amdhsa_next_free_sgpr 59
		.amdhsa_reserve_vcc 1
		.amdhsa_float_round_mode_32 0
		.amdhsa_float_round_mode_16_64 0
		.amdhsa_float_denorm_mode_32 3
		.amdhsa_float_denorm_mode_16_64 3
		.amdhsa_fp16_overflow 0
		.amdhsa_workgroup_processor_mode 1
		.amdhsa_memory_ordered 1
		.amdhsa_forward_progress 1
		.amdhsa_inst_pref_size 32
		.amdhsa_round_robin_scheduling 0
		.amdhsa_exception_fp_ieee_invalid_op 0
		.amdhsa_exception_fp_denorm_src 0
		.amdhsa_exception_fp_ieee_div_zero 0
		.amdhsa_exception_fp_ieee_overflow 0
		.amdhsa_exception_fp_ieee_underflow 0
		.amdhsa_exception_fp_ieee_inexact 0
		.amdhsa_exception_int_div_zero 0
	.end_amdhsa_kernel
	.section	.text._ZL20rocblas_gemvn_kernelILi64ELi16EldPKddEviiT3_lPKT2_lT1_lS5_lS6_lS2_lPT4_lS6_li,"axG",@progbits,_ZL20rocblas_gemvn_kernelILi64ELi16EldPKddEviiT3_lPKT2_lT1_lS5_lS6_lS2_lPT4_lS6_li,comdat
.Lfunc_end65:
	.size	_ZL20rocblas_gemvn_kernelILi64ELi16EldPKddEviiT3_lPKT2_lT1_lS5_lS6_lS2_lPT4_lS6_li, .Lfunc_end65-_ZL20rocblas_gemvn_kernelILi64ELi16EldPKddEviiT3_lPKT2_lT1_lS5_lS6_lS2_lPT4_lS6_li
                                        ; -- End function
	.set _ZL20rocblas_gemvn_kernelILi64ELi16EldPKddEviiT3_lPKT2_lT1_lS5_lS6_lS2_lPT4_lS6_li.num_vgpr, 97
	.set _ZL20rocblas_gemvn_kernelILi64ELi16EldPKddEviiT3_lPKT2_lT1_lS5_lS6_lS2_lPT4_lS6_li.num_agpr, 0
	.set _ZL20rocblas_gemvn_kernelILi64ELi16EldPKddEviiT3_lPKT2_lT1_lS5_lS6_lS2_lPT4_lS6_li.numbered_sgpr, 59
	.set _ZL20rocblas_gemvn_kernelILi64ELi16EldPKddEviiT3_lPKT2_lT1_lS5_lS6_lS2_lPT4_lS6_li.num_named_barrier, 0
	.set _ZL20rocblas_gemvn_kernelILi64ELi16EldPKddEviiT3_lPKT2_lT1_lS5_lS6_lS2_lPT4_lS6_li.private_seg_size, 0
	.set _ZL20rocblas_gemvn_kernelILi64ELi16EldPKddEviiT3_lPKT2_lT1_lS5_lS6_lS2_lPT4_lS6_li.uses_vcc, 1
	.set _ZL20rocblas_gemvn_kernelILi64ELi16EldPKddEviiT3_lPKT2_lT1_lS5_lS6_lS2_lPT4_lS6_li.uses_flat_scratch, 0
	.set _ZL20rocblas_gemvn_kernelILi64ELi16EldPKddEviiT3_lPKT2_lT1_lS5_lS6_lS2_lPT4_lS6_li.has_dyn_sized_stack, 0
	.set _ZL20rocblas_gemvn_kernelILi64ELi16EldPKddEviiT3_lPKT2_lT1_lS5_lS6_lS2_lPT4_lS6_li.has_recursion, 0
	.set _ZL20rocblas_gemvn_kernelILi64ELi16EldPKddEviiT3_lPKT2_lT1_lS5_lS6_lS2_lPT4_lS6_li.has_indirect_call, 0
	.section	.AMDGPU.csdata,"",@progbits
; Kernel info:
; codeLenInByte = 4040
; TotalNumSgprs: 61
; NumVgprs: 97
; ScratchSize: 0
; MemoryBound: 1
; FloatMode: 240
; IeeeMode: 1
; LDSByteSize: 32768 bytes/workgroup (compile time only)
; SGPRBlocks: 0
; VGPRBlocks: 12
; NumSGPRsForWavesPerEU: 61
; NumVGPRsForWavesPerEU: 97
; Occupancy: 12
; WaveLimiterHint : 1
; COMPUTE_PGM_RSRC2:SCRATCH_EN: 0
; COMPUTE_PGM_RSRC2:USER_SGPR: 2
; COMPUTE_PGM_RSRC2:TRAP_HANDLER: 0
; COMPUTE_PGM_RSRC2:TGID_X_EN: 1
; COMPUTE_PGM_RSRC2:TGID_Y_EN: 0
; COMPUTE_PGM_RSRC2:TGID_Z_EN: 1
; COMPUTE_PGM_RSRC2:TIDIG_COMP_CNT: 1
	.section	.text._ZL20rocblas_gemvn_kernelILi64ELi16EidddEviiT3_lPKT2_lT1_lS3_lS4_lS0_lPT4_lS4_li,"axG",@progbits,_ZL20rocblas_gemvn_kernelILi64ELi16EidddEviiT3_lPKT2_lT1_lS3_lS4_lS0_lPT4_lS4_li,comdat
	.globl	_ZL20rocblas_gemvn_kernelILi64ELi16EidddEviiT3_lPKT2_lT1_lS3_lS4_lS0_lPT4_lS4_li ; -- Begin function _ZL20rocblas_gemvn_kernelILi64ELi16EidddEviiT3_lPKT2_lT1_lS3_lS4_lS0_lPT4_lS4_li
	.p2align	8
	.type	_ZL20rocblas_gemvn_kernelILi64ELi16EidddEviiT3_lPKT2_lT1_lS3_lS4_lS0_lPT4_lS4_li,@function
_ZL20rocblas_gemvn_kernelILi64ELi16EidddEviiT3_lPKT2_lT1_lS3_lS4_lS0_lPT4_lS4_li: ; @_ZL20rocblas_gemvn_kernelILi64ELi16EidddEviiT3_lPKT2_lT1_lS3_lS4_lS0_lPT4_lS4_li
; %bb.0:
	s_load_b64 s[2:3], s[0:1], 0x9c
	s_wait_kmcnt 0x0
	s_lshr_b32 s4, s2, 16
	s_and_b32 s2, s2, 0xffff
	s_and_b32 s3, s3, 0xffff
	s_mul_i32 s2, s4, s2
	s_delay_alu instid0(SALU_CYCLE_1) | instskip(NEXT) | instid1(SALU_CYCLE_1)
	s_mul_i32 s2, s2, s3
	s_cmp_lg_u32 s2, 0x400
	s_cbranch_scc1 .LBB66_53
; %bb.1:
	s_load_b32 s31, s[0:1], 0x88
	s_lshr_b32 s34, ttmp7, 16
	s_wait_kmcnt 0x0
	s_cmp_ge_u32 s34, s31
	s_cbranch_scc1 .LBB66_53
; %bb.2:
	s_clause 0x8
	s_load_b128 s[8:11], s[0:1], 0x0
	s_load_b128 s[12:15], s[0:1], 0x50
	s_load_b96 s[28:30], s[0:1], 0x40
	s_load_b128 s[20:23], s[0:1], 0x18
	s_load_b32 s33, s[0:1], 0x28
	s_load_b128 s[16:19], s[0:1], 0x30
	s_load_b128 s[24:27], s[0:1], 0x68
	s_load_b32 s39, s[0:1], 0x78
	s_load_b64 s[36:37], s[0:1], 0x80
	v_dual_mov_b32 v4, 0 :: v_dual_and_b32 v7, 0x3ff, v0
	v_bfe_u32 v8, v0, 10, 10
	s_lshl_b32 s38, ttmp9, 8
	s_mov_b32 s35, 0
	s_delay_alu instid0(VALU_DEP_2) | instskip(SKIP_2) | instid1(VALU_DEP_3)
	v_add_nc_u32_e32 v57, s38, v7
	v_lshlrev_b32_e32 v1, 3, v7
	v_lshl_add_u32 v0, v8, 6, v7
	v_add_nc_u32_e32 v2, 64, v57
	s_delay_alu instid0(VALU_DEP_3) | instskip(NEXT) | instid1(VALU_DEP_3)
	v_lshl_add_u32 v59, v8, 11, v1
	v_add_nc_u32_e32 v3, s38, v0
	s_wait_kmcnt 0x0
	v_cmp_neq_f64_e64 s40, s[10:11], 0
	v_cmp_neq_f64_e64 s41, s[14:15], 1.0
	v_or_b32_e32 v9, s38, v0
	v_cmp_gt_u32_e64 s0, 0x100, v0
	v_lshl_add_u32 v60, v8, 9, v1
	s_ashr_i32 s42, s39, 31
	v_mad_co_u64_u32 v[0:1], null, s39, v3, 0
	v_cmp_gt_i32_e64 s2, s8, v2
	v_mul_lo_u32 v2, s39, v9
	v_add_nc_u32_e32 v5, 0x80, v57
	v_add_nc_u32_e32 v6, 0xc0, v57
	v_cmp_gt_i32_e64 s5, s8, v9
	s_lshl_b64 s[6:7], s[22:23], 3
	s_lshl_b64 s[22:23], s[28:29], 3
	v_cmp_gt_i32_e64 s3, s8, v5
	v_cmp_gt_i32_e64 s4, s8, v6
	v_mad_co_u64_u32 v[5:6], null, s42, v3, v[1:2]
	v_lshlrev_b32_e32 v58, 2, v8
	s_ashr_i32 s29, s8, 31
	s_mov_b32 s28, s8
	v_mul_lo_u32 v11, v8, s33
	v_cmp_gt_i64_e32 vcc_lo, s[28:29], v[3:4]
	s_ashr_i32 s43, s9, 31
	s_delay_alu instid0(VALU_DEP_4)
	v_mov_b32_e32 v1, v5
	v_mul_lo_u32 v9, s33, v58
	v_or_b32_e32 v10, 2, v58
	s_lshl_b64 s[26:27], s[26:27], 3
	s_add_nc_u64 s[20:21], s[20:21], s[6:7]
	s_wait_alu 0xfffe
	s_lshr_b32 s6, s43, 26
	v_cmp_gt_i32_e64 s1, s8, v57
	v_mad_co_u64_u32 v[4:5], null, s33, v10, v[7:8]
	v_mul_lo_u32 v8, v8, s30
	v_add3_u32 v61, v9, s33, v7
	v_or_b32_e32 v9, 3, v58
	s_add_nc_u64 s[18:19], s[18:19], s[22:23]
	s_add_co_i32 s8, s9, s6
	s_or_b32 s39, s40, s41
	v_cmp_eq_f64_e64 s40, s[10:11], 0
	v_cmp_neq_f64_e64 s41, s[14:15], 0
	s_add_nc_u64 s[22:23], s[24:25], s[26:27]
	s_mov_b32 s24, s30
	v_mad_co_u64_u32 v[5:6], null, s33, v9, v[7:8]
	s_wait_alu 0xfffe
	s_and_not1_b32 s8, s8, 63
	v_lshl_add_u32 v62, v11, 2, v7
	v_mad_co_u64_u32 v[6:7], null, s30, v58, s[24:25]
	v_mul_lo_u32 v63, s30, v10
	v_mul_lo_u32 v64, s30, v9
	s_wait_alu 0xfffe
	s_sub_co_i32 s7, s9, s8
	v_lshlrev_b32_e32 v65, 2, v8
	v_lshlrev_b64_e32 v[7:8], 3, v[0:1]
	v_cmp_gt_i32_e64 s6, s8, v58
	v_ashrrev_i32_e32 v3, 31, v2
	s_cmp_gt_i32 s7, 0
	s_cselect_b32 s42, -1, 0
	s_and_b32 s43, s0, vcc_lo
	s_lshl_b32 s44, s33, 6
	s_lshl_b32 s45, s30, 6
	s_branch .LBB66_5
.LBB66_3:                               ;   in Loop: Header=BB66_5 Depth=1
	s_wait_alu 0xfffe
	s_or_b32 exec_lo, exec_lo, s7
.LBB66_4:                               ;   in Loop: Header=BB66_5 Depth=1
	s_add_co_i32 s34, s34, 0x10000
	s_delay_alu instid0(SALU_CYCLE_1)
	s_cmp_lt_u32 s34, s31
	s_cbranch_scc0 .LBB66_53
.LBB66_5:                               ; =>This Loop Header: Depth=1
                                        ;     Child Loop BB66_21 Depth 2
	s_and_not1_b32 vcc_lo, exec_lo, s39
	s_wait_alu 0xfffe
	s_cbranch_vccnz .LBB66_4
; %bb.6:                                ;   in Loop: Header=BB66_5 Depth=1
	s_mul_u64 s[24:25], s[36:37], s[34:35]
	s_and_not1_b32 vcc_lo, exec_lo, s40
	s_wait_alu 0xfffe
	s_lshl_b64 s[24:25], s[24:25], 3
	s_wait_alu 0xfffe
	s_add_nc_u64 s[24:25], s[22:23], s[24:25]
	s_cbranch_vccnz .LBB66_10
; %bb.7:                                ;   in Loop: Header=BB66_5 Depth=1
	s_mov_b32 s7, 0
	s_mov_b32 s46, 0
                                        ; implicit-def: $vgpr9_vgpr10
	s_and_saveexec_b32 s26, s43
	s_cbranch_execz .LBB66_11
; %bb.8:                                ;   in Loop: Header=BB66_5 Depth=1
	s_and_not1_b32 vcc_lo, exec_lo, s41
	s_wait_alu 0xfffe
	s_cbranch_vccnz .LBB66_13
; %bb.9:                                ;   in Loop: Header=BB66_5 Depth=1
	v_add_co_u32 v9, vcc_lo, s24, v7
	s_wait_alu 0xfffd
	v_add_co_ci_u32_e64 v10, null, s25, v8, vcc_lo
	global_load_b64 v[9:10], v[9:10], off
	s_wait_loadcnt 0x0
	v_mul_f64_e32 v[9:10], s[14:15], v[9:10]
	s_branch .LBB66_14
.LBB66_10:                              ;   in Loop: Header=BB66_5 Depth=1
	s_mov_b32 s46, 0
                                        ; implicit-def: $vgpr9_vgpr10
	s_cbranch_execz .LBB66_12
	s_branch .LBB66_15
.LBB66_11:                              ;   in Loop: Header=BB66_5 Depth=1
	s_wait_alu 0xfffe
	s_or_b32 exec_lo, exec_lo, s26
	s_delay_alu instid0(SALU_CYCLE_1)
	s_and_b32 vcc_lo, exec_lo, s7
	s_wait_alu 0xfffe
	s_cbranch_vccnz .LBB66_15
.LBB66_12:                              ;   in Loop: Header=BB66_5 Depth=1
	v_dual_mov_b32 v12, v1 :: v_dual_mov_b32 v11, v0
	s_and_saveexec_b32 s7, s46
	s_cbranch_execz .LBB66_3
	s_branch .LBB66_52
.LBB66_13:                              ;   in Loop: Header=BB66_5 Depth=1
	v_mov_b32_e32 v9, 0
	v_mov_b32_e32 v10, 0
.LBB66_14:                              ;   in Loop: Header=BB66_5 Depth=1
	s_mov_b32 s46, exec_lo
	s_or_b32 exec_lo, exec_lo, s26
	s_delay_alu instid0(SALU_CYCLE_1)
	s_and_b32 vcc_lo, exec_lo, s7
	s_wait_alu 0xfffe
	s_cbranch_vccz .LBB66_12
.LBB66_15:                              ;   in Loop: Header=BB66_5 Depth=1
	v_mov_b32_e32 v9, 0
	v_mov_b32_e32 v13, 0
	s_mul_u64 s[26:27], s[16:17], s[34:35]
	s_mul_u64 s[28:29], s[12:13], s[34:35]
	v_dual_mov_b32 v10, 0 :: v_dual_mov_b32 v11, 0
	v_dual_mov_b32 v14, 0 :: v_dual_mov_b32 v15, 0
	v_mov_b32_e32 v12, 0
	v_mov_b32_e32 v16, 0
	;; [unrolled: 1-line block ×3, first 2 shown]
	s_wait_alu 0xfffe
	s_lshl_b64 s[26:27], s[26:27], 3
	s_lshl_b64 s[28:29], s[28:29], 3
	s_wait_alu 0xfffe
	s_add_nc_u64 s[26:27], s[20:21], s[26:27]
	s_add_nc_u64 s[28:29], s[18:19], s[28:29]
	s_and_saveexec_b32 s7, s6
	s_cbranch_execz .LBB66_27
; %bb.16:                               ;   in Loop: Header=BB66_5 Depth=1
	v_mov_b32_e32 v11, 0
	v_dual_mov_b32 v9, 0 :: v_dual_mov_b32 v68, v5
	v_dual_mov_b32 v12, 0 :: v_dual_mov_b32 v13, 0
	;; [unrolled: 1-line block ×5, first 2 shown]
	v_mov_b32_e32 v14, 0
	v_mov_b32_e32 v16, 0
	s_mov_b32 s47, 0
	s_mov_b32 s48, 0
	s_branch .LBB66_21
.LBB66_17:                              ;   in Loop: Header=BB66_21 Depth=2
	s_or_b32 exec_lo, exec_lo, s52
	s_wait_loadcnt 0x3
	v_fma_f64 v[13:14], v[17:18], v[49:50], v[13:14]
	s_wait_loadcnt 0x2
	s_delay_alu instid0(VALU_DEP_1) | instskip(SKIP_1) | instid1(VALU_DEP_1)
	v_fma_f64 v[13:14], v[19:20], v[51:52], v[13:14]
	s_wait_loadcnt 0x1
	v_fma_f64 v[13:14], v[21:22], v[53:54], v[13:14]
	s_wait_loadcnt 0x0
	s_delay_alu instid0(VALU_DEP_1)
	v_fma_f64 v[13:14], v[23:24], v[55:56], v[13:14]
.LBB66_18:                              ;   in Loop: Header=BB66_21 Depth=2
	s_or_b32 exec_lo, exec_lo, s51
	s_wait_loadcnt 0x3
	v_fma_f64 v[11:12], v[17:18], v[41:42], v[11:12]
	s_wait_loadcnt 0x2
	s_delay_alu instid0(VALU_DEP_1) | instskip(SKIP_1) | instid1(VALU_DEP_1)
	v_fma_f64 v[11:12], v[19:20], v[43:44], v[11:12]
	s_wait_loadcnt 0x1
	v_fma_f64 v[11:12], v[21:22], v[45:46], v[11:12]
	s_wait_loadcnt 0x0
	s_delay_alu instid0(VALU_DEP_1)
	v_fma_f64 v[11:12], v[23:24], v[47:48], v[11:12]
.LBB66_19:                              ;   in Loop: Header=BB66_21 Depth=2
	s_or_b32 exec_lo, exec_lo, s50
	s_wait_loadcnt 0x3
	v_fma_f64 v[9:10], v[17:18], v[25:26], v[9:10]
	s_wait_loadcnt 0x2
	s_delay_alu instid0(VALU_DEP_1) | instskip(SKIP_1) | instid1(VALU_DEP_1)
	v_fma_f64 v[9:10], v[19:20], v[27:28], v[9:10]
	s_wait_loadcnt 0x1
	v_fma_f64 v[9:10], v[21:22], v[29:30], v[9:10]
	s_wait_loadcnt 0x0
	s_delay_alu instid0(VALU_DEP_1)
	v_fma_f64 v[9:10], v[23:24], v[31:32], v[9:10]
.LBB66_20:                              ;   in Loop: Header=BB66_21 Depth=2
	s_wait_alu 0xfffe
	s_or_b32 exec_lo, exec_lo, s49
	v_add_nc_u32_e32 v66, 64, v66
	v_add_nc_u32_e32 v70, s44, v70
	;; [unrolled: 1-line block ×5, first 2 shown]
	v_cmp_le_i32_e32 vcc_lo, s8, v66
	s_add_co_i32 s48, s48, s45
	s_or_b32 s47, vcc_lo, s47
	s_delay_alu instid0(SALU_CYCLE_1)
	s_and_not1_b32 exec_lo, exec_lo, s47
	s_cbranch_execz .LBB66_26
.LBB66_21:                              ;   Parent Loop BB66_5 Depth=1
                                        ; =>  This Inner Loop Header: Depth=2
	s_and_saveexec_b32 s49, s1
	s_cbranch_execz .LBB66_20
; %bb.22:                               ;   in Loop: Header=BB66_21 Depth=2
	s_wait_alu 0xfffe
	v_add_nc_u32_e32 v17, s48, v65
	v_add_nc_u32_e32 v19, s48, v6
	;; [unrolled: 1-line block ×5, first 2 shown]
	v_ashrrev_i32_e32 v18, 31, v17
	v_ashrrev_i32_e32 v20, 31, v19
	;; [unrolled: 1-line block ×3, first 2 shown]
	v_add_nc_u32_e32 v27, s38, v70
	v_ashrrev_i32_e32 v24, 31, v23
	v_lshlrev_b64_e32 v[17:18], 3, v[17:18]
	v_lshlrev_b64_e32 v[19:20], 3, v[19:20]
	v_ashrrev_i32_e32 v26, 31, v25
	v_lshlrev_b64_e32 v[21:22], 3, v[21:22]
	v_ashrrev_i32_e32 v28, 31, v27
	v_lshlrev_b64_e32 v[23:24], 3, v[23:24]
	v_add_co_u32 v17, vcc_lo, s28, v17
	v_add_nc_u32_e32 v29, s38, v69
	s_wait_alu 0xfffd
	v_add_co_ci_u32_e64 v18, null, s29, v18, vcc_lo
	v_add_co_u32 v19, vcc_lo, s28, v19
	v_lshlrev_b64_e32 v[25:26], 3, v[25:26]
	v_add_nc_u32_e32 v31, s38, v68
	s_wait_alu 0xfffd
	v_add_co_ci_u32_e64 v20, null, s29, v20, vcc_lo
	v_add_co_u32 v21, vcc_lo, s28, v21
	v_lshlrev_b64_e32 v[27:28], 3, v[27:28]
	v_ashrrev_i32_e32 v30, 31, v29
	s_wait_alu 0xfffd
	v_add_co_ci_u32_e64 v22, null, s29, v22, vcc_lo
	v_add_co_u32 v23, vcc_lo, s28, v23
	v_ashrrev_i32_e32 v32, 31, v31
	s_wait_alu 0xfffd
	v_add_co_ci_u32_e64 v24, null, s29, v24, vcc_lo
	v_add_co_u32 v33, vcc_lo, s26, v25
	s_wait_alu 0xfffd
	v_add_co_ci_u32_e64 v34, null, s27, v26, vcc_lo
	v_lshlrev_b64_e32 v[25:26], 3, v[29:30]
	v_add_co_u32 v35, vcc_lo, s26, v27
	s_wait_alu 0xfffd
	v_add_co_ci_u32_e64 v36, null, s27, v28, vcc_lo
	v_lshlrev_b64_e32 v[27:28], 3, v[31:32]
	s_delay_alu instid0(VALU_DEP_4) | instskip(SKIP_2) | instid1(VALU_DEP_3)
	v_add_co_u32 v37, vcc_lo, s26, v25
	s_wait_alu 0xfffd
	v_add_co_ci_u32_e64 v38, null, s27, v26, vcc_lo
	v_add_co_u32 v39, vcc_lo, s26, v27
	s_wait_alu 0xfffd
	v_add_co_ci_u32_e64 v40, null, s27, v28, vcc_lo
	s_clause 0x3
	global_load_b64 v[17:18], v[17:18], off
	global_load_b64 v[19:20], v[19:20], off
	;; [unrolled: 1-line block ×4, first 2 shown]
	s_clause 0x3
	global_load_b64 v[25:26], v[33:34], off
	global_load_b64 v[27:28], v[35:36], off
	;; [unrolled: 1-line block ×4, first 2 shown]
	s_and_saveexec_b32 s50, s2
	s_cbranch_execz .LBB66_19
; %bb.23:                               ;   in Loop: Header=BB66_21 Depth=2
	s_clause 0x3
	global_load_b64 v[41:42], v[33:34], off offset:512
	global_load_b64 v[43:44], v[35:36], off offset:512
	global_load_b64 v[45:46], v[37:38], off offset:512
	global_load_b64 v[47:48], v[39:40], off offset:512
	s_and_saveexec_b32 s51, s3
	s_cbranch_execz .LBB66_18
; %bb.24:                               ;   in Loop: Header=BB66_21 Depth=2
	s_clause 0x3
	global_load_b64 v[49:50], v[33:34], off offset:1024
	global_load_b64 v[51:52], v[35:36], off offset:1024
	global_load_b64 v[53:54], v[37:38], off offset:1024
	global_load_b64 v[55:56], v[39:40], off offset:1024
	;; [unrolled: 8-line block ×3, first 2 shown]
	s_wait_loadcnt 0x3
	v_fma_f64 v[15:16], v[17:18], v[33:34], v[15:16]
	s_wait_loadcnt 0x2
	s_delay_alu instid0(VALU_DEP_1) | instskip(SKIP_1) | instid1(VALU_DEP_1)
	v_fma_f64 v[15:16], v[19:20], v[35:36], v[15:16]
	s_wait_loadcnt 0x1
	v_fma_f64 v[15:16], v[21:22], v[37:38], v[15:16]
	s_wait_loadcnt 0x0
	s_delay_alu instid0(VALU_DEP_1)
	v_fma_f64 v[15:16], v[23:24], v[39:40], v[15:16]
	s_branch .LBB66_17
.LBB66_26:                              ;   in Loop: Header=BB66_5 Depth=1
	s_or_b32 exec_lo, exec_lo, s47
.LBB66_27:                              ;   in Loop: Header=BB66_5 Depth=1
	s_wait_alu 0xfffe
	s_or_b32 exec_lo, exec_lo, s7
	s_delay_alu instid0(SALU_CYCLE_1)
	s_and_not1_b32 vcc_lo, exec_lo, s42
	s_wait_alu 0xfffe
	s_cbranch_vccnz .LBB66_45
; %bb.28:                               ;   in Loop: Header=BB66_5 Depth=1
	v_mov_b32_e32 v23, 0
	v_dual_mov_b32 v19, 0 :: v_dual_mov_b32 v24, 0
	v_dual_mov_b32 v21, 0 :: v_dual_mov_b32 v20, 0
	v_mov_b32_e32 v17, 0
	v_cmp_gt_i32_e32 vcc_lo, s9, v66
	v_mov_b32_e32 v22, 0
	v_mov_b32_e32 v18, 0
	v_or_b32_e32 v25, 1, v66
	s_and_saveexec_b32 s47, vcc_lo
	s_cbranch_execz .LBB66_36
; %bb.29:                               ;   in Loop: Header=BB66_5 Depth=1
	v_mul_lo_u32 v17, v66, s30
	v_mov_b32_e32 v19, 0
	v_dual_mov_b32 v20, 0 :: v_dual_mov_b32 v21, 0
	v_dual_mov_b32 v23, 0 :: v_dual_mov_b32 v22, 0
	v_mov_b32_e32 v24, 0
	s_mov_b32 s48, exec_lo
	v_ashrrev_i32_e32 v18, 31, v17
	s_delay_alu instid0(VALU_DEP_1) | instskip(NEXT) | instid1(VALU_DEP_1)
	v_lshlrev_b64_e32 v[17:18], 3, v[17:18]
	v_add_co_u32 v17, s7, s28, v17
	s_wait_alu 0xf1ff
	s_delay_alu instid0(VALU_DEP_2)
	v_add_co_ci_u32_e64 v18, null, s29, v18, s7
	global_load_b64 v[17:18], v[17:18], off
	v_cmpx_gt_i32_e64 s9, v25
	s_cbranch_execz .LBB66_35
; %bb.30:                               ;   in Loop: Header=BB66_5 Depth=1
	v_mul_lo_u32 v19, v25, s30
	v_mov_b32_e32 v21, 0
	v_dual_mov_b32 v22, 0 :: v_dual_mov_b32 v23, 0
	v_or_b32_e32 v26, 2, v66
	v_mov_b32_e32 v24, 0
	s_mov_b32 s49, exec_lo
	v_ashrrev_i32_e32 v20, 31, v19
	s_delay_alu instid0(VALU_DEP_1) | instskip(NEXT) | instid1(VALU_DEP_1)
	v_lshlrev_b64_e32 v[19:20], 3, v[19:20]
	v_add_co_u32 v19, s7, s28, v19
	s_wait_alu 0xf1ff
	s_delay_alu instid0(VALU_DEP_2)
	v_add_co_ci_u32_e64 v20, null, s29, v20, s7
	global_load_b64 v[19:20], v[19:20], off
	v_cmpx_gt_i32_e64 s9, v26
	s_cbranch_execz .LBB66_34
; %bb.31:                               ;   in Loop: Header=BB66_5 Depth=1
	v_mul_lo_u32 v21, v26, s30
	v_mov_b32_e32 v23, 0
	v_or_b32_e32 v26, 3, v66
	v_mov_b32_e32 v24, 0
	s_mov_b32 s50, exec_lo
	s_delay_alu instid0(VALU_DEP_4) | instskip(NEXT) | instid1(VALU_DEP_1)
	v_ashrrev_i32_e32 v22, 31, v21
	v_lshlrev_b64_e32 v[21:22], 3, v[21:22]
	s_delay_alu instid0(VALU_DEP_1) | instskip(SKIP_1) | instid1(VALU_DEP_2)
	v_add_co_u32 v21, s7, s28, v21
	s_wait_alu 0xf1ff
	v_add_co_ci_u32_e64 v22, null, s29, v22, s7
	global_load_b64 v[21:22], v[21:22], off
	v_cmpx_gt_i32_e64 s9, v26
	s_cbranch_execz .LBB66_33
; %bb.32:                               ;   in Loop: Header=BB66_5 Depth=1
	v_mul_lo_u32 v23, v26, s30
	s_delay_alu instid0(VALU_DEP_1) | instskip(NEXT) | instid1(VALU_DEP_1)
	v_ashrrev_i32_e32 v24, 31, v23
	v_lshlrev_b64_e32 v[23:24], 3, v[23:24]
	s_delay_alu instid0(VALU_DEP_1) | instskip(SKIP_1) | instid1(VALU_DEP_2)
	v_add_co_u32 v23, s7, s28, v23
	s_wait_alu 0xf1ff
	v_add_co_ci_u32_e64 v24, null, s29, v24, s7
	global_load_b64 v[23:24], v[23:24], off
.LBB66_33:                              ;   in Loop: Header=BB66_5 Depth=1
	s_or_b32 exec_lo, exec_lo, s50
.LBB66_34:                              ;   in Loop: Header=BB66_5 Depth=1
	s_wait_alu 0xfffe
	s_or_b32 exec_lo, exec_lo, s49
.LBB66_35:                              ;   in Loop: Header=BB66_5 Depth=1
	s_wait_alu 0xfffe
	s_or_b32 exec_lo, exec_lo, s48
.LBB66_36:                              ;   in Loop: Header=BB66_5 Depth=1
	s_delay_alu instid0(SALU_CYCLE_1)
	s_or_b32 exec_lo, exec_lo, s47
	s_and_saveexec_b32 s7, s1
	s_cbranch_execz .LBB66_44
; %bb.37:                               ;   in Loop: Header=BB66_5 Depth=1
	v_mul_lo_u32 v27, v66, s33
	v_or_b32_e32 v26, 2, v66
	v_mul_lo_u32 v29, v25, s33
	v_or_b32_e32 v28, 3, v66
	s_delay_alu instid0(VALU_DEP_3) | instskip(NEXT) | instid1(VALU_DEP_2)
	v_mul_lo_u32 v30, v26, s33
	v_mul_lo_u32 v31, v28, s33
	v_cndmask_b32_e32 v27, 0, v27, vcc_lo
	v_cmp_gt_i32_e32 vcc_lo, s9, v25
	s_wait_alu 0xfffd
	v_cndmask_b32_e32 v29, 0, v29, vcc_lo
	v_cmp_gt_i32_e32 vcc_lo, s9, v26
	s_wait_alu 0xfffd
	;; [unrolled: 3-line block ×3, first 2 shown]
	v_dual_cndmask_b32 v28, 0, v31 :: v_dual_add_nc_u32 v25, v27, v57
	v_add_nc_u32_e32 v27, v29, v57
	v_add_nc_u32_e32 v29, v26, v57
	s_delay_alu instid0(VALU_DEP_3) | instskip(NEXT) | instid1(VALU_DEP_4)
	v_ashrrev_i32_e32 v26, 31, v25
	v_add_nc_u32_e32 v31, v28, v57
	s_delay_alu instid0(VALU_DEP_4) | instskip(NEXT) | instid1(VALU_DEP_4)
	v_ashrrev_i32_e32 v28, 31, v27
	v_ashrrev_i32_e32 v30, 31, v29
	s_delay_alu instid0(VALU_DEP_4) | instskip(NEXT) | instid1(VALU_DEP_4)
	v_lshlrev_b64_e32 v[25:26], 3, v[25:26]
	v_ashrrev_i32_e32 v32, 31, v31
	s_delay_alu instid0(VALU_DEP_4) | instskip(NEXT) | instid1(VALU_DEP_4)
	v_lshlrev_b64_e32 v[27:28], 3, v[27:28]
	v_lshlrev_b64_e32 v[29:30], 3, v[29:30]
	s_delay_alu instid0(VALU_DEP_4) | instskip(NEXT) | instid1(VALU_DEP_4)
	v_add_co_u32 v41, vcc_lo, s26, v25
	v_lshlrev_b64_e32 v[31:32], 3, v[31:32]
	s_wait_alu 0xfffd
	v_add_co_ci_u32_e64 v42, null, s27, v26, vcc_lo
	v_add_co_u32 v43, vcc_lo, s26, v27
	s_wait_alu 0xfffd
	v_add_co_ci_u32_e64 v44, null, s27, v28, vcc_lo
	v_add_co_u32 v45, vcc_lo, s26, v29
	;; [unrolled: 3-line block ×3, first 2 shown]
	s_wait_alu 0xfffd
	v_add_co_ci_u32_e64 v48, null, s27, v32, vcc_lo
	s_clause 0x3
	global_load_b64 v[25:26], v[41:42], off
	global_load_b64 v[27:28], v[43:44], off
	;; [unrolled: 1-line block ×4, first 2 shown]
	s_and_saveexec_b32 s26, s2
	s_cbranch_execz .LBB66_43
; %bb.38:                               ;   in Loop: Header=BB66_5 Depth=1
	s_clause 0x3
	global_load_b64 v[33:34], v[41:42], off offset:512
	global_load_b64 v[35:36], v[43:44], off offset:512
	global_load_b64 v[37:38], v[45:46], off offset:512
	global_load_b64 v[39:40], v[47:48], off offset:512
	s_and_saveexec_b32 s27, s3
	s_cbranch_execz .LBB66_42
; %bb.39:                               ;   in Loop: Header=BB66_5 Depth=1
	s_clause 0x3
	global_load_b64 v[49:50], v[41:42], off offset:1024
	global_load_b64 v[51:52], v[43:44], off offset:1024
	global_load_b64 v[53:54], v[45:46], off offset:1024
	global_load_b64 v[55:56], v[47:48], off offset:1024
	;; [unrolled: 8-line block ×3, first 2 shown]
	s_wait_loadcnt 0x3
	v_fma_f64 v[15:16], v[17:18], v[41:42], v[15:16]
	s_wait_loadcnt 0x2
	s_delay_alu instid0(VALU_DEP_1) | instskip(SKIP_1) | instid1(VALU_DEP_1)
	v_fma_f64 v[15:16], v[19:20], v[43:44], v[15:16]
	s_wait_loadcnt 0x1
	v_fma_f64 v[15:16], v[21:22], v[45:46], v[15:16]
	s_wait_loadcnt 0x0
	s_delay_alu instid0(VALU_DEP_1)
	v_fma_f64 v[15:16], v[23:24], v[47:48], v[15:16]
.LBB66_41:                              ;   in Loop: Header=BB66_5 Depth=1
	s_wait_alu 0xfffe
	s_or_b32 exec_lo, exec_lo, s28
	s_wait_loadcnt 0x3
	v_fma_f64 v[13:14], v[17:18], v[49:50], v[13:14]
	s_wait_loadcnt 0x2
	s_delay_alu instid0(VALU_DEP_1) | instskip(SKIP_1) | instid1(VALU_DEP_1)
	v_fma_f64 v[13:14], v[19:20], v[51:52], v[13:14]
	s_wait_loadcnt 0x1
	v_fma_f64 v[13:14], v[21:22], v[53:54], v[13:14]
	s_wait_loadcnt 0x0
	s_delay_alu instid0(VALU_DEP_1)
	v_fma_f64 v[13:14], v[23:24], v[55:56], v[13:14]
.LBB66_42:                              ;   in Loop: Header=BB66_5 Depth=1
	s_wait_alu 0xfffe
	s_or_b32 exec_lo, exec_lo, s27
	s_wait_loadcnt 0x3
	v_fma_f64 v[11:12], v[17:18], v[33:34], v[11:12]
	s_wait_loadcnt 0x2
	s_delay_alu instid0(VALU_DEP_1) | instskip(SKIP_1) | instid1(VALU_DEP_1)
	v_fma_f64 v[11:12], v[19:20], v[35:36], v[11:12]
	s_wait_loadcnt 0x1
	v_fma_f64 v[11:12], v[21:22], v[37:38], v[11:12]
	s_wait_loadcnt 0x0
	s_delay_alu instid0(VALU_DEP_1)
	v_fma_f64 v[11:12], v[23:24], v[39:40], v[11:12]
.LBB66_43:                              ;   in Loop: Header=BB66_5 Depth=1
	s_wait_alu 0xfffe
	s_or_b32 exec_lo, exec_lo, s26
	s_wait_loadcnt 0x3
	v_fma_f64 v[9:10], v[17:18], v[25:26], v[9:10]
	s_wait_loadcnt 0x2
	s_delay_alu instid0(VALU_DEP_1) | instskip(SKIP_1) | instid1(VALU_DEP_1)
	v_fma_f64 v[9:10], v[19:20], v[27:28], v[9:10]
	s_wait_loadcnt 0x1
	v_fma_f64 v[9:10], v[21:22], v[29:30], v[9:10]
	s_wait_loadcnt 0x0
	s_delay_alu instid0(VALU_DEP_1)
	v_fma_f64 v[9:10], v[23:24], v[31:32], v[9:10]
.LBB66_44:                              ;   in Loop: Header=BB66_5 Depth=1
	s_wait_alu 0xfffe
	s_or_b32 exec_lo, exec_lo, s7
.LBB66_45:                              ;   in Loop: Header=BB66_5 Depth=1
	ds_store_2addr_stride64_b64 v59, v[9:10], v[11:12] offset1:1
	ds_store_2addr_stride64_b64 v59, v[13:14], v[15:16] offset0:2 offset1:3
	s_wait_loadcnt_dscnt 0x0
	s_barrier_signal -1
	s_barrier_wait -1
	global_inv scope:SCOPE_SE
                                        ; implicit-def: $vgpr9_vgpr10
	s_and_saveexec_b32 s7, s0
	s_cbranch_execz .LBB66_51
; %bb.46:                               ;   in Loop: Header=BB66_5 Depth=1
	ds_load_2addr_stride64_b64 v[9:12], v60 offset1:4
	s_mov_b32 s27, s46
	s_wait_dscnt 0x0
	v_add_f64_e32 v[13:14], v[9:10], v[11:12]
	ds_load_2addr_stride64_b64 v[9:12], v60 offset0:8 offset1:12
	s_wait_dscnt 0x0
	v_add_f64_e32 v[9:10], v[9:10], v[13:14]
	s_delay_alu instid0(VALU_DEP_1) | instskip(SKIP_3) | instid1(VALU_DEP_1)
	v_add_f64_e32 v[13:14], v[11:12], v[9:10]
	ds_load_2addr_stride64_b64 v[9:12], v60 offset0:16 offset1:20
	s_wait_dscnt 0x0
	v_add_f64_e32 v[9:10], v[9:10], v[13:14]
	v_add_f64_e32 v[13:14], v[11:12], v[9:10]
	ds_load_2addr_stride64_b64 v[9:12], v60 offset0:24 offset1:28
	s_wait_dscnt 0x0
	v_add_f64_e32 v[9:10], v[9:10], v[13:14]
	s_delay_alu instid0(VALU_DEP_1) | instskip(SKIP_3) | instid1(VALU_DEP_1)
	v_add_f64_e32 v[13:14], v[11:12], v[9:10]
	ds_load_2addr_stride64_b64 v[9:12], v60 offset0:32 offset1:36
	s_wait_dscnt 0x0
	v_add_f64_e32 v[9:10], v[9:10], v[13:14]
	;; [unrolled: 9-line block ×3, first 2 shown]
	v_add_f64_e32 v[13:14], v[11:12], v[9:10]
	ds_load_2addr_stride64_b64 v[9:12], v60 offset0:56 offset1:60
	s_wait_dscnt 0x0
	v_add_f64_e32 v[9:10], v[9:10], v[13:14]
	s_delay_alu instid0(VALU_DEP_1)
	v_add_f64_e32 v[11:12], v[11:12], v[9:10]
                                        ; implicit-def: $vgpr9_vgpr10
	ds_store_b64 v60, v[11:12]
	s_and_saveexec_b32 s26, s5
	s_cbranch_execz .LBB66_50
; %bb.47:                               ;   in Loop: Header=BB66_5 Depth=1
	v_mul_f64_e32 v[9:10], s[10:11], v[11:12]
	s_and_not1_b32 vcc_lo, exec_lo, s41
	s_wait_alu 0xfffe
	s_cbranch_vccnz .LBB66_49
; %bb.48:                               ;   in Loop: Header=BB66_5 Depth=1
	v_lshlrev_b64_e32 v[11:12], 3, v[2:3]
	s_delay_alu instid0(VALU_DEP_1) | instskip(SKIP_1) | instid1(VALU_DEP_2)
	v_add_co_u32 v11, vcc_lo, s24, v11
	s_wait_alu 0xfffd
	v_add_co_ci_u32_e64 v12, null, s25, v12, vcc_lo
	global_load_b64 v[11:12], v[11:12], off
	s_wait_loadcnt 0x0
	v_fma_f64 v[9:10], s[14:15], v[11:12], v[9:10]
.LBB66_49:                              ;   in Loop: Header=BB66_5 Depth=1
	s_or_b32 s27, s46, exec_lo
.LBB66_50:                              ;   in Loop: Header=BB66_5 Depth=1
	s_wait_alu 0xfffe
	s_or_b32 exec_lo, exec_lo, s26
	s_delay_alu instid0(SALU_CYCLE_1)
	s_and_not1_b32 s26, s46, exec_lo
	s_and_b32 s27, s27, exec_lo
	s_wait_alu 0xfffe
	s_or_b32 s46, s26, s27
.LBB66_51:                              ;   in Loop: Header=BB66_5 Depth=1
	s_wait_alu 0xfffe
	s_or_b32 exec_lo, exec_lo, s7
	v_dual_mov_b32 v12, v3 :: v_dual_mov_b32 v11, v2
	s_and_saveexec_b32 s7, s46
	s_cbranch_execz .LBB66_3
.LBB66_52:                              ;   in Loop: Header=BB66_5 Depth=1
	s_delay_alu instid0(VALU_DEP_1) | instskip(SKIP_1) | instid1(VALU_DEP_1)
	v_lshlrev_b64_e32 v[11:12], 3, v[11:12]
	s_wait_alu 0xfffe
	v_add_co_u32 v11, vcc_lo, s24, v11
	s_wait_alu 0xfffd
	s_delay_alu instid0(VALU_DEP_2)
	v_add_co_ci_u32_e64 v12, null, s25, v12, vcc_lo
	global_store_b64 v[11:12], v[9:10], off
	s_branch .LBB66_3
.LBB66_53:
	s_endpgm
	.section	.rodata,"a",@progbits
	.p2align	6, 0x0
	.amdhsa_kernel _ZL20rocblas_gemvn_kernelILi64ELi16EidddEviiT3_lPKT2_lT1_lS3_lS4_lS0_lPT4_lS4_li
		.amdhsa_group_segment_fixed_size 32768
		.amdhsa_private_segment_fixed_size 0
		.amdhsa_kernarg_size 400
		.amdhsa_user_sgpr_count 2
		.amdhsa_user_sgpr_dispatch_ptr 0
		.amdhsa_user_sgpr_queue_ptr 0
		.amdhsa_user_sgpr_kernarg_segment_ptr 1
		.amdhsa_user_sgpr_dispatch_id 0
		.amdhsa_user_sgpr_private_segment_size 0
		.amdhsa_wavefront_size32 1
		.amdhsa_uses_dynamic_stack 0
		.amdhsa_enable_private_segment 0
		.amdhsa_system_sgpr_workgroup_id_x 1
		.amdhsa_system_sgpr_workgroup_id_y 0
		.amdhsa_system_sgpr_workgroup_id_z 1
		.amdhsa_system_sgpr_workgroup_info 0
		.amdhsa_system_vgpr_workitem_id 1
		.amdhsa_next_free_vgpr 71
		.amdhsa_next_free_sgpr 53
		.amdhsa_reserve_vcc 1
		.amdhsa_float_round_mode_32 0
		.amdhsa_float_round_mode_16_64 0
		.amdhsa_float_denorm_mode_32 3
		.amdhsa_float_denorm_mode_16_64 3
		.amdhsa_fp16_overflow 0
		.amdhsa_workgroup_processor_mode 1
		.amdhsa_memory_ordered 1
		.amdhsa_forward_progress 1
		.amdhsa_inst_pref_size 27
		.amdhsa_round_robin_scheduling 0
		.amdhsa_exception_fp_ieee_invalid_op 0
		.amdhsa_exception_fp_denorm_src 0
		.amdhsa_exception_fp_ieee_div_zero 0
		.amdhsa_exception_fp_ieee_overflow 0
		.amdhsa_exception_fp_ieee_underflow 0
		.amdhsa_exception_fp_ieee_inexact 0
		.amdhsa_exception_int_div_zero 0
	.end_amdhsa_kernel
	.section	.text._ZL20rocblas_gemvn_kernelILi64ELi16EidddEviiT3_lPKT2_lT1_lS3_lS4_lS0_lPT4_lS4_li,"axG",@progbits,_ZL20rocblas_gemvn_kernelILi64ELi16EidddEviiT3_lPKT2_lT1_lS3_lS4_lS0_lPT4_lS4_li,comdat
.Lfunc_end66:
	.size	_ZL20rocblas_gemvn_kernelILi64ELi16EidddEviiT3_lPKT2_lT1_lS3_lS4_lS0_lPT4_lS4_li, .Lfunc_end66-_ZL20rocblas_gemvn_kernelILi64ELi16EidddEviiT3_lPKT2_lT1_lS3_lS4_lS0_lPT4_lS4_li
                                        ; -- End function
	.set _ZL20rocblas_gemvn_kernelILi64ELi16EidddEviiT3_lPKT2_lT1_lS3_lS4_lS0_lPT4_lS4_li.num_vgpr, 71
	.set _ZL20rocblas_gemvn_kernelILi64ELi16EidddEviiT3_lPKT2_lT1_lS3_lS4_lS0_lPT4_lS4_li.num_agpr, 0
	.set _ZL20rocblas_gemvn_kernelILi64ELi16EidddEviiT3_lPKT2_lT1_lS3_lS4_lS0_lPT4_lS4_li.numbered_sgpr, 53
	.set _ZL20rocblas_gemvn_kernelILi64ELi16EidddEviiT3_lPKT2_lT1_lS3_lS4_lS0_lPT4_lS4_li.num_named_barrier, 0
	.set _ZL20rocblas_gemvn_kernelILi64ELi16EidddEviiT3_lPKT2_lT1_lS3_lS4_lS0_lPT4_lS4_li.private_seg_size, 0
	.set _ZL20rocblas_gemvn_kernelILi64ELi16EidddEviiT3_lPKT2_lT1_lS3_lS4_lS0_lPT4_lS4_li.uses_vcc, 1
	.set _ZL20rocblas_gemvn_kernelILi64ELi16EidddEviiT3_lPKT2_lT1_lS3_lS4_lS0_lPT4_lS4_li.uses_flat_scratch, 0
	.set _ZL20rocblas_gemvn_kernelILi64ELi16EidddEviiT3_lPKT2_lT1_lS3_lS4_lS0_lPT4_lS4_li.has_dyn_sized_stack, 0
	.set _ZL20rocblas_gemvn_kernelILi64ELi16EidddEviiT3_lPKT2_lT1_lS3_lS4_lS0_lPT4_lS4_li.has_recursion, 0
	.set _ZL20rocblas_gemvn_kernelILi64ELi16EidddEviiT3_lPKT2_lT1_lS3_lS4_lS0_lPT4_lS4_li.has_indirect_call, 0
	.section	.AMDGPU.csdata,"",@progbits
; Kernel info:
; codeLenInByte = 3384
; TotalNumSgprs: 55
; NumVgprs: 71
; ScratchSize: 0
; MemoryBound: 0
; FloatMode: 240
; IeeeMode: 1
; LDSByteSize: 32768 bytes/workgroup (compile time only)
; SGPRBlocks: 0
; VGPRBlocks: 8
; NumSGPRsForWavesPerEU: 55
; NumVGPRsForWavesPerEU: 71
; Occupancy: 16
; WaveLimiterHint : 1
; COMPUTE_PGM_RSRC2:SCRATCH_EN: 0
; COMPUTE_PGM_RSRC2:USER_SGPR: 2
; COMPUTE_PGM_RSRC2:TRAP_HANDLER: 0
; COMPUTE_PGM_RSRC2:TGID_X_EN: 1
; COMPUTE_PGM_RSRC2:TGID_Y_EN: 0
; COMPUTE_PGM_RSRC2:TGID_Z_EN: 1
; COMPUTE_PGM_RSRC2:TIDIG_COMP_CNT: 1
	.section	.text._ZL20rocblas_gemvn_kernelILi64ELi16EldddEviiT3_lPKT2_lT1_lS3_lS4_lS0_lPT4_lS4_li,"axG",@progbits,_ZL20rocblas_gemvn_kernelILi64ELi16EldddEviiT3_lPKT2_lT1_lS3_lS4_lS0_lPT4_lS4_li,comdat
	.globl	_ZL20rocblas_gemvn_kernelILi64ELi16EldddEviiT3_lPKT2_lT1_lS3_lS4_lS0_lPT4_lS4_li ; -- Begin function _ZL20rocblas_gemvn_kernelILi64ELi16EldddEviiT3_lPKT2_lT1_lS3_lS4_lS0_lPT4_lS4_li
	.p2align	8
	.type	_ZL20rocblas_gemvn_kernelILi64ELi16EldddEviiT3_lPKT2_lT1_lS3_lS4_lS0_lPT4_lS4_li,@function
_ZL20rocblas_gemvn_kernelILi64ELi16EldddEviiT3_lPKT2_lT1_lS3_lS4_lS0_lPT4_lS4_li: ; @_ZL20rocblas_gemvn_kernelILi64ELi16EldddEviiT3_lPKT2_lT1_lS3_lS4_lS0_lPT4_lS4_li
; %bb.0:
	s_load_b64 s[2:3], s[0:1], 0x9c
	s_wait_kmcnt 0x0
	s_lshr_b32 s4, s2, 16
	s_and_b32 s2, s2, 0xffff
	s_and_b32 s3, s3, 0xffff
	s_mul_i32 s2, s4, s2
	s_delay_alu instid0(SALU_CYCLE_1) | instskip(NEXT) | instid1(SALU_CYCLE_1)
	s_mul_i32 s2, s2, s3
	s_cmp_lg_u32 s2, 0x400
	s_cbranch_scc1 .LBB67_53
; %bb.1:
	s_load_b32 s33, s[0:1], 0x88
	s_lshr_b32 s34, ttmp7, 16
	s_wait_kmcnt 0x0
	s_cmp_ge_u32 s34, s33
	s_cbranch_scc1 .LBB67_53
; %bb.2:
	s_clause 0x3
	s_load_b128 s[36:39], s[0:1], 0x0
	s_load_b64 s[40:41], s[0:1], 0x58
	s_load_b512 s[8:23], s[0:1], 0x18
	s_load_b256 s[24:31], s[0:1], 0x68
	v_and_b32_e32 v1, 0x3ff, v0
	v_bfe_u32 v16, v0, 10, 10
	s_lshl_b32 s46, ttmp9, 8
	v_mov_b32_e32 v5, 0
	s_mov_b32 s35, 0
	v_add_nc_u32_e32 v6, s46, v1
	v_lshl_add_u32 v0, v16, 6, v1
	v_lshlrev_b32_e32 v1, 3, v1
	s_delay_alu instid0(VALU_DEP_3) | instskip(NEXT) | instid1(VALU_DEP_3)
	v_add_nc_u32_e32 v2, 64, v6
	v_add_nc_u32_e32 v4, s46, v0
	;; [unrolled: 1-line block ×3, first 2 shown]
	v_or_b32_e32 v17, s46, v0
	v_lshl_add_u32 v57, v16, 11, v1
	v_cmp_gt_u32_e64 s0, 0x100, v0
	v_lshl_add_u32 v58, v16, 9, v1
	s_wait_kmcnt 0x0
	v_cmp_gt_i32_e64 s2, s36, v2
	v_cmp_gt_i32_e64 s3, s36, v3
	v_mad_co_u64_u32 v[0:1], null, s28, v4, 0
	v_mad_co_u64_u32 v[2:3], null, s28, v17, 0
	v_cmp_neq_f64_e64 s47, s[38:39], 0
	v_cmp_neq_f64_e64 s49, s[40:41], 1.0
	v_add_nc_u32_e32 v8, 0xc0, v6
	s_ashr_i32 s45, s36, 31
	s_mov_b32 s44, s36
	s_ashr_i32 s5, s37, 31
	v_mad_co_u64_u32 v[12:13], null, s29, v4, v[1:2]
	v_lshlrev_b32_e32 v56, 2, v16
	v_cmp_gt_i32_e64 s4, s36, v8
	v_mad_co_u64_u32 v[8:9], null, s20, v16, 0
	v_cmp_gt_i64_e32 vcc_lo, s[44:45], v[4:5]
	s_lshr_b32 s5, s5, 26
	v_mov_b32_e32 v1, v12
	v_or_b32_e32 v18, 3, v56
	s_add_co_i32 s48, s37, s5
	s_lshl_b64 s[6:7], s[10:11], 3
	s_delay_alu instid0(VALU_DEP_4) | instskip(SKIP_3) | instid1(VALU_DEP_3)
	v_mov_b32_e32 v4, v9
	s_and_not1_b32 s48, s48, 63
	v_mad_co_u64_u32 v[10:11], null, s12, v18, 0
	v_mad_co_u64_u32 v[12:13], null, s20, v18, 0
	;; [unrolled: 1-line block ×3, first 2 shown]
	s_lshl_b64 s[10:11], s[18:19], 3
	s_add_nc_u64 s[18:19], s[8:9], s[6:7]
	v_mov_b32_e32 v5, v11
	s_sub_co_i32 s6, s37, s48
	s_lshl_b64 s[42:43], s[26:27], 3
	v_ashrrev_i32_e32 v7, 31, v6
	v_mov_b32_e32 v9, v4
	v_mad_co_u64_u32 v[14:15], null, s13, v18, v[5:6]
	v_mov_b32_e32 v4, v13
	v_cmp_gt_i32_e64 s1, s36, v6
	s_delay_alu instid0(VALU_DEP_4)
	v_lshlrev_b64_e32 v[8:9], 5, v[8:9]
	v_mul_lo_u32 v19, s29, v17
	s_or_b32 s49, s47, s49
	s_cmp_gt_i32 s6, 0
	v_mov_b32_e32 v11, v14
	v_mad_co_u64_u32 v[13:14], null, s21, v18, v[4:5]
	v_mad_co_u64_u32 v[14:15], null, s12, v16, 0
	v_or_b32_e32 v18, 2, v56
	s_cselect_b32 s50, -1, 0
	s_ashr_i32 s6, s46, 31
	v_lshlrev_b64_e32 v[4:5], 3, v[6:7]
	s_mul_i32 s7, s28, s6
	v_cmp_gt_i32_e64 s6, s36, v17
	s_and_b32 s36, s0, vcc_lo
	v_add_co_u32 v59, vcc_lo, s16, v8
	s_delay_alu instid0(VALU_DEP_1)
	v_add_co_ci_u32_e64 v60, null, s17, v9, vcc_lo
	v_lshlrev_b64_e32 v[6:7], 3, v[10:11]
	v_mad_co_u64_u32 v[9:10], null, s12, v18, 0
	v_mov_b32_e32 v8, v15
	v_add3_u32 v3, v3, s7, v19
	v_cmp_eq_f64_e64 s51, s[38:39], 0
	v_add_co_u32 v61, vcc_lo, s18, v6
	s_wait_alu 0xfffd
	v_add_co_ci_u32_e64 v62, null, s19, v7, vcc_lo
	v_mad_co_u64_u32 v[15:16], null, s13, v16, v[8:9]
	v_lshlrev_b64_e32 v[7:8], 3, v[12:13]
	v_mad_co_u64_u32 v[16:17], null, s20, v18, 0
	v_mov_b32_e32 v6, v10
	v_cmp_neq_f64_e64 s52, s[40:41], 0
	v_cmp_gt_i32_e64 s5, s48, v56
	v_add_co_u32 v63, vcc_lo, s16, v7
	s_delay_alu instid0(VALU_DEP_4)
	v_mad_co_u64_u32 v[11:12], null, s13, v18, v[6:7]
	v_mov_b32_e32 v10, v17
	v_mad_co_u64_u32 v[12:13], null, s20, v56, s[20:21]
	s_wait_alu 0xfffd
	v_add_co_ci_u32_e64 v64, null, s17, v8, vcc_lo
	v_lshlrev_b64_e32 v[7:8], 5, v[14:15]
	v_mad_co_u64_u32 v[17:18], null, s21, v18, v[10:11]
	v_mad_co_u64_u32 v[18:19], null, s12, v56, s[12:13]
	v_mov_b32_e32 v6, v13
	v_mov_b32_e32 v10, v11
	v_add_co_u32 v65, vcc_lo, s18, v7
	s_wait_alu 0xfffd
	v_add_co_ci_u32_e64 v66, null, s19, v8, vcc_lo
	v_mad_co_u64_u32 v[13:14], null, s21, v56, v[6:7]
	v_lshlrev_b64_e32 v[7:8], 3, v[9:10]
	v_mov_b32_e32 v6, v19
	s_add_nc_u64 s[26:27], s[16:17], s[10:11]
	s_add_nc_u64 s[24:25], s[24:25], s[42:43]
	s_lshl_b64 s[28:29], s[22:23], 3
	s_lshl_b64 s[42:43], s[14:15], 3
	v_mad_co_u64_u32 v[9:10], null, s13, v56, v[6:7]
	v_lshlrev_b64_e32 v[10:11], 3, v[16:17]
	v_add_co_u32 v67, vcc_lo, s18, v7
	v_lshlrev_b64_e32 v[6:7], 3, v[12:13]
	s_wait_alu 0xfffd
	v_add_co_ci_u32_e64 v68, null, s19, v8, vcc_lo
	v_mov_b32_e32 v19, v9
	v_add_co_u32 v69, vcc_lo, s16, v10
	s_wait_alu 0xfffd
	v_add_co_ci_u32_e64 v70, null, s17, v11, vcc_lo
	s_delay_alu instid0(VALU_DEP_3) | instskip(SKIP_4) | instid1(VALU_DEP_4)
	v_lshlrev_b64_e32 v[8:9], 3, v[18:19]
	v_add_co_u32 v71, vcc_lo, s16, v6
	s_wait_alu 0xfffd
	v_add_co_ci_u32_e64 v72, null, s17, v7, vcc_lo
	v_lshlrev_b64_e32 v[6:7], 3, v[0:1]
	v_add_co_u32 v73, vcc_lo, s18, v8
	s_wait_alu 0xfffd
	v_add_co_ci_u32_e64 v74, null, s19, v9, vcc_lo
	s_lshl_b64 s[16:17], s[20:21], 9
	s_lshl_b64 s[44:45], s[12:13], 9
	s_branch .LBB67_5
.LBB67_3:                               ;   in Loop: Header=BB67_5 Depth=1
	s_wait_alu 0xfffe
	s_or_b32 exec_lo, exec_lo, s7
.LBB67_4:                               ;   in Loop: Header=BB67_5 Depth=1
	s_add_co_i32 s34, s34, 0x10000
	s_delay_alu instid0(SALU_CYCLE_1)
	s_cmp_lt_u32 s34, s33
	s_cbranch_scc0 .LBB67_53
.LBB67_5:                               ; =>This Loop Header: Depth=1
                                        ;     Child Loop BB67_21 Depth 2
	s_and_not1_b32 vcc_lo, exec_lo, s49
	s_wait_alu 0xfffe
	s_cbranch_vccnz .LBB67_4
; %bb.6:                                ;   in Loop: Header=BB67_5 Depth=1
	s_mul_u64 s[8:9], s[30:31], s[34:35]
	s_and_not1_b32 vcc_lo, exec_lo, s51
	s_wait_alu 0xfffe
	s_lshl_b64 s[8:9], s[8:9], 3
	s_wait_alu 0xfffe
	s_add_nc_u64 s[46:47], s[24:25], s[8:9]
	s_cbranch_vccnz .LBB67_10
; %bb.7:                                ;   in Loop: Header=BB67_5 Depth=1
	s_mov_b32 s7, 0
	s_mov_b32 s53, 0
                                        ; implicit-def: $vgpr8_vgpr9
	s_and_saveexec_b32 s8, s36
	s_cbranch_execz .LBB67_11
; %bb.8:                                ;   in Loop: Header=BB67_5 Depth=1
	s_and_not1_b32 vcc_lo, exec_lo, s52
	s_wait_alu 0xfffe
	s_cbranch_vccnz .LBB67_13
; %bb.9:                                ;   in Loop: Header=BB67_5 Depth=1
	v_add_co_u32 v8, vcc_lo, s46, v6
	s_wait_alu 0xfffd
	v_add_co_ci_u32_e64 v9, null, s47, v7, vcc_lo
	global_load_b64 v[8:9], v[8:9], off
	s_wait_loadcnt 0x0
	v_mul_f64_e32 v[8:9], s[40:41], v[8:9]
	s_branch .LBB67_14
.LBB67_10:                              ;   in Loop: Header=BB67_5 Depth=1
	s_mov_b32 s53, 0
                                        ; implicit-def: $vgpr8_vgpr9
	s_cbranch_execz .LBB67_12
	s_branch .LBB67_15
.LBB67_11:                              ;   in Loop: Header=BB67_5 Depth=1
	s_wait_alu 0xfffe
	s_or_b32 exec_lo, exec_lo, s8
	s_delay_alu instid0(SALU_CYCLE_1)
	s_and_b32 vcc_lo, exec_lo, s7
	s_wait_alu 0xfffe
	s_cbranch_vccnz .LBB67_15
.LBB67_12:                              ;   in Loop: Header=BB67_5 Depth=1
	v_dual_mov_b32 v11, v1 :: v_dual_mov_b32 v10, v0
	s_and_saveexec_b32 s7, s53
	s_cbranch_execz .LBB67_3
	s_branch .LBB67_52
.LBB67_13:                              ;   in Loop: Header=BB67_5 Depth=1
	v_mov_b32_e32 v8, 0
	v_mov_b32_e32 v9, 0
.LBB67_14:                              ;   in Loop: Header=BB67_5 Depth=1
	s_mov_b32 s53, exec_lo
	s_or_b32 exec_lo, exec_lo, s8
	s_delay_alu instid0(SALU_CYCLE_1)
	s_and_b32 vcc_lo, exec_lo, s7
	s_wait_alu 0xfffe
	s_cbranch_vccz .LBB67_12
.LBB67_15:                              ;   in Loop: Header=BB67_5 Depth=1
	v_mov_b32_e32 v8, 0
	v_dual_mov_b32 v12, 0 :: v_dual_mov_b32 v9, 0
	v_dual_mov_b32 v10, 0 :: v_dual_mov_b32 v13, 0
	v_dual_mov_b32 v14, 0 :: v_dual_mov_b32 v11, 0
	v_mov_b32_e32 v15, 0
	v_mov_b32_e32 v75, v56
	s_and_saveexec_b32 s8, s5
	s_cbranch_execz .LBB67_27
; %bb.16:                               ;   in Loop: Header=BB67_5 Depth=1
	s_mul_u64 s[54:55], s[28:29], s[34:35]
	s_mul_u64 s[56:57], s[42:43], s[34:35]
	s_wait_alu 0xfffe
	v_add_co_u32 v76, vcc_lo, v59, s54
	s_wait_alu 0xfffd
	v_add_co_ci_u32_e64 v77, null, s55, v60, vcc_lo
	v_add_co_u32 v78, vcc_lo, v61, s56
	s_wait_alu 0xfffd
	v_add_co_ci_u32_e64 v79, null, s57, v62, vcc_lo
	;; [unrolled: 3-line block ×7, first 2 shown]
	v_add_co_u32 v90, vcc_lo, v73, s56
	v_mov_b32_e32 v8, 0
	v_dual_mov_b32 v12, 0 :: v_dual_mov_b32 v9, 0
	v_dual_mov_b32 v10, 0 :: v_dual_mov_b32 v13, 0
	v_mov_b32_e32 v14, 0
	s_wait_alu 0xfffd
	v_add_co_ci_u32_e64 v91, null, s57, v74, vcc_lo
	v_mov_b32_e32 v11, 0
	v_mov_b32_e32 v15, 0
	;; [unrolled: 1-line block ×3, first 2 shown]
	s_mov_b32 s9, 0
	s_branch .LBB67_21
.LBB67_17:                              ;   in Loop: Header=BB67_21 Depth=2
	s_wait_alu 0xfffe
	s_or_b32 exec_lo, exec_lo, s56
	s_wait_loadcnt 0x3
	v_fma_f64 v[12:13], v[16:17], v[48:49], v[12:13]
	s_wait_loadcnt 0x2
	s_delay_alu instid0(VALU_DEP_1) | instskip(SKIP_1) | instid1(VALU_DEP_1)
	v_fma_f64 v[12:13], v[18:19], v[50:51], v[12:13]
	s_wait_loadcnt 0x1
	v_fma_f64 v[12:13], v[20:21], v[52:53], v[12:13]
	s_wait_loadcnt 0x0
	s_delay_alu instid0(VALU_DEP_1)
	v_fma_f64 v[12:13], v[22:23], v[54:55], v[12:13]
.LBB67_18:                              ;   in Loop: Header=BB67_21 Depth=2
	s_wait_alu 0xfffe
	s_or_b32 exec_lo, exec_lo, s55
	s_wait_loadcnt 0x3
	v_fma_f64 v[10:11], v[16:17], v[38:39], v[10:11]
	s_wait_loadcnt 0x2
	s_delay_alu instid0(VALU_DEP_1) | instskip(SKIP_1) | instid1(VALU_DEP_1)
	v_fma_f64 v[10:11], v[18:19], v[40:41], v[10:11]
	s_wait_loadcnt 0x1
	v_fma_f64 v[10:11], v[20:21], v[42:43], v[10:11]
	s_wait_loadcnt 0x0
	s_delay_alu instid0(VALU_DEP_1)
	v_fma_f64 v[10:11], v[22:23], v[44:45], v[10:11]
.LBB67_19:                              ;   in Loop: Header=BB67_21 Depth=2
	s_wait_alu 0xfffe
	s_or_b32 exec_lo, exec_lo, s54
	s_wait_loadcnt 0x3
	v_fma_f64 v[8:9], v[16:17], v[24:25], v[8:9]
	s_wait_loadcnt 0x2
	s_delay_alu instid0(VALU_DEP_1) | instskip(SKIP_1) | instid1(VALU_DEP_1)
	v_fma_f64 v[8:9], v[18:19], v[26:27], v[8:9]
	s_wait_loadcnt 0x1
	v_fma_f64 v[8:9], v[20:21], v[28:29], v[8:9]
	s_wait_loadcnt 0x0
	s_delay_alu instid0(VALU_DEP_1)
	v_fma_f64 v[8:9], v[22:23], v[30:31], v[8:9]
.LBB67_20:                              ;   in Loop: Header=BB67_21 Depth=2
	s_wait_alu 0xfffe
	s_or_b32 exec_lo, exec_lo, s7
	v_add_co_u32 v76, vcc_lo, v76, s16
	s_wait_alu 0xfffd
	v_add_co_ci_u32_e64 v77, null, s17, v77, vcc_lo
	v_add_co_u32 v78, vcc_lo, v78, s44
	s_wait_alu 0xfffd
	v_add_co_ci_u32_e64 v79, null, s45, v79, vcc_lo
	;; [unrolled: 3-line block ×4, first 2 shown]
	v_add_co_u32 v84, vcc_lo, v84, s44
	v_add_nc_u32_e32 v75, 64, v75
	s_wait_alu 0xfffd
	v_add_co_ci_u32_e64 v85, null, s45, v85, vcc_lo
	v_add_co_u32 v86, vcc_lo, v86, s16
	s_wait_alu 0xfffd
	v_add_co_ci_u32_e64 v87, null, s17, v87, vcc_lo
	v_add_co_u32 v88, vcc_lo, v88, s16
	s_wait_alu 0xfffd
	v_add_co_ci_u32_e64 v89, null, s17, v89, vcc_lo
	v_cmp_le_i32_e32 vcc_lo, s48, v75
	v_add_co_u32 v90, s7, v90, s44
	s_wait_alu 0xf1ff
	v_add_co_ci_u32_e64 v91, null, s45, v91, s7
	s_or_b32 s9, vcc_lo, s9
	s_wait_alu 0xfffe
	s_and_not1_b32 exec_lo, exec_lo, s9
	s_cbranch_execz .LBB67_26
.LBB67_21:                              ;   Parent Loop BB67_5 Depth=1
                                        ; =>  This Inner Loop Header: Depth=2
	s_and_saveexec_b32 s7, s1
	s_cbranch_execz .LBB67_20
; %bb.22:                               ;   in Loop: Header=BB67_21 Depth=2
	v_add_co_u32 v16, vcc_lo, v76, s10
	s_wait_alu 0xfffd
	v_add_co_ci_u32_e64 v17, null, s11, v77, vcc_lo
	v_add_co_u32 v18, vcc_lo, v88, s10
	s_wait_alu 0xfffd
	v_add_co_ci_u32_e64 v19, null, s11, v89, vcc_lo
	;; [unrolled: 3-line block ×8, first 2 shown]
	global_load_b64 v[16:17], v[16:17], off
	global_load_b64 v[18:19], v[18:19], off
	;; [unrolled: 1-line block ×8, first 2 shown]
	s_and_saveexec_b32 s54, s2
	s_cbranch_execz .LBB67_19
; %bb.23:                               ;   in Loop: Header=BB67_21 Depth=2
	global_load_b64 v[38:39], v[32:33], off offset:512
	global_load_b64 v[40:41], v[34:35], off offset:512
	global_load_b64 v[42:43], v[36:37], off offset:512
	global_load_b64 v[44:45], v[46:47], off offset:512
	s_and_saveexec_b32 s55, s3
	s_cbranch_execz .LBB67_18
; %bb.24:                               ;   in Loop: Header=BB67_21 Depth=2
	global_load_b64 v[48:49], v[32:33], off offset:1024
	global_load_b64 v[50:51], v[34:35], off offset:1024
	global_load_b64 v[52:53], v[36:37], off offset:1024
	global_load_b64 v[54:55], v[46:47], off offset:1024
	;; [unrolled: 7-line block ×3, first 2 shown]
	s_wait_loadcnt 0x3
	v_fma_f64 v[14:15], v[16:17], v[32:33], v[14:15]
	s_wait_loadcnt 0x2
	s_delay_alu instid0(VALU_DEP_1) | instskip(SKIP_1) | instid1(VALU_DEP_1)
	v_fma_f64 v[14:15], v[18:19], v[34:35], v[14:15]
	s_wait_loadcnt 0x1
	v_fma_f64 v[14:15], v[20:21], v[36:37], v[14:15]
	s_wait_loadcnt 0x0
	s_delay_alu instid0(VALU_DEP_1)
	v_fma_f64 v[14:15], v[22:23], v[46:47], v[14:15]
	s_branch .LBB67_17
.LBB67_26:                              ;   in Loop: Header=BB67_5 Depth=1
	s_or_b32 exec_lo, exec_lo, s9
.LBB67_27:                              ;   in Loop: Header=BB67_5 Depth=1
	s_wait_alu 0xfffe
	s_or_b32 exec_lo, exec_lo, s8
	s_delay_alu instid0(SALU_CYCLE_1)
	s_and_not1_b32 vcc_lo, exec_lo, s50
	s_wait_alu 0xfffe
	s_cbranch_vccnz .LBB67_45
; %bb.28:                               ;   in Loop: Header=BB67_5 Depth=1
	v_mov_b32_e32 v22, 0
	v_dual_mov_b32 v18, 0 :: v_dual_mov_b32 v23, 0
	v_dual_mov_b32 v20, 0 :: v_dual_mov_b32 v19, 0
	v_mov_b32_e32 v16, 0
	v_cmp_gt_i32_e32 vcc_lo, s37, v75
	v_mov_b32_e32 v21, 0
	v_mov_b32_e32 v17, 0
	v_or_b32_e32 v24, 1, v75
	s_and_saveexec_b32 s54, vcc_lo
	s_cbranch_execz .LBB67_36
; %bb.29:                               ;   in Loop: Header=BB67_5 Depth=1
	v_mad_co_u64_u32 v[16:17], null, s20, v75, 0
	s_mul_u64 s[8:9], s[22:23], s[34:35]
	v_mov_b32_e32 v22, 0
	s_wait_alu 0xfffe
	s_lshl_b64 s[8:9], s[8:9], 3
	v_mov_b32_e32 v23, 0
	s_wait_alu 0xfffe
	s_add_nc_u64 s[8:9], s[26:27], s[8:9]
	s_mov_b32 s55, exec_lo
	v_mad_co_u64_u32 v[17:18], null, s21, v75, v[17:18]
	v_mov_b32_e32 v18, 0
	v_dual_mov_b32 v19, 0 :: v_dual_mov_b32 v20, 0
	v_mov_b32_e32 v21, 0
	s_delay_alu instid0(VALU_DEP_4) | instskip(SKIP_1) | instid1(VALU_DEP_1)
	v_lshlrev_b64_e32 v[16:17], 3, v[16:17]
	s_wait_alu 0xfffe
	v_add_co_u32 v16, s7, s8, v16
	s_wait_alu 0xf1ff
	s_delay_alu instid0(VALU_DEP_2)
	v_add_co_ci_u32_e64 v17, null, s9, v17, s7
	global_load_b64 v[16:17], v[16:17], off
	v_cmpx_gt_i32_e64 s37, v24
	s_cbranch_execz .LBB67_35
; %bb.30:                               ;   in Loop: Header=BB67_5 Depth=1
	v_mad_co_u64_u32 v[18:19], null, s20, v24, 0
	v_or_b32_e32 v25, 2, v75
	s_mov_b32 s56, exec_lo
	v_mov_b32_e32 v22, 0
	v_mov_b32_e32 v23, 0
	s_delay_alu instid0(VALU_DEP_4) | instskip(SKIP_2) | instid1(VALU_DEP_3)
	v_mad_co_u64_u32 v[19:20], null, s21, v24, v[19:20]
	v_mov_b32_e32 v20, 0
	v_mov_b32_e32 v21, 0
	v_lshlrev_b64_e32 v[18:19], 3, v[18:19]
	s_delay_alu instid0(VALU_DEP_1) | instskip(SKIP_1) | instid1(VALU_DEP_2)
	v_add_co_u32 v18, s7, s8, v18
	s_wait_alu 0xf1ff
	v_add_co_ci_u32_e64 v19, null, s9, v19, s7
	global_load_b64 v[18:19], v[18:19], off
	v_cmpx_gt_i32_e64 s37, v25
	s_cbranch_execz .LBB67_34
; %bb.31:                               ;   in Loop: Header=BB67_5 Depth=1
	v_mad_co_u64_u32 v[20:21], null, s20, v25, 0
	s_mov_b32 s57, exec_lo
	v_mad_co_u64_u32 v[21:22], null, s21, v25, v[21:22]
	v_mov_b32_e32 v22, 0
	v_or_b32_e32 v25, 3, v75
	v_mov_b32_e32 v23, 0
	s_delay_alu instid0(VALU_DEP_4) | instskip(NEXT) | instid1(VALU_DEP_1)
	v_lshlrev_b64_e32 v[20:21], 3, v[20:21]
	v_add_co_u32 v20, s7, s8, v20
	s_wait_alu 0xf1ff
	s_delay_alu instid0(VALU_DEP_2)
	v_add_co_ci_u32_e64 v21, null, s9, v21, s7
	global_load_b64 v[20:21], v[20:21], off
	v_cmpx_gt_i32_e64 s37, v25
	s_cbranch_execz .LBB67_33
; %bb.32:                               ;   in Loop: Header=BB67_5 Depth=1
	v_mad_co_u64_u32 v[22:23], null, s20, v25, 0
	s_delay_alu instid0(VALU_DEP_1) | instskip(NEXT) | instid1(VALU_DEP_1)
	v_mad_co_u64_u32 v[25:26], null, s21, v25, v[23:24]
	v_mov_b32_e32 v23, v25
	s_delay_alu instid0(VALU_DEP_1) | instskip(NEXT) | instid1(VALU_DEP_1)
	v_lshlrev_b64_e32 v[22:23], 3, v[22:23]
	v_add_co_u32 v22, s7, s8, v22
	s_wait_alu 0xf1ff
	s_delay_alu instid0(VALU_DEP_2)
	v_add_co_ci_u32_e64 v23, null, s9, v23, s7
	global_load_b64 v[22:23], v[22:23], off
.LBB67_33:                              ;   in Loop: Header=BB67_5 Depth=1
	s_wait_alu 0xfffe
	s_or_b32 exec_lo, exec_lo, s57
.LBB67_34:                              ;   in Loop: Header=BB67_5 Depth=1
	s_wait_alu 0xfffe
	s_or_b32 exec_lo, exec_lo, s56
.LBB67_35:                              ;   in Loop: Header=BB67_5 Depth=1
	s_wait_alu 0xfffe
	s_or_b32 exec_lo, exec_lo, s55
.LBB67_36:                              ;   in Loop: Header=BB67_5 Depth=1
	s_wait_alu 0xfffe
	s_or_b32 exec_lo, exec_lo, s54
	s_and_saveexec_b32 s9, s1
	s_cbranch_execz .LBB67_44
; %bb.37:                               ;   in Loop: Header=BB67_5 Depth=1
	v_mad_co_u64_u32 v[25:26], null, s12, v75, 0
	v_mad_co_u64_u32 v[27:28], null, s12, v24, 0
	v_or_b32_e32 v33, 2, v75
	v_or_b32_e32 v37, 3, v75
	s_mul_u64 s[54:55], s[14:15], s[34:35]
	s_wait_alu 0xfffe
	s_lshl_b64 s[54:55], s[54:55], 3
	v_cmp_gt_i32_e64 s7, s37, v33
	s_delay_alu instid0(VALU_DEP_4)
	v_mad_co_u64_u32 v[29:30], null, s13, v75, v[26:27]
	v_mad_co_u64_u32 v[30:31], null, s12, v33, 0
	;; [unrolled: 1-line block ×3, first 2 shown]
	v_cndmask_b32_e32 v25, 0, v25, vcc_lo
	s_wait_alu 0xfffe
	s_add_nc_u64 s[54:55], s[18:19], s[54:55]
	s_delay_alu instid0(VALU_DEP_4) | instskip(SKIP_4) | instid1(VALU_DEP_2)
	v_cndmask_b32_e32 v26, 0, v29, vcc_lo
	v_cmp_gt_i32_e32 vcc_lo, s37, v24
	v_mov_b32_e32 v29, v31
	s_wait_alu 0xfffd
	v_cndmask_b32_e32 v27, 0, v27, vcc_lo
	v_mad_co_u64_u32 v[31:32], null, s13, v24, v[28:29]
	v_mov_b32_e32 v24, v35
	v_lshlrev_b64_e32 v[25:26], 3, v[25:26]
	s_delay_alu instid0(VALU_DEP_3) | instskip(SKIP_1) | instid1(VALU_DEP_2)
	v_cndmask_b32_e32 v28, 0, v31, vcc_lo
	s_wait_alu 0xfffe
	v_add_co_u32 v25, s8, s54, v25
	s_wait_alu 0xf1ff
	s_delay_alu instid0(VALU_DEP_3) | instskip(SKIP_1) | instid1(VALU_DEP_3)
	v_add_co_ci_u32_e64 v26, null, s55, v26, s8
	v_mad_co_u64_u32 v[35:36], null, s13, v33, v[29:30]
	v_add_co_u32 v32, vcc_lo, v25, v4
	s_wait_alu 0xfffd
	s_delay_alu instid0(VALU_DEP_3) | instskip(SKIP_4) | instid1(VALU_DEP_4)
	v_add_co_ci_u32_e64 v33, null, v26, v5, vcc_lo
	v_lshlrev_b64_e32 v[25:26], 3, v[27:28]
	v_cndmask_b32_e64 v27, 0, v30, s7
	v_cndmask_b32_e64 v28, 0, v35, s7
	v_cmp_gt_i32_e32 vcc_lo, s37, v37
	v_mad_co_u64_u32 v[29:30], null, s13, v37, v[24:25]
	v_add_co_u32 v30, s7, s54, v25
	s_wait_alu 0xf1ff
	v_add_co_ci_u32_e64 v31, null, s55, v26, s7
	v_lshlrev_b64_e32 v[24:25], 3, v[27:28]
	s_wait_alu 0xfffd
	s_delay_alu instid0(VALU_DEP_4) | instskip(SKIP_3) | instid1(VALU_DEP_3)
	v_dual_cndmask_b32 v26, 0, v34 :: v_dual_cndmask_b32 v27, 0, v29
	v_add_co_u32 v34, vcc_lo, v30, v4
	s_wait_alu 0xfffd
	v_add_co_ci_u32_e64 v35, null, v31, v5, vcc_lo
	v_lshlrev_b64_e32 v[26:27], 3, v[26:27]
	v_add_co_u32 v24, vcc_lo, s54, v24
	s_wait_alu 0xfffd
	v_add_co_ci_u32_e64 v25, null, s55, v25, vcc_lo
	s_delay_alu instid0(VALU_DEP_3)
	v_add_co_u32 v26, vcc_lo, s54, v26
	s_wait_alu 0xfffd
	v_add_co_ci_u32_e64 v27, null, s55, v27, vcc_lo
	v_add_co_u32 v44, vcc_lo, v24, v4
	s_wait_alu 0xfffd
	v_add_co_ci_u32_e64 v45, null, v25, v5, vcc_lo
	v_add_co_u32 v46, vcc_lo, v26, v4
	s_wait_alu 0xfffd
	v_add_co_ci_u32_e64 v47, null, v27, v5, vcc_lo
	s_clause 0x3
	global_load_b64 v[24:25], v[32:33], off
	global_load_b64 v[26:27], v[34:35], off
	;; [unrolled: 1-line block ×4, first 2 shown]
	s_and_saveexec_b32 s7, s2
	s_cbranch_execz .LBB67_43
; %bb.38:                               ;   in Loop: Header=BB67_5 Depth=1
	s_clause 0x3
	global_load_b64 v[36:37], v[32:33], off offset:512
	global_load_b64 v[38:39], v[34:35], off offset:512
	global_load_b64 v[40:41], v[44:45], off offset:512
	global_load_b64 v[42:43], v[46:47], off offset:512
	s_and_saveexec_b32 s8, s3
	s_cbranch_execz .LBB67_42
; %bb.39:                               ;   in Loop: Header=BB67_5 Depth=1
	s_clause 0x3
	global_load_b64 v[48:49], v[32:33], off offset:1024
	global_load_b64 v[50:51], v[34:35], off offset:1024
	global_load_b64 v[52:53], v[44:45], off offset:1024
	global_load_b64 v[54:55], v[46:47], off offset:1024
	;; [unrolled: 8-line block ×3, first 2 shown]
	s_wait_loadcnt 0x3
	v_fma_f64 v[14:15], v[16:17], v[32:33], v[14:15]
	s_wait_loadcnt 0x2
	s_delay_alu instid0(VALU_DEP_1) | instskip(SKIP_1) | instid1(VALU_DEP_1)
	v_fma_f64 v[14:15], v[18:19], v[34:35], v[14:15]
	s_wait_loadcnt 0x1
	v_fma_f64 v[14:15], v[20:21], v[44:45], v[14:15]
	s_wait_loadcnt 0x0
	s_delay_alu instid0(VALU_DEP_1)
	v_fma_f64 v[14:15], v[22:23], v[46:47], v[14:15]
.LBB67_41:                              ;   in Loop: Header=BB67_5 Depth=1
	s_wait_alu 0xfffe
	s_or_b32 exec_lo, exec_lo, s54
	s_wait_loadcnt 0x3
	v_fma_f64 v[12:13], v[16:17], v[48:49], v[12:13]
	s_wait_loadcnt 0x2
	s_delay_alu instid0(VALU_DEP_1) | instskip(SKIP_1) | instid1(VALU_DEP_1)
	v_fma_f64 v[12:13], v[18:19], v[50:51], v[12:13]
	s_wait_loadcnt 0x1
	v_fma_f64 v[12:13], v[20:21], v[52:53], v[12:13]
	s_wait_loadcnt 0x0
	s_delay_alu instid0(VALU_DEP_1)
	v_fma_f64 v[12:13], v[22:23], v[54:55], v[12:13]
.LBB67_42:                              ;   in Loop: Header=BB67_5 Depth=1
	s_wait_alu 0xfffe
	s_or_b32 exec_lo, exec_lo, s8
	s_wait_loadcnt 0x3
	v_fma_f64 v[10:11], v[16:17], v[36:37], v[10:11]
	s_wait_loadcnt 0x2
	s_delay_alu instid0(VALU_DEP_1) | instskip(SKIP_1) | instid1(VALU_DEP_1)
	v_fma_f64 v[10:11], v[18:19], v[38:39], v[10:11]
	s_wait_loadcnt 0x1
	v_fma_f64 v[10:11], v[20:21], v[40:41], v[10:11]
	s_wait_loadcnt 0x0
	s_delay_alu instid0(VALU_DEP_1)
	v_fma_f64 v[10:11], v[22:23], v[42:43], v[10:11]
.LBB67_43:                              ;   in Loop: Header=BB67_5 Depth=1
	s_wait_alu 0xfffe
	s_or_b32 exec_lo, exec_lo, s7
	s_wait_loadcnt 0x3
	v_fma_f64 v[8:9], v[16:17], v[24:25], v[8:9]
	s_wait_loadcnt 0x2
	s_delay_alu instid0(VALU_DEP_1) | instskip(SKIP_1) | instid1(VALU_DEP_1)
	v_fma_f64 v[8:9], v[18:19], v[26:27], v[8:9]
	s_wait_loadcnt 0x1
	v_fma_f64 v[8:9], v[20:21], v[28:29], v[8:9]
	s_wait_loadcnt 0x0
	s_delay_alu instid0(VALU_DEP_1)
	v_fma_f64 v[8:9], v[22:23], v[30:31], v[8:9]
.LBB67_44:                              ;   in Loop: Header=BB67_5 Depth=1
	s_wait_alu 0xfffe
	s_or_b32 exec_lo, exec_lo, s9
.LBB67_45:                              ;   in Loop: Header=BB67_5 Depth=1
	ds_store_2addr_stride64_b64 v57, v[8:9], v[10:11] offset1:1
	ds_store_2addr_stride64_b64 v57, v[12:13], v[14:15] offset0:2 offset1:3
	s_wait_loadcnt_dscnt 0x0
	s_barrier_signal -1
	s_barrier_wait -1
	global_inv scope:SCOPE_SE
                                        ; implicit-def: $vgpr8_vgpr9
	s_and_saveexec_b32 s7, s0
	s_cbranch_execz .LBB67_51
; %bb.46:                               ;   in Loop: Header=BB67_5 Depth=1
	ds_load_2addr_stride64_b64 v[8:11], v58 offset1:4
	s_mov_b32 s9, s53
	s_wait_dscnt 0x0
	v_add_f64_e32 v[12:13], v[8:9], v[10:11]
	ds_load_2addr_stride64_b64 v[8:11], v58 offset0:8 offset1:12
	s_wait_dscnt 0x0
	v_add_f64_e32 v[8:9], v[8:9], v[12:13]
	s_delay_alu instid0(VALU_DEP_1) | instskip(SKIP_3) | instid1(VALU_DEP_1)
	v_add_f64_e32 v[12:13], v[10:11], v[8:9]
	ds_load_2addr_stride64_b64 v[8:11], v58 offset0:16 offset1:20
	s_wait_dscnt 0x0
	v_add_f64_e32 v[8:9], v[8:9], v[12:13]
	v_add_f64_e32 v[12:13], v[10:11], v[8:9]
	ds_load_2addr_stride64_b64 v[8:11], v58 offset0:24 offset1:28
	s_wait_dscnt 0x0
	v_add_f64_e32 v[8:9], v[8:9], v[12:13]
	s_delay_alu instid0(VALU_DEP_1) | instskip(SKIP_3) | instid1(VALU_DEP_1)
	v_add_f64_e32 v[12:13], v[10:11], v[8:9]
	ds_load_2addr_stride64_b64 v[8:11], v58 offset0:32 offset1:36
	s_wait_dscnt 0x0
	v_add_f64_e32 v[8:9], v[8:9], v[12:13]
	;; [unrolled: 9-line block ×3, first 2 shown]
	v_add_f64_e32 v[12:13], v[10:11], v[8:9]
	ds_load_2addr_stride64_b64 v[8:11], v58 offset0:56 offset1:60
	s_wait_dscnt 0x0
	v_add_f64_e32 v[8:9], v[8:9], v[12:13]
	s_delay_alu instid0(VALU_DEP_1)
	v_add_f64_e32 v[10:11], v[10:11], v[8:9]
                                        ; implicit-def: $vgpr8_vgpr9
	ds_store_b64 v58, v[10:11]
	s_and_saveexec_b32 s8, s6
	s_cbranch_execz .LBB67_50
; %bb.47:                               ;   in Loop: Header=BB67_5 Depth=1
	v_mul_f64_e32 v[8:9], s[38:39], v[10:11]
	s_and_not1_b32 vcc_lo, exec_lo, s52
	s_wait_alu 0xfffe
	s_cbranch_vccnz .LBB67_49
; %bb.48:                               ;   in Loop: Header=BB67_5 Depth=1
	v_lshlrev_b64_e32 v[10:11], 3, v[2:3]
	s_delay_alu instid0(VALU_DEP_1) | instskip(SKIP_1) | instid1(VALU_DEP_2)
	v_add_co_u32 v10, vcc_lo, s46, v10
	s_wait_alu 0xfffd
	v_add_co_ci_u32_e64 v11, null, s47, v11, vcc_lo
	global_load_b64 v[10:11], v[10:11], off
	s_wait_loadcnt 0x0
	v_fma_f64 v[8:9], s[40:41], v[10:11], v[8:9]
.LBB67_49:                              ;   in Loop: Header=BB67_5 Depth=1
	s_or_b32 s9, s53, exec_lo
.LBB67_50:                              ;   in Loop: Header=BB67_5 Depth=1
	s_wait_alu 0xfffe
	s_or_b32 exec_lo, exec_lo, s8
	s_delay_alu instid0(SALU_CYCLE_1)
	s_and_not1_b32 s8, s53, exec_lo
	s_and_b32 s9, s9, exec_lo
	s_wait_alu 0xfffe
	s_or_b32 s53, s8, s9
.LBB67_51:                              ;   in Loop: Header=BB67_5 Depth=1
	s_wait_alu 0xfffe
	s_or_b32 exec_lo, exec_lo, s7
	v_dual_mov_b32 v11, v3 :: v_dual_mov_b32 v10, v2
	s_and_saveexec_b32 s7, s53
	s_cbranch_execz .LBB67_3
.LBB67_52:                              ;   in Loop: Header=BB67_5 Depth=1
	s_delay_alu instid0(VALU_DEP_1) | instskip(SKIP_1) | instid1(VALU_DEP_1)
	v_lshlrev_b64_e32 v[10:11], 3, v[10:11]
	s_wait_alu 0xfffe
	v_add_co_u32 v10, vcc_lo, s46, v10
	s_wait_alu 0xfffd
	s_delay_alu instid0(VALU_DEP_2)
	v_add_co_ci_u32_e64 v11, null, s47, v11, vcc_lo
	global_store_b64 v[10:11], v[8:9], off
	s_branch .LBB67_3
.LBB67_53:
	s_endpgm
	.section	.rodata,"a",@progbits
	.p2align	6, 0x0
	.amdhsa_kernel _ZL20rocblas_gemvn_kernelILi64ELi16EldddEviiT3_lPKT2_lT1_lS3_lS4_lS0_lPT4_lS4_li
		.amdhsa_group_segment_fixed_size 32768
		.amdhsa_private_segment_fixed_size 0
		.amdhsa_kernarg_size 400
		.amdhsa_user_sgpr_count 2
		.amdhsa_user_sgpr_dispatch_ptr 0
		.amdhsa_user_sgpr_queue_ptr 0
		.amdhsa_user_sgpr_kernarg_segment_ptr 1
		.amdhsa_user_sgpr_dispatch_id 0
		.amdhsa_user_sgpr_private_segment_size 0
		.amdhsa_wavefront_size32 1
		.amdhsa_uses_dynamic_stack 0
		.amdhsa_enable_private_segment 0
		.amdhsa_system_sgpr_workgroup_id_x 1
		.amdhsa_system_sgpr_workgroup_id_y 0
		.amdhsa_system_sgpr_workgroup_id_z 1
		.amdhsa_system_sgpr_workgroup_info 0
		.amdhsa_system_vgpr_workitem_id 1
		.amdhsa_next_free_vgpr 92
		.amdhsa_next_free_sgpr 58
		.amdhsa_reserve_vcc 1
		.amdhsa_float_round_mode_32 0
		.amdhsa_float_round_mode_16_64 0
		.amdhsa_float_denorm_mode_32 3
		.amdhsa_float_denorm_mode_16_64 3
		.amdhsa_fp16_overflow 0
		.amdhsa_workgroup_processor_mode 1
		.amdhsa_memory_ordered 1
		.amdhsa_forward_progress 1
		.amdhsa_inst_pref_size 32
		.amdhsa_round_robin_scheduling 0
		.amdhsa_exception_fp_ieee_invalid_op 0
		.amdhsa_exception_fp_denorm_src 0
		.amdhsa_exception_fp_ieee_div_zero 0
		.amdhsa_exception_fp_ieee_overflow 0
		.amdhsa_exception_fp_ieee_underflow 0
		.amdhsa_exception_fp_ieee_inexact 0
		.amdhsa_exception_int_div_zero 0
	.end_amdhsa_kernel
	.section	.text._ZL20rocblas_gemvn_kernelILi64ELi16EldddEviiT3_lPKT2_lT1_lS3_lS4_lS0_lPT4_lS4_li,"axG",@progbits,_ZL20rocblas_gemvn_kernelILi64ELi16EldddEviiT3_lPKT2_lT1_lS3_lS4_lS0_lPT4_lS4_li,comdat
.Lfunc_end67:
	.size	_ZL20rocblas_gemvn_kernelILi64ELi16EldddEviiT3_lPKT2_lT1_lS3_lS4_lS0_lPT4_lS4_li, .Lfunc_end67-_ZL20rocblas_gemvn_kernelILi64ELi16EldddEviiT3_lPKT2_lT1_lS3_lS4_lS0_lPT4_lS4_li
                                        ; -- End function
	.set _ZL20rocblas_gemvn_kernelILi64ELi16EldddEviiT3_lPKT2_lT1_lS3_lS4_lS0_lPT4_lS4_li.num_vgpr, 92
	.set _ZL20rocblas_gemvn_kernelILi64ELi16EldddEviiT3_lPKT2_lT1_lS3_lS4_lS0_lPT4_lS4_li.num_agpr, 0
	.set _ZL20rocblas_gemvn_kernelILi64ELi16EldddEviiT3_lPKT2_lT1_lS3_lS4_lS0_lPT4_lS4_li.numbered_sgpr, 58
	.set _ZL20rocblas_gemvn_kernelILi64ELi16EldddEviiT3_lPKT2_lT1_lS3_lS4_lS0_lPT4_lS4_li.num_named_barrier, 0
	.set _ZL20rocblas_gemvn_kernelILi64ELi16EldddEviiT3_lPKT2_lT1_lS3_lS4_lS0_lPT4_lS4_li.private_seg_size, 0
	.set _ZL20rocblas_gemvn_kernelILi64ELi16EldddEviiT3_lPKT2_lT1_lS3_lS4_lS0_lPT4_lS4_li.uses_vcc, 1
	.set _ZL20rocblas_gemvn_kernelILi64ELi16EldddEviiT3_lPKT2_lT1_lS3_lS4_lS0_lPT4_lS4_li.uses_flat_scratch, 0
	.set _ZL20rocblas_gemvn_kernelILi64ELi16EldddEviiT3_lPKT2_lT1_lS3_lS4_lS0_lPT4_lS4_li.has_dyn_sized_stack, 0
	.set _ZL20rocblas_gemvn_kernelILi64ELi16EldddEviiT3_lPKT2_lT1_lS3_lS4_lS0_lPT4_lS4_li.has_recursion, 0
	.set _ZL20rocblas_gemvn_kernelILi64ELi16EldddEviiT3_lPKT2_lT1_lS3_lS4_lS0_lPT4_lS4_li.has_indirect_call, 0
	.section	.AMDGPU.csdata,"",@progbits
; Kernel info:
; codeLenInByte = 3992
; TotalNumSgprs: 60
; NumVgprs: 92
; ScratchSize: 0
; MemoryBound: 1
; FloatMode: 240
; IeeeMode: 1
; LDSByteSize: 32768 bytes/workgroup (compile time only)
; SGPRBlocks: 0
; VGPRBlocks: 11
; NumSGPRsForWavesPerEU: 60
; NumVGPRsForWavesPerEU: 92
; Occupancy: 16
; WaveLimiterHint : 1
; COMPUTE_PGM_RSRC2:SCRATCH_EN: 0
; COMPUTE_PGM_RSRC2:USER_SGPR: 2
; COMPUTE_PGM_RSRC2:TRAP_HANDLER: 0
; COMPUTE_PGM_RSRC2:TGID_X_EN: 1
; COMPUTE_PGM_RSRC2:TGID_Y_EN: 0
; COMPUTE_PGM_RSRC2:TGID_Z_EN: 1
; COMPUTE_PGM_RSRC2:TIDIG_COMP_CNT: 1
	.section	.text._ZL22rocblas_gemvtsm_kernelILb0ELi256EdPKddEviiT2_lPKT1_lilS5_lilS2_lPT3_lil,"axG",@progbits,_ZL22rocblas_gemvtsm_kernelILb0ELi256EdPKddEviiT2_lPKT1_lilS5_lilS2_lPT3_lil,comdat
	.globl	_ZL22rocblas_gemvtsm_kernelILb0ELi256EdPKddEviiT2_lPKT1_lilS5_lilS2_lPT3_lil ; -- Begin function _ZL22rocblas_gemvtsm_kernelILb0ELi256EdPKddEviiT2_lPKT1_lilS5_lilS2_lPT3_lil
	.p2align	8
	.type	_ZL22rocblas_gemvtsm_kernelILb0ELi256EdPKddEviiT2_lPKT1_lilS5_lilS2_lPT3_lil,@function
_ZL22rocblas_gemvtsm_kernelILb0ELi256EdPKddEviiT2_lPKT1_lilS5_lilS2_lPT3_lil: ; @_ZL22rocblas_gemvtsm_kernelILb0ELi256EdPKddEviiT2_lPKT1_lilS5_lilS2_lPT3_lil
; %bb.0:
	s_clause 0x1
	s_load_b256 s[4:11], s[0:1], 0x8
	s_load_b256 s[12:19], s[0:1], 0x50
	s_mov_b32 s24, ttmp9
	s_mov_b32 s25, 0
	s_wait_kmcnt 0x0
	s_mul_u64 s[2:3], s[6:7], s[24:25]
	s_mul_u64 s[6:7], s[16:17], s[24:25]
	s_lshl_b64 s[2:3], s[2:3], 3
	s_lshl_b64 s[6:7], s[6:7], 3
	s_add_nc_u64 s[2:3], s[4:5], s[2:3]
	s_add_nc_u64 s[4:5], s[14:15], s[6:7]
	s_load_b64 s[26:27], s[2:3], 0x0
	s_load_b64 s[14:15], s[4:5], 0x0
	s_wait_kmcnt 0x0
	v_cmp_eq_f64_e64 s2, s[26:27], 0
	v_cmp_eq_f64_e64 s3, s[14:15], 1.0
	s_and_b32 s2, s2, s3
	s_delay_alu instid0(SALU_CYCLE_1)
	s_and_b32 vcc_lo, exec_lo, s2
	s_cbranch_vccnz .LBB68_34
; %bb.1:
	v_cmp_neq_f64_e64 s4, s[26:27], 0
	s_clause 0x2
	s_load_b64 s[2:3], s[0:1], 0x80
	s_load_b96 s[20:22], s[0:1], 0x70
	s_load_b64 s[16:17], s[0:1], 0x0
	s_wait_kmcnt 0x0
	s_mul_u64 s[28:29], s[2:3], s[24:25]
	s_and_b32 vcc_lo, exec_lo, s4
	s_cbranch_vccnz .LBB68_9
; %bb.2:
	v_cmp_neq_f64_e64 s2, s[14:15], 0
	s_cmp_gt_i32 s17, 0
	s_cselect_b32 s4, -1, 0
	s_delay_alu instid0(SALU_CYCLE_1) | instskip(SKIP_1) | instid1(VALU_DEP_1)
	v_cndmask_b32_e64 v1, 0, 1, s4
	s_and_b32 vcc_lo, exec_lo, s2
	v_cmp_ne_u32_e64 s2, 1, v1
	s_cbranch_vccnz .LBB68_10
; %bb.3:
	s_and_b32 vcc_lo, exec_lo, s2
	s_cbranch_vccnz .LBB68_8
; %bb.4:
	v_mad_co_i64_i32 v[1:2], null, s22, v0, 0
	s_lshl_b64 s[6:7], s[20:21], 3
	s_lshl_b64 s[30:31], s[28:29], 3
	s_add_nc_u64 s[6:7], s[18:19], s[6:7]
	v_mov_b32_e32 v3, 0
	s_add_nc_u64 s[6:7], s[6:7], s[30:31]
	s_ashr_i32 s3, s22, 31
	v_lshlrev_b64_e32 v[1:2], 3, v[1:2]
	s_mov_b32 s2, s22
	s_mov_b32 s5, 0
	s_lshl_b64 s[2:3], s[2:3], 11
	s_delay_alu instid0(VALU_DEP_1) | instskip(NEXT) | instid1(VALU_DEP_1)
	v_add_co_u32 v1, vcc_lo, s6, v1
	v_add_co_ci_u32_e64 v2, null, s7, v2, vcc_lo
	s_branch .LBB68_6
.LBB68_5:                               ;   in Loop: Header=BB68_6 Depth=1
	s_wait_alu 0xfffe
	s_or_b32 exec_lo, exec_lo, s6
	v_add_co_u32 v1, vcc_lo, v1, s2
	s_wait_alu 0xfffd
	v_add_co_ci_u32_e64 v2, null, s3, v2, vcc_lo
	s_addk_co_i32 s5, 0x100
	s_wait_alu 0xfffe
	s_cmp_ge_i32 s5, s17
	s_cbranch_scc1 .LBB68_8
.LBB68_6:                               ; =>This Inner Loop Header: Depth=1
	s_wait_alu 0xfffe
	v_add_nc_u32_e32 v4, s5, v0
	s_mov_b32 s6, exec_lo
	s_delay_alu instid0(VALU_DEP_1)
	v_cmpx_gt_i32_e64 s17, v4
	s_cbranch_execz .LBB68_5
; %bb.7:                                ;   in Loop: Header=BB68_6 Depth=1
	v_mov_b32_e32 v4, v3
	global_store_b64 v[1:2], v[3:4], off
	s_branch .LBB68_5
.LBB68_8:
	s_cbranch_execz .LBB68_11
	s_branch .LBB68_16
.LBB68_9:
	s_branch .LBB68_17
.LBB68_10:
.LBB68_11:
	s_and_not1_b32 vcc_lo, exec_lo, s4
	s_wait_alu 0xfffe
	s_cbranch_vccnz .LBB68_16
; %bb.12:
	v_mad_co_i64_i32 v[1:2], null, s22, v0, 0
	s_lshl_b64 s[4:5], s[20:21], 3
	s_lshl_b64 s[6:7], s[28:29], 3
	s_wait_alu 0xfffe
	s_add_nc_u64 s[4:5], s[18:19], s[4:5]
	s_ashr_i32 s3, s22, 31
	s_wait_alu 0xfffe
	s_add_nc_u64 s[4:5], s[4:5], s[6:7]
	s_mov_b32 s2, s22
	v_lshlrev_b64_e32 v[1:2], 3, v[1:2]
	s_wait_alu 0xfffe
	s_lshl_b64 s[2:3], s[2:3], 11
	s_delay_alu instid0(VALU_DEP_1) | instskip(SKIP_1) | instid1(VALU_DEP_2)
	v_add_co_u32 v1, vcc_lo, s4, v1
	s_wait_alu 0xfffd
	v_add_co_ci_u32_e64 v2, null, s5, v2, vcc_lo
	s_mov_b32 s4, 0
	s_branch .LBB68_14
.LBB68_13:                              ;   in Loop: Header=BB68_14 Depth=1
	s_wait_alu 0xfffe
	s_or_b32 exec_lo, exec_lo, s5
	v_add_co_u32 v1, vcc_lo, v1, s2
	s_wait_alu 0xfffd
	v_add_co_ci_u32_e64 v2, null, s3, v2, vcc_lo
	s_addk_co_i32 s4, 0x100
	s_wait_alu 0xfffe
	s_cmp_ge_i32 s4, s17
	s_cbranch_scc1 .LBB68_16
.LBB68_14:                              ; =>This Inner Loop Header: Depth=1
	s_wait_alu 0xfffe
	v_add_nc_u32_e32 v3, s4, v0
	s_mov_b32 s5, exec_lo
	s_delay_alu instid0(VALU_DEP_1)
	v_cmpx_gt_i32_e64 s17, v3
	s_cbranch_execz .LBB68_13
; %bb.15:                               ;   in Loop: Header=BB68_14 Depth=1
	global_load_b64 v[3:4], v[1:2], off
	s_wait_loadcnt 0x0
	v_mul_f64_e32 v[3:4], s[14:15], v[3:4]
	global_store_b64 v[1:2], v[3:4], off
	s_branch .LBB68_13
.LBB68_16:
	s_cbranch_execnz .LBB68_34
.LBB68_17:
	s_clause 0x1
	s_load_b128 s[4:7], s[0:1], 0x30
	s_load_b64 s[2:3], s[0:1], 0x40
	s_mov_b32 s23, exec_lo
	v_cmpx_gt_i32_e64 s16, v0
	s_cbranch_execz .LBB68_19
; %bb.18:
	s_load_b32 s30, s[0:1], 0x48
	s_mul_u64 s[12:13], s[12:13], s[24:25]
	s_wait_kmcnt 0x0
	s_lshl_b64 s[2:3], s[2:3], 3
	s_lshl_b64 s[12:13], s[12:13], 3
	v_lshlrev_b32_e32 v3, 3, v0
	s_add_nc_u64 s[6:7], s[6:7], s[12:13]
	s_wait_alu 0xfffe
	s_add_nc_u64 s[2:3], s[6:7], s[2:3]
	v_mad_co_i64_i32 v[1:2], null, s30, v0, 0
	s_delay_alu instid0(VALU_DEP_1) | instskip(SKIP_1) | instid1(VALU_DEP_1)
	v_lshlrev_b64_e32 v[1:2], 3, v[1:2]
	s_wait_alu 0xfffe
	v_add_co_u32 v1, vcc_lo, s2, v1
	s_wait_alu 0xfffd
	s_delay_alu instid0(VALU_DEP_2)
	v_add_co_ci_u32_e64 v2, null, s3, v2, vcc_lo
	global_load_b64 v[1:2], v[1:2], off
	s_wait_loadcnt 0x0
	v_mul_f64_e32 v[1:2], s[26:27], v[1:2]
	ds_store_b64 v3, v[1:2]
.LBB68_19:
	s_wait_alu 0xfffe
	s_or_b32 exec_lo, exec_lo, s23
	s_cmp_lt_i32 s17, 1
	s_wait_storecnt_dscnt 0x0
	s_barrier_signal -1
	s_barrier_wait -1
	global_inv scope:SCOPE_SE
	s_cbranch_scc1 .LBB68_34
; %bb.20:
	s_load_b32 s26, s[0:1], 0x28
	v_cmp_neq_f64_e64 s12, s[14:15], 0
	s_lshl_b64 s[0:1], s[28:29], 3
	s_wait_kmcnt 0x0
	s_lshl_b64 s[2:3], s[20:21], 3
	s_ashr_i32 s6, s22, 31
	s_add_nc_u64 s[0:1], s[18:19], s[0:1]
	s_mul_u64 s[4:5], s[4:5], s[24:25]
	s_wait_alu 0xfffe
	s_add_nc_u64 s[0:1], s[0:1], s[2:3]
	s_mov_b32 s7, s22
	s_ashr_i32 s27, s26, 31
	s_cmp_gt_i32 s16, 0
	v_mad_co_i64_i32 v[1:2], null, s26, v0, 0
	s_cselect_b32 s13, -1, 0
	s_and_b32 s18, s16, 7
	s_cmp_gt_u32 s16, 7
	s_cselect_b32 s19, -1, 0
	s_and_b32 s16, s16, 0x7ffffff8
	s_cmp_lg_u32 s18, 0
	v_lshlrev_b64_e32 v[1:2], 3, v[1:2]
	s_cselect_b32 s20, -1, 0
	s_lshl_b64 s[2:3], s[10:11], 3
	s_lshl_b64 s[4:5], s[4:5], 3
	s_wait_alu 0xfffe
	s_add_nc_u64 s[2:3], s[8:9], s[2:3]
	s_mov_b32 s8, 0
	s_wait_alu 0xfffe
	s_add_nc_u64 s[2:3], s[2:3], s[4:5]
	s_lshl_b64 s[4:5], s[26:27], 11
	s_wait_alu 0xfffe
	v_add_co_u32 v9, vcc_lo, s2, v1
	s_wait_alu 0xfffd
	v_add_co_ci_u32_e64 v10, null, s3, v2, vcc_lo
	s_mov_b32 s3, 0
	v_add_co_u32 v1, vcc_lo, v9, 56
	s_wait_alu 0xfffd
	v_add_co_ci_u32_e64 v2, null, 0, v10, vcc_lo
	s_branch .LBB68_23
.LBB68_21:                              ;   in Loop: Header=BB68_23 Depth=1
	v_add_co_u32 v3, vcc_lo, s0, v3
	s_wait_alu 0xfffd
	v_add_co_ci_u32_e64 v4, null, s1, v4, vcc_lo
	global_store_b64 v[3:4], v[5:6], off
.LBB68_22:                              ;   in Loop: Header=BB68_23 Depth=1
	s_wait_alu 0xfffe
	s_or_b32 exec_lo, exec_lo, s9
	v_add_co_u32 v1, vcc_lo, v1, s4
	s_wait_alu 0xfffd
	v_add_co_ci_u32_e64 v2, null, s5, v2, vcc_lo
	v_add_co_u32 v9, vcc_lo, v9, s4
	s_wait_alu 0xfffd
	v_add_co_ci_u32_e64 v10, null, s5, v10, vcc_lo
	s_addk_co_i32 s8, 0x100
	s_wait_alu 0xfffe
	s_cmp_ge_i32 s8, s17
	s_cbranch_scc1 .LBB68_34
.LBB68_23:                              ; =>This Loop Header: Depth=1
                                        ;     Child Loop BB68_29 Depth 2
                                        ;     Child Loop BB68_33 Depth 2
	v_add_nc_u32_e32 v3, s8, v0
	s_mov_b32 s9, exec_lo
	s_delay_alu instid0(VALU_DEP_1)
	v_cmpx_gt_i32_e64 s17, v3
	s_cbranch_execz .LBB68_22
; %bb.24:                               ;   in Loop: Header=BB68_23 Depth=1
	v_mad_co_u64_u32 v[4:5], null, v3, s7, 0
	s_and_not1_b32 vcc_lo, exec_lo, s12
	v_mad_co_u64_u32 v[5:6], null, v3, s6, v[5:6]
	s_delay_alu instid0(VALU_DEP_1)
	v_lshlrev_b64_e32 v[3:4], 3, v[4:5]
	s_wait_alu 0xfffe
	s_cbranch_vccnz .LBB68_26
; %bb.25:                               ;   in Loop: Header=BB68_23 Depth=1
	s_delay_alu instid0(VALU_DEP_1) | instskip(SKIP_1) | instid1(VALU_DEP_2)
	v_add_co_u32 v5, vcc_lo, s0, v3
	s_wait_alu 0xfffd
	v_add_co_ci_u32_e64 v6, null, s1, v4, vcc_lo
	global_load_b64 v[5:6], v[5:6], off
	s_wait_loadcnt 0x0
	v_mul_f64_e32 v[5:6], s[14:15], v[5:6]
	s_and_not1_b32 vcc_lo, exec_lo, s13
	s_wait_alu 0xfffe
	s_cbranch_vccz .LBB68_27
	s_branch .LBB68_21
.LBB68_26:                              ;   in Loop: Header=BB68_23 Depth=1
	v_mov_b32_e32 v5, 0
	v_mov_b32_e32 v6, 0
	s_and_not1_b32 vcc_lo, exec_lo, s13
	s_wait_alu 0xfffe
	s_cbranch_vccnz .LBB68_21
.LBB68_27:                              ;   in Loop: Header=BB68_23 Depth=1
	s_and_not1_b32 vcc_lo, exec_lo, s19
	s_mov_b32 s2, 0
	s_wait_alu 0xfffe
	s_cbranch_vccnz .LBB68_31
; %bb.28:                               ;   in Loop: Header=BB68_23 Depth=1
	v_dual_mov_b32 v8, v2 :: v_dual_mov_b32 v7, v1
	s_mov_b32 s10, 0
.LBB68_29:                              ;   Parent Loop BB68_23 Depth=1
                                        ; =>  This Inner Loop Header: Depth=2
	s_clause 0x3
	global_load_b128 v[11:14], v[7:8], off offset:-56
	global_load_b128 v[15:18], v[7:8], off offset:-40
	;; [unrolled: 1-line block ×4, first 2 shown]
	s_wait_alu 0xfffe
	v_mov_b32_e32 v35, s2
	v_add_co_u32 v7, vcc_lo, v7, 64
	s_wait_alu 0xfffd
	v_add_co_ci_u32_e64 v8, null, 0, v8, vcc_lo
	ds_load_b128 v[27:30], v35
	ds_load_b128 v[31:34], v35 offset:16
	s_add_co_i32 s10, s10, 8
	s_add_co_i32 s2, s2, 64
	s_wait_alu 0xfffe
	s_cmp_eq_u32 s16, s10
	s_wait_loadcnt_dscnt 0x301
	v_fma_f64 v[5:6], v[27:28], v[11:12], v[5:6]
	s_delay_alu instid0(VALU_DEP_1) | instskip(SKIP_1) | instid1(VALU_DEP_1)
	v_fma_f64 v[5:6], v[29:30], v[13:14], v[5:6]
	s_wait_loadcnt_dscnt 0x200
	v_fma_f64 v[5:6], v[31:32], v[15:16], v[5:6]
	s_delay_alu instid0(VALU_DEP_1) | instskip(SKIP_4) | instid1(VALU_DEP_1)
	v_fma_f64 v[5:6], v[33:34], v[17:18], v[5:6]
	ds_load_b128 v[11:14], v35 offset:32
	ds_load_b128 v[15:18], v35 offset:48
	s_wait_loadcnt_dscnt 0x101
	v_fma_f64 v[5:6], v[11:12], v[19:20], v[5:6]
	v_fma_f64 v[5:6], v[13:14], v[21:22], v[5:6]
	s_wait_loadcnt_dscnt 0x0
	s_delay_alu instid0(VALU_DEP_1) | instskip(NEXT) | instid1(VALU_DEP_1)
	v_fma_f64 v[5:6], v[15:16], v[23:24], v[5:6]
	v_fma_f64 v[5:6], v[17:18], v[25:26], v[5:6]
	s_cbranch_scc0 .LBB68_29
; %bb.30:                               ;   in Loop: Header=BB68_23 Depth=1
	s_mov_b32 s2, s16
.LBB68_31:                              ;   in Loop: Header=BB68_23 Depth=1
	s_and_not1_b32 vcc_lo, exec_lo, s20
	s_wait_alu 0xfffe
	s_cbranch_vccnz .LBB68_21
; %bb.32:                               ;   in Loop: Header=BB68_23 Depth=1
	s_lshl_b64 s[10:11], s[2:3], 3
	s_lshl_b32 s2, s2, 3
	s_wait_alu 0xfffe
	v_add_co_u32 v7, vcc_lo, v9, s10
	s_wait_alu 0xfffd
	v_add_co_ci_u32_e64 v8, null, s11, v10, vcc_lo
	s_mov_b32 s10, s18
.LBB68_33:                              ;   Parent Loop BB68_23 Depth=1
                                        ; =>  This Inner Loop Header: Depth=2
	global_load_b64 v[11:12], v[7:8], off
	s_wait_alu 0xfffe
	v_mov_b32_e32 v13, s2
	v_add_co_u32 v7, vcc_lo, v7, 8
	s_wait_alu 0xfffd
	v_add_co_ci_u32_e64 v8, null, 0, v8, vcc_lo
	ds_load_b64 v[13:14], v13
	s_add_co_i32 s10, s10, -1
	s_add_co_i32 s2, s2, 8
	s_wait_alu 0xfffe
	s_cmp_lg_u32 s10, 0
	s_wait_loadcnt_dscnt 0x0
	v_fma_f64 v[5:6], v[13:14], v[11:12], v[5:6]
	s_cbranch_scc1 .LBB68_33
	s_branch .LBB68_21
.LBB68_34:
	s_endpgm
	.section	.rodata,"a",@progbits
	.p2align	6, 0x0
	.amdhsa_kernel _ZL22rocblas_gemvtsm_kernelILb0ELi256EdPKddEviiT2_lPKT1_lilS5_lilS2_lPT3_lil
		.amdhsa_group_segment_fixed_size 512
		.amdhsa_private_segment_fixed_size 0
		.amdhsa_kernarg_size 136
		.amdhsa_user_sgpr_count 2
		.amdhsa_user_sgpr_dispatch_ptr 0
		.amdhsa_user_sgpr_queue_ptr 0
		.amdhsa_user_sgpr_kernarg_segment_ptr 1
		.amdhsa_user_sgpr_dispatch_id 0
		.amdhsa_user_sgpr_private_segment_size 0
		.amdhsa_wavefront_size32 1
		.amdhsa_uses_dynamic_stack 0
		.amdhsa_enable_private_segment 0
		.amdhsa_system_sgpr_workgroup_id_x 1
		.amdhsa_system_sgpr_workgroup_id_y 0
		.amdhsa_system_sgpr_workgroup_id_z 0
		.amdhsa_system_sgpr_workgroup_info 0
		.amdhsa_system_vgpr_workitem_id 0
		.amdhsa_next_free_vgpr 36
		.amdhsa_next_free_sgpr 32
		.amdhsa_reserve_vcc 1
		.amdhsa_float_round_mode_32 0
		.amdhsa_float_round_mode_16_64 0
		.amdhsa_float_denorm_mode_32 3
		.amdhsa_float_denorm_mode_16_64 3
		.amdhsa_fp16_overflow 0
		.amdhsa_workgroup_processor_mode 1
		.amdhsa_memory_ordered 1
		.amdhsa_forward_progress 1
		.amdhsa_inst_pref_size 13
		.amdhsa_round_robin_scheduling 0
		.amdhsa_exception_fp_ieee_invalid_op 0
		.amdhsa_exception_fp_denorm_src 0
		.amdhsa_exception_fp_ieee_div_zero 0
		.amdhsa_exception_fp_ieee_overflow 0
		.amdhsa_exception_fp_ieee_underflow 0
		.amdhsa_exception_fp_ieee_inexact 0
		.amdhsa_exception_int_div_zero 0
	.end_amdhsa_kernel
	.section	.text._ZL22rocblas_gemvtsm_kernelILb0ELi256EdPKddEviiT2_lPKT1_lilS5_lilS2_lPT3_lil,"axG",@progbits,_ZL22rocblas_gemvtsm_kernelILb0ELi256EdPKddEviiT2_lPKT1_lilS5_lilS2_lPT3_lil,comdat
.Lfunc_end68:
	.size	_ZL22rocblas_gemvtsm_kernelILb0ELi256EdPKddEviiT2_lPKT1_lilS5_lilS2_lPT3_lil, .Lfunc_end68-_ZL22rocblas_gemvtsm_kernelILb0ELi256EdPKddEviiT2_lPKT1_lilS5_lilS2_lPT3_lil
                                        ; -- End function
	.set _ZL22rocblas_gemvtsm_kernelILb0ELi256EdPKddEviiT2_lPKT1_lilS5_lilS2_lPT3_lil.num_vgpr, 36
	.set _ZL22rocblas_gemvtsm_kernelILb0ELi256EdPKddEviiT2_lPKT1_lilS5_lilS2_lPT3_lil.num_agpr, 0
	.set _ZL22rocblas_gemvtsm_kernelILb0ELi256EdPKddEviiT2_lPKT1_lilS5_lilS2_lPT3_lil.numbered_sgpr, 32
	.set _ZL22rocblas_gemvtsm_kernelILb0ELi256EdPKddEviiT2_lPKT1_lilS5_lilS2_lPT3_lil.num_named_barrier, 0
	.set _ZL22rocblas_gemvtsm_kernelILb0ELi256EdPKddEviiT2_lPKT1_lilS5_lilS2_lPT3_lil.private_seg_size, 0
	.set _ZL22rocblas_gemvtsm_kernelILb0ELi256EdPKddEviiT2_lPKT1_lilS5_lilS2_lPT3_lil.uses_vcc, 1
	.set _ZL22rocblas_gemvtsm_kernelILb0ELi256EdPKddEviiT2_lPKT1_lilS5_lilS2_lPT3_lil.uses_flat_scratch, 0
	.set _ZL22rocblas_gemvtsm_kernelILb0ELi256EdPKddEviiT2_lPKT1_lilS5_lilS2_lPT3_lil.has_dyn_sized_stack, 0
	.set _ZL22rocblas_gemvtsm_kernelILb0ELi256EdPKddEviiT2_lPKT1_lilS5_lilS2_lPT3_lil.has_recursion, 0
	.set _ZL22rocblas_gemvtsm_kernelILb0ELi256EdPKddEviiT2_lPKT1_lilS5_lilS2_lPT3_lil.has_indirect_call, 0
	.section	.AMDGPU.csdata,"",@progbits
; Kernel info:
; codeLenInByte = 1600
; TotalNumSgprs: 34
; NumVgprs: 36
; ScratchSize: 0
; MemoryBound: 0
; FloatMode: 240
; IeeeMode: 1
; LDSByteSize: 512 bytes/workgroup (compile time only)
; SGPRBlocks: 0
; VGPRBlocks: 4
; NumSGPRsForWavesPerEU: 34
; NumVGPRsForWavesPerEU: 36
; Occupancy: 16
; WaveLimiterHint : 1
; COMPUTE_PGM_RSRC2:SCRATCH_EN: 0
; COMPUTE_PGM_RSRC2:USER_SGPR: 2
; COMPUTE_PGM_RSRC2:TRAP_HANDLER: 0
; COMPUTE_PGM_RSRC2:TGID_X_EN: 1
; COMPUTE_PGM_RSRC2:TGID_Y_EN: 0
; COMPUTE_PGM_RSRC2:TGID_Z_EN: 0
; COMPUTE_PGM_RSRC2:TIDIG_COMP_CNT: 0
	.section	.text._ZL22rocblas_gemvtsm_kernelILb0ELi256EdddEviiT2_lPKT1_lilS3_lilS0_lPT3_lil,"axG",@progbits,_ZL22rocblas_gemvtsm_kernelILb0ELi256EdddEviiT2_lPKT1_lilS3_lilS0_lPT3_lil,comdat
	.globl	_ZL22rocblas_gemvtsm_kernelILb0ELi256EdddEviiT2_lPKT1_lilS3_lilS0_lPT3_lil ; -- Begin function _ZL22rocblas_gemvtsm_kernelILb0ELi256EdddEviiT2_lPKT1_lilS3_lilS0_lPT3_lil
	.p2align	8
	.type	_ZL22rocblas_gemvtsm_kernelILb0ELi256EdddEviiT2_lPKT1_lilS3_lilS0_lPT3_lil,@function
_ZL22rocblas_gemvtsm_kernelILb0ELi256EdddEviiT2_lPKT1_lilS3_lilS0_lPT3_lil: ; @_ZL22rocblas_gemvtsm_kernelILb0ELi256EdddEviiT2_lPKT1_lilS3_lilS0_lPT3_lil
; %bb.0:
	s_clause 0x1
	s_load_b64 s[22:23], s[0:1], 0x8
	s_load_b128 s[4:7], s[0:1], 0x50
	s_wait_kmcnt 0x0
	v_cmp_eq_f64_e64 s2, s[22:23], 0
	v_cmp_eq_f64_e64 s3, s[6:7], 1.0
	s_and_b32 s2, s2, s3
	s_delay_alu instid0(SALU_CYCLE_1)
	s_and_b32 vcc_lo, exec_lo, s2
	s_cbranch_vccnz .LBB69_34
; %bb.1:
	v_cmp_neq_f64_e64 s12, s[22:23], 0
	s_clause 0x3
	s_load_b64 s[2:3], s[0:1], 0x80
	s_load_b32 s16, s[0:1], 0x78
	s_load_b64 s[18:19], s[0:1], 0x0
	s_load_b128 s[8:11], s[0:1], 0x68
	s_mov_b32 s20, ttmp9
	s_mov_b32 s21, 0
	s_wait_kmcnt 0x0
	s_mul_u64 s[24:25], s[2:3], s[20:21]
	s_and_b32 vcc_lo, exec_lo, s12
	s_cbranch_vccnz .LBB69_9
; %bb.2:
	v_cmp_neq_f64_e64 s2, s[6:7], 0
	s_cmp_gt_i32 s19, 0
	s_cselect_b32 s12, -1, 0
	s_delay_alu instid0(SALU_CYCLE_1) | instskip(SKIP_1) | instid1(VALU_DEP_1)
	v_cndmask_b32_e64 v1, 0, 1, s12
	s_and_b32 vcc_lo, exec_lo, s2
	v_cmp_ne_u32_e64 s2, 1, v1
	s_cbranch_vccnz .LBB69_10
; %bb.3:
	s_and_b32 vcc_lo, exec_lo, s2
	s_cbranch_vccnz .LBB69_8
; %bb.4:
	v_mad_co_i64_i32 v[1:2], null, s16, v0, 0
	s_lshl_b64 s[2:3], s[10:11], 3
	s_lshl_b64 s[14:15], s[24:25], 3
	s_add_nc_u64 s[2:3], s[8:9], s[2:3]
	v_mov_b32_e32 v3, 0
	s_add_nc_u64 s[2:3], s[2:3], s[14:15]
	s_ashr_i32 s17, s16, 31
	v_lshlrev_b64_e32 v[1:2], 3, v[1:2]
	s_mov_b32 s13, 0
	s_delay_alu instid0(VALU_DEP_1) | instskip(NEXT) | instid1(VALU_DEP_1)
	v_add_co_u32 v1, vcc_lo, s2, v1
	v_add_co_ci_u32_e64 v2, null, s3, v2, vcc_lo
	s_wait_alu 0xfffe
	s_lshl_b64 s[2:3], s[16:17], 11
	s_branch .LBB69_6
.LBB69_5:                               ;   in Loop: Header=BB69_6 Depth=1
	s_or_b32 exec_lo, exec_lo, s14
	s_wait_alu 0xfffe
	v_add_co_u32 v1, vcc_lo, v1, s2
	s_wait_alu 0xfffd
	v_add_co_ci_u32_e64 v2, null, s3, v2, vcc_lo
	s_addk_co_i32 s13, 0x100
	s_wait_alu 0xfffe
	s_cmp_ge_i32 s13, s19
	s_cbranch_scc1 .LBB69_8
.LBB69_6:                               ; =>This Inner Loop Header: Depth=1
	v_add_nc_u32_e32 v4, s13, v0
	s_mov_b32 s14, exec_lo
	s_delay_alu instid0(VALU_DEP_1)
	v_cmpx_gt_i32_e64 s19, v4
	s_cbranch_execz .LBB69_5
; %bb.7:                                ;   in Loop: Header=BB69_6 Depth=1
	v_mov_b32_e32 v4, v3
	global_store_b64 v[1:2], v[3:4], off
	s_branch .LBB69_5
.LBB69_8:
	s_cbranch_execz .LBB69_11
	s_branch .LBB69_16
.LBB69_9:
	s_branch .LBB69_17
.LBB69_10:
.LBB69_11:
	s_and_not1_b32 vcc_lo, exec_lo, s12
	s_wait_alu 0xfffe
	s_cbranch_vccnz .LBB69_16
; %bb.12:
	v_mad_co_i64_i32 v[1:2], null, s16, v0, 0
	s_lshl_b64 s[2:3], s[10:11], 3
	s_lshl_b64 s[12:13], s[24:25], 3
	s_wait_alu 0xfffe
	s_add_nc_u64 s[2:3], s[8:9], s[2:3]
	s_ashr_i32 s17, s16, 31
	s_wait_alu 0xfffe
	s_add_nc_u64 s[2:3], s[2:3], s[12:13]
	s_mov_b32 s12, 0
	v_lshlrev_b64_e32 v[1:2], 3, v[1:2]
	s_wait_alu 0xfffe
	s_delay_alu instid0(VALU_DEP_1) | instskip(SKIP_1) | instid1(VALU_DEP_2)
	v_add_co_u32 v1, vcc_lo, s2, v1
	s_wait_alu 0xfffd
	v_add_co_ci_u32_e64 v2, null, s3, v2, vcc_lo
	s_lshl_b64 s[2:3], s[16:17], 11
	s_branch .LBB69_14
.LBB69_13:                              ;   in Loop: Header=BB69_14 Depth=1
	s_wait_alu 0xfffe
	s_or_b32 exec_lo, exec_lo, s13
	v_add_co_u32 v1, vcc_lo, v1, s2
	s_wait_alu 0xfffd
	v_add_co_ci_u32_e64 v2, null, s3, v2, vcc_lo
	s_addk_co_i32 s12, 0x100
	s_wait_alu 0xfffe
	s_cmp_ge_i32 s12, s19
	s_cbranch_scc1 .LBB69_16
.LBB69_14:                              ; =>This Inner Loop Header: Depth=1
	v_add_nc_u32_e32 v3, s12, v0
	s_mov_b32 s13, exec_lo
	s_delay_alu instid0(VALU_DEP_1)
	v_cmpx_gt_i32_e64 s19, v3
	s_cbranch_execz .LBB69_13
; %bb.15:                               ;   in Loop: Header=BB69_14 Depth=1
	global_load_b64 v[3:4], v[1:2], off
	s_wait_loadcnt 0x0
	v_mul_f64_e32 v[3:4], s[6:7], v[3:4]
	global_store_b64 v[1:2], v[3:4], off
	s_branch .LBB69_13
.LBB69_16:
	s_cbranch_execnz .LBB69_34
.LBB69_17:
	s_clause 0x1
	s_load_b128 s[12:15], s[0:1], 0x30
	s_load_b64 s[2:3], s[0:1], 0x40
	s_mov_b32 s17, exec_lo
	v_cmpx_gt_i32_e64 s18, v0
	s_cbranch_execz .LBB69_19
; %bb.18:
	s_load_b32 s26, s[0:1], 0x48
	s_mul_u64 s[4:5], s[4:5], s[20:21]
	s_wait_kmcnt 0x0
	s_lshl_b64 s[2:3], s[2:3], 3
	s_lshl_b64 s[4:5], s[4:5], 3
	v_lshlrev_b32_e32 v3, 3, v0
	s_add_nc_u64 s[4:5], s[14:15], s[4:5]
	s_wait_alu 0xfffe
	s_add_nc_u64 s[2:3], s[4:5], s[2:3]
	v_mad_co_i64_i32 v[1:2], null, s26, v0, 0
	s_delay_alu instid0(VALU_DEP_1) | instskip(SKIP_1) | instid1(VALU_DEP_1)
	v_lshlrev_b64_e32 v[1:2], 3, v[1:2]
	s_wait_alu 0xfffe
	v_add_co_u32 v1, vcc_lo, s2, v1
	s_wait_alu 0xfffd
	s_delay_alu instid0(VALU_DEP_2)
	v_add_co_ci_u32_e64 v2, null, s3, v2, vcc_lo
	global_load_b64 v[1:2], v[1:2], off
	s_wait_loadcnt 0x0
	v_mul_f64_e32 v[1:2], s[22:23], v[1:2]
	ds_store_b64 v3, v[1:2]
.LBB69_19:
	s_wait_alu 0xfffe
	s_or_b32 exec_lo, exec_lo, s17
	s_cmp_lt_i32 s19, 1
	s_wait_storecnt_dscnt 0x0
	s_barrier_signal -1
	s_barrier_wait -1
	global_inv scope:SCOPE_SE
	s_cbranch_scc1 .LBB69_34
; %bb.20:
	s_load_b32 s22, s[0:1], 0x28
	s_wait_kmcnt 0x0
	s_load_b128 s[0:3], s[0:1], 0x18
	s_lshl_b64 s[14:15], s[10:11], 3
	v_cmp_neq_f64_e64 s11, s[6:7], 0
	s_lshl_b64 s[4:5], s[24:25], 3
	s_ashr_i32 s10, s16, 31
	s_add_nc_u64 s[4:5], s[8:9], s[4:5]
	s_mul_u64 s[20:21], s[12:13], s[20:21]
	s_add_nc_u64 s[4:5], s[4:5], s[14:15]
	s_mov_b32 s15, 0
	s_ashr_i32 s23, s22, 31
	s_cmp_gt_i32 s18, 0
	v_mad_co_i64_i32 v[1:2], null, s22, v0, 0
	s_cselect_b32 s8, -1, 0
	s_and_b32 s9, s18, 7
	s_cmp_gt_u32 s18, 7
	s_cselect_b32 s12, -1, 0
	s_and_b32 s13, s18, 0x7ffffff8
	s_cmp_lg_u32 s9, 0
	v_lshlrev_b64_e32 v[1:2], 3, v[1:2]
	s_cselect_b32 s14, -1, 0
	s_wait_kmcnt 0x0
	s_lshl_b64 s[2:3], s[2:3], 3
	s_lshl_b64 s[20:21], s[20:21], 3
	s_wait_alu 0xfffe
	s_add_nc_u64 s[0:1], s[0:1], s[2:3]
	s_lshl_b64 s[2:3], s[22:23], 11
	s_add_nc_u64 s[0:1], s[0:1], s[20:21]
	s_delay_alu instid0(SALU_CYCLE_1)
	v_add_co_u32 v9, vcc_lo, s0, v1
	s_wait_alu 0xfffd
	v_add_co_ci_u32_e64 v10, null, s1, v2, vcc_lo
	s_mov_b32 s1, 0
	v_add_co_u32 v1, vcc_lo, v9, 56
	s_wait_alu 0xfffd
	v_add_co_ci_u32_e64 v2, null, 0, v10, vcc_lo
	s_branch .LBB69_23
.LBB69_21:                              ;   in Loop: Header=BB69_23 Depth=1
	v_add_co_u32 v3, vcc_lo, s4, v3
	s_wait_alu 0xfffd
	v_add_co_ci_u32_e64 v4, null, s5, v4, vcc_lo
	global_store_b64 v[3:4], v[5:6], off
.LBB69_22:                              ;   in Loop: Header=BB69_23 Depth=1
	s_wait_alu 0xfffe
	s_or_b32 exec_lo, exec_lo, s17
	v_add_co_u32 v1, vcc_lo, v1, s2
	s_wait_alu 0xfffd
	v_add_co_ci_u32_e64 v2, null, s3, v2, vcc_lo
	v_add_co_u32 v9, vcc_lo, v9, s2
	s_wait_alu 0xfffd
	v_add_co_ci_u32_e64 v10, null, s3, v10, vcc_lo
	s_addk_co_i32 s15, 0x100
	s_wait_alu 0xfffe
	s_cmp_ge_i32 s15, s19
	s_cbranch_scc1 .LBB69_34
.LBB69_23:                              ; =>This Loop Header: Depth=1
                                        ;     Child Loop BB69_29 Depth 2
                                        ;     Child Loop BB69_33 Depth 2
	v_add_nc_u32_e32 v3, s15, v0
	s_mov_b32 s17, exec_lo
	s_delay_alu instid0(VALU_DEP_1)
	v_cmpx_gt_i32_e64 s19, v3
	s_cbranch_execz .LBB69_22
; %bb.24:                               ;   in Loop: Header=BB69_23 Depth=1
	v_mad_co_u64_u32 v[4:5], null, v3, s16, 0
	s_and_not1_b32 vcc_lo, exec_lo, s11
	v_mad_co_u64_u32 v[5:6], null, v3, s10, v[5:6]
	s_delay_alu instid0(VALU_DEP_1)
	v_lshlrev_b64_e32 v[3:4], 3, v[4:5]
	s_wait_alu 0xfffe
	s_cbranch_vccnz .LBB69_26
; %bb.25:                               ;   in Loop: Header=BB69_23 Depth=1
	s_delay_alu instid0(VALU_DEP_1) | instskip(SKIP_1) | instid1(VALU_DEP_2)
	v_add_co_u32 v5, vcc_lo, s4, v3
	s_wait_alu 0xfffd
	v_add_co_ci_u32_e64 v6, null, s5, v4, vcc_lo
	global_load_b64 v[5:6], v[5:6], off
	s_wait_loadcnt 0x0
	v_mul_f64_e32 v[5:6], s[6:7], v[5:6]
	s_and_not1_b32 vcc_lo, exec_lo, s8
	s_wait_alu 0xfffe
	s_cbranch_vccz .LBB69_27
	s_branch .LBB69_21
.LBB69_26:                              ;   in Loop: Header=BB69_23 Depth=1
	v_mov_b32_e32 v5, 0
	v_mov_b32_e32 v6, 0
	s_and_not1_b32 vcc_lo, exec_lo, s8
	s_wait_alu 0xfffe
	s_cbranch_vccnz .LBB69_21
.LBB69_27:                              ;   in Loop: Header=BB69_23 Depth=1
	s_and_not1_b32 vcc_lo, exec_lo, s12
	s_mov_b32 s0, 0
	s_wait_alu 0xfffe
	s_cbranch_vccnz .LBB69_31
; %bb.28:                               ;   in Loop: Header=BB69_23 Depth=1
	v_dual_mov_b32 v8, v2 :: v_dual_mov_b32 v7, v1
	s_mov_b32 s18, 0
.LBB69_29:                              ;   Parent Loop BB69_23 Depth=1
                                        ; =>  This Inner Loop Header: Depth=2
	s_clause 0x3
	global_load_b128 v[11:14], v[7:8], off offset:-56
	global_load_b128 v[15:18], v[7:8], off offset:-40
	;; [unrolled: 1-line block ×4, first 2 shown]
	v_mov_b32_e32 v35, s0
	v_add_co_u32 v7, vcc_lo, v7, 64
	s_wait_alu 0xfffd
	v_add_co_ci_u32_e64 v8, null, 0, v8, vcc_lo
	ds_load_b128 v[27:30], v35
	ds_load_b128 v[31:34], v35 offset:16
	s_wait_alu 0xfffe
	s_add_co_i32 s18, s18, 8
	s_add_co_i32 s0, s0, 64
	s_wait_alu 0xfffe
	s_cmp_eq_u32 s13, s18
	s_wait_loadcnt_dscnt 0x301
	v_fma_f64 v[5:6], v[27:28], v[11:12], v[5:6]
	s_delay_alu instid0(VALU_DEP_1) | instskip(SKIP_1) | instid1(VALU_DEP_1)
	v_fma_f64 v[5:6], v[29:30], v[13:14], v[5:6]
	s_wait_loadcnt_dscnt 0x200
	v_fma_f64 v[5:6], v[31:32], v[15:16], v[5:6]
	s_delay_alu instid0(VALU_DEP_1) | instskip(SKIP_4) | instid1(VALU_DEP_1)
	v_fma_f64 v[5:6], v[33:34], v[17:18], v[5:6]
	ds_load_b128 v[11:14], v35 offset:32
	ds_load_b128 v[15:18], v35 offset:48
	s_wait_loadcnt_dscnt 0x101
	v_fma_f64 v[5:6], v[11:12], v[19:20], v[5:6]
	v_fma_f64 v[5:6], v[13:14], v[21:22], v[5:6]
	s_wait_loadcnt_dscnt 0x0
	s_delay_alu instid0(VALU_DEP_1) | instskip(NEXT) | instid1(VALU_DEP_1)
	v_fma_f64 v[5:6], v[15:16], v[23:24], v[5:6]
	v_fma_f64 v[5:6], v[17:18], v[25:26], v[5:6]
	s_cbranch_scc0 .LBB69_29
; %bb.30:                               ;   in Loop: Header=BB69_23 Depth=1
	s_mov_b32 s0, s13
.LBB69_31:                              ;   in Loop: Header=BB69_23 Depth=1
	s_and_not1_b32 vcc_lo, exec_lo, s14
	s_wait_alu 0xfffe
	s_cbranch_vccnz .LBB69_21
; %bb.32:                               ;   in Loop: Header=BB69_23 Depth=1
	s_lshl_b64 s[20:21], s[0:1], 3
	s_lshl_b32 s0, s0, 3
	s_wait_alu 0xfffe
	v_add_co_u32 v7, vcc_lo, v9, s20
	s_wait_alu 0xfffd
	v_add_co_ci_u32_e64 v8, null, s21, v10, vcc_lo
	s_mov_b32 s18, s9
.LBB69_33:                              ;   Parent Loop BB69_23 Depth=1
                                        ; =>  This Inner Loop Header: Depth=2
	global_load_b64 v[11:12], v[7:8], off
	s_wait_alu 0xfffe
	v_mov_b32_e32 v13, s0
	v_add_co_u32 v7, vcc_lo, v7, 8
	s_wait_alu 0xfffd
	v_add_co_ci_u32_e64 v8, null, 0, v8, vcc_lo
	ds_load_b64 v[13:14], v13
	s_add_co_i32 s18, s18, -1
	s_add_co_i32 s0, s0, 8
	s_wait_alu 0xfffe
	s_cmp_lg_u32 s18, 0
	s_wait_loadcnt_dscnt 0x0
	v_fma_f64 v[5:6], v[13:14], v[11:12], v[5:6]
	s_cbranch_scc1 .LBB69_33
	s_branch .LBB69_21
.LBB69_34:
	s_endpgm
	.section	.rodata,"a",@progbits
	.p2align	6, 0x0
	.amdhsa_kernel _ZL22rocblas_gemvtsm_kernelILb0ELi256EdddEviiT2_lPKT1_lilS3_lilS0_lPT3_lil
		.amdhsa_group_segment_fixed_size 512
		.amdhsa_private_segment_fixed_size 0
		.amdhsa_kernarg_size 136
		.amdhsa_user_sgpr_count 2
		.amdhsa_user_sgpr_dispatch_ptr 0
		.amdhsa_user_sgpr_queue_ptr 0
		.amdhsa_user_sgpr_kernarg_segment_ptr 1
		.amdhsa_user_sgpr_dispatch_id 0
		.amdhsa_user_sgpr_private_segment_size 0
		.amdhsa_wavefront_size32 1
		.amdhsa_uses_dynamic_stack 0
		.amdhsa_enable_private_segment 0
		.amdhsa_system_sgpr_workgroup_id_x 1
		.amdhsa_system_sgpr_workgroup_id_y 0
		.amdhsa_system_sgpr_workgroup_id_z 0
		.amdhsa_system_sgpr_workgroup_info 0
		.amdhsa_system_vgpr_workitem_id 0
		.amdhsa_next_free_vgpr 36
		.amdhsa_next_free_sgpr 27
		.amdhsa_reserve_vcc 1
		.amdhsa_float_round_mode_32 0
		.amdhsa_float_round_mode_16_64 0
		.amdhsa_float_denorm_mode_32 3
		.amdhsa_float_denorm_mode_16_64 3
		.amdhsa_fp16_overflow 0
		.amdhsa_workgroup_processor_mode 1
		.amdhsa_memory_ordered 1
		.amdhsa_forward_progress 1
		.amdhsa_inst_pref_size 13
		.amdhsa_round_robin_scheduling 0
		.amdhsa_exception_fp_ieee_invalid_op 0
		.amdhsa_exception_fp_denorm_src 0
		.amdhsa_exception_fp_ieee_div_zero 0
		.amdhsa_exception_fp_ieee_overflow 0
		.amdhsa_exception_fp_ieee_underflow 0
		.amdhsa_exception_fp_ieee_inexact 0
		.amdhsa_exception_int_div_zero 0
	.end_amdhsa_kernel
	.section	.text._ZL22rocblas_gemvtsm_kernelILb0ELi256EdddEviiT2_lPKT1_lilS3_lilS0_lPT3_lil,"axG",@progbits,_ZL22rocblas_gemvtsm_kernelILb0ELi256EdddEviiT2_lPKT1_lilS3_lilS0_lPT3_lil,comdat
.Lfunc_end69:
	.size	_ZL22rocblas_gemvtsm_kernelILb0ELi256EdddEviiT2_lPKT1_lilS3_lilS0_lPT3_lil, .Lfunc_end69-_ZL22rocblas_gemvtsm_kernelILb0ELi256EdddEviiT2_lPKT1_lilS3_lilS0_lPT3_lil
                                        ; -- End function
	.set _ZL22rocblas_gemvtsm_kernelILb0ELi256EdddEviiT2_lPKT1_lilS3_lilS0_lPT3_lil.num_vgpr, 36
	.set _ZL22rocblas_gemvtsm_kernelILb0ELi256EdddEviiT2_lPKT1_lilS3_lilS0_lPT3_lil.num_agpr, 0
	.set _ZL22rocblas_gemvtsm_kernelILb0ELi256EdddEviiT2_lPKT1_lilS3_lilS0_lPT3_lil.numbered_sgpr, 27
	.set _ZL22rocblas_gemvtsm_kernelILb0ELi256EdddEviiT2_lPKT1_lilS3_lilS0_lPT3_lil.num_named_barrier, 0
	.set _ZL22rocblas_gemvtsm_kernelILb0ELi256EdddEviiT2_lPKT1_lilS3_lilS0_lPT3_lil.private_seg_size, 0
	.set _ZL22rocblas_gemvtsm_kernelILb0ELi256EdddEviiT2_lPKT1_lilS3_lilS0_lPT3_lil.uses_vcc, 1
	.set _ZL22rocblas_gemvtsm_kernelILb0ELi256EdddEviiT2_lPKT1_lilS3_lilS0_lPT3_lil.uses_flat_scratch, 0
	.set _ZL22rocblas_gemvtsm_kernelILb0ELi256EdddEviiT2_lPKT1_lilS3_lilS0_lPT3_lil.has_dyn_sized_stack, 0
	.set _ZL22rocblas_gemvtsm_kernelILb0ELi256EdddEviiT2_lPKT1_lilS3_lilS0_lPT3_lil.has_recursion, 0
	.set _ZL22rocblas_gemvtsm_kernelILb0ELi256EdddEviiT2_lPKT1_lilS3_lilS0_lPT3_lil.has_indirect_call, 0
	.section	.AMDGPU.csdata,"",@progbits
; Kernel info:
; codeLenInByte = 1552
; TotalNumSgprs: 29
; NumVgprs: 36
; ScratchSize: 0
; MemoryBound: 0
; FloatMode: 240
; IeeeMode: 1
; LDSByteSize: 512 bytes/workgroup (compile time only)
; SGPRBlocks: 0
; VGPRBlocks: 4
; NumSGPRsForWavesPerEU: 29
; NumVGPRsForWavesPerEU: 36
; Occupancy: 16
; WaveLimiterHint : 1
; COMPUTE_PGM_RSRC2:SCRATCH_EN: 0
; COMPUTE_PGM_RSRC2:USER_SGPR: 2
; COMPUTE_PGM_RSRC2:TRAP_HANDLER: 0
; COMPUTE_PGM_RSRC2:TGID_X_EN: 1
; COMPUTE_PGM_RSRC2:TGID_Y_EN: 0
; COMPUTE_PGM_RSRC2:TGID_Z_EN: 0
; COMPUTE_PGM_RSRC2:TIDIG_COMP_CNT: 0
	.section	.text._ZL23rocblas_gemvt_sn_kernelILb0ELi256ELi4EidPKddEviiT4_lPKT3_lilS5_lilPT5_i,"axG",@progbits,_ZL23rocblas_gemvt_sn_kernelILb0ELi256ELi4EidPKddEviiT4_lPKT3_lilS5_lilPT5_i,comdat
	.globl	_ZL23rocblas_gemvt_sn_kernelILb0ELi256ELi4EidPKddEviiT4_lPKT3_lilS5_lilPT5_i ; -- Begin function _ZL23rocblas_gemvt_sn_kernelILb0ELi256ELi4EidPKddEviiT4_lPKT3_lilS5_lilPT5_i
	.p2align	8
	.type	_ZL23rocblas_gemvt_sn_kernelILb0ELi256ELi4EidPKddEviiT4_lPKT3_lilS5_lilPT5_i,@function
_ZL23rocblas_gemvt_sn_kernelILb0ELi256ELi4EidPKddEviiT4_lPKT3_lilS5_lilPT5_i: ; @_ZL23rocblas_gemvt_sn_kernelILb0ELi256ELi4EidPKddEviiT4_lPKT3_lilS5_lilPT5_i
; %bb.0:
	s_load_b32 s11, s[0:1], 0x60
	s_lshr_b32 s28, ttmp7, 16
	s_wait_kmcnt 0x0
	s_cmp_ge_u32 s28, s11
	s_cbranch_scc1 .LBB70_61
; %bb.1:
	s_clause 0x6
	s_load_b96 s[8:10], s[0:1], 0x40
	s_load_b256 s[12:19], s[0:1], 0x8
	s_load_b64 s[34:35], s[0:1], 0x0
	s_load_b128 s[20:23], s[0:1], 0x30
	s_load_b32 s36, s[0:1], 0x68
	s_load_b32 s38, s[0:1], 0x28
	s_load_b128 s[24:27], s[0:1], 0x50
	v_cmp_eq_u32_e64 s0, 0, v0
	v_mbcnt_lo_u32_b32 v47, -1, 0
	s_mov_b32 s41, 0
	s_mov_b32 s30, ttmp9
	s_mov_b32 s37, s41
	s_mov_b32 s31, s41
	v_lshl_or_b32 v48, v47, 2, 64
	s_mov_b32 s39, s41
	s_mov_b32 s49, s41
	s_wait_kmcnt 0x0
	s_lshl_b64 s[2:3], s[8:9], 3
	s_lshl_b64 s[4:5], s[18:19], 3
	s_ashr_i32 s7, s35, 31
	s_cmp_gt_i32 s35, 0
	s_add_nc_u64 s[18:19], s[22:23], s[2:3]
	s_add_nc_u64 s[2:3], s[16:17], s[4:5]
	s_cselect_b32 s1, -1, 0
	s_lshl_b32 s4, ttmp9, 10
	s_lshr_b32 s5, s7, 30
	v_lshl_or_b32 v1, v0, 2, s4
	s_ashr_i32 s4, s34, 31
	s_and_b32 s33, s0, s1
	s_wait_alu 0xfffe
	s_lshr_b32 s4, s4, 30
	s_add_co_i32 s1, s35, s5
	v_ashrrev_i32_e32 v2, 31, v1
	s_wait_alu 0xfffe
	s_add_co_i32 s4, s34, s4
	s_and_b32 s72, s1, -4
	s_wait_alu 0xfffe
	s_and_b32 s1, s4, -4
	v_mul_lo_u32 v24, s10, v1
	v_lshlrev_b64_e32 v[2:3], 3, v[1:2]
	s_sub_co_i32 s73, s34, s1
	v_add_nc_u32_e32 v4, 4, v1
	v_add_nc_u32_e32 v1, s73, v1
	v_cmp_gt_u32_e64 s5, 8, v0
	s_cmp_gt_i32 s72, 0
	v_add_co_u32 v43, vcc_lo, s2, v2
	s_delay_alu instid0(VALU_DEP_1)
	v_add_co_ci_u32_e64 v44, null, s3, v3, vcc_lo
	v_cmp_ge_i32_e64 s1, s34, v4
	v_and_b32_e32 v2, 31, v0
	v_cmp_gt_u32_e64 s3, 32, v0
	v_lshrrev_b32_e32 v4, 2, v0
	v_mov_b32_e32 v0, 0
	v_cmp_ge_i32_e64 s2, s34, v1
	v_add_nc_u32_e32 v1, s10, v24
	v_cmp_eq_u32_e64 s4, 0, v2
	v_lshlrev_b32_e32 v45, 3, v2
	v_and_b32_e32 v46, 56, v4
	v_ashrrev_i32_e32 v25, 31, v24
	v_add_nc_u32_e32 v3, s10, v1
	v_ashrrev_i32_e32 v2, 31, v1
	s_cselect_b32 s74, -1, 0
	s_cmp_gt_i32 s73, 0
	s_mov_b32 s6, s35
	v_add_nc_u32_e32 v5, s10, v3
	v_ashrrev_i32_e32 v4, 31, v3
	s_cselect_b32 s34, -1, 0
	s_lshl_b32 s40, s38, 1
	v_lshlrev_b64_e32 v[25:26], 3, v[24:25]
	v_ashrrev_i32_e32 v6, 31, v5
	v_lshlrev_b64_e32 v[27:28], 3, v[1:2]
	v_lshlrev_b64_e32 v[29:30], 3, v[3:4]
	s_mul_u64 s[16:17], s[6:7], s[36:37]
	s_lshl_b64 s[22:23], s[30:31], 3
	v_lshlrev_b64_e32 v[31:32], 3, v[5:6]
	s_mov_b64 s[50:51], s[40:41]
	s_mul_i32 s40, s38, 3
	s_add_nc_u64 s[42:43], s[26:27], s[22:23]
	s_lshl_b64 s[44:45], s[16:17], 3
	s_lshl_b64 s[46:47], s[36:37], 3
	s_lshl_b32 s48, s38, 2
	s_mov_b64 s[52:53], s[40:41]
	s_lshl_b64 s[54:55], s[20:21], 3
	s_branch .LBB70_3
.LBB70_2:                               ;   in Loop: Header=BB70_3 Depth=1
	s_add_co_i32 s28, s28, 0x10000
	s_delay_alu instid0(SALU_CYCLE_1)
	s_cmp_lt_u32 s28, s11
	s_cbranch_scc0 .LBB70_61
.LBB70_3:                               ; =>This Loop Header: Depth=1
                                        ;     Child Loop BB70_6 Depth 2
                                        ;     Child Loop BB70_12 Depth 2
                                        ;       Child Loop BB70_18 Depth 3
                                        ;       Child Loop BB70_21 Depth 3
	;; [unrolled: 1-line block ×3, first 2 shown]
                                        ;     Child Loop BB70_40 Depth 2
                                        ;       Child Loop BB70_53 Depth 3
                                        ;       Child Loop BB70_56 Depth 3
	s_mov_b32 s29, s41
	s_delay_alu instid0(SALU_CYCLE_1)
	s_mul_u64 s[6:7], s[14:15], s[28:29]
	s_wait_alu 0xfffe
	s_lshl_b64 s[6:7], s[6:7], 3
	s_wait_alu 0xfffe
	s_add_nc_u64 s[6:7], s[12:13], s[6:7]
	global_load_b64 v[33:34], v0, s[6:7]
	s_mov_b32 s6, -1
	s_wait_loadcnt 0x0
	v_cmp_neq_f64_e32 vcc_lo, 0, v[33:34]
	s_cbranch_vccnz .LBB70_8
; %bb.4:                                ;   in Loop: Header=BB70_3 Depth=1
	s_and_saveexec_b32 s8, s33
	s_cbranch_execz .LBB70_7
; %bb.5:                                ;   in Loop: Header=BB70_3 Depth=1
	s_mul_u64 s[6:7], s[44:45], s[28:29]
	s_mov_b32 s9, s35
	s_wait_alu 0xfffe
	s_add_nc_u64 s[6:7], s[42:43], s[6:7]
.LBB70_6:                               ;   Parent Loop BB70_3 Depth=1
                                        ; =>  This Inner Loop Header: Depth=2
	v_mov_b32_e32 v1, v0
	s_add_co_i32 s9, s9, -1
	s_wait_alu 0xfffe
	s_cmp_eq_u32 s9, 0
	global_store_b64 v0, v[0:1], s[6:7]
	s_add_nc_u64 s[6:7], s[6:7], s[46:47]
	s_cbranch_scc0 .LBB70_6
.LBB70_7:                               ;   in Loop: Header=BB70_3 Depth=1
	s_wait_alu 0xfffe
	s_or_b32 exec_lo, exec_lo, s8
	s_mov_b32 s6, 0
.LBB70_8:                               ;   in Loop: Header=BB70_3 Depth=1
	s_wait_alu 0xfffe
	s_and_not1_b32 vcc_lo, exec_lo, s6
	s_wait_alu 0xfffe
	s_cbranch_vccnz .LBB70_2
; %bb.9:                                ;   in Loop: Header=BB70_3 Depth=1
	s_mul_u64 s[6:7], s[24:25], s[28:29]
	s_mul_u64 s[8:9], s[20:21], s[28:29]
	s_wait_alu 0xfffe
	s_lshl_b64 s[6:7], s[6:7], 3
	s_mul_u64 s[60:61], s[16:17], s[28:29]
	s_wait_alu 0xfffe
	s_add_nc_u64 s[56:57], s[18:19], s[6:7]
	s_lshl_b64 s[6:7], s[8:9], 3
	v_cmp_gt_u32_e64 s9, 24, v47
	s_wait_alu 0xfffe
	v_add_co_u32 v49, vcc_lo, v43, s6
	s_wait_alu 0xfffd
	v_add_co_ci_u32_e64 v50, null, s7, v44, vcc_lo
	v_cmp_gt_u32_e64 s8, 28, v47
	v_cmp_gt_u32_e64 s7, 30, v47
	v_cmp_ne_u32_e64 s6, 31, v47
	s_lshl_b64 s[60:61], s[60:61], 3
	s_mul_u64 s[58:59], s[54:55], s[28:29]
	s_and_not1_b32 vcc_lo, exec_lo, s74
	s_add_nc_u64 s[60:61], s[26:27], s[60:61]
	s_wait_alu 0xfffe
	s_cbranch_vccnz .LBB70_36
; %bb.10:                               ;   in Loop: Header=BB70_3 Depth=1
	s_wait_alu 0xf1ff
	v_cndmask_b32_e64 v1, 0, 8, s9
	v_cndmask_b32_e64 v2, 0, 4, s8
	;; [unrolled: 1-line block ×3, first 2 shown]
	v_add_co_ci_u32_e64 v4, null, 0, v47, s6
	v_add_co_u32 v35, vcc_lo, s56, v25
	s_wait_alu 0xfffd
	v_add_co_ci_u32_e64 v36, null, s57, v26, vcc_lo
	v_add_co_u32 v37, vcc_lo, s56, v27
	s_wait_alu 0xfffd
	v_add_co_ci_u32_e64 v38, null, s57, v28, vcc_lo
	v_add_co_u32 v39, vcc_lo, s56, v29
	v_dual_mov_b32 v6, v0 :: v_dual_mov_b32 v7, v0
	v_add_lshl_u32 v51, v1, v47, 2
	v_add_lshl_u32 v52, v2, v47, 2
	;; [unrolled: 1-line block ×3, first 2 shown]
	v_dual_mov_b32 v1, v0 :: v_dual_lshlrev_b32 v54, 2, v4
	v_dual_mov_b32 v2, v0 :: v_dual_mov_b32 v3, v0
	v_dual_mov_b32 v4, v0 :: v_dual_mov_b32 v5, v0
	s_wait_alu 0xfffd
	v_add_co_ci_u32_e64 v40, null, s57, v30, vcc_lo
	v_add_co_u32 v41, vcc_lo, s56, v31
	s_wait_alu 0xfffd
	v_add_co_ci_u32_e64 v42, null, s57, v32, vcc_lo
	v_add_co_u32 v55, vcc_lo, v43, s58
	v_dual_mov_b32 v15, v7 :: v_dual_mov_b32 v14, v6
	s_wait_alu 0xfffd
	v_add_co_ci_u32_e64 v56, null, s59, v44, vcc_lo
	v_dual_mov_b32 v13, v5 :: v_dual_mov_b32 v12, v4
	v_dual_mov_b32 v11, v3 :: v_dual_mov_b32 v10, v2
	;; [unrolled: 1-line block ×3, first 2 shown]
	s_mov_b32 s62, 0
	s_mov_b64 s[64:65], s[52:53]
	s_mov_b64 s[66:67], s[50:51]
	;; [unrolled: 1-line block ×3, first 2 shown]
	s_mov_b32 s9, 0
	s_branch .LBB70_12
.LBB70_11:                              ;   in Loop: Header=BB70_12 Depth=2
	s_wait_alu 0xfffe
	s_or_b32 exec_lo, exec_lo, s6
	s_add_co_i32 s9, s9, 4
	s_add_co_i32 s62, s62, s48
	s_add_nc_u64 s[68:69], s[68:69], s[48:49]
	s_add_nc_u64 s[66:67], s[66:67], s[48:49]
	s_wait_alu 0xfffe
	s_cmp_ge_i32 s9, s72
	s_add_nc_u64 s[64:65], s[64:65], s[48:49]
	s_cbranch_scc1 .LBB70_37
.LBB70_12:                              ;   Parent Loop BB70_3 Depth=1
                                        ; =>  This Loop Header: Depth=2
                                        ;       Child Loop BB70_18 Depth 3
                                        ;       Child Loop BB70_21 Depth 3
                                        ;       Child Loop BB70_26 Depth 3
                                        ; implicit-def: $vgpr16_vgpr17_vgpr18_vgpr19_vgpr20_vgpr21_vgpr22_vgpr23
	s_and_saveexec_b32 s6, s1
	s_wait_alu 0xfffe
	s_xor_b32 s6, exec_lo, s6
	s_cbranch_execz .LBB70_14
; %bb.13:                               ;   in Loop: Header=BB70_12 Depth=2
	s_mul_i32 s70, s9, s38
	s_wait_alu 0xfffe
	s_ashr_i32 s71, s70, 31
	s_add_co_i32 s76, s70, s38
	s_wait_alu 0xfffe
	s_lshl_b64 s[70:71], s[70:71], 3
	s_ashr_i32 s77, s76, 31
	s_wait_alu 0xfffe
	v_add_co_u32 v5, vcc_lo, v49, s70
	s_wait_alu 0xfffd
	v_add_co_ci_u32_e64 v6, null, s71, v50, vcc_lo
	s_lshl_b64 s[70:71], s[76:77], 3
	s_add_co_i32 s76, s76, s38
	s_wait_alu 0xfffe
	v_add_co_u32 v14, vcc_lo, v49, s70
	s_ashr_i32 s77, s76, 31
	s_add_co_i32 s70, s76, s38
	s_wait_alu 0xfffd
	v_add_co_ci_u32_e64 v15, null, s71, v50, vcc_lo
	s_wait_alu 0xfffe
	s_lshl_b64 s[76:77], s[76:77], 3
	s_ashr_i32 s71, s70, 31
	s_wait_alu 0xfffe
	v_add_co_u32 v69, vcc_lo, v49, s76
	s_lshl_b64 s[70:71], s[70:71], 3
	s_wait_alu 0xfffd
	v_add_co_ci_u32_e64 v70, null, s77, v50, vcc_lo
	s_wait_alu 0xfffe
	v_add_co_u32 v73, vcc_lo, v49, s70
	s_wait_alu 0xfffd
	v_add_co_ci_u32_e64 v74, null, s71, v50, vcc_lo
	global_load_b64 v[8:9], v[35:36], off
	global_load_b128 v[1:4], v[5:6], off
	s_wait_dscnt 0x0
	s_clause 0x2
	global_load_b128 v[16:19], v[14:15], off
	global_load_b128 v[20:23], v[69:70], off
	global_load_b128 v[57:60], v[73:74], off
	global_load_b64 v[10:11], v[37:38], off
	global_load_b128 v[61:64], v[5:6], off offset:16
	global_load_b64 v[12:13], v[39:40], off
	s_clause 0x2
	global_load_b128 v[65:68], v[14:15], off offset:16
	global_load_b128 v[69:72], v[69:70], off offset:16
	global_load_b128 v[73:76], v[73:74], off offset:16
	global_load_b64 v[14:15], v[41:42], off
	s_wait_loadcnt 0xa
	v_fma_f64 v[1:2], v[8:9], v[1:2], 0
	s_wait_loadcnt 0x9
	v_fma_f64 v[5:6], v[8:9], v[16:17], 0
	;; [unrolled: 2-line block ×4, first 2 shown]
	s_wait_loadcnt 0x6
	s_delay_alu instid0(VALU_DEP_4) | instskip(NEXT) | instid1(VALU_DEP_4)
	v_fma_f64 v[1:2], v[10:11], v[3:4], v[1:2]
	v_fma_f64 v[3:4], v[10:11], v[18:19], v[5:6]
	s_delay_alu instid0(VALU_DEP_4) | instskip(NEXT) | instid1(VALU_DEP_4)
	v_fma_f64 v[5:6], v[10:11], v[22:23], v[16:17]
	v_fma_f64 v[16:17], v[10:11], v[59:60], v[20:21]
	s_wait_loadcnt 0x4
	s_delay_alu instid0(VALU_DEP_4) | instskip(SKIP_1) | instid1(VALU_DEP_4)
	v_fma_f64 v[1:2], v[12:13], v[61:62], v[1:2]
	s_wait_loadcnt 0x3
	v_fma_f64 v[3:4], v[12:13], v[65:66], v[3:4]
	s_wait_loadcnt 0x2
	s_delay_alu instid0(VALU_DEP_4) | instskip(SKIP_1) | instid1(VALU_DEP_4)
	v_fma_f64 v[5:6], v[12:13], v[69:70], v[5:6]
	s_wait_loadcnt 0x1
	v_fma_f64 v[22:23], v[12:13], v[73:74], v[16:17]
	s_wait_loadcnt 0x0
	s_delay_alu instid0(VALU_DEP_4) | instskip(NEXT) | instid1(VALU_DEP_4)
	v_fma_f64 v[16:17], v[14:15], v[63:64], v[1:2]
	v_fma_f64 v[18:19], v[14:15], v[67:68], v[3:4]
	s_delay_alu instid0(VALU_DEP_4) | instskip(NEXT) | instid1(VALU_DEP_4)
	v_fma_f64 v[20:21], v[14:15], v[71:72], v[5:6]
	v_fma_f64 v[22:23], v[14:15], v[75:76], v[22:23]
.LBB70_14:                              ;   in Loop: Header=BB70_12 Depth=2
	s_wait_alu 0xfffe
	s_and_not1_saveexec_b32 s29, s6
	s_cbranch_execz .LBB70_24
; %bb.15:                               ;   in Loop: Header=BB70_12 Depth=2
	v_mov_b32_e32 v7, v0
	v_dual_mov_b32 v1, v0 :: v_dual_mov_b32 v2, v0
	v_dual_mov_b32 v3, v0 :: v_dual_mov_b32 v4, v0
	;; [unrolled: 1-line block ×3, first 2 shown]
	s_wait_dscnt 0x0
	v_mov_b32_e32 v23, v7
	s_delay_alu instid0(VALU_DEP_3) | instskip(NEXT) | instid1(VALU_DEP_3)
	v_dual_mov_b32 v19, v3 :: v_dual_mov_b32 v18, v2
	v_dual_mov_b32 v21, v5 :: v_dual_mov_b32 v20, v4
	;; [unrolled: 1-line block ×3, first 2 shown]
	v_mov_b32_e32 v16, v0
	s_and_saveexec_b32 s31, s2
	s_cbranch_execz .LBB70_23
; %bb.16:                               ;   in Loop: Header=BB70_12 Depth=2
	s_and_not1_b32 vcc_lo, exec_lo, s34
	s_wait_alu 0xfffe
	s_cbranch_vccnz .LBB70_19
; %bb.17:                               ;   in Loop: Header=BB70_12 Depth=2
	v_mov_b32_e32 v1, v24
	s_mov_b64 s[70:71], 0
.LBB70_18:                              ;   Parent Loop BB70_3 Depth=1
                                        ;     Parent Loop BB70_12 Depth=2
                                        ; =>    This Inner Loop Header: Depth=3
	s_delay_alu instid0(VALU_DEP_1) | instskip(SKIP_2) | instid1(VALU_DEP_1)
	v_ashrrev_i32_e32 v2, 31, v1
	s_wait_alu 0xfffe
	s_cmp_eq_u32 s70, 3
	v_lshlrev_b64_e32 v[2:3], 3, v[1:2]
	s_delay_alu instid0(VALU_DEP_1) | instskip(SKIP_1) | instid1(VALU_DEP_2)
	v_add_co_u32 v2, vcc_lo, s56, v2
	s_wait_alu 0xfffd
	v_add_co_ci_u32_e64 v3, null, s57, v3, vcc_lo
	s_cselect_b32 vcc_lo, -1, 0
	s_cmp_eq_u32 s70, 2
	s_cselect_b32 s6, -1, 0
	global_load_b64 v[2:3], v[2:3], off
	s_cmp_eq_u32 s70, 1
	v_add_nc_u32_e32 v1, s10, v1
	s_cselect_b32 s7, -1, 0
	s_cmp_eq_u32 s70, 0
	s_add_nc_u64 s[70:71], s[70:71], 1
	s_cselect_b32 s8, -1, 0
	s_wait_alu 0xfffe
	s_cmp_eq_u32 s73, s70
	s_wait_loadcnt 0x0
	v_dual_cndmask_b32 v15, v15, v3 :: v_dual_cndmask_b32 v14, v14, v2
	v_cndmask_b32_e64 v13, v13, v3, s6
	v_cndmask_b32_e64 v12, v12, v2, s6
	;; [unrolled: 1-line block ×6, first 2 shown]
	s_cbranch_scc0 .LBB70_18
.LBB70_19:                              ;   in Loop: Header=BB70_12 Depth=2
	s_and_not1_b32 vcc_lo, exec_lo, s34
	s_wait_alu 0xfffe
	s_cbranch_vccnz .LBB70_22
; %bb.20:                               ;   in Loop: Header=BB70_12 Depth=2
	s_ashr_i32 s63, s62, 31
	v_mov_b32_e32 v16, 0
	s_lshl_b64 s[6:7], s[62:63], 3
	v_mov_b32_e32 v20, 0
	s_wait_alu 0xfffe
	v_add_co_u32 v1, vcc_lo, v55, s6
	v_dual_mov_b32 v17, 0 :: v_dual_mov_b32 v18, 0
	v_dual_mov_b32 v21, 0 :: v_dual_mov_b32 v22, 0
	v_mov_b32_e32 v19, 0
	v_mov_b32_e32 v23, 0
	s_wait_alu 0xfffd
	v_add_co_ci_u32_e64 v2, null, s7, v56, vcc_lo
	s_mov_b64 s[70:71], 0
.LBB70_21:                              ;   Parent Loop BB70_3 Depth=1
                                        ;     Parent Loop BB70_12 Depth=2
                                        ; =>    This Inner Loop Header: Depth=3
	s_wait_alu 0xfffe
	s_cmp_eq_u32 s70, 1
	s_cselect_b32 vcc_lo, -1, 0
	s_cmp_eq_u32 s70, 2
	s_wait_alu 0xfffe
	v_cndmask_b32_e32 v3, v9, v11, vcc_lo
	s_cselect_b32 s6, -1, 0
	s_cmp_eq_u32 s70, 3
	v_cndmask_b32_e32 v61, v8, v10, vcc_lo
	s_cselect_b32 s7, -1, 0
	s_add_co_i32 s76, s68, s70
	s_add_co_i32 s78, s66, s70
	s_wait_alu 0xfffe
	s_ashr_i32 s77, s76, 31
	s_add_co_i32 s80, s64, s70
	s_ashr_i32 s79, s78, 31
	s_wait_alu 0xfffe
	s_lshl_b64 s[76:77], s[76:77], 3
	v_cndmask_b32_e64 v7, v3, v13, s6
	s_ashr_i32 s81, s80, 31
	s_lshl_b64 s[78:79], s[78:79], 3
	s_wait_alu 0xfffe
	v_add_co_u32 v3, s8, v49, s76
	s_lshl_b64 s[80:81], s[80:81], 3
	v_add_co_ci_u32_e64 v4, null, s77, v50, s8
	v_add_co_u32 v5, s8, v49, s78
	s_wait_alu 0xf1ff
	v_add_co_ci_u32_e64 v6, null, s79, v50, s8
	s_wait_alu 0xfffe
	v_add_co_u32 v57, s8, v49, s80
	s_wait_alu 0xf1ff
	v_add_co_ci_u32_e64 v58, null, s81, v50, s8
	global_load_b64 v[59:60], v[1:2], off
	s_clause 0x2
	global_load_b64 v[3:4], v[3:4], off
	global_load_b64 v[5:6], v[5:6], off
	;; [unrolled: 1-line block ×3, first 2 shown]
	v_cndmask_b32_e64 v61, v61, v12, s6
	v_cndmask_b32_e64 v62, v7, v15, s7
	v_add_co_u32 v1, vcc_lo, v1, 8
	s_wait_alu 0xfffd
	v_add_co_ci_u32_e64 v2, null, 0, v2, vcc_lo
	v_cndmask_b32_e64 v61, v61, v14, s7
	s_add_nc_u64 s[70:71], s[70:71], 1
	s_wait_alu 0xfffe
	s_cmp_lg_u32 s73, s70
	s_wait_loadcnt 0x3
	v_fma_f64 v[16:17], v[61:62], v[59:60], v[16:17]
	s_wait_loadcnt 0x2
	v_fma_f64 v[18:19], v[61:62], v[3:4], v[18:19]
	;; [unrolled: 2-line block ×4, first 2 shown]
	s_cbranch_scc1 .LBB70_21
	s_branch .LBB70_23
.LBB70_22:                              ;   in Loop: Header=BB70_12 Depth=2
	v_mov_b32_e32 v7, v0
	v_dual_mov_b32 v1, v0 :: v_dual_mov_b32 v2, v0
	v_dual_mov_b32 v3, v0 :: v_dual_mov_b32 v4, v0
	;; [unrolled: 1-line block ×3, first 2 shown]
	s_delay_alu instid0(VALU_DEP_4) | instskip(NEXT) | instid1(VALU_DEP_3)
	v_mov_b32_e32 v23, v7
	v_dual_mov_b32 v19, v3 :: v_dual_mov_b32 v18, v2
	s_delay_alu instid0(VALU_DEP_3) | instskip(NEXT) | instid1(VALU_DEP_4)
	v_dual_mov_b32 v21, v5 :: v_dual_mov_b32 v20, v4
	v_dual_mov_b32 v22, v6 :: v_dual_mov_b32 v17, v1
	v_mov_b32_e32 v16, v0
.LBB70_23:                              ;   in Loop: Header=BB70_12 Depth=2
	s_or_b32 exec_lo, exec_lo, s31
.LBB70_24:                              ;   in Loop: Header=BB70_12 Depth=2
	s_delay_alu instid0(SALU_CYCLE_1)
	s_or_b32 exec_lo, exec_lo, s29
	s_mov_b64 s[6:7], 0
	s_branch .LBB70_26
.LBB70_25:                              ;   in Loop: Header=BB70_26 Depth=3
	s_wait_alu 0xfffe
	s_or_b32 exec_lo, exec_lo, s8
	s_cmp_eq_u32 s6, 3
	s_cselect_b32 vcc_lo, -1, 0
	s_cmp_eq_u32 s6, 2
	s_wait_dscnt 0x0
	s_wait_alu 0xfffe
	s_delay_alu instid0(VALU_DEP_1)
	v_dual_cndmask_b32 v23, v23, v2 :: v_dual_cndmask_b32 v22, v22, v1
	s_cselect_b32 vcc_lo, -1, 0
	s_cmp_eq_u32 s6, 1
	s_wait_alu 0xfffe
	v_dual_cndmask_b32 v21, v21, v2 :: v_dual_cndmask_b32 v20, v20, v1
	s_cselect_b32 vcc_lo, -1, 0
	s_cmp_eq_u32 s6, 0
	s_wait_alu 0xfffe
	v_dual_cndmask_b32 v19, v19, v2 :: v_dual_cndmask_b32 v18, v18, v1
	s_cselect_b32 vcc_lo, -1, 0
	s_add_nc_u64 s[6:7], s[6:7], 1
	s_wait_alu 0xfffe
	v_dual_cndmask_b32 v17, v17, v2 :: v_dual_cndmask_b32 v16, v16, v1
	s_cmp_eq_u32 s6, 4
	s_cbranch_scc1 .LBB70_34
.LBB70_26:                              ;   Parent Loop BB70_3 Depth=1
                                        ;     Parent Loop BB70_12 Depth=2
                                        ; =>    This Inner Loop Header: Depth=3
	s_and_saveexec_b32 s8, s3
; %bb.27:                               ;   in Loop: Header=BB70_26 Depth=3
	v_mov_b32_e32 v1, v0
	ds_store_b64 v45, v[0:1]
; %bb.28:                               ;   in Loop: Header=BB70_26 Depth=3
	s_wait_alu 0xfffe
	s_or_b32 exec_lo, exec_lo, s8
	s_cmp_eq_u32 s6, 1
	s_wait_storecnt_dscnt 0x0
	s_cselect_b32 vcc_lo, -1, 0
	s_cmp_eq_u32 s6, 2
	s_wait_alu 0xfffe
	v_dual_cndmask_b32 v1, v17, v19 :: v_dual_cndmask_b32 v2, v16, v18
	s_cselect_b32 vcc_lo, -1, 0
	s_cmp_eq_u32 s6, 3
	s_barrier_signal -1
	s_wait_alu 0xfffe
	v_cndmask_b32_e32 v1, v1, v21, vcc_lo
	v_cndmask_b32_e32 v3, v2, v20, vcc_lo
	s_cselect_b32 vcc_lo, -1, 0
	s_barrier_wait -1
	global_inv scope:SCOPE_SE
	s_wait_alu 0xfffe
	v_dual_cndmask_b32 v2, v1, v23 :: v_dual_cndmask_b32 v1, v3, v22
	ds_bpermute_b32 v4, v48, v2
	ds_bpermute_b32 v3, v48, v1
	s_wait_dscnt 0x0
	v_add_f64_e32 v[1:2], v[1:2], v[3:4]
	ds_bpermute_b32 v3, v51, v1
	ds_bpermute_b32 v4, v51, v2
	s_wait_dscnt 0x0
	v_add_f64_e32 v[1:2], v[1:2], v[3:4]
	;; [unrolled: 4-line block ×4, first 2 shown]
	ds_bpermute_b32 v3, v54, v1
	ds_bpermute_b32 v4, v54, v2
	s_and_saveexec_b32 s8, s4
	s_cbranch_execz .LBB70_30
; %bb.29:                               ;   in Loop: Header=BB70_26 Depth=3
	s_wait_dscnt 0x0
	v_add_f64_e32 v[1:2], v[1:2], v[3:4]
	ds_store_b64 v46, v[1:2]
.LBB70_30:                              ;   in Loop: Header=BB70_26 Depth=3
	s_wait_alu 0xfffe
	s_or_b32 exec_lo, exec_lo, s8
	v_mov_b32_e32 v1, 0
	v_mov_b32_e32 v2, 0
	s_wait_loadcnt_dscnt 0x0
	s_barrier_signal -1
	s_barrier_wait -1
	global_inv scope:SCOPE_SE
	s_and_saveexec_b32 s8, s5
; %bb.31:                               ;   in Loop: Header=BB70_26 Depth=3
	ds_load_b64 v[1:2], v45
; %bb.32:                               ;   in Loop: Header=BB70_26 Depth=3
	s_wait_alu 0xfffe
	s_or_b32 exec_lo, exec_lo, s8
	s_and_saveexec_b32 s8, s3
	s_cbranch_execz .LBB70_25
; %bb.33:                               ;   in Loop: Header=BB70_26 Depth=3
	s_wait_dscnt 0x0
	ds_bpermute_b32 v3, v52, v1
	ds_bpermute_b32 v4, v52, v2
	s_wait_dscnt 0x0
	v_add_f64_e32 v[1:2], v[1:2], v[3:4]
	ds_bpermute_b32 v3, v53, v1
	ds_bpermute_b32 v4, v53, v2
	s_wait_dscnt 0x0
	v_add_f64_e32 v[1:2], v[1:2], v[3:4]
	;; [unrolled: 4-line block ×3, first 2 shown]
	s_branch .LBB70_25
.LBB70_34:                              ;   in Loop: Header=BB70_12 Depth=2
	s_and_saveexec_b32 s6, s0
	s_cbranch_execz .LBB70_11
; %bb.35:                               ;   in Loop: Header=BB70_12 Depth=2
	v_mul_f64_e32 v[1:2], v[33:34], v[16:17]
	v_mul_f64_e32 v[3:4], v[33:34], v[18:19]
	;; [unrolled: 1-line block ×4, first 2 shown]
	s_mul_i32 s7, s9, s36
	s_wait_alu 0xfffe
	s_add_co_i32 s40, s7, s30
	s_wait_alu 0xfffe
	s_lshl_b64 s[70:71], s[40:41], 3
	s_add_co_i32 s40, s40, s36
	s_wait_alu 0xfffe
	s_add_nc_u64 s[70:71], s[60:61], s[70:71]
	s_lshl_b64 s[76:77], s[40:41], 3
	s_add_co_i32 s40, s40, s36
	s_wait_alu 0xfffe
	s_add_nc_u64 s[76:77], s[60:61], s[76:77]
	;; [unrolled: 4-line block ×3, first 2 shown]
	s_lshl_b64 s[80:81], s[40:41], 3
	s_wait_alu 0xfffe
	s_add_nc_u64 s[80:81], s[60:61], s[80:81]
	s_clause 0x3
	global_store_b64 v0, v[1:2], s[70:71]
	global_store_b64 v0, v[3:4], s[76:77]
	;; [unrolled: 1-line block ×4, first 2 shown]
	s_branch .LBB70_11
.LBB70_36:                              ;   in Loop: Header=BB70_3 Depth=1
	v_mov_b32_e32 v7, v0
	v_dual_mov_b32 v1, v0 :: v_dual_mov_b32 v2, v0
	v_dual_mov_b32 v3, v0 :: v_dual_mov_b32 v4, v0
	;; [unrolled: 1-line block ×3, first 2 shown]
	s_delay_alu instid0(VALU_DEP_4) | instskip(NEXT) | instid1(VALU_DEP_3)
	v_mov_b32_e32 v15, v7
	v_dual_mov_b32 v11, v3 :: v_dual_mov_b32 v10, v2
	s_delay_alu instid0(VALU_DEP_3) | instskip(NEXT) | instid1(VALU_DEP_4)
	v_dual_mov_b32 v13, v5 :: v_dual_mov_b32 v12, v4
	v_dual_mov_b32 v14, v6 :: v_dual_mov_b32 v9, v1
	v_mov_b32_e32 v8, v0
	s_mov_b32 s9, 0
.LBB70_37:                              ;   in Loop: Header=BB70_3 Depth=1
	s_wait_alu 0xfffe
	s_cmp_ge_i32 s9, s35
	s_cbranch_scc1 .LBB70_2
; %bb.38:                               ;   in Loop: Header=BB70_3 Depth=1
	v_cmp_gt_u32_e32 vcc_lo, 24, v47
	s_mov_b32 s40, s9
	s_wait_alu 0xfffd
	v_cndmask_b32_e64 v1, 0, 8, vcc_lo
	v_cmp_gt_u32_e32 vcc_lo, 28, v47
	s_delay_alu instid0(VALU_DEP_2) | instskip(SKIP_3) | instid1(VALU_DEP_2)
	v_add_lshl_u32 v22, v1, v47, 2
	s_wait_alu 0xfffd
	v_cndmask_b32_e64 v2, 0, 4, vcc_lo
	v_cmp_gt_u32_e32 vcc_lo, 30, v47
	v_add_lshl_u32 v23, v2, v47, 2
	s_wait_alu 0xfffd
	v_cndmask_b32_e64 v3, 0, 2, vcc_lo
	v_cmp_ne_u32_e32 vcc_lo, 31, v47
	s_delay_alu instid0(VALU_DEP_2)
	v_add_lshl_u32 v35, v3, v47, 2
	s_wait_alu 0xfffd
	v_add_co_ci_u32_e64 v4, null, 0, v47, vcc_lo
	v_add_co_u32 v2, vcc_lo, s56, v25
	s_wait_alu 0xfffd
	v_add_co_ci_u32_e64 v3, null, s57, v26, vcc_lo
	s_delay_alu instid0(VALU_DEP_3)
	v_lshlrev_b32_e32 v36, 2, v4
	v_add_co_u32 v4, vcc_lo, s56, v27
	s_wait_alu 0xfffd
	v_add_co_ci_u32_e64 v5, null, s57, v28, vcc_lo
	v_add_co_u32 v6, vcc_lo, s56, v29
	s_wait_alu 0xfffd
	v_add_co_ci_u32_e64 v7, null, s57, v30, vcc_lo
	;; [unrolled: 3-line block ×4, first 2 shown]
	s_add_nc_u64 s[58:59], s[60:61], s[22:23]
	s_mul_i32 s60, s38, s9
	s_branch .LBB70_40
.LBB70_39:                              ;   in Loop: Header=BB70_40 Depth=2
	s_wait_alu 0xfffe
	s_or_b32 exec_lo, exec_lo, s6
	s_add_co_i32 s40, s40, 1
	s_add_co_i32 s60, s60, s38
	s_wait_alu 0xfffe
	s_cmp_ge_i32 s40, s35
	s_cbranch_scc1 .LBB70_2
.LBB70_40:                              ;   Parent Loop BB70_3 Depth=1
                                        ; =>  This Loop Header: Depth=2
                                        ;       Child Loop BB70_53 Depth 3
                                        ;       Child Loop BB70_56 Depth 3
	s_wait_dscnt 0x0
	v_dual_mov_b32 v18, s41 :: v_dual_mov_b32 v19, s41
	s_and_saveexec_b32 s6, s1
	s_wait_alu 0xfffe
	s_xor_b32 s6, exec_lo, s6
	s_cbranch_execnz .LBB70_49
; %bb.41:                               ;   in Loop: Header=BB70_40 Depth=2
	s_wait_alu 0xfffe
	s_and_not1_saveexec_b32 s9, s6
	s_cbranch_execnz .LBB70_50
.LBB70_42:                              ;   in Loop: Header=BB70_40 Depth=2
	s_wait_alu 0xfffe
	s_or_b32 exec_lo, exec_lo, s9
	s_and_saveexec_b32 s6, s3
.LBB70_43:                              ;   in Loop: Header=BB70_40 Depth=2
	v_mov_b32_e32 v1, v0
	ds_store_b64 v45, v[0:1]
.LBB70_44:                              ;   in Loop: Header=BB70_40 Depth=2
	s_wait_alu 0xfffe
	s_or_b32 exec_lo, exec_lo, s6
	ds_bpermute_b32 v20, v48, v18
	ds_bpermute_b32 v21, v48, v19
	s_wait_storecnt 0x0
	s_wait_loadcnt_dscnt 0x0
	s_barrier_signal -1
	s_barrier_wait -1
	global_inv scope:SCOPE_SE
	v_add_f64_e32 v[18:19], v[18:19], v[20:21]
	ds_bpermute_b32 v20, v22, v18
	ds_bpermute_b32 v21, v22, v19
	s_wait_dscnt 0x0
	v_add_f64_e32 v[18:19], v[18:19], v[20:21]
	ds_bpermute_b32 v20, v23, v18
	ds_bpermute_b32 v21, v23, v19
	s_wait_dscnt 0x0
	;; [unrolled: 4-line block ×3, first 2 shown]
	v_add_f64_e32 v[18:19], v[18:19], v[20:21]
	ds_bpermute_b32 v20, v36, v18
	ds_bpermute_b32 v21, v36, v19
	s_and_saveexec_b32 s6, s4
	s_cbranch_execz .LBB70_46
; %bb.45:                               ;   in Loop: Header=BB70_40 Depth=2
	s_wait_dscnt 0x0
	v_add_f64_e32 v[18:19], v[18:19], v[20:21]
	ds_store_b64 v46, v[18:19]
.LBB70_46:                              ;   in Loop: Header=BB70_40 Depth=2
	s_wait_alu 0xfffe
	s_or_b32 exec_lo, exec_lo, s6
	v_mov_b32_e32 v18, 0
	v_mov_b32_e32 v19, 0
	s_wait_loadcnt_dscnt 0x0
	s_barrier_signal -1
	s_barrier_wait -1
	global_inv scope:SCOPE_SE
	s_and_saveexec_b32 s6, s5
	s_cbranch_execnz .LBB70_58
; %bb.47:                               ;   in Loop: Header=BB70_40 Depth=2
	s_wait_alu 0xfffe
	s_or_b32 exec_lo, exec_lo, s6
	s_and_saveexec_b32 s6, s3
	s_cbranch_execnz .LBB70_59
.LBB70_48:                              ;   in Loop: Header=BB70_40 Depth=2
	s_wait_alu 0xfffe
	s_or_b32 exec_lo, exec_lo, s6
	s_and_saveexec_b32 s6, s0
	s_cbranch_execz .LBB70_39
	s_branch .LBB70_60
.LBB70_49:                              ;   in Loop: Header=BB70_40 Depth=2
	s_mul_i32 s8, s40, s38
	s_wait_alu 0xfffe
	s_ashr_i32 s9, s8, 31
	s_wait_alu 0xfffe
	s_lshl_b64 s[8:9], s[8:9], 3
	s_wait_alu 0xfffe
	v_add_co_u32 v12, vcc_lo, v49, s8
	s_wait_alu 0xfffd
	v_add_co_ci_u32_e64 v13, null, s9, v50, vcc_lo
	global_load_b128 v[18:21], v[12:13], off
	s_clause 0x1
	global_load_b64 v[8:9], v[2:3], off
	global_load_b64 v[10:11], v[4:5], off
	global_load_b128 v[39:42], v[12:13], off offset:16
	s_clause 0x1
	global_load_b64 v[12:13], v[6:7], off
	global_load_b64 v[14:15], v[16:17], off
	s_wait_loadcnt 0x4
	v_fma_f64 v[18:19], v[8:9], v[18:19], 0
	s_wait_loadcnt 0x3
	s_delay_alu instid0(VALU_DEP_1) | instskip(SKIP_1) | instid1(VALU_DEP_1)
	v_fma_f64 v[18:19], v[10:11], v[20:21], v[18:19]
	s_wait_loadcnt 0x1
	v_fma_f64 v[18:19], v[12:13], v[39:40], v[18:19]
	s_wait_loadcnt 0x0
	s_delay_alu instid0(VALU_DEP_1)
	v_fma_f64 v[18:19], v[14:15], v[41:42], v[18:19]
	s_and_not1_saveexec_b32 s9, s6
	s_cbranch_execz .LBB70_42
.LBB70_50:                              ;   in Loop: Header=BB70_40 Depth=2
	s_and_saveexec_b32 s29, s2
	s_cbranch_execz .LBB70_57
; %bb.51:                               ;   in Loop: Header=BB70_40 Depth=2
	s_and_not1_b32 vcc_lo, exec_lo, s34
	s_wait_alu 0xfffe
	s_cbranch_vccnz .LBB70_54
; %bb.52:                               ;   in Loop: Header=BB70_40 Depth=2
	v_mov_b32_e32 v20, v24
	s_mov_b64 s[62:63], 0
.LBB70_53:                              ;   Parent Loop BB70_3 Depth=1
                                        ;     Parent Loop BB70_40 Depth=2
                                        ; =>    This Inner Loop Header: Depth=3
	s_delay_alu instid0(VALU_DEP_1) | instskip(SKIP_1) | instid1(VALU_DEP_1)
	v_ashrrev_i32_e32 v21, 31, v20
	s_cmp_eq_u32 s62, 3
	v_lshlrev_b64_e32 v[39:40], 3, v[20:21]
	v_add_nc_u32_e32 v20, s10, v20
	s_delay_alu instid0(VALU_DEP_2) | instskip(SKIP_1) | instid1(VALU_DEP_3)
	v_add_co_u32 v39, vcc_lo, s56, v39
	s_wait_alu 0xfffd
	v_add_co_ci_u32_e64 v40, null, s57, v40, vcc_lo
	s_cselect_b32 vcc_lo, -1, 0
	s_cmp_eq_u32 s62, 2
	s_cselect_b32 s6, -1, 0
	global_load_b64 v[39:40], v[39:40], off
	s_cmp_eq_u32 s62, 1
	s_cselect_b32 s7, -1, 0
	s_cmp_eq_u32 s62, 0
	s_add_nc_u64 s[62:63], s[62:63], 1
	s_cselect_b32 s8, -1, 0
	s_cmp_eq_u32 s73, s62
	s_wait_loadcnt 0x0
	s_wait_alu 0xfffe
	v_dual_cndmask_b32 v15, v15, v40 :: v_dual_cndmask_b32 v14, v14, v39
	v_cndmask_b32_e64 v13, v13, v40, s6
	v_cndmask_b32_e64 v12, v12, v39, s6
	;; [unrolled: 1-line block ×6, first 2 shown]
	s_cbranch_scc0 .LBB70_53
.LBB70_54:                              ;   in Loop: Header=BB70_40 Depth=2
	s_and_not1_b32 vcc_lo, exec_lo, s34
	s_wait_alu 0xfffe
	s_cbranch_vccnz .LBB70_57
; %bb.55:                               ;   in Loop: Header=BB70_40 Depth=2
	s_ashr_i32 s61, s60, 31
	s_delay_alu instid0(SALU_CYCLE_1)
	s_lshl_b64 s[6:7], s[60:61], 3
	s_wait_alu 0xfffe
	v_add_co_u32 v20, vcc_lo, v37, s6
	s_wait_alu 0xfffd
	v_add_co_ci_u32_e64 v21, null, s7, v38, vcc_lo
	s_mov_b64 s[6:7], 0
.LBB70_56:                              ;   Parent Loop BB70_3 Depth=1
                                        ;     Parent Loop BB70_40 Depth=2
                                        ; =>    This Inner Loop Header: Depth=3
	global_load_b64 v[39:40], v[20:21], off
	s_wait_alu 0xfffe
	s_cmp_eq_u32 s6, 1
	s_cselect_b32 vcc_lo, -1, 0
	s_cmp_eq_u32 s6, 2
	s_wait_alu 0xfffe
	v_cndmask_b32_e32 v1, v9, v11, vcc_lo
	v_cndmask_b32_e32 v41, v8, v10, vcc_lo
	s_cselect_b32 vcc_lo, -1, 0
	s_cmp_eq_u32 s6, 3
	s_add_nc_u64 s[6:7], s[6:7], 1
	s_wait_alu 0xfffe
	v_cndmask_b32_e32 v1, v1, v13, vcc_lo
	v_cndmask_b32_e32 v41, v41, v12, vcc_lo
	s_cselect_b32 vcc_lo, -1, 0
	s_cmp_lg_u32 s73, s6
	s_wait_alu 0xfffe
	v_cndmask_b32_e32 v42, v1, v15, vcc_lo
	v_cndmask_b32_e32 v41, v41, v14, vcc_lo
	v_add_co_u32 v20, vcc_lo, v20, 8
	s_wait_alu 0xfffd
	v_add_co_ci_u32_e64 v21, null, 0, v21, vcc_lo
	s_wait_loadcnt 0x0
	v_fma_f64 v[18:19], v[41:42], v[39:40], v[18:19]
	s_cbranch_scc1 .LBB70_56
.LBB70_57:                              ;   in Loop: Header=BB70_40 Depth=2
	s_or_b32 exec_lo, exec_lo, s29
	s_wait_alu 0xfffe
	s_or_b32 exec_lo, exec_lo, s9
	s_and_saveexec_b32 s6, s3
	s_cbranch_execnz .LBB70_43
	s_branch .LBB70_44
.LBB70_58:                              ;   in Loop: Header=BB70_40 Depth=2
	ds_load_b64 v[18:19], v45
	s_wait_alu 0xfffe
	s_or_b32 exec_lo, exec_lo, s6
	s_and_saveexec_b32 s6, s3
	s_cbranch_execz .LBB70_48
.LBB70_59:                              ;   in Loop: Header=BB70_40 Depth=2
	s_wait_dscnt 0x0
	ds_bpermute_b32 v20, v23, v18
	ds_bpermute_b32 v21, v23, v19
	s_wait_dscnt 0x0
	v_add_f64_e32 v[18:19], v[18:19], v[20:21]
	ds_bpermute_b32 v20, v35, v18
	ds_bpermute_b32 v21, v35, v19
	s_wait_dscnt 0x0
	v_add_f64_e32 v[18:19], v[18:19], v[20:21]
	;; [unrolled: 4-line block ×3, first 2 shown]
	s_wait_alu 0xfffe
	s_or_b32 exec_lo, exec_lo, s6
	s_and_saveexec_b32 s6, s0
	s_cbranch_execz .LBB70_39
.LBB70_60:                              ;   in Loop: Header=BB70_40 Depth=2
	s_wait_dscnt 0x0
	s_delay_alu instid0(VALU_DEP_1)
	v_mul_f64_e32 v[18:19], v[33:34], v[18:19]
	s_mul_u64 s[8:9], s[40:41], s[36:37]
	s_wait_alu 0xfffe
	s_lshl_b64 s[8:9], s[8:9], 3
	s_wait_alu 0xfffe
	s_add_nc_u64 s[8:9], s[58:59], s[8:9]
	global_store_b64 v0, v[18:19], s[8:9]
	s_branch .LBB70_39
.LBB70_61:
	s_endpgm
	.section	.rodata,"a",@progbits
	.p2align	6, 0x0
	.amdhsa_kernel _ZL23rocblas_gemvt_sn_kernelILb0ELi256ELi4EidPKddEviiT4_lPKT3_lilS5_lilPT5_i
		.amdhsa_group_segment_fixed_size 256
		.amdhsa_private_segment_fixed_size 0
		.amdhsa_kernarg_size 360
		.amdhsa_user_sgpr_count 2
		.amdhsa_user_sgpr_dispatch_ptr 0
		.amdhsa_user_sgpr_queue_ptr 0
		.amdhsa_user_sgpr_kernarg_segment_ptr 1
		.amdhsa_user_sgpr_dispatch_id 0
		.amdhsa_user_sgpr_private_segment_size 0
		.amdhsa_wavefront_size32 1
		.amdhsa_uses_dynamic_stack 0
		.amdhsa_enable_private_segment 0
		.amdhsa_system_sgpr_workgroup_id_x 1
		.amdhsa_system_sgpr_workgroup_id_y 0
		.amdhsa_system_sgpr_workgroup_id_z 1
		.amdhsa_system_sgpr_workgroup_info 0
		.amdhsa_system_vgpr_workitem_id 0
		.amdhsa_next_free_vgpr 77
		.amdhsa_next_free_sgpr 82
		.amdhsa_reserve_vcc 1
		.amdhsa_float_round_mode_32 0
		.amdhsa_float_round_mode_16_64 0
		.amdhsa_float_denorm_mode_32 3
		.amdhsa_float_denorm_mode_16_64 3
		.amdhsa_fp16_overflow 0
		.amdhsa_workgroup_processor_mode 1
		.amdhsa_memory_ordered 1
		.amdhsa_forward_progress 1
		.amdhsa_inst_pref_size 34
		.amdhsa_round_robin_scheduling 0
		.amdhsa_exception_fp_ieee_invalid_op 0
		.amdhsa_exception_fp_denorm_src 0
		.amdhsa_exception_fp_ieee_div_zero 0
		.amdhsa_exception_fp_ieee_overflow 0
		.amdhsa_exception_fp_ieee_underflow 0
		.amdhsa_exception_fp_ieee_inexact 0
		.amdhsa_exception_int_div_zero 0
	.end_amdhsa_kernel
	.section	.text._ZL23rocblas_gemvt_sn_kernelILb0ELi256ELi4EidPKddEviiT4_lPKT3_lilS5_lilPT5_i,"axG",@progbits,_ZL23rocblas_gemvt_sn_kernelILb0ELi256ELi4EidPKddEviiT4_lPKT3_lilS5_lilPT5_i,comdat
.Lfunc_end70:
	.size	_ZL23rocblas_gemvt_sn_kernelILb0ELi256ELi4EidPKddEviiT4_lPKT3_lilS5_lilPT5_i, .Lfunc_end70-_ZL23rocblas_gemvt_sn_kernelILb0ELi256ELi4EidPKddEviiT4_lPKT3_lilS5_lilPT5_i
                                        ; -- End function
	.set _ZL23rocblas_gemvt_sn_kernelILb0ELi256ELi4EidPKddEviiT4_lPKT3_lilS5_lilPT5_i.num_vgpr, 77
	.set _ZL23rocblas_gemvt_sn_kernelILb0ELi256ELi4EidPKddEviiT4_lPKT3_lilS5_lilPT5_i.num_agpr, 0
	.set _ZL23rocblas_gemvt_sn_kernelILb0ELi256ELi4EidPKddEviiT4_lPKT3_lilS5_lilPT5_i.numbered_sgpr, 82
	.set _ZL23rocblas_gemvt_sn_kernelILb0ELi256ELi4EidPKddEviiT4_lPKT3_lilS5_lilPT5_i.num_named_barrier, 0
	.set _ZL23rocblas_gemvt_sn_kernelILb0ELi256ELi4EidPKddEviiT4_lPKT3_lilS5_lilPT5_i.private_seg_size, 0
	.set _ZL23rocblas_gemvt_sn_kernelILb0ELi256ELi4EidPKddEviiT4_lPKT3_lilS5_lilPT5_i.uses_vcc, 1
	.set _ZL23rocblas_gemvt_sn_kernelILb0ELi256ELi4EidPKddEviiT4_lPKT3_lilS5_lilPT5_i.uses_flat_scratch, 0
	.set _ZL23rocblas_gemvt_sn_kernelILb0ELi256ELi4EidPKddEviiT4_lPKT3_lilS5_lilPT5_i.has_dyn_sized_stack, 0
	.set _ZL23rocblas_gemvt_sn_kernelILb0ELi256ELi4EidPKddEviiT4_lPKT3_lilS5_lilPT5_i.has_recursion, 0
	.set _ZL23rocblas_gemvt_sn_kernelILb0ELi256ELi4EidPKddEviiT4_lPKT3_lilS5_lilPT5_i.has_indirect_call, 0
	.section	.AMDGPU.csdata,"",@progbits
; Kernel info:
; codeLenInByte = 4328
; TotalNumSgprs: 84
; NumVgprs: 77
; ScratchSize: 0
; MemoryBound: 1
; FloatMode: 240
; IeeeMode: 1
; LDSByteSize: 256 bytes/workgroup (compile time only)
; SGPRBlocks: 0
; VGPRBlocks: 9
; NumSGPRsForWavesPerEU: 84
; NumVGPRsForWavesPerEU: 77
; Occupancy: 16
; WaveLimiterHint : 0
; COMPUTE_PGM_RSRC2:SCRATCH_EN: 0
; COMPUTE_PGM_RSRC2:USER_SGPR: 2
; COMPUTE_PGM_RSRC2:TRAP_HANDLER: 0
; COMPUTE_PGM_RSRC2:TGID_X_EN: 1
; COMPUTE_PGM_RSRC2:TGID_Y_EN: 0
; COMPUTE_PGM_RSRC2:TGID_Z_EN: 1
; COMPUTE_PGM_RSRC2:TIDIG_COMP_CNT: 0
	.section	.text._ZL23rocblas_gemvt_sn_kernelILb0ELi256ELi4EldPKddEviiT4_lPKT3_lilS5_lilPT5_i,"axG",@progbits,_ZL23rocblas_gemvt_sn_kernelILb0ELi256ELi4EldPKddEviiT4_lPKT3_lilS5_lilPT5_i,comdat
	.globl	_ZL23rocblas_gemvt_sn_kernelILb0ELi256ELi4EldPKddEviiT4_lPKT3_lilS5_lilPT5_i ; -- Begin function _ZL23rocblas_gemvt_sn_kernelILb0ELi256ELi4EldPKddEviiT4_lPKT3_lilS5_lilPT5_i
	.p2align	8
	.type	_ZL23rocblas_gemvt_sn_kernelILb0ELi256ELi4EldPKddEviiT4_lPKT3_lilS5_lilPT5_i,@function
_ZL23rocblas_gemvt_sn_kernelILb0ELi256ELi4EldPKddEviiT4_lPKT3_lilS5_lilPT5_i: ; @_ZL23rocblas_gemvt_sn_kernelILb0ELi256ELi4EldPKddEviiT4_lPKT3_lilS5_lilPT5_i
; %bb.0:
	s_load_b32 s33, s[0:1], 0x60
	s_lshr_b32 s10, ttmp7, 16
	s_wait_kmcnt 0x0
	s_cmp_ge_u32 s10, s33
	s_cbranch_scc1 .LBB71_61
; %bb.1:
	s_clause 0x6
	s_load_b32 s30, s[0:1], 0x28
	s_load_b96 s[4:6], s[0:1], 0x40
	s_load_b256 s[12:19], s[0:1], 0x8
	s_load_b64 s[34:35], s[0:1], 0x0
	s_load_b128 s[20:23], s[0:1], 0x30
	s_load_b32 s36, s[0:1], 0x68
	s_load_b128 s[24:27], s[0:1], 0x50
	v_cmp_eq_u32_e64 s0, 0, v0
	v_mbcnt_lo_u32_b32 v52, -1, 0
	s_mov_b32 s29, 0
	s_mov_b32 s28, ttmp9
	s_mov_b32 s37, s29
	s_delay_alu instid0(VALU_DEP_1)
	v_lshl_or_b32 v53, v52, 2, 64
	s_wait_kmcnt 0x0
	s_ashr_i32 s31, s30, 31
	s_ashr_i32 s9, s6, 31
	s_lshl_b64 s[2:3], s[4:5], 3
	s_lshl_b64 s[4:5], s[18:19], 3
	s_ashr_i32 s39, s35, 31
	s_cmp_gt_i32 s35, 0
	s_add_nc_u64 s[18:19], s[22:23], s[2:3]
	s_cselect_b32 s1, -1, 0
	s_lshl_b32 s7, ttmp9, 10
	s_add_nc_u64 s[2:3], s[16:17], s[4:5]
	v_lshl_or_b32 v1, v0, 2, s7
	s_lshr_b32 s4, s39, 30
	s_ashr_i32 s5, s34, 31
	s_and_b32 s66, s0, s1
	s_add_co_i32 s1, s35, s4
	v_ashrrev_i32_e32 v2, 31, v1
	s_lshr_b32 s4, s5, 30
	s_and_b32 s67, s1, -4
	s_add_co_i32 s1, s34, s4
	v_add_nc_u32_e32 v4, 4, v1
	v_lshlrev_b64_e32 v[2:3], 3, v[1:2]
	s_and_b32 s1, s1, -4
	v_cmp_gt_u32_e64 s5, 8, v0
	s_sub_co_i32 s68, s34, s1
	v_cmp_ge_i32_e64 s1, s34, v4
	v_or_b32_e32 v6, 2, v1
	v_add_co_u32 v48, vcc_lo, s2, v2
	v_add_nc_u32_e32 v2, s68, v1
	v_add_co_ci_u32_e64 v49, null, s3, v3, vcc_lo
	v_and_b32_e32 v3, 31, v0
	v_cmp_gt_u32_e64 s3, 32, v0
	s_delay_alu instid0(VALU_DEP_4)
	v_cmp_ge_i32_e64 s2, s34, v2
	v_lshrrev_b32_e32 v2, 2, v0
	v_or_b32_e32 v0, 1, v1
	v_cmp_eq_u32_e64 s4, 0, v3
	v_lshlrev_b32_e32 v50, 3, v3
	v_mad_co_i64_i32 v[6:7], null, s6, v6, 0
	v_and_b32_e32 v51, 56, v2
	v_mad_co_i64_i32 v[2:3], null, s6, v1, 0
	v_mad_co_i64_i32 v[4:5], null, s6, v0, 0
	v_or_b32_e32 v0, 3, v1
	s_cmp_gt_i32 s67, 0
	s_mov_b32 s38, s35
	s_cselect_b32 s69, -1, 0
	s_delay_alu instid0(VALU_DEP_3)
	v_lshlrev_b64_e32 v[24:25], 3, v[2:3]
	v_mad_co_i64_i32 v[1:2], null, s6, v0, 0
	s_cmp_gt_i32 s68, 0
	v_lshlrev_b64_e32 v[28:29], 3, v[4:5]
	v_lshlrev_b64_e32 v[30:31], 3, v[6:7]
	v_add_co_u32 v26, vcc_lo, s18, v24
	s_wait_alu 0xfffd
	v_add_co_ci_u32_e64 v27, null, s19, v25, vcc_lo
	v_lshlrev_b64_e32 v[32:33], 3, v[1:2]
	v_mov_b32_e32 v0, 0
	s_mov_b32 s8, s6
	s_mul_u64 s[16:17], s[38:39], s[36:37]
	s_cselect_b32 s34, -1, 0
	s_lshl_b64 s[22:23], s[28:29], 3
	s_lshl_b64 s[40:41], s[16:17], 3
	s_add_nc_u64 s[38:39], s[26:27], s[22:23]
	s_lshl_b64 s[42:43], s[36:37], 3
	s_lshl_b64 s[44:45], s[24:25], 3
	;; [unrolled: 1-line block ×4, first 2 shown]
	s_mul_u64 s[50:51], s[30:31], 24
	s_lshl_b64 s[52:53], s[30:31], 5
	s_lshl_b64 s[54:55], s[30:31], 3
	;; [unrolled: 1-line block ×3, first 2 shown]
	s_branch .LBB71_3
.LBB71_2:                               ;   in Loop: Header=BB71_3 Depth=1
	s_add_co_i32 s10, s10, 0x10000
	s_wait_alu 0xfffe
	s_cmp_lt_u32 s10, s33
	s_cbranch_scc0 .LBB71_61
.LBB71_3:                               ; =>This Loop Header: Depth=1
                                        ;     Child Loop BB71_6 Depth 2
                                        ;     Child Loop BB71_12 Depth 2
                                        ;       Child Loop BB71_18 Depth 3
                                        ;       Child Loop BB71_21 Depth 3
	;; [unrolled: 1-line block ×3, first 2 shown]
                                        ;     Child Loop BB71_40 Depth 2
                                        ;       Child Loop BB71_53 Depth 3
                                        ;       Child Loop BB71_56 Depth 3
	s_mov_b32 s11, s29
	s_wait_alu 0xfffe
	s_mul_u64 s[6:7], s[14:15], s[10:11]
	s_wait_alu 0xfffe
	s_lshl_b64 s[6:7], s[6:7], 3
	s_wait_alu 0xfffe
	s_add_nc_u64 s[6:7], s[12:13], s[6:7]
	global_load_b64 v[34:35], v0, s[6:7]
	s_mov_b32 s6, -1
	s_wait_loadcnt 0x0
	v_cmp_neq_f64_e32 vcc_lo, 0, v[34:35]
	s_cbranch_vccnz .LBB71_8
; %bb.4:                                ;   in Loop: Header=BB71_3 Depth=1
	s_and_saveexec_b32 s8, s66
	s_cbranch_execz .LBB71_7
; %bb.5:                                ;   in Loop: Header=BB71_3 Depth=1
	s_mul_u64 s[6:7], s[40:41], s[10:11]
	s_mov_b32 s9, s35
	s_wait_alu 0xfffe
	s_add_nc_u64 s[6:7], s[38:39], s[6:7]
.LBB71_6:                               ;   Parent Loop BB71_3 Depth=1
                                        ; =>  This Inner Loop Header: Depth=2
	v_mov_b32_e32 v1, v0
	s_add_co_i32 s9, s9, -1
	s_wait_alu 0xfffe
	s_cmp_eq_u32 s9, 0
	global_store_b64 v0, v[0:1], s[6:7]
	s_add_nc_u64 s[6:7], s[6:7], s[42:43]
	s_cbranch_scc0 .LBB71_6
.LBB71_7:                               ;   in Loop: Header=BB71_3 Depth=1
	s_wait_alu 0xfffe
	s_or_b32 exec_lo, exec_lo, s8
	s_mov_b32 s6, 0
.LBB71_8:                               ;   in Loop: Header=BB71_3 Depth=1
	s_wait_alu 0xfffe
	s_and_not1_b32 vcc_lo, exec_lo, s6
	s_wait_alu 0xfffe
	s_cbranch_vccnz .LBB71_2
; %bb.9:                                ;   in Loop: Header=BB71_3 Depth=1
	v_mad_co_u64_u32 v[36:37], null, s44, s10, v[26:27]
	s_mul_u64 s[64:65], s[20:21], s[10:11]
	s_mul_u64 s[58:59], s[24:25], s[10:11]
	s_wait_alu 0xfffe
	s_lshl_b64 s[64:65], s[64:65], 3
	s_mul_u64 s[62:63], s[16:17], s[10:11]
	s_wait_alu 0xfffe
	v_add_co_u32 v54, vcc_lo, v48, s64
	v_mov_b32_e32 v1, v37
	s_lshl_b64 s[58:59], s[58:59], 3
	s_lshl_b64 s[70:71], s[62:63], 3
	v_cmp_gt_u32_e64 s7, 24, v52
	v_cmp_gt_u32_e64 s8, 28, v52
	v_mad_co_u64_u32 v[1:2], null, s45, s10, v[1:2]
	v_cmp_gt_u32_e64 s6, 30, v52
	s_wait_alu 0xfffd
	v_add_co_ci_u32_e64 v55, null, s65, v49, vcc_lo
	v_cmp_ne_u32_e64 s9, 31, v52
	s_add_nc_u64 s[62:63], s[18:19], s[58:59]
	s_add_nc_u64 s[58:59], s[26:27], s[70:71]
	v_mov_b32_e32 v37, v1
	s_mul_u64 s[60:61], s[48:49], s[10:11]
	s_and_not1_b32 vcc_lo, exec_lo, s69
	s_add_nc_u64 s[58:59], s[58:59], s[22:23]
	s_wait_alu 0xfffe
	s_cbranch_vccnz .LBB71_36
; %bb.10:                               ;   in Loop: Header=BB71_3 Depth=1
	v_cndmask_b32_e64 v1, 0, 8, s7
	v_cndmask_b32_e64 v2, 0, 4, s8
	v_cndmask_b32_e64 v3, 0, 2, s6
	v_add_co_ci_u32_e64 v4, null, 0, v52, s9
	v_add_co_u32 v38, vcc_lo, v48, s60
	s_wait_alu 0xfffd
	v_add_co_ci_u32_e64 v39, null, s61, v49, vcc_lo
	v_add_co_u32 v40, vcc_lo, s62, v24
	s_wait_alu 0xfffd
	v_add_co_ci_u32_e64 v41, null, s63, v25, vcc_lo
	v_add_co_u32 v42, vcc_lo, s62, v28
	v_mov_b32_e32 v7, v0
	v_add_lshl_u32 v56, v1, v52, 2
	v_add_lshl_u32 v57, v2, v52, 2
	;; [unrolled: 1-line block ×3, first 2 shown]
	v_dual_mov_b32 v2, v0 :: v_dual_lshlrev_b32 v59, 2, v4
	v_dual_mov_b32 v1, v0 :: v_dual_mov_b32 v4, v0
	v_dual_mov_b32 v3, v0 :: v_dual_mov_b32 v6, v0
	v_mov_b32_e32 v5, v0
	s_wait_alu 0xfffd
	v_add_co_ci_u32_e64 v43, null, s63, v29, vcc_lo
	v_add_co_u32 v44, vcc_lo, s62, v30
	s_wait_alu 0xfffd
	v_add_co_ci_u32_e64 v45, null, s63, v31, vcc_lo
	v_add_co_u32 v46, vcc_lo, s62, v32
	v_dual_mov_b32 v15, v7 :: v_dual_mov_b32 v14, v6
	s_wait_alu 0xfffd
	v_add_co_ci_u32_e64 v47, null, s63, v33, vcc_lo
	v_dual_mov_b32 v13, v5 :: v_dual_mov_b32 v12, v4
	v_dual_mov_b32 v11, v3 :: v_dual_mov_b32 v10, v2
	;; [unrolled: 1-line block ×3, first 2 shown]
	s_mov_b32 s28, 0
	s_branch .LBB71_12
.LBB71_11:                              ;   in Loop: Header=BB71_12 Depth=2
	s_wait_alu 0xfffe
	s_or_b32 exec_lo, exec_lo, s6
	v_add_co_u32 v38, vcc_lo, v38, s52
	s_wait_alu 0xfffd
	v_add_co_ci_u32_e64 v39, null, s53, v39, vcc_lo
	s_add_co_i32 s28, s28, 4
	s_wait_alu 0xfffe
	s_cmp_ge_i32 s28, s67
	s_cbranch_scc1 .LBB71_37
.LBB71_12:                              ;   Parent Loop BB71_3 Depth=1
                                        ; =>  This Loop Header: Depth=2
                                        ;       Child Loop BB71_18 Depth 3
                                        ;       Child Loop BB71_21 Depth 3
	;; [unrolled: 1-line block ×3, first 2 shown]
                                        ; implicit-def: $vgpr16_vgpr17_vgpr18_vgpr19_vgpr20_vgpr21_vgpr22_vgpr23
	s_and_saveexec_b32 s6, s1
	s_wait_alu 0xfffe
	s_xor_b32 s6, exec_lo, s6
	s_cbranch_execz .LBB71_14
; %bb.13:                               ;   in Loop: Header=BB71_12 Depth=2
	s_mul_u64 s[8:9], s[28:29], s[30:31]
	s_or_b32 s64, s28, 1
	s_mov_b32 s65, s29
	s_wait_alu 0xfffe
	s_lshl_b64 s[8:9], s[8:9], 3
	s_mul_u64 s[64:65], s[64:65], s[30:31]
	s_wait_alu 0xfffe
	v_add_co_u32 v5, vcc_lo, v54, s8
	s_wait_alu 0xfffd
	v_add_co_ci_u32_e64 v6, null, s9, v55, vcc_lo
	s_lshl_b64 s[8:9], s[64:65], 3
	s_or_b32 s64, s28, 2
	s_mov_b32 s65, s29
	s_wait_alu 0xfffe
	v_add_co_u32 v14, vcc_lo, v54, s8
	s_wait_alu 0xfffd
	v_add_co_ci_u32_e64 v15, null, s9, v55, vcc_lo
	s_mul_u64 s[8:9], s[64:65], s[30:31]
	s_or_b32 s64, s28, 3
	s_wait_alu 0xfffe
	s_lshl_b64 s[8:9], s[8:9], 3
	s_mul_u64 s[64:65], s[64:65], s[30:31]
	s_wait_alu 0xfffe
	v_add_co_u32 v72, vcc_lo, v54, s8
	s_wait_alu 0xfffd
	v_add_co_ci_u32_e64 v73, null, s9, v55, vcc_lo
	s_lshl_b64 s[8:9], s[64:65], 3
	s_wait_alu 0xfffe
	v_add_co_u32 v76, vcc_lo, v54, s8
	s_wait_alu 0xfffd
	v_add_co_ci_u32_e64 v77, null, s9, v55, vcc_lo
	global_load_b64 v[8:9], v[40:41], off
	s_clause 0x1
	global_load_b128 v[1:4], v[5:6], off
	global_load_b128 v[16:19], v[14:15], off
	s_wait_dscnt 0x0
	s_clause 0x1
	global_load_b128 v[20:23], v[72:73], off
	global_load_b128 v[60:63], v[76:77], off
	global_load_b64 v[10:11], v[42:43], off
	global_load_b128 v[64:67], v[5:6], off offset:16
	global_load_b64 v[12:13], v[44:45], off
	s_clause 0x2
	global_load_b128 v[68:71], v[14:15], off offset:16
	global_load_b128 v[72:75], v[72:73], off offset:16
	global_load_b128 v[76:79], v[76:77], off offset:16
	global_load_b64 v[14:15], v[46:47], off
	s_wait_loadcnt 0xa
	v_fma_f64 v[1:2], v[8:9], v[1:2], 0
	s_wait_loadcnt 0x9
	v_fma_f64 v[5:6], v[8:9], v[16:17], 0
	;; [unrolled: 2-line block ×4, first 2 shown]
	s_wait_loadcnt 0x6
	s_delay_alu instid0(VALU_DEP_4) | instskip(NEXT) | instid1(VALU_DEP_4)
	v_fma_f64 v[1:2], v[10:11], v[3:4], v[1:2]
	v_fma_f64 v[3:4], v[10:11], v[18:19], v[5:6]
	s_delay_alu instid0(VALU_DEP_4) | instskip(NEXT) | instid1(VALU_DEP_4)
	v_fma_f64 v[5:6], v[10:11], v[22:23], v[16:17]
	v_fma_f64 v[16:17], v[10:11], v[62:63], v[20:21]
	s_wait_loadcnt 0x4
	s_delay_alu instid0(VALU_DEP_4) | instskip(SKIP_1) | instid1(VALU_DEP_4)
	v_fma_f64 v[1:2], v[12:13], v[64:65], v[1:2]
	s_wait_loadcnt 0x3
	v_fma_f64 v[3:4], v[12:13], v[68:69], v[3:4]
	s_wait_loadcnt 0x2
	s_delay_alu instid0(VALU_DEP_4) | instskip(SKIP_1) | instid1(VALU_DEP_4)
	v_fma_f64 v[5:6], v[12:13], v[72:73], v[5:6]
	s_wait_loadcnt 0x1
	v_fma_f64 v[22:23], v[12:13], v[76:77], v[16:17]
	s_wait_loadcnt 0x0
	s_delay_alu instid0(VALU_DEP_4) | instskip(NEXT) | instid1(VALU_DEP_4)
	v_fma_f64 v[16:17], v[14:15], v[66:67], v[1:2]
	v_fma_f64 v[18:19], v[14:15], v[70:71], v[3:4]
	s_delay_alu instid0(VALU_DEP_4) | instskip(NEXT) | instid1(VALU_DEP_4)
	v_fma_f64 v[20:21], v[14:15], v[74:75], v[5:6]
	v_fma_f64 v[22:23], v[14:15], v[78:79], v[22:23]
.LBB71_14:                              ;   in Loop: Header=BB71_12 Depth=2
	s_wait_alu 0xfffe
	s_and_not1_saveexec_b32 s11, s6
	s_cbranch_execz .LBB71_24
; %bb.15:                               ;   in Loop: Header=BB71_12 Depth=2
	v_mov_b32_e32 v7, v0
	v_dual_mov_b32 v1, v0 :: v_dual_mov_b32 v2, v0
	v_dual_mov_b32 v3, v0 :: v_dual_mov_b32 v4, v0
	;; [unrolled: 1-line block ×3, first 2 shown]
	s_wait_dscnt 0x0
	v_mov_b32_e32 v23, v7
	s_delay_alu instid0(VALU_DEP_3) | instskip(NEXT) | instid1(VALU_DEP_3)
	v_dual_mov_b32 v19, v3 :: v_dual_mov_b32 v18, v2
	v_dual_mov_b32 v21, v5 :: v_dual_mov_b32 v20, v4
	;; [unrolled: 1-line block ×3, first 2 shown]
	v_mov_b32_e32 v16, v0
	s_and_saveexec_b32 s70, s2
	s_cbranch_execz .LBB71_23
; %bb.16:                               ;   in Loop: Header=BB71_12 Depth=2
	s_and_not1_b32 vcc_lo, exec_lo, s34
	s_wait_alu 0xfffe
	s_cbranch_vccnz .LBB71_19
; %bb.17:                               ;   in Loop: Header=BB71_12 Depth=2
	v_dual_mov_b32 v1, v36 :: v_dual_mov_b32 v2, v37
	s_mov_b64 s[64:65], 0
.LBB71_18:                              ;   Parent Loop BB71_3 Depth=1
                                        ;     Parent Loop BB71_12 Depth=2
                                        ; =>    This Inner Loop Header: Depth=3
	global_load_b64 v[3:4], v[1:2], off
	s_wait_alu 0xfffe
	s_cmp_eq_u32 s64, 3
	v_add_co_u32 v1, vcc_lo, v1, s46
	s_wait_alu 0xfffd
	v_add_co_ci_u32_e64 v2, null, s47, v2, vcc_lo
	s_cselect_b32 vcc_lo, -1, 0
	s_cmp_eq_u32 s64, 2
	s_cselect_b32 s6, -1, 0
	s_cmp_eq_u32 s64, 1
	s_cselect_b32 s7, -1, 0
	s_cmp_eq_u32 s64, 0
	s_add_nc_u64 s[64:65], s[64:65], 1
	s_cselect_b32 s8, -1, 0
	s_wait_alu 0xfffe
	s_cmp_eq_u32 s68, s64
	s_wait_loadcnt 0x0
	v_dual_cndmask_b32 v15, v15, v4 :: v_dual_cndmask_b32 v14, v14, v3
	v_cndmask_b32_e64 v13, v13, v4, s6
	v_cndmask_b32_e64 v12, v12, v3, s6
	;; [unrolled: 1-line block ×6, first 2 shown]
	s_cbranch_scc0 .LBB71_18
.LBB71_19:                              ;   in Loop: Header=BB71_12 Depth=2
	s_and_not1_b32 vcc_lo, exec_lo, s34
	s_wait_alu 0xfffe
	s_cbranch_vccnz .LBB71_22
; %bb.20:                               ;   in Loop: Header=BB71_12 Depth=2
	v_mov_b32_e32 v16, 0
	v_dual_mov_b32 v20, 0 :: v_dual_mov_b32 v17, 0
	v_dual_mov_b32 v18, 0 :: v_dual_mov_b32 v21, 0
	;; [unrolled: 1-line block ×3, first 2 shown]
	v_mov_b32_e32 v23, 0
	v_dual_mov_b32 v1, v38 :: v_dual_mov_b32 v2, v39
	s_mov_b64 s[8:9], 0
.LBB71_21:                              ;   Parent Loop BB71_3 Depth=1
                                        ;     Parent Loop BB71_12 Depth=2
                                        ; =>    This Inner Loop Header: Depth=3
	s_delay_alu instid0(VALU_DEP_1) | instskip(SKIP_1) | instid1(VALU_DEP_2)
	v_add_co_u32 v3, vcc_lo, v1, s54
	s_wait_alu 0xfffd
	v_add_co_ci_u32_e64 v4, null, s55, v2, vcc_lo
	v_add_co_u32 v5, vcc_lo, v1, s56
	s_wait_alu 0xfffd
	v_add_co_ci_u32_e64 v6, null, s57, v2, vcc_lo
	;; [unrolled: 3-line block ×3, first 2 shown]
	s_clause 0x3
	global_load_b64 v[62:63], v[1:2], off
	global_load_b64 v[3:4], v[3:4], off
	global_load_b64 v[5:6], v[5:6], off
	global_load_b64 v[60:61], v[60:61], off
	s_wait_alu 0xfffe
	s_cmp_eq_u32 s8, 1
	s_cselect_b32 vcc_lo, -1, 0
	s_cmp_eq_u32 s8, 2
	s_wait_alu 0xfffe
	v_dual_cndmask_b32 v7, v9, v11 :: v_dual_cndmask_b32 v64, v8, v10
	s_cselect_b32 vcc_lo, -1, 0
	s_cmp_eq_u32 s8, 3
	s_add_nc_u64 s[8:9], s[8:9], 1
	s_wait_alu 0xfffe
	v_dual_cndmask_b32 v7, v7, v13 :: v_dual_cndmask_b32 v64, v64, v12
	s_cselect_b32 s6, -1, 0
	v_add_co_u32 v1, vcc_lo, v1, 8
	s_wait_alu 0xfffe
	s_delay_alu instid0(VALU_DEP_2)
	v_cndmask_b32_e64 v65, v7, v15, s6
	v_cndmask_b32_e64 v64, v64, v14, s6
	s_wait_alu 0xfffd
	v_add_co_ci_u32_e64 v2, null, 0, v2, vcc_lo
	s_cmp_lg_u32 s68, s8
	s_wait_loadcnt 0x3
	v_fma_f64 v[16:17], v[64:65], v[62:63], v[16:17]
	s_wait_loadcnt 0x2
	v_fma_f64 v[18:19], v[64:65], v[3:4], v[18:19]
	;; [unrolled: 2-line block ×4, first 2 shown]
	s_cbranch_scc1 .LBB71_21
	s_branch .LBB71_23
.LBB71_22:                              ;   in Loop: Header=BB71_12 Depth=2
	v_mov_b32_e32 v7, v0
	v_dual_mov_b32 v1, v0 :: v_dual_mov_b32 v2, v0
	v_dual_mov_b32 v3, v0 :: v_dual_mov_b32 v4, v0
	;; [unrolled: 1-line block ×3, first 2 shown]
	s_delay_alu instid0(VALU_DEP_4) | instskip(NEXT) | instid1(VALU_DEP_3)
	v_mov_b32_e32 v23, v7
	v_dual_mov_b32 v19, v3 :: v_dual_mov_b32 v18, v2
	s_delay_alu instid0(VALU_DEP_3) | instskip(NEXT) | instid1(VALU_DEP_4)
	v_dual_mov_b32 v21, v5 :: v_dual_mov_b32 v20, v4
	v_dual_mov_b32 v22, v6 :: v_dual_mov_b32 v17, v1
	v_mov_b32_e32 v16, v0
.LBB71_23:                              ;   in Loop: Header=BB71_12 Depth=2
	s_or_b32 exec_lo, exec_lo, s70
.LBB71_24:                              ;   in Loop: Header=BB71_12 Depth=2
	s_wait_alu 0xfffe
	s_or_b32 exec_lo, exec_lo, s11
	s_mov_b64 s[6:7], 0
	s_branch .LBB71_26
.LBB71_25:                              ;   in Loop: Header=BB71_26 Depth=3
	s_wait_alu 0xfffe
	s_or_b32 exec_lo, exec_lo, s8
	s_cmp_eq_u32 s6, 3
	s_cselect_b32 vcc_lo, -1, 0
	s_cmp_eq_u32 s6, 2
	s_wait_dscnt 0x0
	s_wait_alu 0xfffe
	s_delay_alu instid0(VALU_DEP_1)
	v_dual_cndmask_b32 v23, v23, v2 :: v_dual_cndmask_b32 v22, v22, v1
	s_cselect_b32 vcc_lo, -1, 0
	s_cmp_eq_u32 s6, 1
	s_wait_alu 0xfffe
	v_dual_cndmask_b32 v21, v21, v2 :: v_dual_cndmask_b32 v20, v20, v1
	s_cselect_b32 vcc_lo, -1, 0
	s_cmp_eq_u32 s6, 0
	s_wait_alu 0xfffe
	v_dual_cndmask_b32 v19, v19, v2 :: v_dual_cndmask_b32 v18, v18, v1
	s_cselect_b32 vcc_lo, -1, 0
	s_add_nc_u64 s[6:7], s[6:7], 1
	s_wait_alu 0xfffe
	v_dual_cndmask_b32 v17, v17, v2 :: v_dual_cndmask_b32 v16, v16, v1
	s_cmp_eq_u32 s6, 4
	s_cbranch_scc1 .LBB71_34
.LBB71_26:                              ;   Parent Loop BB71_3 Depth=1
                                        ;     Parent Loop BB71_12 Depth=2
                                        ; =>    This Inner Loop Header: Depth=3
	s_and_saveexec_b32 s8, s3
; %bb.27:                               ;   in Loop: Header=BB71_26 Depth=3
	v_mov_b32_e32 v1, v0
	ds_store_b64 v50, v[0:1]
; %bb.28:                               ;   in Loop: Header=BB71_26 Depth=3
	s_wait_alu 0xfffe
	s_or_b32 exec_lo, exec_lo, s8
	s_cmp_eq_u32 s6, 1
	s_wait_storecnt_dscnt 0x0
	s_cselect_b32 vcc_lo, -1, 0
	s_cmp_eq_u32 s6, 2
	s_wait_alu 0xfffe
	v_dual_cndmask_b32 v1, v17, v19 :: v_dual_cndmask_b32 v2, v16, v18
	s_cselect_b32 vcc_lo, -1, 0
	s_cmp_eq_u32 s6, 3
	s_barrier_signal -1
	s_wait_alu 0xfffe
	v_cndmask_b32_e32 v1, v1, v21, vcc_lo
	v_cndmask_b32_e32 v3, v2, v20, vcc_lo
	s_cselect_b32 vcc_lo, -1, 0
	s_barrier_wait -1
	global_inv scope:SCOPE_SE
	s_wait_alu 0xfffe
	v_dual_cndmask_b32 v2, v1, v23 :: v_dual_cndmask_b32 v1, v3, v22
	ds_bpermute_b32 v4, v53, v2
	ds_bpermute_b32 v3, v53, v1
	s_wait_dscnt 0x0
	v_add_f64_e32 v[1:2], v[1:2], v[3:4]
	ds_bpermute_b32 v3, v56, v1
	ds_bpermute_b32 v4, v56, v2
	s_wait_dscnt 0x0
	v_add_f64_e32 v[1:2], v[1:2], v[3:4]
	;; [unrolled: 4-line block ×4, first 2 shown]
	ds_bpermute_b32 v3, v59, v1
	ds_bpermute_b32 v4, v59, v2
	s_and_saveexec_b32 s8, s4
	s_cbranch_execz .LBB71_30
; %bb.29:                               ;   in Loop: Header=BB71_26 Depth=3
	s_wait_dscnt 0x0
	v_add_f64_e32 v[1:2], v[1:2], v[3:4]
	ds_store_b64 v51, v[1:2]
.LBB71_30:                              ;   in Loop: Header=BB71_26 Depth=3
	s_wait_alu 0xfffe
	s_or_b32 exec_lo, exec_lo, s8
	v_mov_b32_e32 v1, 0
	v_mov_b32_e32 v2, 0
	s_wait_loadcnt_dscnt 0x0
	s_barrier_signal -1
	s_barrier_wait -1
	global_inv scope:SCOPE_SE
	s_and_saveexec_b32 s8, s5
; %bb.31:                               ;   in Loop: Header=BB71_26 Depth=3
	ds_load_b64 v[1:2], v50
; %bb.32:                               ;   in Loop: Header=BB71_26 Depth=3
	s_wait_alu 0xfffe
	s_or_b32 exec_lo, exec_lo, s8
	s_and_saveexec_b32 s8, s3
	s_cbranch_execz .LBB71_25
; %bb.33:                               ;   in Loop: Header=BB71_26 Depth=3
	s_wait_dscnt 0x0
	ds_bpermute_b32 v3, v57, v1
	ds_bpermute_b32 v4, v57, v2
	s_wait_dscnt 0x0
	v_add_f64_e32 v[1:2], v[1:2], v[3:4]
	ds_bpermute_b32 v3, v58, v1
	ds_bpermute_b32 v4, v58, v2
	s_wait_dscnt 0x0
	v_add_f64_e32 v[1:2], v[1:2], v[3:4]
	;; [unrolled: 4-line block ×3, first 2 shown]
	s_branch .LBB71_25
.LBB71_34:                              ;   in Loop: Header=BB71_12 Depth=2
	s_and_saveexec_b32 s6, s0
	s_cbranch_execz .LBB71_11
; %bb.35:                               ;   in Loop: Header=BB71_12 Depth=2
	v_mul_f64_e32 v[1:2], v[34:35], v[16:17]
	v_mul_f64_e32 v[3:4], v[34:35], v[18:19]
	;; [unrolled: 1-line block ×4, first 2 shown]
	s_or_b32 s64, s28, 1
	s_mov_b32 s65, s29
	s_mul_u64 s[8:9], s[28:29], s[36:37]
	s_or_b32 s70, s28, 2
	s_mov_b32 s71, s29
	s_or_b32 s72, s28, 3
	s_mov_b32 s73, s29
	s_wait_alu 0xfffe
	s_mul_u64 s[64:65], s[64:65], s[36:37]
	s_mul_u64 s[70:71], s[70:71], s[36:37]
	;; [unrolled: 1-line block ×3, first 2 shown]
	s_lshl_b64 s[8:9], s[8:9], 3
	s_wait_alu 0xfffe
	s_lshl_b64 s[64:65], s[64:65], 3
	s_add_nc_u64 s[8:9], s[58:59], s[8:9]
	s_lshl_b64 s[70:71], s[70:71], 3
	s_lshl_b64 s[72:73], s[72:73], 3
	s_wait_alu 0xfffe
	s_add_nc_u64 s[64:65], s[58:59], s[64:65]
	s_add_nc_u64 s[70:71], s[58:59], s[70:71]
	;; [unrolled: 1-line block ×3, first 2 shown]
	s_clause 0x3
	global_store_b64 v0, v[1:2], s[8:9]
	global_store_b64 v0, v[3:4], s[64:65]
	;; [unrolled: 1-line block ×4, first 2 shown]
	s_branch .LBB71_11
.LBB71_36:                              ;   in Loop: Header=BB71_3 Depth=1
	v_mov_b32_e32 v7, v0
	v_dual_mov_b32 v1, v0 :: v_dual_mov_b32 v2, v0
	v_dual_mov_b32 v3, v0 :: v_dual_mov_b32 v4, v0
	;; [unrolled: 1-line block ×3, first 2 shown]
	s_delay_alu instid0(VALU_DEP_4) | instskip(NEXT) | instid1(VALU_DEP_3)
	v_mov_b32_e32 v15, v7
	v_dual_mov_b32 v11, v3 :: v_dual_mov_b32 v10, v2
	s_delay_alu instid0(VALU_DEP_3) | instskip(NEXT) | instid1(VALU_DEP_4)
	v_dual_mov_b32 v13, v5 :: v_dual_mov_b32 v12, v4
	v_dual_mov_b32 v14, v6 :: v_dual_mov_b32 v9, v1
	v_mov_b32_e32 v8, v0
	s_mov_b32 s28, 0
.LBB71_37:                              ;   in Loop: Header=BB71_3 Depth=1
	s_wait_alu 0xfffe
	s_cmp_ge_i32 s28, s35
	s_cbranch_scc1 .LBB71_2
; %bb.38:                               ;   in Loop: Header=BB71_3 Depth=1
	v_cmp_gt_u32_e32 vcc_lo, 24, v52
	s_mul_u64 s[6:7], s[54:55], s[28:29]
	s_wait_alu 0xfffe
	s_add_nc_u64 s[6:7], s[6:7], s[60:61]
	s_wait_alu 0xfffd
	v_cndmask_b32_e64 v1, 0, 8, vcc_lo
	v_cmp_gt_u32_e32 vcc_lo, 28, v52
	s_delay_alu instid0(VALU_DEP_2) | instskip(SKIP_3) | instid1(VALU_DEP_2)
	v_add_lshl_u32 v38, v1, v52, 2
	s_wait_alu 0xfffd
	v_cndmask_b32_e64 v2, 0, 4, vcc_lo
	v_cmp_gt_u32_e32 vcc_lo, 30, v52
	v_add_lshl_u32 v39, v2, v52, 2
	s_wait_alu 0xfffd
	v_cndmask_b32_e64 v3, 0, 2, vcc_lo
	v_cmp_ne_u32_e32 vcc_lo, 31, v52
	s_delay_alu instid0(VALU_DEP_2)
	v_add_lshl_u32 v40, v3, v52, 2
	s_wait_alu 0xfffd
	v_add_co_ci_u32_e64 v4, null, 0, v52, vcc_lo
	v_add_co_u32 v2, vcc_lo, s62, v24
	s_wait_alu 0xfffd
	v_add_co_ci_u32_e64 v3, null, s63, v25, vcc_lo
	s_delay_alu instid0(VALU_DEP_3)
	v_lshlrev_b32_e32 v41, 2, v4
	v_add_co_u32 v4, vcc_lo, s62, v28
	s_wait_alu 0xfffd
	v_add_co_ci_u32_e64 v5, null, s63, v29, vcc_lo
	v_add_co_u32 v6, vcc_lo, s62, v30
	s_wait_alu 0xfffd
	v_add_co_ci_u32_e64 v7, null, s63, v31, vcc_lo
	;; [unrolled: 3-line block ×3, first 2 shown]
	s_wait_alu 0xfffe
	v_add_co_u32 v18, vcc_lo, v48, s6
	s_wait_alu 0xfffd
	v_add_co_ci_u32_e64 v19, null, s7, v49, vcc_lo
	s_branch .LBB71_40
.LBB71_39:                              ;   in Loop: Header=BB71_40 Depth=2
	s_wait_alu 0xfffe
	s_or_b32 exec_lo, exec_lo, s6
	v_add_co_u32 v18, vcc_lo, v18, s54
	s_wait_alu 0xfffd
	v_add_co_ci_u32_e64 v19, null, s55, v19, vcc_lo
	s_add_co_i32 s28, s28, 1
	s_wait_alu 0xfffe
	s_cmp_ge_i32 s28, s35
	s_cbranch_scc1 .LBB71_2
.LBB71_40:                              ;   Parent Loop BB71_3 Depth=1
                                        ; =>  This Loop Header: Depth=2
                                        ;       Child Loop BB71_53 Depth 3
                                        ;       Child Loop BB71_56 Depth 3
	s_wait_dscnt 0x0
	v_dual_mov_b32 v20, s29 :: v_dual_mov_b32 v21, s29
	s_and_saveexec_b32 s6, s1
	s_wait_alu 0xfffe
	s_xor_b32 s6, exec_lo, s6
	s_cbranch_execnz .LBB71_49
; %bb.41:                               ;   in Loop: Header=BB71_40 Depth=2
	s_wait_alu 0xfffe
	s_and_not1_saveexec_b32 s9, s6
	s_cbranch_execnz .LBB71_50
.LBB71_42:                              ;   in Loop: Header=BB71_40 Depth=2
	s_wait_alu 0xfffe
	s_or_b32 exec_lo, exec_lo, s9
	s_and_saveexec_b32 s6, s3
.LBB71_43:                              ;   in Loop: Header=BB71_40 Depth=2
	v_mov_b32_e32 v1, v0
	ds_store_b64 v50, v[0:1]
.LBB71_44:                              ;   in Loop: Header=BB71_40 Depth=2
	s_wait_alu 0xfffe
	s_or_b32 exec_lo, exec_lo, s6
	ds_bpermute_b32 v22, v53, v20
	ds_bpermute_b32 v23, v53, v21
	s_wait_storecnt 0x0
	s_wait_loadcnt_dscnt 0x0
	s_barrier_signal -1
	s_barrier_wait -1
	global_inv scope:SCOPE_SE
	v_add_f64_e32 v[20:21], v[20:21], v[22:23]
	ds_bpermute_b32 v22, v38, v20
	ds_bpermute_b32 v23, v38, v21
	s_wait_dscnt 0x0
	v_add_f64_e32 v[20:21], v[20:21], v[22:23]
	ds_bpermute_b32 v22, v39, v20
	ds_bpermute_b32 v23, v39, v21
	s_wait_dscnt 0x0
	;; [unrolled: 4-line block ×3, first 2 shown]
	v_add_f64_e32 v[20:21], v[20:21], v[22:23]
	ds_bpermute_b32 v22, v41, v20
	ds_bpermute_b32 v23, v41, v21
	s_and_saveexec_b32 s6, s4
	s_cbranch_execz .LBB71_46
; %bb.45:                               ;   in Loop: Header=BB71_40 Depth=2
	s_wait_dscnt 0x0
	v_add_f64_e32 v[20:21], v[20:21], v[22:23]
	ds_store_b64 v51, v[20:21]
.LBB71_46:                              ;   in Loop: Header=BB71_40 Depth=2
	s_wait_alu 0xfffe
	s_or_b32 exec_lo, exec_lo, s6
	v_mov_b32_e32 v20, 0
	v_mov_b32_e32 v21, 0
	s_wait_loadcnt_dscnt 0x0
	s_barrier_signal -1
	s_barrier_wait -1
	global_inv scope:SCOPE_SE
	s_and_saveexec_b32 s6, s5
	s_cbranch_execnz .LBB71_58
; %bb.47:                               ;   in Loop: Header=BB71_40 Depth=2
	s_wait_alu 0xfffe
	s_or_b32 exec_lo, exec_lo, s6
	s_and_saveexec_b32 s6, s3
	s_cbranch_execnz .LBB71_59
.LBB71_48:                              ;   in Loop: Header=BB71_40 Depth=2
	s_wait_alu 0xfffe
	s_or_b32 exec_lo, exec_lo, s6
	s_and_saveexec_b32 s6, s0
	s_cbranch_execz .LBB71_39
	s_branch .LBB71_60
.LBB71_49:                              ;   in Loop: Header=BB71_40 Depth=2
	s_mul_u64 s[8:9], s[28:29], s[30:31]
	s_wait_alu 0xfffe
	s_lshl_b64 s[8:9], s[8:9], 3
	s_wait_alu 0xfffe
	v_add_co_u32 v12, vcc_lo, v54, s8
	s_wait_alu 0xfffd
	v_add_co_ci_u32_e64 v13, null, s9, v55, vcc_lo
	global_load_b128 v[20:23], v[12:13], off
	s_clause 0x1
	global_load_b64 v[8:9], v[2:3], off
	global_load_b64 v[10:11], v[4:5], off
	global_load_b128 v[42:45], v[12:13], off offset:16
	s_clause 0x1
	global_load_b64 v[12:13], v[6:7], off
	global_load_b64 v[14:15], v[16:17], off
	s_wait_loadcnt 0x4
	v_fma_f64 v[20:21], v[8:9], v[20:21], 0
	s_wait_loadcnt 0x3
	s_delay_alu instid0(VALU_DEP_1) | instskip(SKIP_1) | instid1(VALU_DEP_1)
	v_fma_f64 v[20:21], v[10:11], v[22:23], v[20:21]
	s_wait_loadcnt 0x1
	v_fma_f64 v[20:21], v[12:13], v[42:43], v[20:21]
	s_wait_loadcnt 0x0
	s_delay_alu instid0(VALU_DEP_1)
	v_fma_f64 v[20:21], v[14:15], v[44:45], v[20:21]
	s_and_not1_saveexec_b32 s9, s6
	s_cbranch_execz .LBB71_42
.LBB71_50:                              ;   in Loop: Header=BB71_40 Depth=2
	s_and_saveexec_b32 s11, s2
	s_cbranch_execz .LBB71_57
; %bb.51:                               ;   in Loop: Header=BB71_40 Depth=2
	s_and_not1_b32 vcc_lo, exec_lo, s34
	s_wait_alu 0xfffe
	s_cbranch_vccnz .LBB71_54
; %bb.52:                               ;   in Loop: Header=BB71_40 Depth=2
	v_dual_mov_b32 v22, v36 :: v_dual_mov_b32 v23, v37
	s_mov_b64 s[60:61], 0
.LBB71_53:                              ;   Parent Loop BB71_3 Depth=1
                                        ;     Parent Loop BB71_40 Depth=2
                                        ; =>    This Inner Loop Header: Depth=3
	global_load_b64 v[42:43], v[22:23], off
	s_wait_alu 0xfffe
	s_cmp_eq_u32 s60, 3
	v_add_co_u32 v22, vcc_lo, v22, s46
	s_wait_alu 0xfffd
	v_add_co_ci_u32_e64 v23, null, s47, v23, vcc_lo
	s_cselect_b32 vcc_lo, -1, 0
	s_cmp_eq_u32 s60, 2
	s_cselect_b32 s6, -1, 0
	s_cmp_eq_u32 s60, 1
	s_cselect_b32 s7, -1, 0
	s_cmp_eq_u32 s60, 0
	s_add_nc_u64 s[60:61], s[60:61], 1
	s_cselect_b32 s8, -1, 0
	s_wait_alu 0xfffe
	s_cmp_eq_u32 s68, s60
	s_wait_loadcnt 0x0
	v_dual_cndmask_b32 v15, v15, v43 :: v_dual_cndmask_b32 v14, v14, v42
	v_cndmask_b32_e64 v13, v13, v43, s6
	v_cndmask_b32_e64 v12, v12, v42, s6
	;; [unrolled: 1-line block ×6, first 2 shown]
	s_cbranch_scc0 .LBB71_53
.LBB71_54:                              ;   in Loop: Header=BB71_40 Depth=2
	s_and_not1_b32 vcc_lo, exec_lo, s34
	s_wait_alu 0xfffe
	s_cbranch_vccnz .LBB71_57
; %bb.55:                               ;   in Loop: Header=BB71_40 Depth=2
	v_dual_mov_b32 v23, v19 :: v_dual_mov_b32 v22, v18
	s_mov_b64 s[6:7], 0
.LBB71_56:                              ;   Parent Loop BB71_3 Depth=1
                                        ;     Parent Loop BB71_40 Depth=2
                                        ; =>    This Inner Loop Header: Depth=3
	global_load_b64 v[42:43], v[22:23], off
	s_wait_alu 0xfffe
	s_cmp_eq_u32 s6, 1
	s_cselect_b32 vcc_lo, -1, 0
	s_cmp_eq_u32 s6, 2
	s_wait_alu 0xfffe
	v_dual_cndmask_b32 v1, v9, v11 :: v_dual_cndmask_b32 v44, v8, v10
	s_cselect_b32 vcc_lo, -1, 0
	s_cmp_eq_u32 s6, 3
	s_add_nc_u64 s[6:7], s[6:7], 1
	s_wait_alu 0xfffe
	v_dual_cndmask_b32 v1, v1, v13 :: v_dual_cndmask_b32 v44, v44, v12
	s_cselect_b32 vcc_lo, -1, 0
	s_cmp_lg_u32 s68, s6
	s_wait_alu 0xfffe
	s_delay_alu instid0(VALU_DEP_1)
	v_dual_cndmask_b32 v45, v1, v15 :: v_dual_cndmask_b32 v44, v44, v14
	v_add_co_u32 v22, vcc_lo, v22, 8
	s_wait_alu 0xfffd
	v_add_co_ci_u32_e64 v23, null, 0, v23, vcc_lo
	s_wait_loadcnt 0x0
	v_fma_f64 v[20:21], v[44:45], v[42:43], v[20:21]
	s_cbranch_scc1 .LBB71_56
.LBB71_57:                              ;   in Loop: Header=BB71_40 Depth=2
	s_wait_alu 0xfffe
	s_or_b32 exec_lo, exec_lo, s11
	s_delay_alu instid0(SALU_CYCLE_1)
	s_or_b32 exec_lo, exec_lo, s9
	s_and_saveexec_b32 s6, s3
	s_cbranch_execnz .LBB71_43
	s_branch .LBB71_44
.LBB71_58:                              ;   in Loop: Header=BB71_40 Depth=2
	ds_load_b64 v[20:21], v50
	s_wait_alu 0xfffe
	s_or_b32 exec_lo, exec_lo, s6
	s_and_saveexec_b32 s6, s3
	s_cbranch_execz .LBB71_48
.LBB71_59:                              ;   in Loop: Header=BB71_40 Depth=2
	s_wait_dscnt 0x0
	ds_bpermute_b32 v22, v39, v20
	ds_bpermute_b32 v23, v39, v21
	s_wait_dscnt 0x0
	v_add_f64_e32 v[20:21], v[20:21], v[22:23]
	ds_bpermute_b32 v22, v40, v20
	ds_bpermute_b32 v23, v40, v21
	s_wait_dscnt 0x0
	v_add_f64_e32 v[20:21], v[20:21], v[22:23]
	;; [unrolled: 4-line block ×3, first 2 shown]
	s_wait_alu 0xfffe
	s_or_b32 exec_lo, exec_lo, s6
	s_and_saveexec_b32 s6, s0
	s_cbranch_execz .LBB71_39
.LBB71_60:                              ;   in Loop: Header=BB71_40 Depth=2
	s_wait_dscnt 0x0
	s_delay_alu instid0(VALU_DEP_1)
	v_mul_f64_e32 v[20:21], v[34:35], v[20:21]
	s_mul_u64 s[8:9], s[28:29], s[36:37]
	s_wait_alu 0xfffe
	s_lshl_b64 s[8:9], s[8:9], 3
	s_wait_alu 0xfffe
	s_add_nc_u64 s[8:9], s[58:59], s[8:9]
	global_store_b64 v0, v[20:21], s[8:9]
	s_branch .LBB71_39
.LBB71_61:
	s_endpgm
	.section	.rodata,"a",@progbits
	.p2align	6, 0x0
	.amdhsa_kernel _ZL23rocblas_gemvt_sn_kernelILb0ELi256ELi4EldPKddEviiT4_lPKT3_lilS5_lilPT5_i
		.amdhsa_group_segment_fixed_size 256
		.amdhsa_private_segment_fixed_size 0
		.amdhsa_kernarg_size 360
		.amdhsa_user_sgpr_count 2
		.amdhsa_user_sgpr_dispatch_ptr 0
		.amdhsa_user_sgpr_queue_ptr 0
		.amdhsa_user_sgpr_kernarg_segment_ptr 1
		.amdhsa_user_sgpr_dispatch_id 0
		.amdhsa_user_sgpr_private_segment_size 0
		.amdhsa_wavefront_size32 1
		.amdhsa_uses_dynamic_stack 0
		.amdhsa_enable_private_segment 0
		.amdhsa_system_sgpr_workgroup_id_x 1
		.amdhsa_system_sgpr_workgroup_id_y 0
		.amdhsa_system_sgpr_workgroup_id_z 1
		.amdhsa_system_sgpr_workgroup_info 0
		.amdhsa_system_vgpr_workitem_id 0
		.amdhsa_next_free_vgpr 80
		.amdhsa_next_free_sgpr 74
		.amdhsa_reserve_vcc 1
		.amdhsa_float_round_mode_32 0
		.amdhsa_float_round_mode_16_64 0
		.amdhsa_float_denorm_mode_32 3
		.amdhsa_float_denorm_mode_16_64 3
		.amdhsa_fp16_overflow 0
		.amdhsa_workgroup_processor_mode 1
		.amdhsa_memory_ordered 1
		.amdhsa_forward_progress 1
		.amdhsa_inst_pref_size 34
		.amdhsa_round_robin_scheduling 0
		.amdhsa_exception_fp_ieee_invalid_op 0
		.amdhsa_exception_fp_denorm_src 0
		.amdhsa_exception_fp_ieee_div_zero 0
		.amdhsa_exception_fp_ieee_overflow 0
		.amdhsa_exception_fp_ieee_underflow 0
		.amdhsa_exception_fp_ieee_inexact 0
		.amdhsa_exception_int_div_zero 0
	.end_amdhsa_kernel
	.section	.text._ZL23rocblas_gemvt_sn_kernelILb0ELi256ELi4EldPKddEviiT4_lPKT3_lilS5_lilPT5_i,"axG",@progbits,_ZL23rocblas_gemvt_sn_kernelILb0ELi256ELi4EldPKddEviiT4_lPKT3_lilS5_lilPT5_i,comdat
.Lfunc_end71:
	.size	_ZL23rocblas_gemvt_sn_kernelILb0ELi256ELi4EldPKddEviiT4_lPKT3_lilS5_lilPT5_i, .Lfunc_end71-_ZL23rocblas_gemvt_sn_kernelILb0ELi256ELi4EldPKddEviiT4_lPKT3_lilS5_lilPT5_i
                                        ; -- End function
	.set _ZL23rocblas_gemvt_sn_kernelILb0ELi256ELi4EldPKddEviiT4_lPKT3_lilS5_lilPT5_i.num_vgpr, 80
	.set _ZL23rocblas_gemvt_sn_kernelILb0ELi256ELi4EldPKddEviiT4_lPKT3_lilS5_lilPT5_i.num_agpr, 0
	.set _ZL23rocblas_gemvt_sn_kernelILb0ELi256ELi4EldPKddEviiT4_lPKT3_lilS5_lilPT5_i.numbered_sgpr, 74
	.set _ZL23rocblas_gemvt_sn_kernelILb0ELi256ELi4EldPKddEviiT4_lPKT3_lilS5_lilPT5_i.num_named_barrier, 0
	.set _ZL23rocblas_gemvt_sn_kernelILb0ELi256ELi4EldPKddEviiT4_lPKT3_lilS5_lilPT5_i.private_seg_size, 0
	.set _ZL23rocblas_gemvt_sn_kernelILb0ELi256ELi4EldPKddEviiT4_lPKT3_lilS5_lilPT5_i.uses_vcc, 1
	.set _ZL23rocblas_gemvt_sn_kernelILb0ELi256ELi4EldPKddEviiT4_lPKT3_lilS5_lilPT5_i.uses_flat_scratch, 0
	.set _ZL23rocblas_gemvt_sn_kernelILb0ELi256ELi4EldPKddEviiT4_lPKT3_lilS5_lilPT5_i.has_dyn_sized_stack, 0
	.set _ZL23rocblas_gemvt_sn_kernelILb0ELi256ELi4EldPKddEviiT4_lPKT3_lilS5_lilPT5_i.has_recursion, 0
	.set _ZL23rocblas_gemvt_sn_kernelILb0ELi256ELi4EldPKddEviiT4_lPKT3_lilS5_lilPT5_i.has_indirect_call, 0
	.section	.AMDGPU.csdata,"",@progbits
; Kernel info:
; codeLenInByte = 4272
; TotalNumSgprs: 76
; NumVgprs: 80
; ScratchSize: 0
; MemoryBound: 1
; FloatMode: 240
; IeeeMode: 1
; LDSByteSize: 256 bytes/workgroup (compile time only)
; SGPRBlocks: 0
; VGPRBlocks: 9
; NumSGPRsForWavesPerEU: 76
; NumVGPRsForWavesPerEU: 80
; Occupancy: 16
; WaveLimiterHint : 0
; COMPUTE_PGM_RSRC2:SCRATCH_EN: 0
; COMPUTE_PGM_RSRC2:USER_SGPR: 2
; COMPUTE_PGM_RSRC2:TRAP_HANDLER: 0
; COMPUTE_PGM_RSRC2:TGID_X_EN: 1
; COMPUTE_PGM_RSRC2:TGID_Y_EN: 0
; COMPUTE_PGM_RSRC2:TGID_Z_EN: 1
; COMPUTE_PGM_RSRC2:TIDIG_COMP_CNT: 0
	.section	.text._ZL23rocblas_gemvt_sn_reduceILi256ELi8EdPKddEviT2_lPT3_lilPT1_i,"axG",@progbits,_ZL23rocblas_gemvt_sn_reduceILi256ELi8EdPKddEviT2_lPT3_lilPT1_i,comdat
	.globl	_ZL23rocblas_gemvt_sn_reduceILi256ELi8EdPKddEviT2_lPT3_lilPT1_i ; -- Begin function _ZL23rocblas_gemvt_sn_reduceILi256ELi8EdPKddEviT2_lPT3_lilPT1_i
	.p2align	8
	.type	_ZL23rocblas_gemvt_sn_reduceILi256ELi8EdPKddEviT2_lPT3_lilPT1_i,@function
_ZL23rocblas_gemvt_sn_reduceILi256ELi8EdPKddEviT2_lPT3_lilPT1_i: ; @_ZL23rocblas_gemvt_sn_reduceILi256ELi8EdPKddEviT2_lPT3_lilPT1_i
; %bb.0:
	s_load_b32 s28, s[0:1], 0x40
	s_lshr_b32 s20, ttmp7, 16
	s_wait_kmcnt 0x0
	s_cmp_ge_u32 s20, s28
	s_cbranch_scc1 .LBB72_21
; %bb.1:
	s_clause 0x5
	s_load_b32 s22, s[0:1], 0x0
	s_load_b32 s29, s[0:1], 0x4c
	;; [unrolled: 1-line block ×4, first 2 shown]
	s_load_b256 s[8:15], s[0:1], 0x8
	s_load_b128 s[16:19], s[0:1], 0x30
	v_mbcnt_lo_u32_b32 v3, -1, 0
	v_dual_mov_b32 v1, 0 :: v_dual_and_b32 v2, 31, v0
	v_lshlrev_b32_e32 v13, 3, v0
	v_cmp_gt_u32_e64 s0, 32, v0
	s_delay_alu instid0(VALU_DEP_4)
	v_cmp_gt_u32_e32 vcc_lo, 24, v3
	v_cmp_eq_u32_e64 s5, 0, v0
	v_lshlrev_b32_e32 v14, 3, v2
	v_mov_b32_e32 v6, v1
	s_mov_b32 s21, 0
	v_cndmask_b32_e64 v4, 0, 8, vcc_lo
	v_cmp_gt_u32_e32 vcc_lo, 28, v3
	v_lshl_or_b32 v15, v3, 2, 64
	s_and_b32 s24, ttmp7, 0xffff
	s_wait_kmcnt 0x0
	s_ashr_i32 s23, s22, 31
	v_xad_u32 v5, v0, -1, s22
	s_lshr_b32 s1, s23, 29
	s_wait_alu 0xfffd
	v_cndmask_b32_e64 v7, 0, 4, vcc_lo
	v_cmp_gt_u32_e32 vcc_lo, 30, v3
	s_lshl_b64 s[2:3], s[14:15], 3
	s_add_co_i32 s1, s22, s1
	s_add_nc_u64 s[12:13], s[12:13], s[2:3]
	v_cmp_eq_u32_e64 s3, 0, v2
	v_lshlrev_b32_e32 v2, 6, v0
	s_and_b32 s30, s1, -8
	s_wait_alu 0xfffd
	v_cndmask_b32_e64 v8, 0, 2, vcc_lo
	v_cmp_ne_u32_e32 vcc_lo, 31, v3
	s_sub_co_i32 s2, s22, s30
	s_and_b32 s26, s4, 0xffff
	v_cmp_gt_u32_e64 s2, s2, v0
	v_add_lshl_u32 v16, v4, v3, 2
	v_lshrrev_b32_e32 v4, 2, v0
	v_cmp_gt_u32_e64 s4, 8, v0
	v_add_co_u32 v0, s14, s18, v2
	s_wait_alu 0xfffd
	v_add_co_ci_u32_e64 v9, null, 0, v3, vcc_lo
	v_add_co_ci_u32_e64 v2, null, s19, 0, s14
	v_add_lshl_u32 v17, v7, v3, 2
	v_add_lshl_u32 v18, v8, v3, 2
	v_add_co_u32 v3, vcc_lo, v0, 56
	s_ashr_i32 s7, s6, 31
	s_mov_b32 s25, s21
	v_lshlrev_b64_e32 v[5:6], 3, v[5:6]
	v_cmp_gt_i32_e64 s1, s30, v13
	v_lshlrev_b32_e32 v19, 2, v9
	v_and_b32_e32 v20, 56, v4
	s_wait_alu 0xfffd
	v_add_co_ci_u32_e64 v4, null, 0, v2, vcc_lo
	s_mul_u64 s[6:7], s[6:7], s[24:25]
	s_mul_i32 s25, s20, s29
	s_lshl_b32 s31, s26, 3
	s_lshl_b64 s[14:15], s[22:23], 3
	s_add_co_i32 s25, s24, s25
	s_lshl_b32 s33, s29, 16
	s_lshl_b32 s34, s26, 6
	s_lshl_b64 s[26:27], s[6:7], 3
	s_branch .LBB72_4
.LBB72_2:                               ;   in Loop: Header=BB72_4 Depth=1
	s_wait_dscnt 0x0
	global_store_b64 v1, v[9:10], s[6:7]
.LBB72_3:                               ;   in Loop: Header=BB72_4 Depth=1
	s_wait_alu 0xfffe
	s_or_b32 exec_lo, exec_lo, s35
	s_add_co_i32 s20, s20, 0x10000
	s_add_co_i32 s25, s25, s33
	s_cmp_lt_u32 s20, s28
	s_cbranch_scc0 .LBB72_21
.LBB72_4:                               ; =>This Loop Header: Depth=1
                                        ;     Child Loop BB72_14 Depth 2
	s_mul_u64 s[6:7], s[10:11], s[20:21]
	s_wait_dscnt 0x0
	v_mov_b32_e32 v9, 0
	s_wait_alu 0xfffe
	s_lshl_b64 s[6:7], s[6:7], 3
	v_mov_b32_e32 v10, 0
	s_wait_alu 0xfffe
	s_add_nc_u64 s[6:7], s[8:9], s[6:7]
	global_load_b64 v[7:8], v1, s[6:7]
	s_and_saveexec_b32 s7, s1
	s_cbranch_execnz .LBB72_13
; %bb.5:                                ;   in Loop: Header=BB72_4 Depth=1
	s_wait_alu 0xfffe
	s_or_b32 exec_lo, exec_lo, s7
	s_and_saveexec_b32 s6, s2
	s_cbranch_execnz .LBB72_16
.LBB72_6:                               ;   in Loop: Header=BB72_4 Depth=1
	s_wait_alu 0xfffe
	s_or_b32 exec_lo, exec_lo, s6
	s_and_saveexec_b32 s6, s0
.LBB72_7:                               ;   in Loop: Header=BB72_4 Depth=1
	v_mov_b32_e32 v2, v1
	ds_store_b64 v14, v[1:2]
.LBB72_8:                               ;   in Loop: Header=BB72_4 Depth=1
	s_wait_alu 0xfffe
	s_or_b32 exec_lo, exec_lo, s6
	ds_bpermute_b32 v11, v15, v9
	ds_bpermute_b32 v12, v15, v10
	s_wait_loadcnt_dscnt 0x0
	s_barrier_signal -1
	s_barrier_wait -1
	global_inv scope:SCOPE_SE
	v_add_f64_e32 v[9:10], v[9:10], v[11:12]
	ds_bpermute_b32 v11, v16, v9
	ds_bpermute_b32 v12, v16, v10
	s_wait_dscnt 0x0
	v_add_f64_e32 v[9:10], v[9:10], v[11:12]
	ds_bpermute_b32 v11, v17, v9
	ds_bpermute_b32 v12, v17, v10
	s_wait_dscnt 0x0
	;; [unrolled: 4-line block ×3, first 2 shown]
	v_add_f64_e32 v[9:10], v[9:10], v[11:12]
	ds_bpermute_b32 v11, v19, v9
	ds_bpermute_b32 v12, v19, v10
	s_and_saveexec_b32 s6, s3
	s_cbranch_execz .LBB72_10
; %bb.9:                                ;   in Loop: Header=BB72_4 Depth=1
	s_wait_dscnt 0x0
	v_add_f64_e32 v[9:10], v[9:10], v[11:12]
	ds_store_b64 v20, v[9:10]
.LBB72_10:                              ;   in Loop: Header=BB72_4 Depth=1
	s_wait_alu 0xfffe
	s_or_b32 exec_lo, exec_lo, s6
	v_mov_b32_e32 v9, 0
	v_mov_b32_e32 v10, 0
	s_wait_loadcnt_dscnt 0x0
	s_barrier_signal -1
	s_barrier_wait -1
	global_inv scope:SCOPE_SE
	s_and_saveexec_b32 s6, s4
	s_cbranch_execnz .LBB72_17
; %bb.11:                               ;   in Loop: Header=BB72_4 Depth=1
	s_wait_alu 0xfffe
	s_or_b32 exec_lo, exec_lo, s6
	s_and_saveexec_b32 s6, s0
	s_cbranch_execnz .LBB72_18
.LBB72_12:                              ;   in Loop: Header=BB72_4 Depth=1
	s_wait_alu 0xfffe
	s_or_b32 exec_lo, exec_lo, s6
	s_and_saveexec_b32 s35, s5
	s_cbranch_execz .LBB72_3
	s_branch .LBB72_19
.LBB72_13:                              ;   in Loop: Header=BB72_4 Depth=1
	v_mad_co_u64_u32 v[11:12], null, s14, s25, v[3:4]
	s_mov_b32 s35, 0
	v_mov_b32_e32 v9, 0
	v_mov_b32_e32 v10, 0
	;; [unrolled: 1-line block ×3, first 2 shown]
	s_delay_alu instid0(VALU_DEP_1) | instskip(SKIP_1) | instid1(VALU_DEP_2)
	v_mad_co_u64_u32 v[21:22], null, s15, s25, v[0:1]
	v_mov_b32_e32 v0, v13
	v_mov_b32_e32 v12, v21
.LBB72_14:                              ;   Parent Loop BB72_4 Depth=1
                                        ; =>  This Inner Loop Header: Depth=2
	s_clause 0x3
	global_load_b128 v[21:24], v[11:12], off offset:-56
	global_load_b128 v[25:28], v[11:12], off offset:-40
	global_load_b128 v[29:32], v[11:12], off offset:-24
	global_load_b128 v[33:36], v[11:12], off offset:-8
	v_add_nc_u32_e32 v0, s31, v0
	v_add_co_u32 v11, s6, v11, s34
	s_wait_alu 0xf1fe
	v_add_co_ci_u32_e64 v12, null, 0, v12, s6
	s_delay_alu instid0(VALU_DEP_3) | instskip(SKIP_3) | instid1(VALU_DEP_1)
	v_cmp_le_i32_e32 vcc_lo, s30, v0
	s_or_b32 s35, vcc_lo, s35
	s_wait_loadcnt 0x3
	v_add_f64_e32 v[9:10], v[9:10], v[21:22]
	v_add_f64_e32 v[9:10], v[9:10], v[23:24]
	s_wait_loadcnt 0x2
	s_delay_alu instid0(VALU_DEP_1) | instskip(NEXT) | instid1(VALU_DEP_1)
	v_add_f64_e32 v[9:10], v[9:10], v[25:26]
	v_add_f64_e32 v[9:10], v[9:10], v[27:28]
	s_wait_loadcnt 0x1
	s_delay_alu instid0(VALU_DEP_1) | instskip(NEXT) | instid1(VALU_DEP_1)
	;; [unrolled: 4-line block ×3, first 2 shown]
	v_add_f64_e32 v[9:10], v[9:10], v[33:34]
	v_add_f64_e32 v[9:10], v[9:10], v[35:36]
	s_wait_alu 0xfffe
	s_and_not1_b32 exec_lo, exec_lo, s35
	s_cbranch_execnz .LBB72_14
; %bb.15:                               ;   in Loop: Header=BB72_4 Depth=1
	s_or_b32 exec_lo, exec_lo, s35
	s_delay_alu instid0(SALU_CYCLE_1)
	s_or_b32 exec_lo, exec_lo, s7
	s_and_saveexec_b32 s6, s2
	s_cbranch_execz .LBB72_6
.LBB72_16:                              ;   in Loop: Header=BB72_4 Depth=1
	s_mul_i32 s7, s29, s20
	s_mov_b32 s37, s21
	s_wait_alu 0xfffe
	s_add_co_i32 s36, s7, s24
	s_wait_alu 0xfffe
	s_mul_u64 s[36:37], s[36:37], s[22:23]
	s_wait_alu 0xfffe
	s_lshl_b64 s[36:37], s[36:37], 3
	s_wait_alu 0xfffe
	s_add_nc_u64 s[36:37], s[18:19], s[36:37]
	s_wait_alu 0xfffe
	v_add_co_u32 v11, vcc_lo, s36, v5
	s_wait_alu 0xfffd
	v_add_co_ci_u32_e64 v12, null, s37, v6, vcc_lo
	global_load_b64 v[11:12], v[11:12], off
	s_wait_loadcnt 0x0
	v_add_f64_e32 v[9:10], v[9:10], v[11:12]
	s_or_b32 exec_lo, exec_lo, s6
	s_and_saveexec_b32 s6, s0
	s_cbranch_execnz .LBB72_7
	s_branch .LBB72_8
.LBB72_17:                              ;   in Loop: Header=BB72_4 Depth=1
	ds_load_b64 v[9:10], v14
	s_wait_alu 0xfffe
	s_or_b32 exec_lo, exec_lo, s6
	s_and_saveexec_b32 s6, s0
	s_cbranch_execz .LBB72_12
.LBB72_18:                              ;   in Loop: Header=BB72_4 Depth=1
	s_wait_dscnt 0x0
	ds_bpermute_b32 v11, v17, v9
	ds_bpermute_b32 v12, v17, v10
	s_wait_dscnt 0x0
	v_add_f64_e32 v[9:10], v[9:10], v[11:12]
	ds_bpermute_b32 v11, v18, v9
	ds_bpermute_b32 v12, v18, v10
	s_wait_dscnt 0x0
	v_add_f64_e32 v[9:10], v[9:10], v[11:12]
	;; [unrolled: 4-line block ×3, first 2 shown]
	s_wait_alu 0xfffe
	s_or_b32 exec_lo, exec_lo, s6
	s_and_saveexec_b32 s35, s5
	s_cbranch_execz .LBB72_3
.LBB72_19:                              ;   in Loop: Header=BB72_4 Depth=1
	v_cmp_eq_f64_e32 vcc_lo, 0, v[7:8]
	s_mul_u64 s[6:7], s[16:17], s[20:21]
	s_wait_alu 0xfffe
	s_lshl_b64 s[6:7], s[6:7], 3
	s_wait_alu 0xfffe
	s_add_nc_u64 s[6:7], s[12:13], s[6:7]
	s_wait_alu 0xfffe
	s_add_nc_u64 s[6:7], s[6:7], s[26:27]
	s_cbranch_vccnz .LBB72_2
; %bb.20:                               ;   in Loop: Header=BB72_4 Depth=1
	global_load_b64 v[11:12], v1, s[6:7]
	s_wait_loadcnt_dscnt 0x0
	v_fma_f64 v[9:10], v[7:8], v[11:12], v[9:10]
	s_branch .LBB72_2
.LBB72_21:
	s_endpgm
	.section	.rodata,"a",@progbits
	.p2align	6, 0x0
	.amdhsa_kernel _ZL23rocblas_gemvt_sn_reduceILi256ELi8EdPKddEviT2_lPT3_lilPT1_i
		.amdhsa_group_segment_fixed_size 256
		.amdhsa_private_segment_fixed_size 0
		.amdhsa_kernarg_size 328
		.amdhsa_user_sgpr_count 2
		.amdhsa_user_sgpr_dispatch_ptr 0
		.amdhsa_user_sgpr_queue_ptr 0
		.amdhsa_user_sgpr_kernarg_segment_ptr 1
		.amdhsa_user_sgpr_dispatch_id 0
		.amdhsa_user_sgpr_private_segment_size 0
		.amdhsa_wavefront_size32 1
		.amdhsa_uses_dynamic_stack 0
		.amdhsa_enable_private_segment 0
		.amdhsa_system_sgpr_workgroup_id_x 1
		.amdhsa_system_sgpr_workgroup_id_y 1
		.amdhsa_system_sgpr_workgroup_id_z 1
		.amdhsa_system_sgpr_workgroup_info 0
		.amdhsa_system_vgpr_workitem_id 0
		.amdhsa_next_free_vgpr 37
		.amdhsa_next_free_sgpr 38
		.amdhsa_reserve_vcc 1
		.amdhsa_float_round_mode_32 0
		.amdhsa_float_round_mode_16_64 0
		.amdhsa_float_denorm_mode_32 3
		.amdhsa_float_denorm_mode_16_64 3
		.amdhsa_fp16_overflow 0
		.amdhsa_workgroup_processor_mode 1
		.amdhsa_memory_ordered 1
		.amdhsa_forward_progress 1
		.amdhsa_inst_pref_size 11
		.amdhsa_round_robin_scheduling 0
		.amdhsa_exception_fp_ieee_invalid_op 0
		.amdhsa_exception_fp_denorm_src 0
		.amdhsa_exception_fp_ieee_div_zero 0
		.amdhsa_exception_fp_ieee_overflow 0
		.amdhsa_exception_fp_ieee_underflow 0
		.amdhsa_exception_fp_ieee_inexact 0
		.amdhsa_exception_int_div_zero 0
	.end_amdhsa_kernel
	.section	.text._ZL23rocblas_gemvt_sn_reduceILi256ELi8EdPKddEviT2_lPT3_lilPT1_i,"axG",@progbits,_ZL23rocblas_gemvt_sn_reduceILi256ELi8EdPKddEviT2_lPT3_lilPT1_i,comdat
.Lfunc_end72:
	.size	_ZL23rocblas_gemvt_sn_reduceILi256ELi8EdPKddEviT2_lPT3_lilPT1_i, .Lfunc_end72-_ZL23rocblas_gemvt_sn_reduceILi256ELi8EdPKddEviT2_lPT3_lilPT1_i
                                        ; -- End function
	.set _ZL23rocblas_gemvt_sn_reduceILi256ELi8EdPKddEviT2_lPT3_lilPT1_i.num_vgpr, 37
	.set _ZL23rocblas_gemvt_sn_reduceILi256ELi8EdPKddEviT2_lPT3_lilPT1_i.num_agpr, 0
	.set _ZL23rocblas_gemvt_sn_reduceILi256ELi8EdPKddEviT2_lPT3_lilPT1_i.numbered_sgpr, 38
	.set _ZL23rocblas_gemvt_sn_reduceILi256ELi8EdPKddEviT2_lPT3_lilPT1_i.num_named_barrier, 0
	.set _ZL23rocblas_gemvt_sn_reduceILi256ELi8EdPKddEviT2_lPT3_lilPT1_i.private_seg_size, 0
	.set _ZL23rocblas_gemvt_sn_reduceILi256ELi8EdPKddEviT2_lPT3_lilPT1_i.uses_vcc, 1
	.set _ZL23rocblas_gemvt_sn_reduceILi256ELi8EdPKddEviT2_lPT3_lilPT1_i.uses_flat_scratch, 0
	.set _ZL23rocblas_gemvt_sn_reduceILi256ELi8EdPKddEviT2_lPT3_lilPT1_i.has_dyn_sized_stack, 0
	.set _ZL23rocblas_gemvt_sn_reduceILi256ELi8EdPKddEviT2_lPT3_lilPT1_i.has_recursion, 0
	.set _ZL23rocblas_gemvt_sn_reduceILi256ELi8EdPKddEviT2_lPT3_lilPT1_i.has_indirect_call, 0
	.section	.AMDGPU.csdata,"",@progbits
; Kernel info:
; codeLenInByte = 1300
; TotalNumSgprs: 40
; NumVgprs: 37
; ScratchSize: 0
; MemoryBound: 1
; FloatMode: 240
; IeeeMode: 1
; LDSByteSize: 256 bytes/workgroup (compile time only)
; SGPRBlocks: 0
; VGPRBlocks: 4
; NumSGPRsForWavesPerEU: 40
; NumVGPRsForWavesPerEU: 37
; Occupancy: 16
; WaveLimiterHint : 0
; COMPUTE_PGM_RSRC2:SCRATCH_EN: 0
; COMPUTE_PGM_RSRC2:USER_SGPR: 2
; COMPUTE_PGM_RSRC2:TRAP_HANDLER: 0
; COMPUTE_PGM_RSRC2:TGID_X_EN: 1
; COMPUTE_PGM_RSRC2:TGID_Y_EN: 1
; COMPUTE_PGM_RSRC2:TGID_Z_EN: 1
; COMPUTE_PGM_RSRC2:TIDIG_COMP_CNT: 0
	.section	.text._ZL23rocblas_gemvt_sn_kernelILb0ELi256ELi4EidddEviiT4_lPKT3_lilS3_lilPT5_i,"axG",@progbits,_ZL23rocblas_gemvt_sn_kernelILb0ELi256ELi4EidddEviiT4_lPKT3_lilS3_lilPT5_i,comdat
	.globl	_ZL23rocblas_gemvt_sn_kernelILb0ELi256ELi4EidddEviiT4_lPKT3_lilS3_lilPT5_i ; -- Begin function _ZL23rocblas_gemvt_sn_kernelILb0ELi256ELi4EidddEviiT4_lPKT3_lilS3_lilPT5_i
	.p2align	8
	.type	_ZL23rocblas_gemvt_sn_kernelILb0ELi256ELi4EidddEviiT4_lPKT3_lilS3_lilPT5_i,@function
_ZL23rocblas_gemvt_sn_kernelILb0ELi256ELi4EidddEviiT4_lPKT3_lilS3_lilPT5_i: ; @_ZL23rocblas_gemvt_sn_kernelILb0ELi256ELi4EidddEviiT4_lPKT3_lilS3_lilPT5_i
; %bb.0:
	s_load_b32 s11, s[0:1], 0x60
	s_lshr_b32 s24, ttmp7, 16
	s_wait_kmcnt 0x0
	s_cmp_ge_u32 s24, s11
	s_cbranch_scc1 .LBB73_61
; %bb.1:
	s_clause 0x6
	s_load_b96 s[8:10], s[0:1], 0x40
	s_load_b128 s[4:7], s[0:1], 0x18
	s_load_b128 s[12:15], s[0:1], 0x0
	;; [unrolled: 1-line block ×3, first 2 shown]
	s_load_b32 s28, s[0:1], 0x68
	s_load_b32 s30, s[0:1], 0x28
	s_load_b128 s[20:23], s[0:1], 0x50
	v_cmp_eq_u32_e64 s0, 0, v0
	s_mov_b32 s35, 0
	s_mov_b32 s26, ttmp9
	s_mov_b32 s27, s35
	v_mbcnt_lo_u32_b32 v45, -1, 0
	s_mov_b32 s29, s35
	s_mov_b32 s31, s35
	;; [unrolled: 1-line block ×3, first 2 shown]
	s_delay_alu instid0(VALU_DEP_1)
	v_lshl_or_b32 v46, v45, 2, 64
	s_wait_kmcnt 0x0
	s_lshl_b64 s[2:3], s[8:9], 3
	s_lshl_b64 s[6:7], s[6:7], 3
	s_ashr_i32 s9, s13, 31
	s_cmp_gt_i32 s13, 0
	s_add_nc_u64 s[18:19], s[18:19], s[2:3]
	s_add_nc_u64 s[2:3], s[4:5], s[6:7]
	s_cselect_b32 s1, -1, 0
	s_lshl_b32 s4, ttmp9, 10
	s_lshr_b32 s5, s9, 30
	v_lshl_or_b32 v1, v0, 2, s4
	s_ashr_i32 s4, s12, 31
	s_and_b32 s33, s0, s1
	s_wait_alu 0xfffe
	s_lshr_b32 s4, s4, 30
	s_add_co_i32 s1, s13, s5
	v_ashrrev_i32_e32 v2, 31, v1
	s_wait_alu 0xfffe
	s_add_co_i32 s4, s12, s4
	s_and_b32 s70, s1, -4
	s_wait_alu 0xfffe
	s_and_b32 s1, s4, -4
	v_add_nc_u32_e32 v4, 4, v1
	v_lshlrev_b64_e32 v[2:3], 3, v[1:2]
	s_sub_co_i32 s71, s12, s1
	v_mul_lo_u32 v24, s10, v1
	v_add_nc_u32_e32 v1, s71, v1
	s_cmp_gt_i32 s70, 0
	v_cmp_ge_i32_e64 s1, s12, v4
	v_add_co_u32 v41, vcc_lo, s2, v2
	s_cselect_b32 s72, -1, 0
	s_cmp_gt_i32 s71, 0
	v_add_co_ci_u32_e64 v42, null, s3, v3, vcc_lo
	v_and_b32_e32 v2, 31, v0
	v_cmp_gt_u32_e64 s3, 32, v0
	v_lshrrev_b32_e32 v4, 2, v0
	v_cmp_gt_u32_e64 s5, 8, v0
	v_mov_b32_e32 v0, 0
	v_cmp_ge_i32_e64 s2, s12, v1
	s_cselect_b32 s12, -1, 0
	s_lshl_b64 s[38:39], s[26:27], 3
	v_cmp_eq_f64_e64 s27, s[14:15], 0
	v_add_nc_u32_e32 v1, s10, v24
	v_cmp_eq_u32_e64 s4, 0, v2
	v_lshlrev_b32_e32 v43, 3, v2
	v_and_b32_e32 v44, 56, v4
	v_ashrrev_i32_e32 v25, 31, v24
	v_add_nc_u32_e32 v3, s10, v1
	v_ashrrev_i32_e32 v2, 31, v1
	s_mov_b32 s8, s13
	s_lshl_b32 s34, s30, 1
	v_lshlrev_b64_e32 v[25:26], 3, v[24:25]
	v_add_nc_u32_e32 v5, s10, v3
	v_ashrrev_i32_e32 v4, 31, v3
	v_lshlrev_b64_e32 v[27:28], 3, v[1:2]
	s_mul_u64 s[36:37], s[8:9], s[28:29]
	s_mov_b64 s[48:49], s[34:35]
	v_ashrrev_i32_e32 v6, 31, v5
	v_lshlrev_b64_e32 v[29:30], 3, v[3:4]
	s_mul_i32 s34, s30, 3
	s_add_nc_u64 s[40:41], s[22:23], s[38:39]
	s_lshl_b64 s[42:43], s[36:37], 3
	v_lshlrev_b64_e32 v[31:32], 3, v[5:6]
	s_lshl_b64 s[44:45], s[28:29], 3
	s_lshl_b32 s46, s30, 2
	s_mov_b64 s[50:51], s[34:35]
	s_lshl_b64 s[52:53], s[16:17], 3
	s_branch .LBB73_3
.LBB73_2:                               ;   in Loop: Header=BB73_3 Depth=1
	s_add_co_i32 s24, s24, 0x10000
	s_delay_alu instid0(SALU_CYCLE_1)
	s_cmp_lt_u32 s24, s11
	s_cbranch_scc0 .LBB73_61
.LBB73_3:                               ; =>This Loop Header: Depth=1
                                        ;     Child Loop BB73_6 Depth 2
                                        ;     Child Loop BB73_12 Depth 2
                                        ;       Child Loop BB73_18 Depth 3
                                        ;       Child Loop BB73_21 Depth 3
	;; [unrolled: 1-line block ×3, first 2 shown]
                                        ;     Child Loop BB73_40 Depth 2
                                        ;       Child Loop BB73_53 Depth 3
                                        ;       Child Loop BB73_56 Depth 3
	s_mov_b32 s25, s35
	s_and_not1_b32 vcc_lo, exec_lo, s27
	s_mov_b32 s6, -1
	s_wait_alu 0xfffe
	s_cbranch_vccnz .LBB73_8
; %bb.4:                                ;   in Loop: Header=BB73_3 Depth=1
	s_and_saveexec_b32 s8, s33
	s_cbranch_execz .LBB73_7
; %bb.5:                                ;   in Loop: Header=BB73_3 Depth=1
	s_mul_u64 s[6:7], s[42:43], s[24:25]
	s_mov_b32 s9, s13
	s_wait_alu 0xfffe
	s_add_nc_u64 s[6:7], s[40:41], s[6:7]
.LBB73_6:                               ;   Parent Loop BB73_3 Depth=1
                                        ; =>  This Inner Loop Header: Depth=2
	v_mov_b32_e32 v1, v0
	s_add_co_i32 s9, s9, -1
	s_wait_alu 0xfffe
	s_cmp_eq_u32 s9, 0
	global_store_b64 v0, v[0:1], s[6:7]
	s_add_nc_u64 s[6:7], s[6:7], s[44:45]
	s_cbranch_scc0 .LBB73_6
.LBB73_7:                               ;   in Loop: Header=BB73_3 Depth=1
	s_wait_alu 0xfffe
	s_or_b32 exec_lo, exec_lo, s8
	s_mov_b32 s6, 0
.LBB73_8:                               ;   in Loop: Header=BB73_3 Depth=1
	s_wait_alu 0xfffe
	s_and_not1_b32 vcc_lo, exec_lo, s6
	s_wait_alu 0xfffe
	s_cbranch_vccnz .LBB73_2
; %bb.9:                                ;   in Loop: Header=BB73_3 Depth=1
	s_mul_u64 s[6:7], s[20:21], s[24:25]
	s_mul_u64 s[8:9], s[16:17], s[24:25]
	s_wait_alu 0xfffe
	s_lshl_b64 s[6:7], s[6:7], 3
	s_mul_u64 s[58:59], s[36:37], s[24:25]
	s_wait_alu 0xfffe
	s_add_nc_u64 s[54:55], s[18:19], s[6:7]
	s_lshl_b64 s[6:7], s[8:9], 3
	v_cmp_gt_u32_e64 s9, 24, v45
	s_wait_alu 0xfffe
	v_add_co_u32 v47, vcc_lo, v41, s6
	s_wait_alu 0xfffd
	v_add_co_ci_u32_e64 v48, null, s7, v42, vcc_lo
	v_cmp_gt_u32_e64 s8, 28, v45
	v_cmp_gt_u32_e64 s7, 30, v45
	v_cmp_ne_u32_e64 s6, 31, v45
	s_lshl_b64 s[58:59], s[58:59], 3
	s_mul_u64 s[56:57], s[52:53], s[24:25]
	s_and_not1_b32 vcc_lo, exec_lo, s72
	s_add_nc_u64 s[58:59], s[22:23], s[58:59]
	s_wait_alu 0xfffe
	s_cbranch_vccnz .LBB73_36
; %bb.10:                               ;   in Loop: Header=BB73_3 Depth=1
	s_wait_alu 0xf1ff
	v_cndmask_b32_e64 v1, 0, 8, s9
	v_cndmask_b32_e64 v2, 0, 4, s8
	;; [unrolled: 1-line block ×3, first 2 shown]
	v_add_co_ci_u32_e64 v4, null, 0, v45, s6
	v_add_co_u32 v33, vcc_lo, s54, v25
	s_wait_alu 0xfffd
	v_add_co_ci_u32_e64 v34, null, s55, v26, vcc_lo
	v_add_co_u32 v35, vcc_lo, s54, v27
	s_wait_alu 0xfffd
	v_add_co_ci_u32_e64 v36, null, s55, v28, vcc_lo
	v_add_co_u32 v37, vcc_lo, s54, v29
	v_dual_mov_b32 v6, v0 :: v_dual_mov_b32 v7, v0
	v_add_lshl_u32 v49, v1, v45, 2
	v_add_lshl_u32 v50, v2, v45, 2
	;; [unrolled: 1-line block ×3, first 2 shown]
	v_dual_mov_b32 v1, v0 :: v_dual_lshlrev_b32 v52, 2, v4
	v_dual_mov_b32 v2, v0 :: v_dual_mov_b32 v3, v0
	v_dual_mov_b32 v4, v0 :: v_dual_mov_b32 v5, v0
	s_wait_alu 0xfffd
	v_add_co_ci_u32_e64 v38, null, s55, v30, vcc_lo
	v_add_co_u32 v39, vcc_lo, s54, v31
	s_wait_alu 0xfffd
	v_add_co_ci_u32_e64 v40, null, s55, v32, vcc_lo
	v_add_co_u32 v53, vcc_lo, v41, s56
	v_dual_mov_b32 v15, v7 :: v_dual_mov_b32 v14, v6
	s_wait_alu 0xfffd
	v_add_co_ci_u32_e64 v54, null, s57, v42, vcc_lo
	v_dual_mov_b32 v13, v5 :: v_dual_mov_b32 v12, v4
	v_dual_mov_b32 v11, v3 :: v_dual_mov_b32 v10, v2
	;; [unrolled: 1-line block ×3, first 2 shown]
	s_mov_b32 s60, 0
	s_mov_b64 s[62:63], s[50:51]
	s_mov_b64 s[64:65], s[48:49]
	;; [unrolled: 1-line block ×3, first 2 shown]
	s_mov_b32 s9, 0
	s_branch .LBB73_12
.LBB73_11:                              ;   in Loop: Header=BB73_12 Depth=2
	s_wait_alu 0xfffe
	s_or_b32 exec_lo, exec_lo, s6
	s_add_co_i32 s9, s9, 4
	s_add_co_i32 s60, s60, s46
	s_add_nc_u64 s[66:67], s[66:67], s[46:47]
	s_add_nc_u64 s[64:65], s[64:65], s[46:47]
	s_wait_alu 0xfffe
	s_cmp_ge_i32 s9, s70
	s_add_nc_u64 s[62:63], s[62:63], s[46:47]
	s_cbranch_scc1 .LBB73_37
.LBB73_12:                              ;   Parent Loop BB73_3 Depth=1
                                        ; =>  This Loop Header: Depth=2
                                        ;       Child Loop BB73_18 Depth 3
                                        ;       Child Loop BB73_21 Depth 3
	;; [unrolled: 1-line block ×3, first 2 shown]
                                        ; implicit-def: $vgpr16_vgpr17_vgpr18_vgpr19_vgpr20_vgpr21_vgpr22_vgpr23
	s_and_saveexec_b32 s6, s1
	s_wait_alu 0xfffe
	s_xor_b32 s6, exec_lo, s6
	s_cbranch_execz .LBB73_14
; %bb.13:                               ;   in Loop: Header=BB73_12 Depth=2
	s_mul_i32 s68, s9, s30
	s_wait_alu 0xfffe
	s_ashr_i32 s69, s68, 31
	s_add_co_i32 s74, s68, s30
	s_wait_alu 0xfffe
	s_lshl_b64 s[68:69], s[68:69], 3
	s_ashr_i32 s75, s74, 31
	s_wait_alu 0xfffe
	v_add_co_u32 v5, vcc_lo, v47, s68
	s_wait_alu 0xfffd
	v_add_co_ci_u32_e64 v6, null, s69, v48, vcc_lo
	s_lshl_b64 s[68:69], s[74:75], 3
	s_add_co_i32 s74, s74, s30
	s_wait_alu 0xfffe
	v_add_co_u32 v14, vcc_lo, v47, s68
	s_ashr_i32 s75, s74, 31
	s_add_co_i32 s68, s74, s30
	s_wait_alu 0xfffd
	v_add_co_ci_u32_e64 v15, null, s69, v48, vcc_lo
	s_wait_alu 0xfffe
	s_lshl_b64 s[74:75], s[74:75], 3
	s_ashr_i32 s69, s68, 31
	s_wait_alu 0xfffe
	v_add_co_u32 v67, vcc_lo, v47, s74
	s_lshl_b64 s[68:69], s[68:69], 3
	s_wait_alu 0xfffd
	v_add_co_ci_u32_e64 v68, null, s75, v48, vcc_lo
	s_wait_alu 0xfffe
	v_add_co_u32 v71, vcc_lo, v47, s68
	s_wait_alu 0xfffd
	v_add_co_ci_u32_e64 v72, null, s69, v48, vcc_lo
	global_load_b64 v[8:9], v[33:34], off
	global_load_b128 v[1:4], v[5:6], off
	s_wait_dscnt 0x0
	s_clause 0x2
	global_load_b128 v[16:19], v[14:15], off
	global_load_b128 v[20:23], v[67:68], off
	;; [unrolled: 1-line block ×3, first 2 shown]
	global_load_b64 v[10:11], v[35:36], off
	global_load_b128 v[59:62], v[5:6], off offset:16
	global_load_b64 v[12:13], v[37:38], off
	s_clause 0x2
	global_load_b128 v[63:66], v[14:15], off offset:16
	global_load_b128 v[67:70], v[67:68], off offset:16
	;; [unrolled: 1-line block ×3, first 2 shown]
	global_load_b64 v[14:15], v[39:40], off
	s_wait_loadcnt 0xa
	v_fma_f64 v[1:2], v[8:9], v[1:2], 0
	s_wait_loadcnt 0x9
	v_fma_f64 v[5:6], v[8:9], v[16:17], 0
	;; [unrolled: 2-line block ×4, first 2 shown]
	s_wait_loadcnt 0x6
	s_delay_alu instid0(VALU_DEP_4) | instskip(NEXT) | instid1(VALU_DEP_4)
	v_fma_f64 v[1:2], v[10:11], v[3:4], v[1:2]
	v_fma_f64 v[3:4], v[10:11], v[18:19], v[5:6]
	s_delay_alu instid0(VALU_DEP_4) | instskip(NEXT) | instid1(VALU_DEP_4)
	v_fma_f64 v[5:6], v[10:11], v[22:23], v[16:17]
	v_fma_f64 v[16:17], v[10:11], v[57:58], v[20:21]
	s_wait_loadcnt 0x4
	s_delay_alu instid0(VALU_DEP_4) | instskip(SKIP_1) | instid1(VALU_DEP_4)
	v_fma_f64 v[1:2], v[12:13], v[59:60], v[1:2]
	s_wait_loadcnt 0x3
	v_fma_f64 v[3:4], v[12:13], v[63:64], v[3:4]
	s_wait_loadcnt 0x2
	s_delay_alu instid0(VALU_DEP_4) | instskip(SKIP_1) | instid1(VALU_DEP_4)
	v_fma_f64 v[5:6], v[12:13], v[67:68], v[5:6]
	s_wait_loadcnt 0x1
	v_fma_f64 v[22:23], v[12:13], v[71:72], v[16:17]
	s_wait_loadcnt 0x0
	s_delay_alu instid0(VALU_DEP_4) | instskip(NEXT) | instid1(VALU_DEP_4)
	v_fma_f64 v[16:17], v[14:15], v[61:62], v[1:2]
	v_fma_f64 v[18:19], v[14:15], v[65:66], v[3:4]
	s_delay_alu instid0(VALU_DEP_4) | instskip(NEXT) | instid1(VALU_DEP_4)
	v_fma_f64 v[20:21], v[14:15], v[69:70], v[5:6]
	v_fma_f64 v[22:23], v[14:15], v[73:74], v[22:23]
.LBB73_14:                              ;   in Loop: Header=BB73_12 Depth=2
	s_wait_alu 0xfffe
	s_and_not1_saveexec_b32 s25, s6
	s_cbranch_execz .LBB73_24
; %bb.15:                               ;   in Loop: Header=BB73_12 Depth=2
	v_mov_b32_e32 v7, v0
	v_dual_mov_b32 v1, v0 :: v_dual_mov_b32 v2, v0
	v_dual_mov_b32 v3, v0 :: v_dual_mov_b32 v4, v0
	;; [unrolled: 1-line block ×3, first 2 shown]
	s_wait_dscnt 0x0
	v_mov_b32_e32 v23, v7
	s_delay_alu instid0(VALU_DEP_3) | instskip(NEXT) | instid1(VALU_DEP_3)
	v_dual_mov_b32 v19, v3 :: v_dual_mov_b32 v18, v2
	v_dual_mov_b32 v21, v5 :: v_dual_mov_b32 v20, v4
	;; [unrolled: 1-line block ×3, first 2 shown]
	v_mov_b32_e32 v16, v0
	s_and_saveexec_b32 s34, s2
	s_cbranch_execz .LBB73_23
; %bb.16:                               ;   in Loop: Header=BB73_12 Depth=2
	s_and_not1_b32 vcc_lo, exec_lo, s12
	s_wait_alu 0xfffe
	s_cbranch_vccnz .LBB73_19
; %bb.17:                               ;   in Loop: Header=BB73_12 Depth=2
	v_mov_b32_e32 v1, v24
	s_mov_b64 s[68:69], 0
.LBB73_18:                              ;   Parent Loop BB73_3 Depth=1
                                        ;     Parent Loop BB73_12 Depth=2
                                        ; =>    This Inner Loop Header: Depth=3
	s_delay_alu instid0(VALU_DEP_1) | instskip(SKIP_2) | instid1(VALU_DEP_1)
	v_ashrrev_i32_e32 v2, 31, v1
	s_wait_alu 0xfffe
	s_cmp_eq_u32 s68, 3
	v_lshlrev_b64_e32 v[2:3], 3, v[1:2]
	s_delay_alu instid0(VALU_DEP_1) | instskip(SKIP_1) | instid1(VALU_DEP_2)
	v_add_co_u32 v2, vcc_lo, s54, v2
	s_wait_alu 0xfffd
	v_add_co_ci_u32_e64 v3, null, s55, v3, vcc_lo
	s_cselect_b32 vcc_lo, -1, 0
	s_cmp_eq_u32 s68, 2
	s_cselect_b32 s6, -1, 0
	global_load_b64 v[2:3], v[2:3], off
	s_cmp_eq_u32 s68, 1
	v_add_nc_u32_e32 v1, s10, v1
	s_cselect_b32 s7, -1, 0
	s_cmp_eq_u32 s68, 0
	s_add_nc_u64 s[68:69], s[68:69], 1
	s_cselect_b32 s8, -1, 0
	s_wait_alu 0xfffe
	s_cmp_eq_u32 s71, s68
	s_wait_loadcnt 0x0
	v_dual_cndmask_b32 v15, v15, v3 :: v_dual_cndmask_b32 v14, v14, v2
	v_cndmask_b32_e64 v13, v13, v3, s6
	v_cndmask_b32_e64 v12, v12, v2, s6
	;; [unrolled: 1-line block ×6, first 2 shown]
	s_cbranch_scc0 .LBB73_18
.LBB73_19:                              ;   in Loop: Header=BB73_12 Depth=2
	s_and_not1_b32 vcc_lo, exec_lo, s12
	s_wait_alu 0xfffe
	s_cbranch_vccnz .LBB73_22
; %bb.20:                               ;   in Loop: Header=BB73_12 Depth=2
	s_ashr_i32 s61, s60, 31
	v_mov_b32_e32 v16, 0
	s_lshl_b64 s[6:7], s[60:61], 3
	v_mov_b32_e32 v20, 0
	s_wait_alu 0xfffe
	v_add_co_u32 v1, vcc_lo, v53, s6
	v_dual_mov_b32 v17, 0 :: v_dual_mov_b32 v18, 0
	v_dual_mov_b32 v21, 0 :: v_dual_mov_b32 v22, 0
	v_mov_b32_e32 v19, 0
	v_mov_b32_e32 v23, 0
	s_wait_alu 0xfffd
	v_add_co_ci_u32_e64 v2, null, s7, v54, vcc_lo
	s_mov_b64 s[68:69], 0
.LBB73_21:                              ;   Parent Loop BB73_3 Depth=1
                                        ;     Parent Loop BB73_12 Depth=2
                                        ; =>    This Inner Loop Header: Depth=3
	s_wait_alu 0xfffe
	s_cmp_eq_u32 s68, 1
	s_cselect_b32 vcc_lo, -1, 0
	s_cmp_eq_u32 s68, 2
	s_wait_alu 0xfffe
	v_cndmask_b32_e32 v3, v9, v11, vcc_lo
	s_cselect_b32 s6, -1, 0
	s_cmp_eq_u32 s68, 3
	v_cndmask_b32_e32 v59, v8, v10, vcc_lo
	s_cselect_b32 s7, -1, 0
	s_add_co_i32 s74, s66, s68
	s_add_co_i32 s76, s64, s68
	s_wait_alu 0xfffe
	s_ashr_i32 s75, s74, 31
	s_add_co_i32 s78, s62, s68
	s_ashr_i32 s77, s76, 31
	s_wait_alu 0xfffe
	s_lshl_b64 s[74:75], s[74:75], 3
	v_cndmask_b32_e64 v7, v3, v13, s6
	s_ashr_i32 s79, s78, 31
	s_lshl_b64 s[76:77], s[76:77], 3
	s_wait_alu 0xfffe
	v_add_co_u32 v3, s8, v47, s74
	s_lshl_b64 s[78:79], s[78:79], 3
	v_add_co_ci_u32_e64 v4, null, s75, v48, s8
	v_add_co_u32 v5, s8, v47, s76
	s_wait_alu 0xf1ff
	v_add_co_ci_u32_e64 v6, null, s77, v48, s8
	s_wait_alu 0xfffe
	v_add_co_u32 v55, s8, v47, s78
	s_wait_alu 0xf1ff
	v_add_co_ci_u32_e64 v56, null, s79, v48, s8
	global_load_b64 v[57:58], v[1:2], off
	s_clause 0x2
	global_load_b64 v[3:4], v[3:4], off
	global_load_b64 v[5:6], v[5:6], off
	;; [unrolled: 1-line block ×3, first 2 shown]
	v_cndmask_b32_e64 v59, v59, v12, s6
	v_cndmask_b32_e64 v60, v7, v15, s7
	v_add_co_u32 v1, vcc_lo, v1, 8
	s_wait_alu 0xfffd
	v_add_co_ci_u32_e64 v2, null, 0, v2, vcc_lo
	v_cndmask_b32_e64 v59, v59, v14, s7
	s_add_nc_u64 s[68:69], s[68:69], 1
	s_wait_alu 0xfffe
	s_cmp_lg_u32 s71, s68
	s_wait_loadcnt 0x3
	v_fma_f64 v[16:17], v[59:60], v[57:58], v[16:17]
	s_wait_loadcnt 0x2
	v_fma_f64 v[18:19], v[59:60], v[3:4], v[18:19]
	;; [unrolled: 2-line block ×4, first 2 shown]
	s_cbranch_scc1 .LBB73_21
	s_branch .LBB73_23
.LBB73_22:                              ;   in Loop: Header=BB73_12 Depth=2
	v_mov_b32_e32 v7, v0
	v_dual_mov_b32 v1, v0 :: v_dual_mov_b32 v2, v0
	v_dual_mov_b32 v3, v0 :: v_dual_mov_b32 v4, v0
	;; [unrolled: 1-line block ×3, first 2 shown]
	s_delay_alu instid0(VALU_DEP_4) | instskip(NEXT) | instid1(VALU_DEP_3)
	v_mov_b32_e32 v23, v7
	v_dual_mov_b32 v19, v3 :: v_dual_mov_b32 v18, v2
	s_delay_alu instid0(VALU_DEP_3) | instskip(NEXT) | instid1(VALU_DEP_4)
	v_dual_mov_b32 v21, v5 :: v_dual_mov_b32 v20, v4
	v_dual_mov_b32 v22, v6 :: v_dual_mov_b32 v17, v1
	v_mov_b32_e32 v16, v0
.LBB73_23:                              ;   in Loop: Header=BB73_12 Depth=2
	s_wait_alu 0xfffe
	s_or_b32 exec_lo, exec_lo, s34
.LBB73_24:                              ;   in Loop: Header=BB73_12 Depth=2
	s_delay_alu instid0(SALU_CYCLE_1)
	s_or_b32 exec_lo, exec_lo, s25
	s_mov_b64 s[6:7], 0
	s_branch .LBB73_26
.LBB73_25:                              ;   in Loop: Header=BB73_26 Depth=3
	s_wait_alu 0xfffe
	s_or_b32 exec_lo, exec_lo, s8
	s_cmp_eq_u32 s6, 3
	s_cselect_b32 vcc_lo, -1, 0
	s_cmp_eq_u32 s6, 2
	s_wait_dscnt 0x0
	s_wait_alu 0xfffe
	s_delay_alu instid0(VALU_DEP_1)
	v_dual_cndmask_b32 v23, v23, v2 :: v_dual_cndmask_b32 v22, v22, v1
	s_cselect_b32 vcc_lo, -1, 0
	s_cmp_eq_u32 s6, 1
	s_wait_alu 0xfffe
	v_dual_cndmask_b32 v21, v21, v2 :: v_dual_cndmask_b32 v20, v20, v1
	s_cselect_b32 vcc_lo, -1, 0
	s_cmp_eq_u32 s6, 0
	s_wait_alu 0xfffe
	v_dual_cndmask_b32 v19, v19, v2 :: v_dual_cndmask_b32 v18, v18, v1
	s_cselect_b32 vcc_lo, -1, 0
	s_add_nc_u64 s[6:7], s[6:7], 1
	s_wait_alu 0xfffe
	v_dual_cndmask_b32 v17, v17, v2 :: v_dual_cndmask_b32 v16, v16, v1
	s_cmp_eq_u32 s6, 4
	s_cbranch_scc1 .LBB73_34
.LBB73_26:                              ;   Parent Loop BB73_3 Depth=1
                                        ;     Parent Loop BB73_12 Depth=2
                                        ; =>    This Inner Loop Header: Depth=3
	s_and_saveexec_b32 s8, s3
; %bb.27:                               ;   in Loop: Header=BB73_26 Depth=3
	v_mov_b32_e32 v1, v0
	ds_store_b64 v43, v[0:1]
; %bb.28:                               ;   in Loop: Header=BB73_26 Depth=3
	s_wait_alu 0xfffe
	s_or_b32 exec_lo, exec_lo, s8
	s_cmp_eq_u32 s6, 1
	s_wait_storecnt_dscnt 0x0
	s_cselect_b32 vcc_lo, -1, 0
	s_cmp_eq_u32 s6, 2
	s_wait_alu 0xfffe
	v_dual_cndmask_b32 v1, v17, v19 :: v_dual_cndmask_b32 v2, v16, v18
	s_cselect_b32 vcc_lo, -1, 0
	s_cmp_eq_u32 s6, 3
	s_barrier_signal -1
	s_wait_alu 0xfffe
	v_cndmask_b32_e32 v1, v1, v21, vcc_lo
	v_cndmask_b32_e32 v3, v2, v20, vcc_lo
	s_cselect_b32 vcc_lo, -1, 0
	s_barrier_wait -1
	global_inv scope:SCOPE_SE
	s_wait_alu 0xfffe
	v_dual_cndmask_b32 v2, v1, v23 :: v_dual_cndmask_b32 v1, v3, v22
	ds_bpermute_b32 v4, v46, v2
	ds_bpermute_b32 v3, v46, v1
	s_wait_dscnt 0x0
	v_add_f64_e32 v[1:2], v[1:2], v[3:4]
	ds_bpermute_b32 v3, v49, v1
	ds_bpermute_b32 v4, v49, v2
	s_wait_dscnt 0x0
	v_add_f64_e32 v[1:2], v[1:2], v[3:4]
	;; [unrolled: 4-line block ×4, first 2 shown]
	ds_bpermute_b32 v3, v52, v1
	ds_bpermute_b32 v4, v52, v2
	s_and_saveexec_b32 s8, s4
	s_cbranch_execz .LBB73_30
; %bb.29:                               ;   in Loop: Header=BB73_26 Depth=3
	s_wait_dscnt 0x0
	v_add_f64_e32 v[1:2], v[1:2], v[3:4]
	ds_store_b64 v44, v[1:2]
.LBB73_30:                              ;   in Loop: Header=BB73_26 Depth=3
	s_wait_alu 0xfffe
	s_or_b32 exec_lo, exec_lo, s8
	v_mov_b32_e32 v1, 0
	v_mov_b32_e32 v2, 0
	s_wait_loadcnt_dscnt 0x0
	s_barrier_signal -1
	s_barrier_wait -1
	global_inv scope:SCOPE_SE
	s_and_saveexec_b32 s8, s5
; %bb.31:                               ;   in Loop: Header=BB73_26 Depth=3
	ds_load_b64 v[1:2], v43
; %bb.32:                               ;   in Loop: Header=BB73_26 Depth=3
	s_wait_alu 0xfffe
	s_or_b32 exec_lo, exec_lo, s8
	s_and_saveexec_b32 s8, s3
	s_cbranch_execz .LBB73_25
; %bb.33:                               ;   in Loop: Header=BB73_26 Depth=3
	s_wait_dscnt 0x0
	ds_bpermute_b32 v3, v50, v1
	ds_bpermute_b32 v4, v50, v2
	s_wait_dscnt 0x0
	v_add_f64_e32 v[1:2], v[1:2], v[3:4]
	ds_bpermute_b32 v3, v51, v1
	ds_bpermute_b32 v4, v51, v2
	s_wait_dscnt 0x0
	v_add_f64_e32 v[1:2], v[1:2], v[3:4]
	;; [unrolled: 4-line block ×3, first 2 shown]
	s_branch .LBB73_25
.LBB73_34:                              ;   in Loop: Header=BB73_12 Depth=2
	s_and_saveexec_b32 s6, s0
	s_cbranch_execz .LBB73_11
; %bb.35:                               ;   in Loop: Header=BB73_12 Depth=2
	v_mul_f64_e32 v[1:2], s[14:15], v[16:17]
	v_mul_f64_e32 v[3:4], s[14:15], v[18:19]
	;; [unrolled: 1-line block ×4, first 2 shown]
	s_mul_i32 s7, s9, s28
	s_wait_alu 0xfffe
	s_add_co_i32 s34, s7, s26
	s_wait_alu 0xfffe
	s_lshl_b64 s[68:69], s[34:35], 3
	s_add_co_i32 s34, s34, s28
	s_wait_alu 0xfffe
	s_add_nc_u64 s[68:69], s[58:59], s[68:69]
	s_lshl_b64 s[74:75], s[34:35], 3
	s_add_co_i32 s34, s34, s28
	s_wait_alu 0xfffe
	s_add_nc_u64 s[74:75], s[58:59], s[74:75]
	;; [unrolled: 4-line block ×3, first 2 shown]
	s_lshl_b64 s[78:79], s[34:35], 3
	s_wait_alu 0xfffe
	s_add_nc_u64 s[78:79], s[58:59], s[78:79]
	s_clause 0x3
	global_store_b64 v0, v[1:2], s[68:69]
	global_store_b64 v0, v[3:4], s[74:75]
	;; [unrolled: 1-line block ×4, first 2 shown]
	s_branch .LBB73_11
.LBB73_36:                              ;   in Loop: Header=BB73_3 Depth=1
	v_mov_b32_e32 v7, v0
	v_dual_mov_b32 v1, v0 :: v_dual_mov_b32 v2, v0
	v_dual_mov_b32 v3, v0 :: v_dual_mov_b32 v4, v0
	;; [unrolled: 1-line block ×3, first 2 shown]
	s_delay_alu instid0(VALU_DEP_4) | instskip(NEXT) | instid1(VALU_DEP_3)
	v_mov_b32_e32 v15, v7
	v_dual_mov_b32 v11, v3 :: v_dual_mov_b32 v10, v2
	s_delay_alu instid0(VALU_DEP_3) | instskip(NEXT) | instid1(VALU_DEP_4)
	v_dual_mov_b32 v13, v5 :: v_dual_mov_b32 v12, v4
	v_dual_mov_b32 v14, v6 :: v_dual_mov_b32 v9, v1
	v_mov_b32_e32 v8, v0
	s_mov_b32 s9, 0
.LBB73_37:                              ;   in Loop: Header=BB73_3 Depth=1
	s_wait_alu 0xfffe
	s_cmp_ge_i32 s9, s13
	s_cbranch_scc1 .LBB73_2
; %bb.38:                               ;   in Loop: Header=BB73_3 Depth=1
	v_cmp_gt_u32_e32 vcc_lo, 24, v45
	s_mov_b32 s34, s9
	s_wait_alu 0xfffd
	v_cndmask_b32_e64 v1, 0, 8, vcc_lo
	v_cmp_gt_u32_e32 vcc_lo, 28, v45
	s_delay_alu instid0(VALU_DEP_2) | instskip(SKIP_3) | instid1(VALU_DEP_2)
	v_add_lshl_u32 v22, v1, v45, 2
	s_wait_alu 0xfffd
	v_cndmask_b32_e64 v2, 0, 4, vcc_lo
	v_cmp_gt_u32_e32 vcc_lo, 30, v45
	v_add_lshl_u32 v23, v2, v45, 2
	s_wait_alu 0xfffd
	v_cndmask_b32_e64 v3, 0, 2, vcc_lo
	v_cmp_ne_u32_e32 vcc_lo, 31, v45
	s_delay_alu instid0(VALU_DEP_2)
	v_add_lshl_u32 v33, v3, v45, 2
	s_wait_alu 0xfffd
	v_add_co_ci_u32_e64 v4, null, 0, v45, vcc_lo
	v_add_co_u32 v2, vcc_lo, s54, v25
	s_wait_alu 0xfffd
	v_add_co_ci_u32_e64 v3, null, s55, v26, vcc_lo
	s_delay_alu instid0(VALU_DEP_3)
	v_lshlrev_b32_e32 v34, 2, v4
	v_add_co_u32 v4, vcc_lo, s54, v27
	s_wait_alu 0xfffd
	v_add_co_ci_u32_e64 v5, null, s55, v28, vcc_lo
	v_add_co_u32 v6, vcc_lo, s54, v29
	s_wait_alu 0xfffd
	v_add_co_ci_u32_e64 v7, null, s55, v30, vcc_lo
	;; [unrolled: 3-line block ×4, first 2 shown]
	s_add_nc_u64 s[56:57], s[58:59], s[38:39]
	s_mul_i32 s58, s30, s9
	s_branch .LBB73_40
.LBB73_39:                              ;   in Loop: Header=BB73_40 Depth=2
	s_wait_alu 0xfffe
	s_or_b32 exec_lo, exec_lo, s6
	s_add_co_i32 s34, s34, 1
	s_add_co_i32 s58, s58, s30
	s_wait_alu 0xfffe
	s_cmp_ge_i32 s34, s13
	s_cbranch_scc1 .LBB73_2
.LBB73_40:                              ;   Parent Loop BB73_3 Depth=1
                                        ; =>  This Loop Header: Depth=2
                                        ;       Child Loop BB73_53 Depth 3
                                        ;       Child Loop BB73_56 Depth 3
	s_wait_dscnt 0x0
	v_dual_mov_b32 v18, s35 :: v_dual_mov_b32 v19, s35
	s_and_saveexec_b32 s6, s1
	s_wait_alu 0xfffe
	s_xor_b32 s6, exec_lo, s6
	s_cbranch_execnz .LBB73_49
; %bb.41:                               ;   in Loop: Header=BB73_40 Depth=2
	s_wait_alu 0xfffe
	s_and_not1_saveexec_b32 s9, s6
	s_cbranch_execnz .LBB73_50
.LBB73_42:                              ;   in Loop: Header=BB73_40 Depth=2
	s_wait_alu 0xfffe
	s_or_b32 exec_lo, exec_lo, s9
	s_and_saveexec_b32 s6, s3
.LBB73_43:                              ;   in Loop: Header=BB73_40 Depth=2
	v_mov_b32_e32 v1, v0
	ds_store_b64 v43, v[0:1]
.LBB73_44:                              ;   in Loop: Header=BB73_40 Depth=2
	s_wait_alu 0xfffe
	s_or_b32 exec_lo, exec_lo, s6
	ds_bpermute_b32 v20, v46, v18
	ds_bpermute_b32 v21, v46, v19
	s_wait_storecnt 0x0
	s_wait_loadcnt_dscnt 0x0
	s_barrier_signal -1
	s_barrier_wait -1
	global_inv scope:SCOPE_SE
	v_add_f64_e32 v[18:19], v[18:19], v[20:21]
	ds_bpermute_b32 v20, v22, v18
	ds_bpermute_b32 v21, v22, v19
	s_wait_dscnt 0x0
	v_add_f64_e32 v[18:19], v[18:19], v[20:21]
	ds_bpermute_b32 v20, v23, v18
	ds_bpermute_b32 v21, v23, v19
	s_wait_dscnt 0x0
	;; [unrolled: 4-line block ×3, first 2 shown]
	v_add_f64_e32 v[18:19], v[18:19], v[20:21]
	ds_bpermute_b32 v20, v34, v18
	ds_bpermute_b32 v21, v34, v19
	s_and_saveexec_b32 s6, s4
	s_cbranch_execz .LBB73_46
; %bb.45:                               ;   in Loop: Header=BB73_40 Depth=2
	s_wait_dscnt 0x0
	v_add_f64_e32 v[18:19], v[18:19], v[20:21]
	ds_store_b64 v44, v[18:19]
.LBB73_46:                              ;   in Loop: Header=BB73_40 Depth=2
	s_wait_alu 0xfffe
	s_or_b32 exec_lo, exec_lo, s6
	v_mov_b32_e32 v18, 0
	v_mov_b32_e32 v19, 0
	s_wait_loadcnt_dscnt 0x0
	s_barrier_signal -1
	s_barrier_wait -1
	global_inv scope:SCOPE_SE
	s_and_saveexec_b32 s6, s5
	s_cbranch_execnz .LBB73_58
; %bb.47:                               ;   in Loop: Header=BB73_40 Depth=2
	s_wait_alu 0xfffe
	s_or_b32 exec_lo, exec_lo, s6
	s_and_saveexec_b32 s6, s3
	s_cbranch_execnz .LBB73_59
.LBB73_48:                              ;   in Loop: Header=BB73_40 Depth=2
	s_wait_alu 0xfffe
	s_or_b32 exec_lo, exec_lo, s6
	s_and_saveexec_b32 s6, s0
	s_cbranch_execz .LBB73_39
	s_branch .LBB73_60
.LBB73_49:                              ;   in Loop: Header=BB73_40 Depth=2
	s_mul_i32 s8, s34, s30
	s_wait_alu 0xfffe
	s_ashr_i32 s9, s8, 31
	s_wait_alu 0xfffe
	s_lshl_b64 s[8:9], s[8:9], 3
	s_wait_alu 0xfffe
	v_add_co_u32 v12, vcc_lo, v47, s8
	s_wait_alu 0xfffd
	v_add_co_ci_u32_e64 v13, null, s9, v48, vcc_lo
	global_load_b128 v[18:21], v[12:13], off
	s_clause 0x1
	global_load_b64 v[8:9], v[2:3], off
	global_load_b64 v[10:11], v[4:5], off
	global_load_b128 v[37:40], v[12:13], off offset:16
	s_clause 0x1
	global_load_b64 v[12:13], v[6:7], off
	global_load_b64 v[14:15], v[16:17], off
	s_wait_loadcnt 0x4
	v_fma_f64 v[18:19], v[8:9], v[18:19], 0
	s_wait_loadcnt 0x3
	s_delay_alu instid0(VALU_DEP_1) | instskip(SKIP_1) | instid1(VALU_DEP_1)
	v_fma_f64 v[18:19], v[10:11], v[20:21], v[18:19]
	s_wait_loadcnt 0x1
	v_fma_f64 v[18:19], v[12:13], v[37:38], v[18:19]
	s_wait_loadcnt 0x0
	s_delay_alu instid0(VALU_DEP_1)
	v_fma_f64 v[18:19], v[14:15], v[39:40], v[18:19]
	s_and_not1_saveexec_b32 s9, s6
	s_cbranch_execz .LBB73_42
.LBB73_50:                              ;   in Loop: Header=BB73_40 Depth=2
	s_and_saveexec_b32 s25, s2
	s_cbranch_execz .LBB73_57
; %bb.51:                               ;   in Loop: Header=BB73_40 Depth=2
	s_and_not1_b32 vcc_lo, exec_lo, s12
	s_wait_alu 0xfffe
	s_cbranch_vccnz .LBB73_54
; %bb.52:                               ;   in Loop: Header=BB73_40 Depth=2
	v_mov_b32_e32 v20, v24
	s_mov_b64 s[60:61], 0
.LBB73_53:                              ;   Parent Loop BB73_3 Depth=1
                                        ;     Parent Loop BB73_40 Depth=2
                                        ; =>    This Inner Loop Header: Depth=3
	s_delay_alu instid0(VALU_DEP_1) | instskip(SKIP_1) | instid1(VALU_DEP_1)
	v_ashrrev_i32_e32 v21, 31, v20
	s_cmp_eq_u32 s60, 3
	v_lshlrev_b64_e32 v[37:38], 3, v[20:21]
	s_delay_alu instid0(VALU_DEP_1) | instskip(SKIP_1) | instid1(VALU_DEP_2)
	v_add_co_u32 v37, vcc_lo, s54, v37
	s_wait_alu 0xfffd
	v_add_co_ci_u32_e64 v38, null, s55, v38, vcc_lo
	s_cselect_b32 vcc_lo, -1, 0
	s_cmp_eq_u32 s60, 2
	s_cselect_b32 s6, -1, 0
	global_load_b64 v[37:38], v[37:38], off
	s_cmp_eq_u32 s60, 1
	v_add_nc_u32_e32 v20, s10, v20
	s_cselect_b32 s7, -1, 0
	s_cmp_eq_u32 s60, 0
	s_add_nc_u64 s[60:61], s[60:61], 1
	s_cselect_b32 s8, -1, 0
	s_cmp_eq_u32 s71, s60
	s_wait_loadcnt 0x0
	s_wait_alu 0xfffe
	v_dual_cndmask_b32 v15, v15, v38 :: v_dual_cndmask_b32 v14, v14, v37
	v_cndmask_b32_e64 v13, v13, v38, s6
	v_cndmask_b32_e64 v12, v12, v37, s6
	;; [unrolled: 1-line block ×6, first 2 shown]
	s_cbranch_scc0 .LBB73_53
.LBB73_54:                              ;   in Loop: Header=BB73_40 Depth=2
	s_and_not1_b32 vcc_lo, exec_lo, s12
	s_wait_alu 0xfffe
	s_cbranch_vccnz .LBB73_57
; %bb.55:                               ;   in Loop: Header=BB73_40 Depth=2
	s_ashr_i32 s59, s58, 31
	s_delay_alu instid0(SALU_CYCLE_1)
	s_lshl_b64 s[6:7], s[58:59], 3
	s_wait_alu 0xfffe
	v_add_co_u32 v20, vcc_lo, v35, s6
	s_wait_alu 0xfffd
	v_add_co_ci_u32_e64 v21, null, s7, v36, vcc_lo
	s_mov_b64 s[6:7], 0
.LBB73_56:                              ;   Parent Loop BB73_3 Depth=1
                                        ;     Parent Loop BB73_40 Depth=2
                                        ; =>    This Inner Loop Header: Depth=3
	global_load_b64 v[37:38], v[20:21], off
	s_wait_alu 0xfffe
	s_cmp_eq_u32 s6, 1
	s_cselect_b32 vcc_lo, -1, 0
	s_cmp_eq_u32 s6, 2
	s_wait_alu 0xfffe
	v_cndmask_b32_e32 v1, v9, v11, vcc_lo
	v_cndmask_b32_e32 v39, v8, v10, vcc_lo
	s_cselect_b32 vcc_lo, -1, 0
	s_cmp_eq_u32 s6, 3
	s_add_nc_u64 s[6:7], s[6:7], 1
	s_wait_alu 0xfffe
	v_cndmask_b32_e32 v1, v1, v13, vcc_lo
	v_cndmask_b32_e32 v39, v39, v12, vcc_lo
	s_cselect_b32 vcc_lo, -1, 0
	s_cmp_lg_u32 s71, s6
	s_wait_alu 0xfffe
	s_delay_alu instid0(VALU_DEP_1)
	v_dual_cndmask_b32 v40, v1, v15 :: v_dual_cndmask_b32 v39, v39, v14
	v_add_co_u32 v20, vcc_lo, v20, 8
	s_wait_alu 0xfffd
	v_add_co_ci_u32_e64 v21, null, 0, v21, vcc_lo
	s_wait_loadcnt 0x0
	v_fma_f64 v[18:19], v[39:40], v[37:38], v[18:19]
	s_cbranch_scc1 .LBB73_56
.LBB73_57:                              ;   in Loop: Header=BB73_40 Depth=2
	s_or_b32 exec_lo, exec_lo, s25
	s_wait_alu 0xfffe
	s_or_b32 exec_lo, exec_lo, s9
	s_and_saveexec_b32 s6, s3
	s_cbranch_execnz .LBB73_43
	s_branch .LBB73_44
.LBB73_58:                              ;   in Loop: Header=BB73_40 Depth=2
	ds_load_b64 v[18:19], v43
	s_wait_alu 0xfffe
	s_or_b32 exec_lo, exec_lo, s6
	s_and_saveexec_b32 s6, s3
	s_cbranch_execz .LBB73_48
.LBB73_59:                              ;   in Loop: Header=BB73_40 Depth=2
	s_wait_dscnt 0x0
	ds_bpermute_b32 v20, v23, v18
	ds_bpermute_b32 v21, v23, v19
	s_wait_dscnt 0x0
	v_add_f64_e32 v[18:19], v[18:19], v[20:21]
	ds_bpermute_b32 v20, v33, v18
	ds_bpermute_b32 v21, v33, v19
	s_wait_dscnt 0x0
	v_add_f64_e32 v[18:19], v[18:19], v[20:21]
	;; [unrolled: 4-line block ×3, first 2 shown]
	s_wait_alu 0xfffe
	s_or_b32 exec_lo, exec_lo, s6
	s_and_saveexec_b32 s6, s0
	s_cbranch_execz .LBB73_39
.LBB73_60:                              ;   in Loop: Header=BB73_40 Depth=2
	s_wait_dscnt 0x0
	s_delay_alu instid0(VALU_DEP_1)
	v_mul_f64_e32 v[18:19], s[14:15], v[18:19]
	s_mul_u64 s[8:9], s[34:35], s[28:29]
	s_wait_alu 0xfffe
	s_lshl_b64 s[8:9], s[8:9], 3
	s_wait_alu 0xfffe
	s_add_nc_u64 s[8:9], s[56:57], s[8:9]
	global_store_b64 v0, v[18:19], s[8:9]
	s_branch .LBB73_39
.LBB73_61:
	s_endpgm
	.section	.rodata,"a",@progbits
	.p2align	6, 0x0
	.amdhsa_kernel _ZL23rocblas_gemvt_sn_kernelILb0ELi256ELi4EidddEviiT4_lPKT3_lilS3_lilPT5_i
		.amdhsa_group_segment_fixed_size 256
		.amdhsa_private_segment_fixed_size 0
		.amdhsa_kernarg_size 360
		.amdhsa_user_sgpr_count 2
		.amdhsa_user_sgpr_dispatch_ptr 0
		.amdhsa_user_sgpr_queue_ptr 0
		.amdhsa_user_sgpr_kernarg_segment_ptr 1
		.amdhsa_user_sgpr_dispatch_id 0
		.amdhsa_user_sgpr_private_segment_size 0
		.amdhsa_wavefront_size32 1
		.amdhsa_uses_dynamic_stack 0
		.amdhsa_enable_private_segment 0
		.amdhsa_system_sgpr_workgroup_id_x 1
		.amdhsa_system_sgpr_workgroup_id_y 0
		.amdhsa_system_sgpr_workgroup_id_z 1
		.amdhsa_system_sgpr_workgroup_info 0
		.amdhsa_system_vgpr_workitem_id 0
		.amdhsa_next_free_vgpr 75
		.amdhsa_next_free_sgpr 80
		.amdhsa_reserve_vcc 1
		.amdhsa_float_round_mode_32 0
		.amdhsa_float_round_mode_16_64 0
		.amdhsa_float_denorm_mode_32 3
		.amdhsa_float_denorm_mode_16_64 3
		.amdhsa_fp16_overflow 0
		.amdhsa_workgroup_processor_mode 1
		.amdhsa_memory_ordered 1
		.amdhsa_forward_progress 1
		.amdhsa_inst_pref_size 34
		.amdhsa_round_robin_scheduling 0
		.amdhsa_exception_fp_ieee_invalid_op 0
		.amdhsa_exception_fp_denorm_src 0
		.amdhsa_exception_fp_ieee_div_zero 0
		.amdhsa_exception_fp_ieee_overflow 0
		.amdhsa_exception_fp_ieee_underflow 0
		.amdhsa_exception_fp_ieee_inexact 0
		.amdhsa_exception_int_div_zero 0
	.end_amdhsa_kernel
	.section	.text._ZL23rocblas_gemvt_sn_kernelILb0ELi256ELi4EidddEviiT4_lPKT3_lilS3_lilPT5_i,"axG",@progbits,_ZL23rocblas_gemvt_sn_kernelILb0ELi256ELi4EidddEviiT4_lPKT3_lilS3_lilPT5_i,comdat
.Lfunc_end73:
	.size	_ZL23rocblas_gemvt_sn_kernelILb0ELi256ELi4EidddEviiT4_lPKT3_lilS3_lilPT5_i, .Lfunc_end73-_ZL23rocblas_gemvt_sn_kernelILb0ELi256ELi4EidddEviiT4_lPKT3_lilS3_lilPT5_i
                                        ; -- End function
	.set _ZL23rocblas_gemvt_sn_kernelILb0ELi256ELi4EidddEviiT4_lPKT3_lilS3_lilPT5_i.num_vgpr, 75
	.set _ZL23rocblas_gemvt_sn_kernelILb0ELi256ELi4EidddEviiT4_lPKT3_lilS3_lilPT5_i.num_agpr, 0
	.set _ZL23rocblas_gemvt_sn_kernelILb0ELi256ELi4EidddEviiT4_lPKT3_lilS3_lilPT5_i.numbered_sgpr, 80
	.set _ZL23rocblas_gemvt_sn_kernelILb0ELi256ELi4EidddEviiT4_lPKT3_lilS3_lilPT5_i.num_named_barrier, 0
	.set _ZL23rocblas_gemvt_sn_kernelILb0ELi256ELi4EidddEviiT4_lPKT3_lilS3_lilPT5_i.private_seg_size, 0
	.set _ZL23rocblas_gemvt_sn_kernelILb0ELi256ELi4EidddEviiT4_lPKT3_lilS3_lilPT5_i.uses_vcc, 1
	.set _ZL23rocblas_gemvt_sn_kernelILb0ELi256ELi4EidddEviiT4_lPKT3_lilS3_lilPT5_i.uses_flat_scratch, 0
	.set _ZL23rocblas_gemvt_sn_kernelILb0ELi256ELi4EidddEviiT4_lPKT3_lilS3_lilPT5_i.has_dyn_sized_stack, 0
	.set _ZL23rocblas_gemvt_sn_kernelILb0ELi256ELi4EidddEviiT4_lPKT3_lilS3_lilPT5_i.has_recursion, 0
	.set _ZL23rocblas_gemvt_sn_kernelILb0ELi256ELi4EidddEviiT4_lPKT3_lilS3_lilPT5_i.has_indirect_call, 0
	.section	.AMDGPU.csdata,"",@progbits
; Kernel info:
; codeLenInByte = 4308
; TotalNumSgprs: 82
; NumVgprs: 75
; ScratchSize: 0
; MemoryBound: 1
; FloatMode: 240
; IeeeMode: 1
; LDSByteSize: 256 bytes/workgroup (compile time only)
; SGPRBlocks: 0
; VGPRBlocks: 9
; NumSGPRsForWavesPerEU: 82
; NumVGPRsForWavesPerEU: 75
; Occupancy: 16
; WaveLimiterHint : 0
; COMPUTE_PGM_RSRC2:SCRATCH_EN: 0
; COMPUTE_PGM_RSRC2:USER_SGPR: 2
; COMPUTE_PGM_RSRC2:TRAP_HANDLER: 0
; COMPUTE_PGM_RSRC2:TGID_X_EN: 1
; COMPUTE_PGM_RSRC2:TGID_Y_EN: 0
; COMPUTE_PGM_RSRC2:TGID_Z_EN: 1
; COMPUTE_PGM_RSRC2:TIDIG_COMP_CNT: 0
	.section	.text._ZL23rocblas_gemvt_sn_kernelILb0ELi256ELi4EldddEviiT4_lPKT3_lilS3_lilPT5_i,"axG",@progbits,_ZL23rocblas_gemvt_sn_kernelILb0ELi256ELi4EldddEviiT4_lPKT3_lilS3_lilPT5_i,comdat
	.globl	_ZL23rocblas_gemvt_sn_kernelILb0ELi256ELi4EldddEviiT4_lPKT3_lilS3_lilPT5_i ; -- Begin function _ZL23rocblas_gemvt_sn_kernelILb0ELi256ELi4EldddEviiT4_lPKT3_lilS3_lilPT5_i
	.p2align	8
	.type	_ZL23rocblas_gemvt_sn_kernelILb0ELi256ELi4EldddEviiT4_lPKT3_lilS3_lilPT5_i,@function
_ZL23rocblas_gemvt_sn_kernelILb0ELi256ELi4EldddEviiT4_lPKT3_lilS3_lilPT5_i: ; @_ZL23rocblas_gemvt_sn_kernelILb0ELi256ELi4EldddEviiT4_lPKT3_lilS3_lilPT5_i
; %bb.0:
	s_load_b32 s33, s[0:1], 0x60
	s_lshr_b32 s10, ttmp7, 16
	s_wait_kmcnt 0x0
	s_cmp_ge_u32 s10, s33
	s_cbranch_scc1 .LBB74_61
; %bb.1:
	s_clause 0x6
	s_load_b32 s26, s[0:1], 0x28
	s_load_b96 s[4:6], s[0:1], 0x40
	s_load_b128 s[36:39], s[0:1], 0x18
	s_load_b128 s[12:15], s[0:1], 0x0
	;; [unrolled: 1-line block ×3, first 2 shown]
	s_load_b32 s28, s[0:1], 0x68
	s_load_b128 s[20:23], s[0:1], 0x50
	v_cmp_eq_u32_e64 s0, 0, v0
	v_mbcnt_lo_u32_b32 v50, -1, 0
	s_mov_b32 s25, 0
	s_mov_b32 s24, ttmp9
	s_mov_b32 s29, s25
	s_delay_alu instid0(VALU_DEP_1)
	v_lshl_or_b32 v51, v50, 2, 64
	s_wait_kmcnt 0x0
	s_ashr_i32 s27, s26, 31
	s_ashr_i32 s9, s6, 31
	s_lshl_b64 s[2:3], s[4:5], 3
	s_lshl_b64 s[4:5], s[38:39], 3
	s_ashr_i32 s35, s13, 31
	s_cmp_gt_i32 s13, 0
	s_add_nc_u64 s[18:19], s[18:19], s[2:3]
	s_cselect_b32 s1, -1, 0
	s_lshl_b32 s7, ttmp9, 10
	s_add_nc_u64 s[2:3], s[36:37], s[4:5]
	v_lshl_or_b32 v1, v0, 2, s7
	s_lshr_b32 s4, s35, 30
	s_ashr_i32 s5, s12, 31
	s_and_b32 s64, s0, s1
	s_add_co_i32 s1, s13, s4
	v_ashrrev_i32_e32 v2, 31, v1
	s_lshr_b32 s4, s5, 30
	s_and_b32 s65, s1, -4
	s_add_co_i32 s1, s12, s4
	v_cmp_eq_f64_e64 s68, s[14:15], 0
	v_lshlrev_b64_e32 v[2:3], 3, v[1:2]
	s_and_b32 s1, s1, -4
	v_add_nc_u32_e32 v4, 4, v1
	s_sub_co_i32 s66, s12, s1
	v_cmp_gt_u32_e64 s5, 8, v0
	v_or_b32_e32 v6, 2, v1
	v_add_co_u32 v46, vcc_lo, s2, v2
	v_add_nc_u32_e32 v2, s66, v1
	v_add_co_ci_u32_e64 v47, null, s3, v3, vcc_lo
	v_and_b32_e32 v3, 31, v0
	v_cmp_gt_u32_e64 s3, 32, v0
	s_delay_alu instid0(VALU_DEP_4)
	v_cmp_ge_i32_e64 s2, s12, v2
	v_lshrrev_b32_e32 v2, 2, v0
	v_or_b32_e32 v0, 1, v1
	v_cmp_eq_u32_e64 s4, 0, v3
	v_lshlrev_b32_e32 v48, 3, v3
	v_cmp_ge_i32_e64 s1, s12, v4
	v_and_b32_e32 v49, 56, v2
	v_mad_co_i64_i32 v[2:3], null, s6, v1, 0
	v_mad_co_i64_i32 v[4:5], null, s6, v0, 0
	v_or_b32_e32 v0, 3, v1
	v_mad_co_i64_i32 v[6:7], null, s6, v6, 0
	s_cmp_gt_i32 s65, 0
	v_lshlrev_b64_e32 v[24:25], 3, v[2:3]
	v_mad_co_i64_i32 v[1:2], null, s6, v0, 0
	s_mov_b32 s34, s13
	s_cselect_b32 s67, -1, 0
	s_cmp_gt_i32 s66, 0
	v_add_co_u32 v26, vcc_lo, s18, v24
	v_lshlrev_b64_e32 v[28:29], 3, v[4:5]
	v_lshlrev_b64_e32 v[30:31], 3, v[6:7]
	;; [unrolled: 1-line block ×3, first 2 shown]
	s_wait_alu 0xfffd
	v_add_co_ci_u32_e64 v27, null, s19, v25, vcc_lo
	v_mov_b32_e32 v0, 0
	s_mov_b32 s8, s6
	s_mul_u64 s[30:31], s[34:35], s[28:29]
	s_cselect_b32 s12, -1, 0
	s_lshl_b64 s[34:35], s[24:25], 3
	s_lshl_b64 s[38:39], s[30:31], 3
	s_add_nc_u64 s[36:37], s[22:23], s[34:35]
	s_lshl_b64 s[40:41], s[28:29], 3
	s_lshl_b64 s[42:43], s[20:21], 3
	;; [unrolled: 1-line block ×4, first 2 shown]
	s_mul_u64 s[48:49], s[26:27], 24
	s_lshl_b64 s[50:51], s[26:27], 5
	s_lshl_b64 s[52:53], s[26:27], 3
	;; [unrolled: 1-line block ×3, first 2 shown]
	s_branch .LBB74_3
.LBB74_2:                               ;   in Loop: Header=BB74_3 Depth=1
	s_add_co_i32 s10, s10, 0x10000
	s_wait_alu 0xfffe
	s_cmp_lt_u32 s10, s33
	s_cbranch_scc0 .LBB74_61
.LBB74_3:                               ; =>This Loop Header: Depth=1
                                        ;     Child Loop BB74_6 Depth 2
                                        ;     Child Loop BB74_12 Depth 2
                                        ;       Child Loop BB74_18 Depth 3
                                        ;       Child Loop BB74_21 Depth 3
	;; [unrolled: 1-line block ×3, first 2 shown]
                                        ;     Child Loop BB74_40 Depth 2
                                        ;       Child Loop BB74_53 Depth 3
                                        ;       Child Loop BB74_56 Depth 3
	s_mov_b32 s11, s25
	s_and_not1_b32 vcc_lo, exec_lo, s68
	s_mov_b32 s6, -1
	s_wait_alu 0xfffe
	s_cbranch_vccnz .LBB74_8
; %bb.4:                                ;   in Loop: Header=BB74_3 Depth=1
	s_and_saveexec_b32 s8, s64
	s_cbranch_execz .LBB74_7
; %bb.5:                                ;   in Loop: Header=BB74_3 Depth=1
	s_mul_u64 s[6:7], s[38:39], s[10:11]
	s_mov_b32 s9, s13
	s_wait_alu 0xfffe
	s_add_nc_u64 s[6:7], s[36:37], s[6:7]
.LBB74_6:                               ;   Parent Loop BB74_3 Depth=1
                                        ; =>  This Inner Loop Header: Depth=2
	v_mov_b32_e32 v1, v0
	s_add_co_i32 s9, s9, -1
	s_wait_alu 0xfffe
	s_cmp_eq_u32 s9, 0
	global_store_b64 v0, v[0:1], s[6:7]
	s_add_nc_u64 s[6:7], s[6:7], s[40:41]
	s_cbranch_scc0 .LBB74_6
.LBB74_7:                               ;   in Loop: Header=BB74_3 Depth=1
	s_wait_alu 0xfffe
	s_or_b32 exec_lo, exec_lo, s8
	s_mov_b32 s6, 0
.LBB74_8:                               ;   in Loop: Header=BB74_3 Depth=1
	s_wait_alu 0xfffe
	s_and_not1_b32 vcc_lo, exec_lo, s6
	s_wait_alu 0xfffe
	s_cbranch_vccnz .LBB74_2
; %bb.9:                                ;   in Loop: Header=BB74_3 Depth=1
	v_mad_co_u64_u32 v[34:35], null, s42, s10, v[26:27]
	s_mul_u64 s[62:63], s[16:17], s[10:11]
	s_mul_u64 s[56:57], s[20:21], s[10:11]
	s_wait_alu 0xfffe
	s_lshl_b64 s[62:63], s[62:63], 3
	s_mul_u64 s[60:61], s[30:31], s[10:11]
	s_wait_alu 0xfffe
	v_add_co_u32 v52, vcc_lo, v46, s62
	v_mov_b32_e32 v1, v35
	s_lshl_b64 s[56:57], s[56:57], 3
	s_lshl_b64 s[70:71], s[60:61], 3
	v_cmp_gt_u32_e64 s7, 24, v50
	v_cmp_gt_u32_e64 s8, 28, v50
	v_mad_co_u64_u32 v[1:2], null, s43, s10, v[1:2]
	v_cmp_gt_u32_e64 s6, 30, v50
	s_wait_alu 0xfffd
	v_add_co_ci_u32_e64 v53, null, s63, v47, vcc_lo
	v_cmp_ne_u32_e64 s9, 31, v50
	s_add_nc_u64 s[60:61], s[18:19], s[56:57]
	s_add_nc_u64 s[56:57], s[22:23], s[70:71]
	v_mov_b32_e32 v35, v1
	s_mul_u64 s[58:59], s[46:47], s[10:11]
	s_and_not1_b32 vcc_lo, exec_lo, s67
	s_add_nc_u64 s[56:57], s[56:57], s[34:35]
	s_wait_alu 0xfffe
	s_cbranch_vccnz .LBB74_36
; %bb.10:                               ;   in Loop: Header=BB74_3 Depth=1
	v_cndmask_b32_e64 v1, 0, 8, s7
	v_cndmask_b32_e64 v2, 0, 4, s8
	;; [unrolled: 1-line block ×3, first 2 shown]
	v_add_co_ci_u32_e64 v4, null, 0, v50, s9
	v_add_co_u32 v36, vcc_lo, v46, s58
	s_wait_alu 0xfffd
	v_add_co_ci_u32_e64 v37, null, s59, v47, vcc_lo
	v_add_co_u32 v38, vcc_lo, s60, v24
	s_wait_alu 0xfffd
	v_add_co_ci_u32_e64 v39, null, s61, v25, vcc_lo
	v_add_co_u32 v40, vcc_lo, s60, v28
	v_mov_b32_e32 v7, v0
	v_add_lshl_u32 v54, v1, v50, 2
	v_add_lshl_u32 v55, v2, v50, 2
	;; [unrolled: 1-line block ×3, first 2 shown]
	v_dual_mov_b32 v2, v0 :: v_dual_lshlrev_b32 v57, 2, v4
	v_dual_mov_b32 v1, v0 :: v_dual_mov_b32 v4, v0
	v_dual_mov_b32 v3, v0 :: v_dual_mov_b32 v6, v0
	v_mov_b32_e32 v5, v0
	s_wait_alu 0xfffd
	v_add_co_ci_u32_e64 v41, null, s61, v29, vcc_lo
	v_add_co_u32 v42, vcc_lo, s60, v30
	s_wait_alu 0xfffd
	v_add_co_ci_u32_e64 v43, null, s61, v31, vcc_lo
	v_add_co_u32 v44, vcc_lo, s60, v32
	v_dual_mov_b32 v15, v7 :: v_dual_mov_b32 v14, v6
	s_wait_alu 0xfffd
	v_add_co_ci_u32_e64 v45, null, s61, v33, vcc_lo
	v_dual_mov_b32 v13, v5 :: v_dual_mov_b32 v12, v4
	v_dual_mov_b32 v11, v3 :: v_dual_mov_b32 v10, v2
	;; [unrolled: 1-line block ×3, first 2 shown]
	s_mov_b32 s24, 0
	s_branch .LBB74_12
.LBB74_11:                              ;   in Loop: Header=BB74_12 Depth=2
	s_wait_alu 0xfffe
	s_or_b32 exec_lo, exec_lo, s6
	v_add_co_u32 v36, vcc_lo, v36, s50
	s_wait_alu 0xfffd
	v_add_co_ci_u32_e64 v37, null, s51, v37, vcc_lo
	s_add_co_i32 s24, s24, 4
	s_wait_alu 0xfffe
	s_cmp_ge_i32 s24, s65
	s_cbranch_scc1 .LBB74_37
.LBB74_12:                              ;   Parent Loop BB74_3 Depth=1
                                        ; =>  This Loop Header: Depth=2
                                        ;       Child Loop BB74_18 Depth 3
                                        ;       Child Loop BB74_21 Depth 3
	;; [unrolled: 1-line block ×3, first 2 shown]
                                        ; implicit-def: $vgpr16_vgpr17_vgpr18_vgpr19_vgpr20_vgpr21_vgpr22_vgpr23
	s_and_saveexec_b32 s6, s1
	s_wait_alu 0xfffe
	s_xor_b32 s6, exec_lo, s6
	s_cbranch_execz .LBB74_14
; %bb.13:                               ;   in Loop: Header=BB74_12 Depth=2
	s_mul_u64 s[8:9], s[24:25], s[26:27]
	s_or_b32 s62, s24, 1
	s_mov_b32 s63, s25
	s_wait_alu 0xfffe
	s_lshl_b64 s[8:9], s[8:9], 3
	s_mul_u64 s[62:63], s[62:63], s[26:27]
	s_wait_alu 0xfffe
	v_add_co_u32 v5, vcc_lo, v52, s8
	s_wait_alu 0xfffd
	v_add_co_ci_u32_e64 v6, null, s9, v53, vcc_lo
	s_lshl_b64 s[8:9], s[62:63], 3
	s_or_b32 s62, s24, 2
	s_mov_b32 s63, s25
	s_wait_alu 0xfffe
	v_add_co_u32 v14, vcc_lo, v52, s8
	s_wait_alu 0xfffd
	v_add_co_ci_u32_e64 v15, null, s9, v53, vcc_lo
	s_mul_u64 s[8:9], s[62:63], s[26:27]
	s_or_b32 s62, s24, 3
	s_wait_alu 0xfffe
	s_lshl_b64 s[8:9], s[8:9], 3
	s_mul_u64 s[62:63], s[62:63], s[26:27]
	s_wait_alu 0xfffe
	v_add_co_u32 v70, vcc_lo, v52, s8
	s_wait_alu 0xfffd
	v_add_co_ci_u32_e64 v71, null, s9, v53, vcc_lo
	s_lshl_b64 s[8:9], s[62:63], 3
	s_wait_alu 0xfffe
	v_add_co_u32 v74, vcc_lo, v52, s8
	s_wait_alu 0xfffd
	v_add_co_ci_u32_e64 v75, null, s9, v53, vcc_lo
	global_load_b64 v[8:9], v[38:39], off
	s_clause 0x1
	global_load_b128 v[1:4], v[5:6], off
	global_load_b128 v[16:19], v[14:15], off
	s_wait_dscnt 0x0
	s_clause 0x1
	global_load_b128 v[20:23], v[70:71], off
	global_load_b128 v[58:61], v[74:75], off
	global_load_b64 v[10:11], v[40:41], off
	global_load_b128 v[62:65], v[5:6], off offset:16
	global_load_b64 v[12:13], v[42:43], off
	s_clause 0x2
	global_load_b128 v[66:69], v[14:15], off offset:16
	global_load_b128 v[70:73], v[70:71], off offset:16
	;; [unrolled: 1-line block ×3, first 2 shown]
	global_load_b64 v[14:15], v[44:45], off
	s_wait_loadcnt 0xa
	v_fma_f64 v[1:2], v[8:9], v[1:2], 0
	s_wait_loadcnt 0x9
	v_fma_f64 v[5:6], v[8:9], v[16:17], 0
	;; [unrolled: 2-line block ×4, first 2 shown]
	s_wait_loadcnt 0x6
	s_delay_alu instid0(VALU_DEP_4) | instskip(NEXT) | instid1(VALU_DEP_4)
	v_fma_f64 v[1:2], v[10:11], v[3:4], v[1:2]
	v_fma_f64 v[3:4], v[10:11], v[18:19], v[5:6]
	s_delay_alu instid0(VALU_DEP_4) | instskip(NEXT) | instid1(VALU_DEP_4)
	v_fma_f64 v[5:6], v[10:11], v[22:23], v[16:17]
	v_fma_f64 v[16:17], v[10:11], v[60:61], v[20:21]
	s_wait_loadcnt 0x4
	s_delay_alu instid0(VALU_DEP_4) | instskip(SKIP_1) | instid1(VALU_DEP_4)
	v_fma_f64 v[1:2], v[12:13], v[62:63], v[1:2]
	s_wait_loadcnt 0x3
	v_fma_f64 v[3:4], v[12:13], v[66:67], v[3:4]
	s_wait_loadcnt 0x2
	s_delay_alu instid0(VALU_DEP_4) | instskip(SKIP_1) | instid1(VALU_DEP_4)
	v_fma_f64 v[5:6], v[12:13], v[70:71], v[5:6]
	s_wait_loadcnt 0x1
	v_fma_f64 v[22:23], v[12:13], v[74:75], v[16:17]
	s_wait_loadcnt 0x0
	s_delay_alu instid0(VALU_DEP_4) | instskip(NEXT) | instid1(VALU_DEP_4)
	v_fma_f64 v[16:17], v[14:15], v[64:65], v[1:2]
	v_fma_f64 v[18:19], v[14:15], v[68:69], v[3:4]
	s_delay_alu instid0(VALU_DEP_4) | instskip(NEXT) | instid1(VALU_DEP_4)
	v_fma_f64 v[20:21], v[14:15], v[72:73], v[5:6]
	v_fma_f64 v[22:23], v[14:15], v[76:77], v[22:23]
.LBB74_14:                              ;   in Loop: Header=BB74_12 Depth=2
	s_wait_alu 0xfffe
	s_and_not1_saveexec_b32 s11, s6
	s_cbranch_execz .LBB74_24
; %bb.15:                               ;   in Loop: Header=BB74_12 Depth=2
	v_mov_b32_e32 v7, v0
	v_dual_mov_b32 v1, v0 :: v_dual_mov_b32 v2, v0
	v_dual_mov_b32 v3, v0 :: v_dual_mov_b32 v4, v0
	v_dual_mov_b32 v5, v0 :: v_dual_mov_b32 v6, v0
	s_wait_dscnt 0x0
	v_mov_b32_e32 v23, v7
	s_delay_alu instid0(VALU_DEP_3) | instskip(NEXT) | instid1(VALU_DEP_3)
	v_dual_mov_b32 v19, v3 :: v_dual_mov_b32 v18, v2
	v_dual_mov_b32 v21, v5 :: v_dual_mov_b32 v20, v4
	;; [unrolled: 1-line block ×3, first 2 shown]
	v_mov_b32_e32 v16, v0
	s_and_saveexec_b32 s69, s2
	s_cbranch_execz .LBB74_23
; %bb.16:                               ;   in Loop: Header=BB74_12 Depth=2
	s_and_not1_b32 vcc_lo, exec_lo, s12
	s_wait_alu 0xfffe
	s_cbranch_vccnz .LBB74_19
; %bb.17:                               ;   in Loop: Header=BB74_12 Depth=2
	v_dual_mov_b32 v1, v34 :: v_dual_mov_b32 v2, v35
	s_mov_b64 s[62:63], 0
.LBB74_18:                              ;   Parent Loop BB74_3 Depth=1
                                        ;     Parent Loop BB74_12 Depth=2
                                        ; =>    This Inner Loop Header: Depth=3
	global_load_b64 v[3:4], v[1:2], off
	s_wait_alu 0xfffe
	s_cmp_eq_u32 s62, 3
	v_add_co_u32 v1, vcc_lo, v1, s44
	s_wait_alu 0xfffd
	v_add_co_ci_u32_e64 v2, null, s45, v2, vcc_lo
	s_cselect_b32 vcc_lo, -1, 0
	s_cmp_eq_u32 s62, 2
	s_cselect_b32 s6, -1, 0
	s_cmp_eq_u32 s62, 1
	s_cselect_b32 s7, -1, 0
	s_cmp_eq_u32 s62, 0
	s_add_nc_u64 s[62:63], s[62:63], 1
	s_cselect_b32 s8, -1, 0
	s_wait_alu 0xfffe
	s_cmp_eq_u32 s66, s62
	s_wait_loadcnt 0x0
	v_dual_cndmask_b32 v15, v15, v4 :: v_dual_cndmask_b32 v14, v14, v3
	v_cndmask_b32_e64 v13, v13, v4, s6
	v_cndmask_b32_e64 v12, v12, v3, s6
	;; [unrolled: 1-line block ×6, first 2 shown]
	s_cbranch_scc0 .LBB74_18
.LBB74_19:                              ;   in Loop: Header=BB74_12 Depth=2
	s_and_not1_b32 vcc_lo, exec_lo, s12
	s_wait_alu 0xfffe
	s_cbranch_vccnz .LBB74_22
; %bb.20:                               ;   in Loop: Header=BB74_12 Depth=2
	v_mov_b32_e32 v16, 0
	v_dual_mov_b32 v20, 0 :: v_dual_mov_b32 v17, 0
	v_dual_mov_b32 v18, 0 :: v_dual_mov_b32 v21, 0
	;; [unrolled: 1-line block ×3, first 2 shown]
	v_mov_b32_e32 v23, 0
	v_dual_mov_b32 v1, v36 :: v_dual_mov_b32 v2, v37
	s_mov_b64 s[8:9], 0
.LBB74_21:                              ;   Parent Loop BB74_3 Depth=1
                                        ;     Parent Loop BB74_12 Depth=2
                                        ; =>    This Inner Loop Header: Depth=3
	s_delay_alu instid0(VALU_DEP_1) | instskip(SKIP_1) | instid1(VALU_DEP_2)
	v_add_co_u32 v3, vcc_lo, v1, s52
	s_wait_alu 0xfffd
	v_add_co_ci_u32_e64 v4, null, s53, v2, vcc_lo
	v_add_co_u32 v5, vcc_lo, v1, s54
	s_wait_alu 0xfffd
	v_add_co_ci_u32_e64 v6, null, s55, v2, vcc_lo
	;; [unrolled: 3-line block ×3, first 2 shown]
	s_clause 0x3
	global_load_b64 v[60:61], v[1:2], off
	global_load_b64 v[3:4], v[3:4], off
	;; [unrolled: 1-line block ×4, first 2 shown]
	s_wait_alu 0xfffe
	s_cmp_eq_u32 s8, 1
	s_cselect_b32 vcc_lo, -1, 0
	s_cmp_eq_u32 s8, 2
	s_wait_alu 0xfffe
	v_dual_cndmask_b32 v7, v9, v11 :: v_dual_cndmask_b32 v62, v8, v10
	s_cselect_b32 vcc_lo, -1, 0
	s_cmp_eq_u32 s8, 3
	s_add_nc_u64 s[8:9], s[8:9], 1
	s_wait_alu 0xfffe
	v_dual_cndmask_b32 v7, v7, v13 :: v_dual_cndmask_b32 v62, v62, v12
	s_cselect_b32 s6, -1, 0
	v_add_co_u32 v1, vcc_lo, v1, 8
	s_wait_alu 0xfffe
	s_delay_alu instid0(VALU_DEP_2)
	v_cndmask_b32_e64 v63, v7, v15, s6
	v_cndmask_b32_e64 v62, v62, v14, s6
	s_wait_alu 0xfffd
	v_add_co_ci_u32_e64 v2, null, 0, v2, vcc_lo
	s_cmp_lg_u32 s66, s8
	s_wait_loadcnt 0x3
	v_fma_f64 v[16:17], v[62:63], v[60:61], v[16:17]
	s_wait_loadcnt 0x2
	v_fma_f64 v[18:19], v[62:63], v[3:4], v[18:19]
	;; [unrolled: 2-line block ×4, first 2 shown]
	s_cbranch_scc1 .LBB74_21
	s_branch .LBB74_23
.LBB74_22:                              ;   in Loop: Header=BB74_12 Depth=2
	v_mov_b32_e32 v7, v0
	v_dual_mov_b32 v1, v0 :: v_dual_mov_b32 v2, v0
	v_dual_mov_b32 v3, v0 :: v_dual_mov_b32 v4, v0
	;; [unrolled: 1-line block ×3, first 2 shown]
	s_delay_alu instid0(VALU_DEP_4) | instskip(NEXT) | instid1(VALU_DEP_3)
	v_mov_b32_e32 v23, v7
	v_dual_mov_b32 v19, v3 :: v_dual_mov_b32 v18, v2
	s_delay_alu instid0(VALU_DEP_3) | instskip(NEXT) | instid1(VALU_DEP_4)
	v_dual_mov_b32 v21, v5 :: v_dual_mov_b32 v20, v4
	v_dual_mov_b32 v22, v6 :: v_dual_mov_b32 v17, v1
	v_mov_b32_e32 v16, v0
.LBB74_23:                              ;   in Loop: Header=BB74_12 Depth=2
	s_or_b32 exec_lo, exec_lo, s69
.LBB74_24:                              ;   in Loop: Header=BB74_12 Depth=2
	s_wait_alu 0xfffe
	s_or_b32 exec_lo, exec_lo, s11
	s_mov_b64 s[6:7], 0
	s_branch .LBB74_26
.LBB74_25:                              ;   in Loop: Header=BB74_26 Depth=3
	s_wait_alu 0xfffe
	s_or_b32 exec_lo, exec_lo, s8
	s_cmp_eq_u32 s6, 3
	s_cselect_b32 vcc_lo, -1, 0
	s_cmp_eq_u32 s6, 2
	s_wait_dscnt 0x0
	s_wait_alu 0xfffe
	s_delay_alu instid0(VALU_DEP_1)
	v_dual_cndmask_b32 v23, v23, v2 :: v_dual_cndmask_b32 v22, v22, v1
	s_cselect_b32 vcc_lo, -1, 0
	s_cmp_eq_u32 s6, 1
	s_wait_alu 0xfffe
	v_dual_cndmask_b32 v21, v21, v2 :: v_dual_cndmask_b32 v20, v20, v1
	s_cselect_b32 vcc_lo, -1, 0
	s_cmp_eq_u32 s6, 0
	s_wait_alu 0xfffe
	v_dual_cndmask_b32 v19, v19, v2 :: v_dual_cndmask_b32 v18, v18, v1
	s_cselect_b32 vcc_lo, -1, 0
	s_add_nc_u64 s[6:7], s[6:7], 1
	s_wait_alu 0xfffe
	v_dual_cndmask_b32 v17, v17, v2 :: v_dual_cndmask_b32 v16, v16, v1
	s_cmp_eq_u32 s6, 4
	s_cbranch_scc1 .LBB74_34
.LBB74_26:                              ;   Parent Loop BB74_3 Depth=1
                                        ;     Parent Loop BB74_12 Depth=2
                                        ; =>    This Inner Loop Header: Depth=3
	s_and_saveexec_b32 s8, s3
; %bb.27:                               ;   in Loop: Header=BB74_26 Depth=3
	v_mov_b32_e32 v1, v0
	ds_store_b64 v48, v[0:1]
; %bb.28:                               ;   in Loop: Header=BB74_26 Depth=3
	s_wait_alu 0xfffe
	s_or_b32 exec_lo, exec_lo, s8
	s_cmp_eq_u32 s6, 1
	s_wait_storecnt_dscnt 0x0
	s_cselect_b32 vcc_lo, -1, 0
	s_cmp_eq_u32 s6, 2
	s_wait_alu 0xfffe
	v_dual_cndmask_b32 v1, v17, v19 :: v_dual_cndmask_b32 v2, v16, v18
	s_cselect_b32 vcc_lo, -1, 0
	s_cmp_eq_u32 s6, 3
	s_barrier_signal -1
	s_wait_alu 0xfffe
	v_cndmask_b32_e32 v1, v1, v21, vcc_lo
	v_cndmask_b32_e32 v3, v2, v20, vcc_lo
	s_cselect_b32 vcc_lo, -1, 0
	s_barrier_wait -1
	global_inv scope:SCOPE_SE
	s_wait_alu 0xfffe
	v_dual_cndmask_b32 v2, v1, v23 :: v_dual_cndmask_b32 v1, v3, v22
	ds_bpermute_b32 v4, v51, v2
	ds_bpermute_b32 v3, v51, v1
	s_wait_dscnt 0x0
	v_add_f64_e32 v[1:2], v[1:2], v[3:4]
	ds_bpermute_b32 v3, v54, v1
	ds_bpermute_b32 v4, v54, v2
	s_wait_dscnt 0x0
	v_add_f64_e32 v[1:2], v[1:2], v[3:4]
	;; [unrolled: 4-line block ×4, first 2 shown]
	ds_bpermute_b32 v3, v57, v1
	ds_bpermute_b32 v4, v57, v2
	s_and_saveexec_b32 s8, s4
	s_cbranch_execz .LBB74_30
; %bb.29:                               ;   in Loop: Header=BB74_26 Depth=3
	s_wait_dscnt 0x0
	v_add_f64_e32 v[1:2], v[1:2], v[3:4]
	ds_store_b64 v49, v[1:2]
.LBB74_30:                              ;   in Loop: Header=BB74_26 Depth=3
	s_wait_alu 0xfffe
	s_or_b32 exec_lo, exec_lo, s8
	v_mov_b32_e32 v1, 0
	v_mov_b32_e32 v2, 0
	s_wait_loadcnt_dscnt 0x0
	s_barrier_signal -1
	s_barrier_wait -1
	global_inv scope:SCOPE_SE
	s_and_saveexec_b32 s8, s5
; %bb.31:                               ;   in Loop: Header=BB74_26 Depth=3
	ds_load_b64 v[1:2], v48
; %bb.32:                               ;   in Loop: Header=BB74_26 Depth=3
	s_wait_alu 0xfffe
	s_or_b32 exec_lo, exec_lo, s8
	s_and_saveexec_b32 s8, s3
	s_cbranch_execz .LBB74_25
; %bb.33:                               ;   in Loop: Header=BB74_26 Depth=3
	s_wait_dscnt 0x0
	ds_bpermute_b32 v3, v55, v1
	ds_bpermute_b32 v4, v55, v2
	s_wait_dscnt 0x0
	v_add_f64_e32 v[1:2], v[1:2], v[3:4]
	ds_bpermute_b32 v3, v56, v1
	ds_bpermute_b32 v4, v56, v2
	s_wait_dscnt 0x0
	v_add_f64_e32 v[1:2], v[1:2], v[3:4]
	;; [unrolled: 4-line block ×3, first 2 shown]
	s_branch .LBB74_25
.LBB74_34:                              ;   in Loop: Header=BB74_12 Depth=2
	s_and_saveexec_b32 s6, s0
	s_cbranch_execz .LBB74_11
; %bb.35:                               ;   in Loop: Header=BB74_12 Depth=2
	v_mul_f64_e32 v[1:2], s[14:15], v[16:17]
	v_mul_f64_e32 v[3:4], s[14:15], v[18:19]
	v_mul_f64_e32 v[5:6], s[14:15], v[20:21]
	v_mul_f64_e32 v[16:17], s[14:15], v[22:23]
	s_or_b32 s62, s24, 1
	s_mov_b32 s63, s25
	s_mul_u64 s[8:9], s[24:25], s[28:29]
	s_or_b32 s70, s24, 2
	s_mov_b32 s71, s25
	s_or_b32 s72, s24, 3
	s_mov_b32 s73, s25
	s_wait_alu 0xfffe
	s_mul_u64 s[62:63], s[62:63], s[28:29]
	s_mul_u64 s[70:71], s[70:71], s[28:29]
	;; [unrolled: 1-line block ×3, first 2 shown]
	s_lshl_b64 s[8:9], s[8:9], 3
	s_wait_alu 0xfffe
	s_lshl_b64 s[62:63], s[62:63], 3
	s_add_nc_u64 s[8:9], s[56:57], s[8:9]
	s_lshl_b64 s[70:71], s[70:71], 3
	s_lshl_b64 s[72:73], s[72:73], 3
	s_wait_alu 0xfffe
	s_add_nc_u64 s[62:63], s[56:57], s[62:63]
	s_add_nc_u64 s[70:71], s[56:57], s[70:71]
	;; [unrolled: 1-line block ×3, first 2 shown]
	s_clause 0x3
	global_store_b64 v0, v[1:2], s[8:9]
	global_store_b64 v0, v[3:4], s[62:63]
	;; [unrolled: 1-line block ×4, first 2 shown]
	s_branch .LBB74_11
.LBB74_36:                              ;   in Loop: Header=BB74_3 Depth=1
	v_mov_b32_e32 v7, v0
	v_dual_mov_b32 v1, v0 :: v_dual_mov_b32 v2, v0
	v_dual_mov_b32 v3, v0 :: v_dual_mov_b32 v4, v0
	;; [unrolled: 1-line block ×3, first 2 shown]
	s_delay_alu instid0(VALU_DEP_4) | instskip(NEXT) | instid1(VALU_DEP_3)
	v_mov_b32_e32 v15, v7
	v_dual_mov_b32 v11, v3 :: v_dual_mov_b32 v10, v2
	s_delay_alu instid0(VALU_DEP_3) | instskip(NEXT) | instid1(VALU_DEP_4)
	v_dual_mov_b32 v13, v5 :: v_dual_mov_b32 v12, v4
	v_dual_mov_b32 v14, v6 :: v_dual_mov_b32 v9, v1
	v_mov_b32_e32 v8, v0
	s_mov_b32 s24, 0
.LBB74_37:                              ;   in Loop: Header=BB74_3 Depth=1
	s_wait_alu 0xfffe
	s_cmp_ge_i32 s24, s13
	s_cbranch_scc1 .LBB74_2
; %bb.38:                               ;   in Loop: Header=BB74_3 Depth=1
	v_cmp_gt_u32_e32 vcc_lo, 24, v50
	s_mul_u64 s[6:7], s[52:53], s[24:25]
	s_wait_alu 0xfffe
	s_add_nc_u64 s[6:7], s[6:7], s[58:59]
	s_wait_alu 0xfffd
	v_cndmask_b32_e64 v1, 0, 8, vcc_lo
	v_cmp_gt_u32_e32 vcc_lo, 28, v50
	s_delay_alu instid0(VALU_DEP_2) | instskip(SKIP_3) | instid1(VALU_DEP_2)
	v_add_lshl_u32 v36, v1, v50, 2
	s_wait_alu 0xfffd
	v_cndmask_b32_e64 v2, 0, 4, vcc_lo
	v_cmp_gt_u32_e32 vcc_lo, 30, v50
	v_add_lshl_u32 v37, v2, v50, 2
	s_wait_alu 0xfffd
	v_cndmask_b32_e64 v3, 0, 2, vcc_lo
	v_cmp_ne_u32_e32 vcc_lo, 31, v50
	s_delay_alu instid0(VALU_DEP_2)
	v_add_lshl_u32 v38, v3, v50, 2
	s_wait_alu 0xfffd
	v_add_co_ci_u32_e64 v4, null, 0, v50, vcc_lo
	v_add_co_u32 v2, vcc_lo, s60, v24
	s_wait_alu 0xfffd
	v_add_co_ci_u32_e64 v3, null, s61, v25, vcc_lo
	s_delay_alu instid0(VALU_DEP_3)
	v_lshlrev_b32_e32 v39, 2, v4
	v_add_co_u32 v4, vcc_lo, s60, v28
	s_wait_alu 0xfffd
	v_add_co_ci_u32_e64 v5, null, s61, v29, vcc_lo
	v_add_co_u32 v6, vcc_lo, s60, v30
	s_wait_alu 0xfffd
	v_add_co_ci_u32_e64 v7, null, s61, v31, vcc_lo
	;; [unrolled: 3-line block ×3, first 2 shown]
	s_wait_alu 0xfffe
	v_add_co_u32 v18, vcc_lo, v46, s6
	s_wait_alu 0xfffd
	v_add_co_ci_u32_e64 v19, null, s7, v47, vcc_lo
	s_branch .LBB74_40
.LBB74_39:                              ;   in Loop: Header=BB74_40 Depth=2
	s_wait_alu 0xfffe
	s_or_b32 exec_lo, exec_lo, s6
	v_add_co_u32 v18, vcc_lo, v18, s52
	s_wait_alu 0xfffd
	v_add_co_ci_u32_e64 v19, null, s53, v19, vcc_lo
	s_add_co_i32 s24, s24, 1
	s_wait_alu 0xfffe
	s_cmp_ge_i32 s24, s13
	s_cbranch_scc1 .LBB74_2
.LBB74_40:                              ;   Parent Loop BB74_3 Depth=1
                                        ; =>  This Loop Header: Depth=2
                                        ;       Child Loop BB74_53 Depth 3
                                        ;       Child Loop BB74_56 Depth 3
	s_wait_dscnt 0x0
	v_dual_mov_b32 v20, s25 :: v_dual_mov_b32 v21, s25
	s_and_saveexec_b32 s6, s1
	s_wait_alu 0xfffe
	s_xor_b32 s6, exec_lo, s6
	s_cbranch_execnz .LBB74_49
; %bb.41:                               ;   in Loop: Header=BB74_40 Depth=2
	s_wait_alu 0xfffe
	s_and_not1_saveexec_b32 s9, s6
	s_cbranch_execnz .LBB74_50
.LBB74_42:                              ;   in Loop: Header=BB74_40 Depth=2
	s_wait_alu 0xfffe
	s_or_b32 exec_lo, exec_lo, s9
	s_and_saveexec_b32 s6, s3
.LBB74_43:                              ;   in Loop: Header=BB74_40 Depth=2
	v_mov_b32_e32 v1, v0
	ds_store_b64 v48, v[0:1]
.LBB74_44:                              ;   in Loop: Header=BB74_40 Depth=2
	s_wait_alu 0xfffe
	s_or_b32 exec_lo, exec_lo, s6
	ds_bpermute_b32 v22, v51, v20
	ds_bpermute_b32 v23, v51, v21
	s_wait_storecnt 0x0
	s_wait_loadcnt_dscnt 0x0
	s_barrier_signal -1
	s_barrier_wait -1
	global_inv scope:SCOPE_SE
	v_add_f64_e32 v[20:21], v[20:21], v[22:23]
	ds_bpermute_b32 v22, v36, v20
	ds_bpermute_b32 v23, v36, v21
	s_wait_dscnt 0x0
	v_add_f64_e32 v[20:21], v[20:21], v[22:23]
	ds_bpermute_b32 v22, v37, v20
	ds_bpermute_b32 v23, v37, v21
	s_wait_dscnt 0x0
	;; [unrolled: 4-line block ×3, first 2 shown]
	v_add_f64_e32 v[20:21], v[20:21], v[22:23]
	ds_bpermute_b32 v22, v39, v20
	ds_bpermute_b32 v23, v39, v21
	s_and_saveexec_b32 s6, s4
	s_cbranch_execz .LBB74_46
; %bb.45:                               ;   in Loop: Header=BB74_40 Depth=2
	s_wait_dscnt 0x0
	v_add_f64_e32 v[20:21], v[20:21], v[22:23]
	ds_store_b64 v49, v[20:21]
.LBB74_46:                              ;   in Loop: Header=BB74_40 Depth=2
	s_wait_alu 0xfffe
	s_or_b32 exec_lo, exec_lo, s6
	v_mov_b32_e32 v20, 0
	v_mov_b32_e32 v21, 0
	s_wait_loadcnt_dscnt 0x0
	s_barrier_signal -1
	s_barrier_wait -1
	global_inv scope:SCOPE_SE
	s_and_saveexec_b32 s6, s5
	s_cbranch_execnz .LBB74_58
; %bb.47:                               ;   in Loop: Header=BB74_40 Depth=2
	s_wait_alu 0xfffe
	s_or_b32 exec_lo, exec_lo, s6
	s_and_saveexec_b32 s6, s3
	s_cbranch_execnz .LBB74_59
.LBB74_48:                              ;   in Loop: Header=BB74_40 Depth=2
	s_wait_alu 0xfffe
	s_or_b32 exec_lo, exec_lo, s6
	s_and_saveexec_b32 s6, s0
	s_cbranch_execz .LBB74_39
	s_branch .LBB74_60
.LBB74_49:                              ;   in Loop: Header=BB74_40 Depth=2
	s_mul_u64 s[8:9], s[24:25], s[26:27]
	s_wait_alu 0xfffe
	s_lshl_b64 s[8:9], s[8:9], 3
	s_wait_alu 0xfffe
	v_add_co_u32 v12, vcc_lo, v52, s8
	s_wait_alu 0xfffd
	v_add_co_ci_u32_e64 v13, null, s9, v53, vcc_lo
	global_load_b128 v[20:23], v[12:13], off
	s_clause 0x1
	global_load_b64 v[8:9], v[2:3], off
	global_load_b64 v[10:11], v[4:5], off
	global_load_b128 v[40:43], v[12:13], off offset:16
	s_clause 0x1
	global_load_b64 v[12:13], v[6:7], off
	global_load_b64 v[14:15], v[16:17], off
	s_wait_loadcnt 0x4
	v_fma_f64 v[20:21], v[8:9], v[20:21], 0
	s_wait_loadcnt 0x3
	s_delay_alu instid0(VALU_DEP_1) | instskip(SKIP_1) | instid1(VALU_DEP_1)
	v_fma_f64 v[20:21], v[10:11], v[22:23], v[20:21]
	s_wait_loadcnt 0x1
	v_fma_f64 v[20:21], v[12:13], v[40:41], v[20:21]
	s_wait_loadcnt 0x0
	s_delay_alu instid0(VALU_DEP_1)
	v_fma_f64 v[20:21], v[14:15], v[42:43], v[20:21]
	s_and_not1_saveexec_b32 s9, s6
	s_cbranch_execz .LBB74_42
.LBB74_50:                              ;   in Loop: Header=BB74_40 Depth=2
	s_and_saveexec_b32 s11, s2
	s_cbranch_execz .LBB74_57
; %bb.51:                               ;   in Loop: Header=BB74_40 Depth=2
	s_and_not1_b32 vcc_lo, exec_lo, s12
	s_wait_alu 0xfffe
	s_cbranch_vccnz .LBB74_54
; %bb.52:                               ;   in Loop: Header=BB74_40 Depth=2
	v_dual_mov_b32 v22, v34 :: v_dual_mov_b32 v23, v35
	s_mov_b64 s[58:59], 0
.LBB74_53:                              ;   Parent Loop BB74_3 Depth=1
                                        ;     Parent Loop BB74_40 Depth=2
                                        ; =>    This Inner Loop Header: Depth=3
	global_load_b64 v[40:41], v[22:23], off
	s_wait_alu 0xfffe
	s_cmp_eq_u32 s58, 3
	v_add_co_u32 v22, vcc_lo, v22, s44
	s_wait_alu 0xfffd
	v_add_co_ci_u32_e64 v23, null, s45, v23, vcc_lo
	s_cselect_b32 vcc_lo, -1, 0
	s_cmp_eq_u32 s58, 2
	s_cselect_b32 s6, -1, 0
	s_cmp_eq_u32 s58, 1
	s_cselect_b32 s7, -1, 0
	s_cmp_eq_u32 s58, 0
	s_add_nc_u64 s[58:59], s[58:59], 1
	s_cselect_b32 s8, -1, 0
	s_wait_alu 0xfffe
	s_cmp_eq_u32 s66, s58
	s_wait_loadcnt 0x0
	v_dual_cndmask_b32 v15, v15, v41 :: v_dual_cndmask_b32 v14, v14, v40
	v_cndmask_b32_e64 v13, v13, v41, s6
	v_cndmask_b32_e64 v12, v12, v40, s6
	;; [unrolled: 1-line block ×6, first 2 shown]
	s_cbranch_scc0 .LBB74_53
.LBB74_54:                              ;   in Loop: Header=BB74_40 Depth=2
	s_and_not1_b32 vcc_lo, exec_lo, s12
	s_wait_alu 0xfffe
	s_cbranch_vccnz .LBB74_57
; %bb.55:                               ;   in Loop: Header=BB74_40 Depth=2
	v_dual_mov_b32 v23, v19 :: v_dual_mov_b32 v22, v18
	s_mov_b64 s[6:7], 0
.LBB74_56:                              ;   Parent Loop BB74_3 Depth=1
                                        ;     Parent Loop BB74_40 Depth=2
                                        ; =>    This Inner Loop Header: Depth=3
	global_load_b64 v[40:41], v[22:23], off
	s_wait_alu 0xfffe
	s_cmp_eq_u32 s6, 1
	s_cselect_b32 vcc_lo, -1, 0
	s_cmp_eq_u32 s6, 2
	s_wait_alu 0xfffe
	v_dual_cndmask_b32 v1, v9, v11 :: v_dual_cndmask_b32 v42, v8, v10
	s_cselect_b32 vcc_lo, -1, 0
	s_cmp_eq_u32 s6, 3
	s_add_nc_u64 s[6:7], s[6:7], 1
	s_wait_alu 0xfffe
	v_dual_cndmask_b32 v1, v1, v13 :: v_dual_cndmask_b32 v42, v42, v12
	s_cselect_b32 vcc_lo, -1, 0
	s_cmp_lg_u32 s66, s6
	s_wait_alu 0xfffe
	s_delay_alu instid0(VALU_DEP_1)
	v_dual_cndmask_b32 v43, v1, v15 :: v_dual_cndmask_b32 v42, v42, v14
	v_add_co_u32 v22, vcc_lo, v22, 8
	s_wait_alu 0xfffd
	v_add_co_ci_u32_e64 v23, null, 0, v23, vcc_lo
	s_wait_loadcnt 0x0
	v_fma_f64 v[20:21], v[42:43], v[40:41], v[20:21]
	s_cbranch_scc1 .LBB74_56
.LBB74_57:                              ;   in Loop: Header=BB74_40 Depth=2
	s_wait_alu 0xfffe
	s_or_b32 exec_lo, exec_lo, s11
	s_delay_alu instid0(SALU_CYCLE_1)
	s_or_b32 exec_lo, exec_lo, s9
	s_and_saveexec_b32 s6, s3
	s_cbranch_execnz .LBB74_43
	s_branch .LBB74_44
.LBB74_58:                              ;   in Loop: Header=BB74_40 Depth=2
	ds_load_b64 v[20:21], v48
	s_wait_alu 0xfffe
	s_or_b32 exec_lo, exec_lo, s6
	s_and_saveexec_b32 s6, s3
	s_cbranch_execz .LBB74_48
.LBB74_59:                              ;   in Loop: Header=BB74_40 Depth=2
	s_wait_dscnt 0x0
	ds_bpermute_b32 v22, v37, v20
	ds_bpermute_b32 v23, v37, v21
	s_wait_dscnt 0x0
	v_add_f64_e32 v[20:21], v[20:21], v[22:23]
	ds_bpermute_b32 v22, v38, v20
	ds_bpermute_b32 v23, v38, v21
	s_wait_dscnt 0x0
	v_add_f64_e32 v[20:21], v[20:21], v[22:23]
	;; [unrolled: 4-line block ×3, first 2 shown]
	s_wait_alu 0xfffe
	s_or_b32 exec_lo, exec_lo, s6
	s_and_saveexec_b32 s6, s0
	s_cbranch_execz .LBB74_39
.LBB74_60:                              ;   in Loop: Header=BB74_40 Depth=2
	s_wait_dscnt 0x0
	s_delay_alu instid0(VALU_DEP_1)
	v_mul_f64_e32 v[20:21], s[14:15], v[20:21]
	s_mul_u64 s[8:9], s[24:25], s[28:29]
	s_wait_alu 0xfffe
	s_lshl_b64 s[8:9], s[8:9], 3
	s_wait_alu 0xfffe
	s_add_nc_u64 s[8:9], s[56:57], s[8:9]
	global_store_b64 v0, v[20:21], s[8:9]
	s_branch .LBB74_39
.LBB74_61:
	s_endpgm
	.section	.rodata,"a",@progbits
	.p2align	6, 0x0
	.amdhsa_kernel _ZL23rocblas_gemvt_sn_kernelILb0ELi256ELi4EldddEviiT4_lPKT3_lilS3_lilPT5_i
		.amdhsa_group_segment_fixed_size 256
		.amdhsa_private_segment_fixed_size 0
		.amdhsa_kernarg_size 360
		.amdhsa_user_sgpr_count 2
		.amdhsa_user_sgpr_dispatch_ptr 0
		.amdhsa_user_sgpr_queue_ptr 0
		.amdhsa_user_sgpr_kernarg_segment_ptr 1
		.amdhsa_user_sgpr_dispatch_id 0
		.amdhsa_user_sgpr_private_segment_size 0
		.amdhsa_wavefront_size32 1
		.amdhsa_uses_dynamic_stack 0
		.amdhsa_enable_private_segment 0
		.amdhsa_system_sgpr_workgroup_id_x 1
		.amdhsa_system_sgpr_workgroup_id_y 0
		.amdhsa_system_sgpr_workgroup_id_z 1
		.amdhsa_system_sgpr_workgroup_info 0
		.amdhsa_system_vgpr_workitem_id 0
		.amdhsa_next_free_vgpr 78
		.amdhsa_next_free_sgpr 74
		.amdhsa_reserve_vcc 1
		.amdhsa_float_round_mode_32 0
		.amdhsa_float_round_mode_16_64 0
		.amdhsa_float_denorm_mode_32 3
		.amdhsa_float_denorm_mode_16_64 3
		.amdhsa_fp16_overflow 0
		.amdhsa_workgroup_processor_mode 1
		.amdhsa_memory_ordered 1
		.amdhsa_forward_progress 1
		.amdhsa_inst_pref_size 34
		.amdhsa_round_robin_scheduling 0
		.amdhsa_exception_fp_ieee_invalid_op 0
		.amdhsa_exception_fp_denorm_src 0
		.amdhsa_exception_fp_ieee_div_zero 0
		.amdhsa_exception_fp_ieee_overflow 0
		.amdhsa_exception_fp_ieee_underflow 0
		.amdhsa_exception_fp_ieee_inexact 0
		.amdhsa_exception_int_div_zero 0
	.end_amdhsa_kernel
	.section	.text._ZL23rocblas_gemvt_sn_kernelILb0ELi256ELi4EldddEviiT4_lPKT3_lilS3_lilPT5_i,"axG",@progbits,_ZL23rocblas_gemvt_sn_kernelILb0ELi256ELi4EldddEviiT4_lPKT3_lilS3_lilPT5_i,comdat
.Lfunc_end74:
	.size	_ZL23rocblas_gemvt_sn_kernelILb0ELi256ELi4EldddEviiT4_lPKT3_lilS3_lilPT5_i, .Lfunc_end74-_ZL23rocblas_gemvt_sn_kernelILb0ELi256ELi4EldddEviiT4_lPKT3_lilS3_lilPT5_i
                                        ; -- End function
	.set _ZL23rocblas_gemvt_sn_kernelILb0ELi256ELi4EldddEviiT4_lPKT3_lilS3_lilPT5_i.num_vgpr, 78
	.set _ZL23rocblas_gemvt_sn_kernelILb0ELi256ELi4EldddEviiT4_lPKT3_lilS3_lilPT5_i.num_agpr, 0
	.set _ZL23rocblas_gemvt_sn_kernelILb0ELi256ELi4EldddEviiT4_lPKT3_lilS3_lilPT5_i.numbered_sgpr, 74
	.set _ZL23rocblas_gemvt_sn_kernelILb0ELi256ELi4EldddEviiT4_lPKT3_lilS3_lilPT5_i.num_named_barrier, 0
	.set _ZL23rocblas_gemvt_sn_kernelILb0ELi256ELi4EldddEviiT4_lPKT3_lilS3_lilPT5_i.private_seg_size, 0
	.set _ZL23rocblas_gemvt_sn_kernelILb0ELi256ELi4EldddEviiT4_lPKT3_lilS3_lilPT5_i.uses_vcc, 1
	.set _ZL23rocblas_gemvt_sn_kernelILb0ELi256ELi4EldddEviiT4_lPKT3_lilS3_lilPT5_i.uses_flat_scratch, 0
	.set _ZL23rocblas_gemvt_sn_kernelILb0ELi256ELi4EldddEviiT4_lPKT3_lilS3_lilPT5_i.has_dyn_sized_stack, 0
	.set _ZL23rocblas_gemvt_sn_kernelILb0ELi256ELi4EldddEviiT4_lPKT3_lilS3_lilPT5_i.has_recursion, 0
	.set _ZL23rocblas_gemvt_sn_kernelILb0ELi256ELi4EldddEviiT4_lPKT3_lilS3_lilPT5_i.has_indirect_call, 0
	.section	.AMDGPU.csdata,"",@progbits
; Kernel info:
; codeLenInByte = 4240
; TotalNumSgprs: 76
; NumVgprs: 78
; ScratchSize: 0
; MemoryBound: 1
; FloatMode: 240
; IeeeMode: 1
; LDSByteSize: 256 bytes/workgroup (compile time only)
; SGPRBlocks: 0
; VGPRBlocks: 9
; NumSGPRsForWavesPerEU: 76
; NumVGPRsForWavesPerEU: 78
; Occupancy: 16
; WaveLimiterHint : 0
; COMPUTE_PGM_RSRC2:SCRATCH_EN: 0
; COMPUTE_PGM_RSRC2:USER_SGPR: 2
; COMPUTE_PGM_RSRC2:TRAP_HANDLER: 0
; COMPUTE_PGM_RSRC2:TGID_X_EN: 1
; COMPUTE_PGM_RSRC2:TGID_Y_EN: 0
; COMPUTE_PGM_RSRC2:TGID_Z_EN: 1
; COMPUTE_PGM_RSRC2:TIDIG_COMP_CNT: 0
	.section	.text._ZL23rocblas_gemvt_sn_reduceILi256ELi8EdddEviT2_lPT3_lilPT1_i,"axG",@progbits,_ZL23rocblas_gemvt_sn_reduceILi256ELi8EdddEviT2_lPT3_lilPT1_i,comdat
	.globl	_ZL23rocblas_gemvt_sn_reduceILi256ELi8EdddEviT2_lPT3_lilPT1_i ; -- Begin function _ZL23rocblas_gemvt_sn_reduceILi256ELi8EdddEviT2_lPT3_lilPT1_i
	.p2align	8
	.type	_ZL23rocblas_gemvt_sn_reduceILi256ELi8EdddEviT2_lPT3_lilPT1_i,@function
_ZL23rocblas_gemvt_sn_reduceILi256ELi8EdddEviT2_lPT3_lilPT1_i: ; @_ZL23rocblas_gemvt_sn_reduceILi256ELi8EdddEviT2_lPT3_lilPT1_i
; %bb.0:
	s_load_b32 s26, s[0:1], 0x40
	s_lshr_b32 s12, ttmp7, 16
	s_wait_kmcnt 0x0
	s_cmp_ge_u32 s12, s26
	s_cbranch_scc1 .LBB75_21
; %bb.1:
	s_clause 0x6
	s_load_b32 s14, s[0:1], 0x0
	s_load_b32 s22, s[0:1], 0x28
	s_load_b128 s[4:7], s[0:1], 0x18
	s_load_b32 s19, s[0:1], 0x54
	s_load_b128 s[8:11], s[0:1], 0x30
	s_load_b32 s27, s[0:1], 0x4c
	s_load_b64 s[16:17], s[0:1], 0x8
	v_mbcnt_lo_u32_b32 v3, -1, 0
	v_dual_mov_b32 v1, 0 :: v_dual_and_b32 v2, 31, v0
	v_lshlrev_b32_e32 v11, 3, v0
	v_cmp_gt_u32_e64 s0, 32, v0
	s_delay_alu instid0(VALU_DEP_4) | instskip(NEXT) | instid1(VALU_DEP_4)
	v_cmp_gt_u32_e32 vcc_lo, 24, v3
	v_mov_b32_e32 v6, v1
	v_lshlrev_b32_e32 v12, 3, v2
	s_mov_b32 s13, 0
	v_lshl_or_b32 v13, v3, 2, 64
	v_cndmask_b32_e64 v4, 0, 8, vcc_lo
	v_cmp_gt_u32_e32 vcc_lo, 28, v3
	s_and_b32 s18, ttmp7, 0xffff
	s_wait_kmcnt 0x0
	s_ashr_i32 s15, s14, 31
	v_xad_u32 v5, v0, -1, s14
	s_lshr_b32 s1, s15, 29
	s_wait_alu 0xfffd
	v_cndmask_b32_e64 v7, 0, 4, vcc_lo
	v_cmp_gt_u32_e32 vcc_lo, 30, v3
	s_lshl_b64 s[2:3], s[6:7], 3
	v_cmp_neq_f64_e64 s30, s[16:17], 0
	s_add_co_i32 s1, s14, s1
	s_add_nc_u64 s[20:21], s[4:5], s[2:3]
	v_cmp_eq_u32_e64 s3, 0, v2
	v_lshlrev_b32_e32 v2, 6, v0
	s_and_b32 s28, s1, -8
	s_wait_alu 0xfffd
	v_cndmask_b32_e64 v8, 0, 2, vcc_lo
	v_cmp_ne_u32_e32 vcc_lo, 31, v3
	s_sub_co_i32 s2, s14, s28
	v_add_lshl_u32 v14, v4, v3, 2
	v_cmp_gt_u32_e64 s2, s2, v0
	v_lshrrev_b32_e32 v4, 2, v0
	v_cmp_gt_u32_e64 s4, 8, v0
	v_cmp_eq_u32_e64 s5, 0, v0
	v_add_co_u32 v0, s6, s10, v2
	s_wait_alu 0xfffd
	v_add_co_ci_u32_e64 v9, null, 0, v3, vcc_lo
	v_add_co_ci_u32_e64 v2, null, s11, 0, s6
	v_add_lshl_u32 v15, v7, v3, 2
	v_add_lshl_u32 v16, v8, v3, 2
	v_add_co_u32 v3, vcc_lo, v0, 56
	s_ashr_i32 s23, s22, 31
	s_and_b32 s24, s19, 0xffff
	s_mov_b32 s19, s13
	v_lshlrev_b64_e32 v[5:6], 3, v[5:6]
	v_cmp_gt_i32_e64 s1, s28, v11
	v_lshlrev_b32_e32 v17, 2, v9
	v_and_b32_e32 v18, 56, v4
	s_wait_alu 0xfffd
	v_add_co_ci_u32_e64 v4, null, 0, v2, vcc_lo
	s_mul_u64 s[6:7], s[22:23], s[18:19]
	s_mul_i32 s19, s12, s27
	s_lshl_b32 s29, s24, 3
	s_lshl_b64 s[22:23], s[14:15], 3
	s_add_co_i32 s19, s18, s19
	s_lshl_b32 s31, s27, 16
	s_lshl_b32 s33, s24, 6
	s_wait_alu 0xfffe
	s_lshl_b64 s[24:25], s[6:7], 3
	s_branch .LBB75_4
.LBB75_2:                               ;   in Loop: Header=BB75_4 Depth=1
	s_wait_dscnt 0x0
	global_store_b64 v1, v[7:8], s[6:7]
.LBB75_3:                               ;   in Loop: Header=BB75_4 Depth=1
	s_wait_alu 0xfffe
	s_or_b32 exec_lo, exec_lo, s34
	s_add_co_i32 s12, s12, 0x10000
	s_add_co_i32 s19, s19, s31
	s_cmp_lt_u32 s12, s26
	s_cbranch_scc0 .LBB75_21
.LBB75_4:                               ; =>This Loop Header: Depth=1
                                        ;     Child Loop BB75_14 Depth 2
	s_wait_dscnt 0x0
	v_mov_b32_e32 v7, 0
	v_mov_b32_e32 v8, 0
	s_and_saveexec_b32 s7, s1
	s_cbranch_execnz .LBB75_13
; %bb.5:                                ;   in Loop: Header=BB75_4 Depth=1
	s_wait_alu 0xfffe
	s_or_b32 exec_lo, exec_lo, s7
	s_and_saveexec_b32 s6, s2
	s_cbranch_execnz .LBB75_16
.LBB75_6:                               ;   in Loop: Header=BB75_4 Depth=1
	s_wait_alu 0xfffe
	s_or_b32 exec_lo, exec_lo, s6
	s_and_saveexec_b32 s6, s0
.LBB75_7:                               ;   in Loop: Header=BB75_4 Depth=1
	v_mov_b32_e32 v2, v1
	ds_store_b64 v12, v[1:2]
.LBB75_8:                               ;   in Loop: Header=BB75_4 Depth=1
	s_wait_alu 0xfffe
	s_or_b32 exec_lo, exec_lo, s6
	ds_bpermute_b32 v9, v13, v7
	ds_bpermute_b32 v10, v13, v8
	s_wait_dscnt 0x0
	s_barrier_signal -1
	s_barrier_wait -1
	global_inv scope:SCOPE_SE
	v_add_f64_e32 v[7:8], v[7:8], v[9:10]
	ds_bpermute_b32 v9, v14, v7
	ds_bpermute_b32 v10, v14, v8
	s_wait_dscnt 0x0
	v_add_f64_e32 v[7:8], v[7:8], v[9:10]
	ds_bpermute_b32 v9, v15, v7
	ds_bpermute_b32 v10, v15, v8
	s_wait_dscnt 0x0
	;; [unrolled: 4-line block ×3, first 2 shown]
	v_add_f64_e32 v[7:8], v[7:8], v[9:10]
	ds_bpermute_b32 v9, v17, v7
	ds_bpermute_b32 v10, v17, v8
	s_and_saveexec_b32 s6, s3
	s_cbranch_execz .LBB75_10
; %bb.9:                                ;   in Loop: Header=BB75_4 Depth=1
	s_wait_dscnt 0x0
	v_add_f64_e32 v[7:8], v[7:8], v[9:10]
	ds_store_b64 v18, v[7:8]
.LBB75_10:                              ;   in Loop: Header=BB75_4 Depth=1
	s_wait_alu 0xfffe
	s_or_b32 exec_lo, exec_lo, s6
	v_mov_b32_e32 v7, 0
	v_mov_b32_e32 v8, 0
	s_wait_loadcnt_dscnt 0x0
	s_barrier_signal -1
	s_barrier_wait -1
	global_inv scope:SCOPE_SE
	s_and_saveexec_b32 s6, s4
	s_cbranch_execnz .LBB75_17
; %bb.11:                               ;   in Loop: Header=BB75_4 Depth=1
	s_wait_alu 0xfffe
	s_or_b32 exec_lo, exec_lo, s6
	s_and_saveexec_b32 s6, s0
	s_cbranch_execnz .LBB75_18
.LBB75_12:                              ;   in Loop: Header=BB75_4 Depth=1
	s_wait_alu 0xfffe
	s_or_b32 exec_lo, exec_lo, s6
	s_and_saveexec_b32 s34, s5
	s_cbranch_execz .LBB75_3
	s_branch .LBB75_19
.LBB75_13:                              ;   in Loop: Header=BB75_4 Depth=1
	s_wait_alu 0xfffe
	v_mad_co_u64_u32 v[9:10], null, s22, s19, v[3:4]
	s_mov_b32 s34, 0
	v_mov_b32_e32 v7, 0
	v_mov_b32_e32 v8, 0
	;; [unrolled: 1-line block ×3, first 2 shown]
	s_delay_alu instid0(VALU_DEP_1) | instskip(SKIP_1) | instid1(VALU_DEP_2)
	v_mad_co_u64_u32 v[19:20], null, s23, s19, v[0:1]
	v_mov_b32_e32 v0, v11
	v_mov_b32_e32 v10, v19
.LBB75_14:                              ;   Parent Loop BB75_4 Depth=1
                                        ; =>  This Inner Loop Header: Depth=2
	s_clause 0x3
	global_load_b128 v[19:22], v[9:10], off offset:-56
	global_load_b128 v[23:26], v[9:10], off offset:-40
	;; [unrolled: 1-line block ×4, first 2 shown]
	v_add_nc_u32_e32 v0, s29, v0
	v_add_co_u32 v9, s6, v9, s33
	s_wait_alu 0xf1ff
	v_add_co_ci_u32_e64 v10, null, 0, v10, s6
	s_delay_alu instid0(VALU_DEP_3) | instskip(SKIP_4) | instid1(VALU_DEP_1)
	v_cmp_le_i32_e32 vcc_lo, s28, v0
	s_wait_alu 0xfffe
	s_or_b32 s34, vcc_lo, s34
	s_wait_loadcnt 0x3
	v_add_f64_e32 v[7:8], v[7:8], v[19:20]
	v_add_f64_e32 v[7:8], v[7:8], v[21:22]
	s_wait_loadcnt 0x2
	s_delay_alu instid0(VALU_DEP_1) | instskip(NEXT) | instid1(VALU_DEP_1)
	v_add_f64_e32 v[7:8], v[7:8], v[23:24]
	v_add_f64_e32 v[7:8], v[7:8], v[25:26]
	s_wait_loadcnt 0x1
	s_delay_alu instid0(VALU_DEP_1) | instskip(NEXT) | instid1(VALU_DEP_1)
	;; [unrolled: 4-line block ×3, first 2 shown]
	v_add_f64_e32 v[7:8], v[7:8], v[31:32]
	v_add_f64_e32 v[7:8], v[7:8], v[33:34]
	s_wait_alu 0xfffe
	s_and_not1_b32 exec_lo, exec_lo, s34
	s_cbranch_execnz .LBB75_14
; %bb.15:                               ;   in Loop: Header=BB75_4 Depth=1
	s_or_b32 exec_lo, exec_lo, s34
	s_delay_alu instid0(SALU_CYCLE_1)
	s_or_b32 exec_lo, exec_lo, s7
	s_and_saveexec_b32 s6, s2
	s_cbranch_execz .LBB75_6
.LBB75_16:                              ;   in Loop: Header=BB75_4 Depth=1
	s_mul_i32 s7, s27, s12
	s_mov_b32 s35, s13
	s_wait_alu 0xfffe
	s_add_co_i32 s34, s7, s18
	s_wait_alu 0xfffe
	s_mul_u64 s[34:35], s[34:35], s[14:15]
	s_wait_alu 0xfffe
	s_lshl_b64 s[34:35], s[34:35], 3
	s_wait_alu 0xfffe
	s_add_nc_u64 s[34:35], s[10:11], s[34:35]
	s_wait_alu 0xfffe
	v_add_co_u32 v9, vcc_lo, s34, v5
	s_wait_alu 0xfffd
	v_add_co_ci_u32_e64 v10, null, s35, v6, vcc_lo
	global_load_b64 v[9:10], v[9:10], off
	s_wait_loadcnt 0x0
	v_add_f64_e32 v[7:8], v[7:8], v[9:10]
	s_or_b32 exec_lo, exec_lo, s6
	s_and_saveexec_b32 s6, s0
	s_cbranch_execnz .LBB75_7
	s_branch .LBB75_8
.LBB75_17:                              ;   in Loop: Header=BB75_4 Depth=1
	ds_load_b64 v[7:8], v12
	s_wait_alu 0xfffe
	s_or_b32 exec_lo, exec_lo, s6
	s_and_saveexec_b32 s6, s0
	s_cbranch_execz .LBB75_12
.LBB75_18:                              ;   in Loop: Header=BB75_4 Depth=1
	s_wait_dscnt 0x0
	ds_bpermute_b32 v9, v15, v7
	ds_bpermute_b32 v10, v15, v8
	s_wait_dscnt 0x0
	v_add_f64_e32 v[7:8], v[7:8], v[9:10]
	ds_bpermute_b32 v9, v16, v7
	ds_bpermute_b32 v10, v16, v8
	s_wait_dscnt 0x0
	v_add_f64_e32 v[7:8], v[7:8], v[9:10]
	;; [unrolled: 4-line block ×3, first 2 shown]
	s_wait_alu 0xfffe
	s_or_b32 exec_lo, exec_lo, s6
	s_and_saveexec_b32 s34, s5
	s_cbranch_execz .LBB75_3
.LBB75_19:                              ;   in Loop: Header=BB75_4 Depth=1
	s_mul_u64 s[6:7], s[8:9], s[12:13]
	s_and_not1_b32 vcc_lo, exec_lo, s30
	s_wait_alu 0xfffe
	s_lshl_b64 s[6:7], s[6:7], 3
	s_wait_alu 0xfffe
	s_add_nc_u64 s[6:7], s[20:21], s[6:7]
	s_wait_alu 0xfffe
	s_add_nc_u64 s[6:7], s[6:7], s[24:25]
	s_cbranch_vccnz .LBB75_2
; %bb.20:                               ;   in Loop: Header=BB75_4 Depth=1
	global_load_b64 v[9:10], v1, s[6:7]
	s_wait_loadcnt_dscnt 0x0
	v_fma_f64 v[7:8], s[16:17], v[9:10], v[7:8]
	s_branch .LBB75_2
.LBB75_21:
	s_endpgm
	.section	.rodata,"a",@progbits
	.p2align	6, 0x0
	.amdhsa_kernel _ZL23rocblas_gemvt_sn_reduceILi256ELi8EdddEviT2_lPT3_lilPT1_i
		.amdhsa_group_segment_fixed_size 256
		.amdhsa_private_segment_fixed_size 0
		.amdhsa_kernarg_size 328
		.amdhsa_user_sgpr_count 2
		.amdhsa_user_sgpr_dispatch_ptr 0
		.amdhsa_user_sgpr_queue_ptr 0
		.amdhsa_user_sgpr_kernarg_segment_ptr 1
		.amdhsa_user_sgpr_dispatch_id 0
		.amdhsa_user_sgpr_private_segment_size 0
		.amdhsa_wavefront_size32 1
		.amdhsa_uses_dynamic_stack 0
		.amdhsa_enable_private_segment 0
		.amdhsa_system_sgpr_workgroup_id_x 1
		.amdhsa_system_sgpr_workgroup_id_y 1
		.amdhsa_system_sgpr_workgroup_id_z 1
		.amdhsa_system_sgpr_workgroup_info 0
		.amdhsa_system_vgpr_workitem_id 0
		.amdhsa_next_free_vgpr 35
		.amdhsa_next_free_sgpr 36
		.amdhsa_reserve_vcc 1
		.amdhsa_float_round_mode_32 0
		.amdhsa_float_round_mode_16_64 0
		.amdhsa_float_denorm_mode_32 3
		.amdhsa_float_denorm_mode_16_64 3
		.amdhsa_fp16_overflow 0
		.amdhsa_workgroup_processor_mode 1
		.amdhsa_memory_ordered 1
		.amdhsa_forward_progress 1
		.amdhsa_inst_pref_size 11
		.amdhsa_round_robin_scheduling 0
		.amdhsa_exception_fp_ieee_invalid_op 0
		.amdhsa_exception_fp_denorm_src 0
		.amdhsa_exception_fp_ieee_div_zero 0
		.amdhsa_exception_fp_ieee_overflow 0
		.amdhsa_exception_fp_ieee_underflow 0
		.amdhsa_exception_fp_ieee_inexact 0
		.amdhsa_exception_int_div_zero 0
	.end_amdhsa_kernel
	.section	.text._ZL23rocblas_gemvt_sn_reduceILi256ELi8EdddEviT2_lPT3_lilPT1_i,"axG",@progbits,_ZL23rocblas_gemvt_sn_reduceILi256ELi8EdddEviT2_lPT3_lilPT1_i,comdat
.Lfunc_end75:
	.size	_ZL23rocblas_gemvt_sn_reduceILi256ELi8EdddEviT2_lPT3_lilPT1_i, .Lfunc_end75-_ZL23rocblas_gemvt_sn_reduceILi256ELi8EdddEviT2_lPT3_lilPT1_i
                                        ; -- End function
	.set _ZL23rocblas_gemvt_sn_reduceILi256ELi8EdddEviT2_lPT3_lilPT1_i.num_vgpr, 35
	.set _ZL23rocblas_gemvt_sn_reduceILi256ELi8EdddEviT2_lPT3_lilPT1_i.num_agpr, 0
	.set _ZL23rocblas_gemvt_sn_reduceILi256ELi8EdddEviT2_lPT3_lilPT1_i.numbered_sgpr, 36
	.set _ZL23rocblas_gemvt_sn_reduceILi256ELi8EdddEviT2_lPT3_lilPT1_i.num_named_barrier, 0
	.set _ZL23rocblas_gemvt_sn_reduceILi256ELi8EdddEviT2_lPT3_lilPT1_i.private_seg_size, 0
	.set _ZL23rocblas_gemvt_sn_reduceILi256ELi8EdddEviT2_lPT3_lilPT1_i.uses_vcc, 1
	.set _ZL23rocblas_gemvt_sn_reduceILi256ELi8EdddEviT2_lPT3_lilPT1_i.uses_flat_scratch, 0
	.set _ZL23rocblas_gemvt_sn_reduceILi256ELi8EdddEviT2_lPT3_lilPT1_i.has_dyn_sized_stack, 0
	.set _ZL23rocblas_gemvt_sn_reduceILi256ELi8EdddEviT2_lPT3_lilPT1_i.has_recursion, 0
	.set _ZL23rocblas_gemvt_sn_reduceILi256ELi8EdddEviT2_lPT3_lilPT1_i.has_indirect_call, 0
	.section	.AMDGPU.csdata,"",@progbits
; Kernel info:
; codeLenInByte = 1296
; TotalNumSgprs: 38
; NumVgprs: 35
; ScratchSize: 0
; MemoryBound: 1
; FloatMode: 240
; IeeeMode: 1
; LDSByteSize: 256 bytes/workgroup (compile time only)
; SGPRBlocks: 0
; VGPRBlocks: 4
; NumSGPRsForWavesPerEU: 38
; NumVGPRsForWavesPerEU: 35
; Occupancy: 16
; WaveLimiterHint : 0
; COMPUTE_PGM_RSRC2:SCRATCH_EN: 0
; COMPUTE_PGM_RSRC2:USER_SGPR: 2
; COMPUTE_PGM_RSRC2:TRAP_HANDLER: 0
; COMPUTE_PGM_RSRC2:TGID_X_EN: 1
; COMPUTE_PGM_RSRC2:TGID_Y_EN: 1
; COMPUTE_PGM_RSRC2:TGID_Z_EN: 1
; COMPUTE_PGM_RSRC2:TIDIG_COMP_CNT: 0
	.section	.text._ZL36rocblas_gemvt_double_buffered_kernelILb0ELi128ELi4ELi16EdPKddEviiT4_lPKT3_lilS5_lilPT5_lili,"axG",@progbits,_ZL36rocblas_gemvt_double_buffered_kernelILb0ELi128ELi4ELi16EdPKddEviiT4_lPKT3_lilS5_lilPT5_lili,comdat
	.globl	_ZL36rocblas_gemvt_double_buffered_kernelILb0ELi128ELi4ELi16EdPKddEviiT4_lPKT3_lilS5_lilPT5_lili ; -- Begin function _ZL36rocblas_gemvt_double_buffered_kernelILb0ELi128ELi4ELi16EdPKddEviiT4_lPKT3_lilS5_lilPT5_lili
	.p2align	8
	.type	_ZL36rocblas_gemvt_double_buffered_kernelILb0ELi128ELi4ELi16EdPKddEviiT4_lPKT3_lilS5_lilPT5_lili,@function
_ZL36rocblas_gemvt_double_buffered_kernelILb0ELi128ELi4ELi16EdPKddEviiT4_lPKT3_lilS5_lilPT5_lili: ; @_ZL36rocblas_gemvt_double_buffered_kernelILb0ELi128ELi4ELi16EdPKddEviiT4_lPKT3_lilS5_lilPT5_lili
; %bb.0:
	s_load_b32 s33, s[0:1], 0x78
	s_lshr_b32 s2, ttmp7, 16
	s_wait_kmcnt 0x0
	s_cmp_ge_u32 s2, s33
	s_cbranch_scc1 .LBB76_16
; %bb.1:
	s_clause 0x7
	s_load_b32 s36, s[0:1], 0x28
	s_load_b96 s[20:22], s[0:1], 0x40
	s_load_b96 s[24:26], s[0:1], 0x60
	s_load_b256 s[4:11], s[0:1], 0x8
	s_load_b32 s3, s[0:1], 0x0
	s_load_b128 s[16:19], s[0:1], 0x50
	s_load_b128 s[12:15], s[0:1], 0x30
	s_load_b64 s[28:29], s[0:1], 0x70
	v_dual_mov_b32 v4, 0 :: v_dual_and_b32 v3, 63, v0
	v_and_b32_e32 v2, 0x3ff, v0
	s_lshl_b32 s30, ttmp9, 7
	v_bfe_u32 v5, v0, 10, 10
	s_ashr_i32 s31, s30, 31
	v_lshlrev_b32_e32 v145, 3, v3
	v_add_nc_u32_e32 v11, 1, v2
	v_lshlrev_b32_e32 v12, 9, v2
	v_lshl_add_u32 v6, v5, 7, v2
	v_add_nc_u32_e32 v13, 6, v2
	s_and_b32 s42, ttmp7, 0xffff
	s_wait_kmcnt 0x0
	s_ashr_i32 s37, s36, 31
	v_and_b32_e32 v11, 63, v11
	s_lshl_b64 s[24:25], s[24:25], 3
	s_lshl_b64 s[10:11], s[10:11], 3
	s_ashr_i32 s27, s3, 31
	s_add_nc_u64 s[24:25], s[18:19], s[24:25]
	s_lshr_b32 s18, s27, 25
	s_add_nc_u64 s[38:39], s[8:9], s[10:11]
	s_add_co_i32 s3, s3, s18
	s_mul_u64 s[18:19], s[36:37], s[30:31]
	s_add_nc_u64 s[10:11], s[0:1], 0x80
	s_lshl_b64 s[0:1], s[18:19], 3
	v_lshrrev_b32_e32 v7, 2, v6
	s_add_nc_u64 s[18:19], s[38:39], s[0:1]
	v_cmp_eq_u32_e64 s0, 0, v5
	v_or_b32_e32 v5, v12, v145
	v_and_b32_e32 v13, 63, v13
	v_and_b32_e32 v8, 0x7ff0, v7
	v_lshl_or_b32 v16, v7, 9, 0x1e00
	v_add_nc_u32_e32 v7, 3, v2
	scratch_store_b32 off, v5, off          ; 4-byte Folded Spill
	v_lshl_or_b32 v5, v11, 3, v12
	v_mad_co_i64_i32 v[9:10], null, s36, v8, v[3:4]
	v_lshlrev_b32_e32 v15, 9, v8
	v_add_nc_u32_e32 v8, 4, v2
	scratch_store_b32 off, v5, off offset:4 ; 4-byte Folded Spill
	v_add_nc_u32_e32 v5, 2, v2
	v_and_b32_e32 v7, 63, v7
	v_add_nc_u32_e32 v11, 5, v2
	v_and_b32_e32 v8, 63, v8
	v_xor_b32_e32 v3, 32, v3
	v_and_b32_e32 v5, 63, v5
	s_ashr_i32 s35, s26, 31
	v_and_b32_e32 v11, 63, v11
	s_mov_b32 s34, s26
	v_lshl_or_b32 v178, v3, 3, v12
	v_lshl_or_b32 v5, v5, 3, v12
	s_mul_u64 s[34:35], s[34:35], s[30:31]
	v_cvt_f64_i32_e32 v[0:1], s42
	s_lshl_b64 s[34:35], s[34:35], 3
	v_lshlrev_b64_e32 v[9:10], 3, v[9:10]
	scratch_store_b32 off, v5, off offset:8 ; 4-byte Folded Spill
	v_lshl_or_b32 v5, v7, 3, v12
	v_add_nc_u32_e32 v7, 8, v2
	s_add_nc_u64 s[34:35], s[24:25], s[34:35]
	v_add_nc_u32_e32 v242, v145, v15
	v_add_nc_u32_e32 v243, v145, v16
	scratch_store_b32 off, v5, off offset:12 ; 4-byte Folded Spill
	v_lshl_or_b32 v5, v8, 3, v12
	v_add_nc_u32_e32 v8, 9, v2
	v_and_b32_e32 v7, 63, v7
	s_ashr_i32 s23, s22, 31
	s_ashr_i32 s8, s3, 7
	scratch_store_b32 off, v5, off offset:16 ; 4-byte Folded Spill
	v_lshl_or_b32 v5, v11, 3, v12
	v_add_nc_u32_e32 v11, 10, v2
	v_and_b32_e32 v8, 63, v8
	s_mov_b32 s3, 0
	s_mul_u64 s[40:41], s[36:37], 15
	scratch_store_b32 off, v5, off offset:20 ; 4-byte Folded Spill
	v_lshl_or_b32 v5, v13, 3, v12
	v_add_nc_u32_e32 v13, 11, v2
	v_and_b32_e32 v11, 63, v11
	s_lshl_b64 s[20:21], s[20:21], 3
	s_lshl_b64 s[24:25], s[22:23], 10
	scratch_store_b32 off, v5, off offset:24 ; 4-byte Folded Spill
	v_add_nc_u32_e32 v5, 7, v2
	v_and_b32_e32 v13, 63, v13
	s_mov_b32 s9, s3
	s_add_nc_u64 s[14:15], s[14:15], s[20:21]
	s_lshl_b64 s[16:17], s[16:17], 3
	v_and_b32_e32 v5, 63, v5
	s_lshl_b64 s[20:21], s[40:41], 3
	s_delay_alu instid0(VALU_DEP_1)
	v_lshl_or_b32 v5, v5, 3, v12
	scratch_store_b32 off, v5, off offset:28 ; 4-byte Folded Spill
	v_lshl_or_b32 v5, v7, 3, v12
	v_add_nc_u32_e32 v7, 13, v2
	scratch_store_b32 off, v5, off offset:32 ; 4-byte Folded Spill
	v_lshl_or_b32 v5, v8, 3, v12
	v_add_nc_u32_e32 v8, 14, v2
	v_and_b32_e32 v7, 63, v7
	scratch_store_b32 off, v5, off offset:36 ; 4-byte Folded Spill
	v_lshl_or_b32 v5, v11, 3, v12
	v_add_nc_u32_e32 v11, 15, v2
	v_and_b32_e32 v8, 63, v8
	;; [unrolled: 4-line block ×3, first 2 shown]
	scratch_store_b32 off, v5, off offset:44 ; 4-byte Folded Spill
	v_add_nc_u32_e32 v5, 12, v2
	v_and_b32_e32 v13, 63, v13
	s_delay_alu instid0(VALU_DEP_2) | instskip(NEXT) | instid1(VALU_DEP_1)
	v_and_b32_e32 v5, 63, v5
	v_lshl_or_b32 v5, v5, 3, v12
	scratch_store_b32 off, v5, off offset:48 ; 4-byte Folded Spill
	v_lshl_or_b32 v5, v7, 3, v12
	v_add_nc_u32_e32 v7, 18, v2
	scratch_store_b32 off, v5, off offset:52 ; 4-byte Folded Spill
	v_lshl_or_b32 v5, v8, 3, v12
	v_add_nc_u32_e32 v8, 19, v2
	v_and_b32_e32 v7, 63, v7
	scratch_store_b32 off, v5, off offset:56 ; 4-byte Folded Spill
	v_lshl_or_b32 v5, v11, 3, v12
	v_and_b32_e32 v8, 63, v8
	v_add_nc_u32_e32 v11, 20, v2
	scratch_store_b32 off, v5, off offset:60 ; 4-byte Folded Spill
	v_lshl_or_b32 v5, v13, 3, v12
	v_and_b32_e32 v11, 63, v11
	v_add_nc_u32_e32 v13, 21, v2
	scratch_store_b32 off, v5, off offset:64 ; 4-byte Folded Spill
	v_add_nc_u32_e32 v5, 17, v2
	v_lshl_or_b32 v166, v11, 3, v12
	v_add_nc_u32_e32 v11, 25, v2
	v_and_b32_e32 v13, 63, v13
	s_delay_alu instid0(VALU_DEP_4) | instskip(NEXT) | instid1(VALU_DEP_3)
	v_and_b32_e32 v5, 63, v5
	v_and_b32_e32 v11, 63, v11
	s_delay_alu instid0(VALU_DEP_3) | instskip(SKIP_1) | instid1(VALU_DEP_4)
	v_lshl_or_b32 v167, v13, 3, v12
	v_add_nc_u32_e32 v13, 26, v2
	v_lshl_or_b32 v5, v5, 3, v12
	s_delay_alu instid0(VALU_DEP_4) | instskip(SKIP_1) | instid1(VALU_DEP_4)
	v_lshl_or_b32 v171, v11, 3, v12
	v_add_nc_u32_e32 v11, 30, v2
	v_and_b32_e32 v13, 63, v13
	scratch_store_b32 off, v5, off offset:68 ; 4-byte Folded Spill
	v_lshl_or_b32 v5, v7, 3, v12
	v_add_nc_u32_e32 v7, 23, v2
	v_and_b32_e32 v11, 63, v11
	v_lshl_or_b32 v172, v13, 3, v12
	v_add_nc_u32_e32 v13, 31, v2
	scratch_store_b32 off, v5, off offset:72 ; 4-byte Folded Spill
	v_lshl_or_b32 v5, v8, 3, v12
	v_add_nc_u32_e32 v8, 24, v2
	v_lshl_or_b32 v176, v11, 3, v12
	v_add_nc_u32_e32 v11, 36, v2
	v_and_b32_e32 v7, 63, v7
	scratch_store_b32 off, v5, off offset:76 ; 4-byte Folded Spill
	v_add_nc_u32_e32 v5, 22, v2
	v_and_b32_e32 v8, 63, v8
	v_and_b32_e32 v13, 63, v13
	v_lshl_or_b32 v169, v7, 3, v12
	v_add_nc_u32_e32 v7, 28, v2
	v_and_b32_e32 v5, 63, v5
	v_lshl_or_b32 v170, v8, 3, v12
	v_add_nc_u32_e32 v8, 29, v2
	v_lshl_or_b32 v177, v13, 3, v12
	v_and_b32_e32 v7, 63, v7
	v_lshl_or_b32 v168, v5, 3, v12
	v_add_nc_u32_e32 v5, 27, v2
	v_and_b32_e32 v8, 63, v8
	s_delay_alu instid0(VALU_DEP_4) | instskip(SKIP_1) | instid1(VALU_DEP_4)
	v_lshl_or_b32 v174, v7, 3, v12
	v_add_nc_u32_e32 v7, 34, v2
	v_and_b32_e32 v5, 63, v5
	s_delay_alu instid0(VALU_DEP_4) | instskip(SKIP_1) | instid1(VALU_DEP_4)
	;; [unrolled: 4-line block ×3, first 2 shown]
	v_lshl_or_b32 v173, v5, 3, v12
	v_add_nc_u32_e32 v5, 33, v2
	v_and_b32_e32 v3, 63, v8
	v_and_b32_e32 v8, 63, v11
	v_add_nc_u32_e32 v11, 41, v2
	v_lshl_or_b32 v180, v7, 3, v12
	v_and_b32_e32 v5, 63, v5
	v_lshl_or_b32 v181, v3, 3, v12
	v_lshl_or_b32 v182, v8, 3, v12
	v_add_nc_u32_e32 v3, 38, v2
	v_add_nc_u32_e32 v8, 40, v2
	v_lshl_or_b32 v179, v5, 3, v12
	v_add_nc_u32_e32 v5, 37, v2
	v_add_nc_u32_e32 v7, 39, v2
	v_and_b32_e32 v3, 63, v3
	s_delay_alu instid0(VALU_DEP_3) | instskip(NEXT) | instid1(VALU_DEP_3)
	v_and_b32_e32 v5, 63, v5
	v_and_b32_e32 v7, 63, v7
	s_delay_alu instid0(VALU_DEP_3) | instskip(SKIP_1) | instid1(VALU_DEP_4)
	v_lshl_or_b32 v184, v3, 3, v12
	v_add_nc_u32_e32 v3, 42, v2
	v_lshl_or_b32 v183, v5, 3, v12
	v_and_b32_e32 v5, 63, v8
	v_and_b32_e32 v8, 63, v11
	s_delay_alu instid0(VALU_DEP_4)
	v_and_b32_e32 v3, 63, v3
	v_add_nc_u32_e32 v11, 46, v2
	v_lshl_or_b32 v185, v7, 3, v12
	v_lshl_or_b32 v186, v5, 3, v12
	v_add_nc_u32_e32 v5, 43, v2
	v_lshl_or_b32 v187, v8, 3, v12
	v_add_nc_u32_e32 v8, 45, v2
	;; [unrolled: 2-line block ×3, first 2 shown]
	v_and_b32_e32 v5, 63, v5
	s_delay_alu instid0(VALU_DEP_4) | instskip(SKIP_2) | instid1(VALU_DEP_4)
	v_and_b32_e32 v3, 63, v8
	v_and_b32_e32 v8, 63, v11
	v_add_nc_u32_e32 v11, 51, v2
	v_lshl_or_b32 v189, v5, 3, v12
	v_add_nc_u32_e32 v5, 47, v2
	v_lshl_or_b32 v191, v3, 3, v12
	v_lshl_or_b32 v192, v8, 3, v12
	v_add_nc_u32_e32 v3, 48, v2
	v_add_nc_u32_e32 v8, 50, v2
	v_and_b32_e32 v5, 63, v5
	v_and_b32_e32 v7, 63, v7
	s_delay_alu instid0(VALU_DEP_4) | instskip(NEXT) | instid1(VALU_DEP_3)
	v_and_b32_e32 v3, 63, v3
	v_lshl_or_b32 v193, v5, 3, v12
	v_and_b32_e32 v5, 63, v8
	v_and_b32_e32 v8, 63, v11
	s_delay_alu instid0(VALU_DEP_4)
	v_lshl_or_b32 v194, v3, 3, v12
	v_add_nc_u32_e32 v3, 52, v2
	v_lshl_or_b32 v190, v7, 3, v12
	v_lshl_or_b32 v196, v5, 3, v12
	v_add_nc_u32_e32 v5, 53, v2
	v_add_nc_u32_e32 v7, 49, v2
	v_lshl_or_b32 v197, v8, 3, v12
	v_and_b32_e32 v3, 63, v3
	v_add_nc_u32_e32 v8, 55, v2
	v_add_nc_u32_e32 v11, 56, v2
	v_and_b32_e32 v5, 63, v5
	v_and_b32_e32 v7, 63, v7
	v_lshl_or_b32 v198, v3, 3, v12
	v_and_b32_e32 v3, 63, v8
	v_and_b32_e32 v8, 63, v11
	v_lshl_or_b32 v199, v5, 3, v12
	v_add_nc_u32_e32 v5, 57, v2
	v_lshl_or_b32 v195, v7, 3, v12
	v_add_nc_u32_e32 v7, 54, v2
	;; [unrolled: 2-line block ×3, first 2 shown]
	v_and_b32_e32 v5, 63, v5
	v_lshl_or_b32 v201, v3, 3, v12
	v_and_b32_e32 v7, 63, v7
	v_add_nc_u32_e32 v3, 58, v2
	v_add_nc_u32_e32 v11, 61, v2
	v_lshl_or_b32 v203, v5, 3, v12
	v_and_b32_e32 v5, 63, v8
	v_lshl_or_b32 v200, v7, 3, v12
	v_add_nc_u32_e32 v7, 59, v2
	v_and_b32_e32 v3, 63, v3
	v_and_b32_e32 v8, 63, v11
	v_lshl_or_b32 v206, v5, 3, v12
	v_lshlrev_b32_e32 v5, 1, v6
	v_and_b32_e32 v7, 63, v7
	v_lshl_or_b32 v204, v3, 3, v12
	v_add_nc_u32_e32 v3, 62, v2
	v_add_nc_u32_e32 v6, -1, v2
	v_and_b32_e32 v5, 0x3ff80, v5
	v_lshl_or_b32 v205, v7, 3, v12
	v_lshl_or_b32 v207, v8, 3, v12
	v_and_b32_e32 v7, 63, v3
	v_mad_co_i64_i32 v[2:3], null, s26, v2, 0
	s_lshl_b64 s[26:27], s[30:31], 3
	v_and_b32_e32 v6, 63, v6
	s_wait_alu 0xfffe
	v_add_co_u32 v14, s1, v5, s26
	v_lshl_or_b32 v208, v7, 3, v12
	v_add_co_ci_u32_e64 v7, null, 0, s27, s1
	v_lshl_or_b32 v209, v6, 3, v12
	s_delay_alu instid0(VALU_DEP_4) | instskip(SKIP_1) | instid1(VALU_DEP_4)
	v_mad_co_u64_u32 v[5:6], null, v14, s36, s[38:39]
	v_mul_lo_u32 v12, v14, s37
	v_mul_lo_u32 v17, v7, s36
	v_lshlrev_b64_e32 v[2:3], 3, v[2:3]
	v_or_b32_e32 v11, 8, v14
	v_or_b32_e32 v13, 24, v14
	s_lshl_b64 s[26:27], s[36:37], 3
	s_wait_alu 0xfffe
	s_sub_nc_u64 s[30:31], 0, s[26:27]
	v_mad_co_u64_u32 v[7:8], null, v11, s36, s[38:39]
	v_add3_u32 v6, v17, v6, v12
	v_or_b32_e32 v12, 16, v14
	v_mul_lo_u32 v11, v11, s37
	v_add_co_u32 v210, vcc_lo, s34, v2
	s_delay_alu instid0(VALU_DEP_1) | instskip(NEXT) | instid1(VALU_DEP_4)
	v_add_co_ci_u32_e64 v211, null, s35, v3, vcc_lo
	v_mad_co_u64_u32 v[2:3], null, v12, s36, s[38:39]
	v_mul_lo_u32 v18, v12, s37
	v_add3_u32 v8, v17, v8, v11
	v_mad_co_u64_u32 v[11:12], null, v13, s36, s[38:39]
	v_mul_lo_u32 v13, v13, s37
	v_add_co_u32 v212, vcc_lo, 0x400, v7
	v_or_b32_e32 v7, 32, v14
	v_add3_u32 v3, v17, v3, v18
	s_wait_alu 0xfffd
	v_add_co_ci_u32_e64 v213, null, 0, v8, vcc_lo
	v_add_co_u32 v214, vcc_lo, 0x400, v2
	s_wait_alu 0xfffd
	v_add_co_ci_u32_e64 v215, null, 0, v3, vcc_lo
	v_add3_u32 v12, v17, v12, v13
	v_or_b32_e32 v13, 40, v14
	v_mad_co_u64_u32 v[2:3], null, v7, s36, s[38:39]
	v_mul_lo_u32 v18, v7, s37
	v_add_co_u32 v216, vcc_lo, 0x400, v11
	s_delay_alu instid0(VALU_DEP_4)
	v_mad_co_u64_u32 v[7:8], null, v13, s36, s[38:39]
	v_mul_lo_u32 v13, v13, s37
	v_or_b32_e32 v11, 48, v14
	s_wait_alu 0xfffd
	v_add_co_ci_u32_e64 v217, null, 0, v12, vcc_lo
	v_add3_u32 v3, v17, v3, v18
	v_add_co_u32 v218, vcc_lo, 0x400, v2
	v_mul_lo_u32 v18, v11, s37
	v_add3_u32 v8, v17, v8, v13
	s_wait_alu 0xfffd
	v_add_co_ci_u32_e64 v219, null, 0, v3, vcc_lo
	v_or_b32_e32 v13, 56, v14
	v_mad_co_u64_u32 v[2:3], null, v11, s36, s[38:39]
	v_add_co_u32 v220, vcc_lo, 0x400, v7
	s_delay_alu instid0(VALU_DEP_3)
	v_mad_co_u64_u32 v[11:12], null, v13, s36, s[38:39]
	v_mul_lo_u32 v13, v13, s37
	v_or_b32_e32 v7, 64, v14
	v_add3_u32 v3, v17, v3, v18
	s_wait_alu 0xfffd
	v_add_co_ci_u32_e64 v221, null, 0, v8, vcc_lo
	v_add_co_u32 v222, vcc_lo, 0x400, v2
	s_wait_alu 0xfffd
	v_add_co_ci_u32_e64 v223, null, 0, v3, vcc_lo
	v_add3_u32 v12, v17, v12, v13
	v_or_b32_e32 v13, 0x48, v14
	v_mad_co_u64_u32 v[2:3], null, v7, s36, s[38:39]
	v_mul_lo_u32 v18, v7, s37
	v_add_co_u32 v224, vcc_lo, 0x400, v11
	s_delay_alu instid0(VALU_DEP_4)
	v_mad_co_u64_u32 v[7:8], null, v13, s36, s[38:39]
	v_mul_lo_u32 v13, v13, s37
	v_or_b32_e32 v11, 0x50, v14
	s_wait_alu 0xfffd
	v_add_co_ci_u32_e64 v225, null, 0, v12, vcc_lo
	v_add3_u32 v3, v17, v3, v18
	v_add_co_u32 v226, vcc_lo, 0x400, v2
	v_mul_lo_u32 v18, v11, s37
	v_add3_u32 v8, v17, v8, v13
	s_wait_alu 0xfffd
	v_add_co_ci_u32_e64 v227, null, 0, v3, vcc_lo
	v_or_b32_e32 v13, 0x58, v14
	v_mad_co_u64_u32 v[2:3], null, v11, s36, s[38:39]
	v_add_co_u32 v228, vcc_lo, 0x400, v7
	s_delay_alu instid0(VALU_DEP_3)
	v_mad_co_u64_u32 v[11:12], null, v13, s36, s[38:39]
	v_mul_lo_u32 v13, v13, s37
	s_wait_alu 0xfffd
	v_add_co_ci_u32_e64 v229, null, 0, v8, vcc_lo
	v_add3_u32 v3, v17, v3, v18
	v_or_b32_e32 v7, 0x60, v14
	v_or_b32_e32 v8, 0x68, v14
	v_add_co_u32 v230, vcc_lo, 0x400, v2
	s_wait_alu 0xfffd
	v_add_co_ci_u32_e64 v231, null, 0, v3, vcc_lo
	v_add3_u32 v18, v17, v12, v13
	v_mad_co_u64_u32 v[2:3], null, v7, s36, s[38:39]
	v_mul_lo_u32 v19, v7, s37
	v_mad_co_u64_u32 v[12:13], null, v8, s36, s[38:39]
	v_mul_lo_u32 v20, v8, s37
	v_max_num_f64_e32 v[7:8], v[0:1], v[0:1]
	v_add_co_u32 v232, vcc_lo, 0x400, v11
	v_or_b32_e32 v11, 0x70, v14
	v_add3_u32 v3, v17, v3, v19
	v_or_b32_e32 v19, 0x78, v14
	s_wait_alu 0xfffd
	v_add_co_ci_u32_e64 v233, null, 0, v18, vcc_lo
	v_mad_co_u64_u32 v[0:1], null, v11, s36, s[38:39]
	v_mul_lo_u32 v11, v11, s37
	v_add3_u32 v18, v17, v13, v20
	v_mad_co_u64_u32 v[13:14], null, v19, s36, s[38:39]
	v_mul_lo_u32 v19, v19, s37
	v_add_co_u32 v234, vcc_lo, 0x400, v2
	s_wait_alu 0xfffd
	v_add_co_ci_u32_e64 v235, null, 0, v3, vcc_lo
	v_add3_u32 v1, v17, v1, v11
	v_add_co_u32 v236, vcc_lo, 0x400, v12
	v_add3_u32 v2, v17, v14, v19
	s_wait_alu 0xfffd
	v_add_co_ci_u32_e64 v237, null, 0, v18, vcc_lo
	v_add_co_u32 v238, vcc_lo, 0x400, v0
	s_wait_alu 0xfffd
	v_add_co_ci_u32_e64 v239, null, 0, v1, vcc_lo
	v_add_co_u32 v240, vcc_lo, 0x400, v13
	s_wait_alu 0xfffd
	v_add_co_ci_u32_e64 v241, null, 0, v2, vcc_lo
	s_lshl_b64 s[34:35], s[12:13], 3
	s_branch .LBB76_4
.LBB76_2:                               ;   in Loop: Header=BB76_4 Depth=1
	s_wait_alu 0xfffe
	s_or_b32 exec_lo, exec_lo, s1
.LBB76_3:                               ;   in Loop: Header=BB76_4 Depth=1
	s_add_co_i32 s2, s2, 0x10000
	s_delay_alu instid0(SALU_CYCLE_1)
	s_cmp_lt_u32 s2, s33
	s_cbranch_scc0 .LBB76_16
.LBB76_4:                               ; =>This Loop Header: Depth=1
                                        ;     Child Loop BB76_8 Depth 2
                                        ;     Child Loop BB76_15 Depth 2
	s_mul_u64 s[36:37], s[6:7], s[2:3]
	s_wait_alu 0xfffe
	s_lshl_b64 s[36:37], s[36:37], 3
	s_wait_alu 0xfffe
	s_add_nc_u64 s[36:37], s[4:5], s[36:37]
	global_load_b64 v[0:1], v4, s[36:37]
	s_wait_loadcnt 0x0
	v_cmp_eq_f64_e32 vcc_lo, 0, v[0:1]
	s_cbranch_vccnz .LBB76_3
; %bb.5:                                ;   in Loop: Header=BB76_4 Depth=1
	s_load_b32 s1, s[10:11], 0x4
	s_wait_kmcnt 0x0
	s_cvt_f32_u32 s36, s1
	s_sub_co_i32 s37, 0, s1
	s_wait_alu 0xfffe
	s_delay_alu instid0(SALU_CYCLE_1) | instskip(NEXT) | instid1(TRANS32_DEP_1)
	v_rcp_iflag_f32_e32 v2, s36
	v_readfirstlane_b32 s36, v2
	s_mul_f32 s36, s36, 0x4f7ffffe
	s_wait_alu 0xfffe
	s_delay_alu instid0(SALU_CYCLE_2) | instskip(SKIP_1) | instid1(SALU_CYCLE_2)
	s_cvt_u32_f32 s36, s36
	s_wait_alu 0xfffe
	s_mul_i32 s37, s37, s36
	s_wait_alu 0xfffe
	s_mul_hi_u32 s37, s36, s37
	s_wait_alu 0xfffe
	s_add_co_i32 s36, s36, s37
	s_mov_b32 s37, s3
	s_wait_alu 0xfffe
	s_mul_u64 s[36:37], s[8:9], s[36:37]
	s_wait_alu 0xfffe
	s_mul_i32 s36, s37, s1
	s_add_co_i32 s38, s37, 1
	s_wait_alu 0xfffe
	s_sub_co_i32 s36, s8, s36
	s_wait_alu 0xfffe
	s_sub_co_i32 s39, s36, s1
	s_cmp_ge_u32 s36, s1
	s_cselect_b32 s37, s38, s37
	s_wait_alu 0xfffe
	s_cselect_b32 s36, s39, s36
	s_add_co_i32 s38, s37, 1
	s_wait_alu 0xfffe
	s_cmp_ge_u32 s36, s1
	s_cselect_b32 s36, s38, s37
	s_wait_alu 0xfffe
	s_mul_i32 s1, s36, s1
	s_wait_alu 0xfffe
	s_sub_co_i32 s37, s8, s1
	s_wait_alu 0xfffe
	s_cmp_lt_u32 s42, s37
	s_cselect_b32 s1, -1, 0
	s_wait_alu 0xfffe
	s_cmp_lg_u32 s1, 0
	s_add_co_ci_u32 s1, s36, 0
	s_wait_alu 0xfffe
	s_cmp_eq_u32 s1, 0
	s_cbranch_scc1 .LBB76_3
; %bb.6:                                ;   in Loop: Header=BB76_4 Depth=1
	s_cmp_lt_i32 s1, 1
	s_cbranch_scc1 .LBB76_12
; %bb.7:                                ;   in Loop: Header=BB76_4 Depth=1
	v_cvt_f64_u32_e32 v[2:3], s37
	s_mul_i32 s36, s36, s42
	v_or_b32_e32 v73, 0x200, v145
	s_wait_alu 0xfffe
	v_cvt_f64_u32_e32 v[11:12], s36
	s_mul_u64 s[36:37], s[12:13], s[2:3]
	v_mov_b32_e32 v47, 0
	s_wait_alu 0xfffe
	s_lshl_b64 s[36:37], s[36:37], 3
	v_mov_b32_e32 v41, 0
	s_wait_alu 0xfffe
	s_add_nc_u64 s[40:41], s[18:19], s[36:37]
	v_dual_mov_b32 v37, 0 :: v_dual_mov_b32 v48, 0
	v_dual_mov_b32 v49, 0 :: v_dual_mov_b32 v42, 0
	;; [unrolled: 1-line block ×4, first 2 shown]
	v_mov_b32_e32 v44, 0
	v_dual_mov_b32 v40, 0 :: v_dual_mov_b32 v33, 0
	v_dual_mov_b32 v34, 0 :: v_dual_mov_b32 v51, 0
	;; [unrolled: 1-line block ×3, first 2 shown]
	v_mov_b32_e32 v36, 0
	v_min_num_f64_e32 v[2:3], v[7:8], v[2:3]
	s_delay_alu instid0(VALU_DEP_1) | instskip(NEXT) | instid1(VALU_DEP_1)
	v_add_f64_e32 v[2:3], v[2:3], v[11:12]
	v_cvt_i32_f64_e32 v2, v[2:3]
	s_delay_alu instid0(VALU_DEP_1)
	v_readfirstlane_b32 s38, v2
	s_lshl_b32 s38, s38, 7
	s_wait_alu 0xfffe
	s_ashr_i32 s39, s38, 31
	s_wait_alu 0xfffe
	s_lshl_b64 s[36:37], s[38:39], 3
	s_wait_alu 0xfffe
	s_add_nc_u64 s[38:39], s[40:41], s[36:37]
	s_mul_u64 s[40:41], s[34:35], s[2:3]
	s_wait_alu 0xfffe
	v_add_co_u32 v2, vcc_lo, s38, v9
	s_wait_alu 0xfffd
	v_add_co_ci_u32_e64 v3, null, s39, v10, vcc_lo
	s_add_nc_u64 s[40:41], s[40:41], s[36:37]
	v_add_co_u32 v17, vcc_lo, v2, s20
	s_wait_alu 0xfffd
	v_add_co_ci_u32_e64 v18, null, s21, v3, vcc_lo
	v_or_b32_e32 v74, s36, v145
	s_delay_alu instid0(VALU_DEP_3) | instskip(SKIP_1) | instid1(VALU_DEP_3)
	v_add_co_u32 v13, vcc_lo, v17, s30
	s_wait_alu 0xfffd
	v_add_co_ci_u32_e64 v14, null, s31, v18, vcc_lo
	v_or_b32_e32 v75, s36, v73
	s_delay_alu instid0(VALU_DEP_3) | instskip(SKIP_1) | instid1(VALU_DEP_3)
	v_add_co_u32 v15, vcc_lo, v13, s30
	s_wait_alu 0xfffd
	v_add_co_ci_u32_e64 v16, null, s31, v14, vcc_lo
	v_mul_lo_u32 v77, s23, v74
	s_delay_alu instid0(VALU_DEP_3) | instskip(SKIP_1) | instid1(VALU_DEP_3)
	v_add_co_u32 v19, vcc_lo, v15, s30
	s_wait_alu 0xfffd
	v_add_co_ci_u32_e64 v20, null, s31, v16, vcc_lo
	s_clause 0x2
	global_load_b64 v[11:12], v[2:3], off
	global_load_b64 v[13:14], v[13:14], off
	;; [unrolled: 1-line block ×3, first 2 shown]
	v_add_co_u32 v21, vcc_lo, v19, s30
	s_wait_alu 0xfffd
	v_add_co_ci_u32_e64 v22, null, s31, v20, vcc_lo
	s_clause 0x1
	global_load_b64 v[23:24], v[19:20], off
	global_load_b64 v[29:30], v[21:22], off
	v_add_co_u32 v25, vcc_lo, v21, s30
	s_wait_alu 0xfffd
	v_add_co_ci_u32_e64 v26, null, s31, v22, vcc_lo
	v_mad_co_u64_u32 v[73:74], null, s22, v74, 0
	s_delay_alu instid0(VALU_DEP_3) | instskip(SKIP_1) | instid1(VALU_DEP_3)
	v_add_co_u32 v27, vcc_lo, v25, s30
	s_wait_alu 0xfffd
	v_add_co_ci_u32_e64 v28, null, s31, v26, vcc_lo
	global_load_b64 v[45:46], v[25:26], off
	v_add_co_u32 v31, vcc_lo, v27, s30
	s_wait_alu 0xfffd
	v_add_co_ci_u32_e64 v32, null, s31, v28, vcc_lo
	global_load_b64 v[53:54], v[27:28], off
	;; [unrolled: 4-line block ×5, first 2 shown]
	v_add_co_u32 v25, vcc_lo, v21, s30
	s_wait_alu 0xfffd
	v_add_co_ci_u32_e64 v26, null, s31, v22, vcc_lo
	v_mul_lo_u32 v78, s23, v75
	s_delay_alu instid0(VALU_DEP_3) | instskip(SKIP_1) | instid1(VALU_DEP_3)
	v_add_co_u32 v27, vcc_lo, v25, s30
	s_wait_alu 0xfffd
	v_add_co_ci_u32_e64 v28, null, s31, v26, vcc_lo
	v_mad_co_u64_u32 v[75:76], null, s22, v75, 0
	s_delay_alu instid0(VALU_DEP_3) | instskip(SKIP_1) | instid1(VALU_DEP_3)
	v_add_co_u32 v2, vcc_lo, v27, s30
	s_wait_alu 0xfffd
	v_add_co_ci_u32_e64 v3, null, s31, v28, vcc_lo
	v_mov_b32_e32 v31, 0
	s_delay_alu instid0(VALU_DEP_3) | instskip(SKIP_1) | instid1(VALU_DEP_3)
	v_add_co_u32 v19, vcc_lo, v2, s30
	s_wait_alu 0xfffd
	v_add_co_ci_u32_e64 v20, null, s31, v3, vcc_lo
	global_load_b64 v[61:62], v[21:22], off
	global_load_b64 v[63:64], v[25:26], off
	;; [unrolled: 1-line block ×6, first 2 shown]
	s_wait_alu 0xfffe
	v_add_co_u32 v244, vcc_lo, v5, s40
	s_wait_alu 0xfffd
	v_add_co_ci_u32_e64 v245, null, s41, v6, vcc_lo
	v_add_co_u32 v246, vcc_lo, v212, s40
	s_wait_alu 0xfffd
	v_add_co_ci_u32_e64 v247, null, s41, v213, vcc_lo
	;; [unrolled: 3-line block ×14, first 2 shown]
	v_add_co_u32 v162, vcc_lo, v238, s40
	v_mov_b32_e32 v25, 0
	v_mov_b32_e32 v19, 0
	;; [unrolled: 1-line block ×3, first 2 shown]
	s_mul_i32 s37, s22, s37
	s_wait_alu 0xfffd
	v_add_co_ci_u32_e64 v163, null, s41, v239, vcc_lo
	v_add_co_u32 v164, vcc_lo, v240, s40
	v_mov_b32_e32 v2, 0
	v_mov_b32_e32 v32, 0
	v_dual_mov_b32 v26, 0 :: v_dual_mov_b32 v27, 0
	v_dual_mov_b32 v20, 0 :: v_dual_mov_b32 v21, 0
	;; [unrolled: 1-line block ×3, first 2 shown]
	v_mov_b32_e32 v28, 0
	v_mov_b32_e32 v22, 0
	s_wait_alu 0xfffd
	v_add_co_ci_u32_e64 v165, null, s41, v241, vcc_lo
	s_wait_alu 0xfffe
	v_add3_u32 v74, v74, s37, v77
	v_add3_u32 v76, v76, s37, v78
	s_mul_u64 s[38:39], s[16:17], s[2:3]
	s_wait_alu 0xfffe
	s_add_nc_u64 s[36:37], s[14:15], s[38:39]
	s_add_co_i32 s38, s1, -1
	s_mov_b32 s39, 0
	s_wait_loadcnt 0xf
	v_dual_mov_b32 v78, v12 :: v_dual_mov_b32 v77, v11
	s_wait_loadcnt 0xe
	v_dual_mov_b32 v106, v14 :: v_dual_mov_b32 v105, v13
	;; [unrolled: 2-line block ×16, first 2 shown]
.LBB76_8:                               ;   Parent Loop BB76_4 Depth=1
                                        ; =>  This Inner Loop Header: Depth=2
	v_add_co_u32 v141, vcc_lo, v244, v145
	s_wait_alu 0xfffd
	v_add_co_ci_u32_e64 v142, null, 0, v245, vcc_lo
	s_wait_alu 0xfffe
	s_cmp_lg_u32 s38, s39
	v_add_co_u32 v109, vcc_lo, 0x200, v141
	s_wait_alu 0xfffd
	v_add_co_ci_u32_e64 v110, null, 0, v142, vcc_lo
	s_delay_alu instid0(VALU_DEP_2) | instskip(SKIP_1) | instid1(VALU_DEP_2)
	v_add_co_u32 v133, vcc_lo, v109, s26
	s_wait_alu 0xfffd
	v_add_co_ci_u32_e64 v134, null, s27, v110, vcc_lo
	s_delay_alu instid0(VALU_DEP_2) | instskip(SKIP_1) | instid1(VALU_DEP_2)
	;; [unrolled: 4-line block ×8, first 2 shown]
	v_add_co_u32 v117, vcc_lo, v115, s26
	s_wait_alu 0xfffd
	v_add_co_ci_u32_e64 v118, null, s27, v116, vcc_lo
	v_add_co_u32 v119, vcc_lo, s36, v73
	s_wait_alu 0xfffd
	v_add_co_ci_u32_e64 v120, null, s37, v74, vcc_lo
	;; [unrolled: 3-line block ×3, first 2 shown]
	global_load_b64 v[143:144], v[119:120], off
	v_add_co_u32 v123, vcc_lo, v121, s26
	s_wait_alu 0xfffd
	v_add_co_ci_u32_e64 v124, null, s27, v122, vcc_lo
	s_clause 0x3
	global_load_b64 v[109:110], v[109:110], off
	global_load_b64 v[111:112], v[111:112], off
	;; [unrolled: 1-line block ×4, first 2 shown]
	v_add_co_u32 v125, vcc_lo, v123, s26
	s_wait_alu 0xfffd
	v_add_co_ci_u32_e64 v126, null, s27, v124, vcc_lo
	global_load_b64 v[117:118], v[117:118], off
	v_add_co_u32 v127, vcc_lo, v125, s26
	s_wait_alu 0xfffd
	v_add_co_ci_u32_e64 v128, null, s27, v126, vcc_lo
	global_load_b64 v[119:120], v[121:122], off
	;; [unrolled: 4-line block ×3, first 2 shown]
	v_add_co_u32 v131, vcc_lo, v129, s26
	s_wait_alu 0xfffd
	v_add_co_ci_u32_e64 v132, null, s27, v130, vcc_lo
	s_delay_alu instid0(VALU_DEP_2) | instskip(SKIP_1) | instid1(VALU_DEP_2)
	v_add_co_u32 v139, vcc_lo, v131, s26
	s_wait_alu 0xfffd
	v_add_co_ci_u32_e64 v140, null, s27, v132, vcc_lo
	global_load_b64 v[123:124], v[125:126], off
	global_load_b64 v[125:126], v[127:128], off
	;; [unrolled: 1-line block ×5, first 2 shown]
	s_clause 0x3
	global_load_b64 v[133:134], v[133:134], off
	global_load_b64 v[135:136], v[135:136], off
	global_load_b64 v[137:138], v[137:138], off
	global_load_b64 v[139:140], v[141:142], off offset:512
	s_cbranch_scc0 .LBB76_10
; %bb.9:                                ;   in Loop: Header=BB76_8 Depth=2
	v_add_co_u32 v79, vcc_lo, v246, v145
	s_wait_alu 0xfffd
	v_add_co_ci_u32_e64 v80, null, 0, v247, vcc_lo
	v_add_co_u32 v81, vcc_lo, v248, v145
	s_wait_alu 0xfffd
	v_add_co_ci_u32_e64 v82, null, 0, v249, vcc_lo
	;; [unrolled: 3-line block ×15, first 2 shown]
	global_load_b64 v[77:78], v[141:142], off offset:1024
	global_load_b64 v[79:80], v[79:80], off
	global_load_b64 v[81:82], v[81:82], off
	global_load_b64 v[83:84], v[83:84], off
	global_load_b64 v[85:86], v[85:86], off
	global_load_b64 v[87:88], v[87:88], off
	global_load_b64 v[89:90], v[89:90], off
	global_load_b64 v[91:92], v[91:92], off
	global_load_b64 v[93:94], v[93:94], off
	global_load_b64 v[95:96], v[95:96], off
	global_load_b64 v[97:98], v[97:98], off
	global_load_b64 v[99:100], v[99:100], off
	global_load_b64 v[101:102], v[101:102], off
	global_load_b64 v[103:104], v[103:104], off
	global_load_b64 v[105:106], v[105:106], off
	global_load_b64 v[107:108], v[107:108], off
.LBB76_10:                              ;   in Loop: Header=BB76_8 Depth=2
	s_wait_loadcnt 0x10
	v_fma_f64 v[13:14], v[13:14], v[143:144], v[17:18]
	v_add_co_u32 v17, vcc_lo, s36, v75
	s_wait_alu 0xfffd
	v_add_co_ci_u32_e64 v18, null, s37, v76, vcc_lo
	v_fma_f64 v[27:28], v[29:30], v[143:144], v[27:28]
	v_fma_f64 v[2:3], v[11:12], v[143:144], v[2:3]
	;; [unrolled: 1-line block ×3, first 2 shown]
	global_load_b64 v[29:30], v[17:18], off
	v_fma_f64 v[47:48], v[67:68], v[143:144], v[47:48]
	v_fma_f64 v[49:50], v[65:66], v[143:144], v[49:50]
	v_fma_f64 v[41:42], v[63:64], v[143:144], v[41:42]
	v_fma_f64 v[43:44], v[61:62], v[143:144], v[43:44]
	v_fma_f64 v[37:38], v[59:60], v[143:144], v[37:38]
	v_fma_f64 v[39:40], v[57:58], v[143:144], v[39:40]
	v_fma_f64 v[31:32], v[55:56], v[143:144], v[31:32]
	v_fma_f64 v[33:34], v[53:54], v[143:144], v[33:34]
	v_fma_f64 v[25:26], v[45:46], v[143:144], v[25:26]
	v_fma_f64 v[19:20], v[23:24], v[143:144], v[19:20]
	v_fma_f64 v[15:16], v[15:16], v[143:144], v[21:22]
	v_fma_f64 v[23:24], v[71:72], v[143:144], v[35:36]
	v_add_co_u32 v244, vcc_lo, 0x400, v244
	s_wait_alu 0xfffd
	v_add_co_ci_u32_e64 v245, null, 0, v245, vcc_lo
	v_add_co_u32 v246, vcc_lo, 0x400, v246
	s_wait_alu 0xfffd
	v_add_co_ci_u32_e64 v247, null, 0, v247, vcc_lo
	;; [unrolled: 3-line block ×16, first 2 shown]
	s_add_co_i32 s39, s39, 1
	s_add_nc_u64 s[36:37], s[36:37], s[24:25]
	s_wait_alu 0xfffe
	s_cmp_ge_i32 s39, s1
	s_wait_loadcnt 0x0
	v_fma_f64 v[2:3], v[139:140], v[29:30], v[2:3]
	v_fma_f64 v[51:52], v[133:134], v[29:30], v[11:12]
	;; [unrolled: 1-line block ×16, first 2 shown]
	s_cbranch_scc1 .LBB76_13
; %bb.11:                               ;   in Loop: Header=BB76_8 Depth=2
	v_dual_mov_b32 v11, v77 :: v_dual_mov_b32 v12, v78
	v_dual_mov_b32 v69, v79 :: v_dual_mov_b32 v70, v80
	;; [unrolled: 1-line block ×16, first 2 shown]
	s_branch .LBB76_8
.LBB76_12:                              ;   in Loop: Header=BB76_4 Depth=1
	v_mov_b32_e32 v35, 0
	v_mov_b32_e32 v21, 0
	;; [unrolled: 1-line block ×6, first 2 shown]
	v_dual_mov_b32 v49, 0 :: v_dual_mov_b32 v36, 0
	v_dual_mov_b32 v17, 0 :: v_dual_mov_b32 v22, 0
	;; [unrolled: 1-line block ×7, first 2 shown]
	v_mov_b32_e32 v47, 0
	v_dual_mov_b32 v51, 0 :: v_dual_mov_b32 v2, 0
	v_mov_b32_e32 v18, 0
	v_mov_b32_e32 v20, 0
	;; [unrolled: 1-line block ×7, first 2 shown]
	v_dual_mov_b32 v52, 0 :: v_dual_mov_b32 v3, 0
.LBB76_13:                              ;   in Loop: Header=BB76_4 Depth=1
	ds_store_2addr_stride64_b64 v242, v[2:3], v[51:52] offset1:1
	ds_store_2addr_stride64_b64 v242, v[47:48], v[49:50] offset0:2 offset1:3
	ds_store_2addr_stride64_b64 v242, v[41:42], v[43:44] offset0:4 offset1:5
	;; [unrolled: 1-line block ×6, first 2 shown]
	ds_store_b64 v242, v[17:18] offset:7168
	ds_store_b64 v243, v[35:36]
	s_wait_storecnt_dscnt 0x0
	s_barrier_signal -1
	s_barrier_wait -1
	global_inv scope:SCOPE_SE
	s_and_saveexec_b32 s1, s0
	s_cbranch_execz .LBB76_2
; %bb.14:                               ;   in Loop: Header=BB76_4 Depth=1
	s_clause 0x4
	scratch_load_b32 v2, off, off
	scratch_load_b32 v11, off, off offset:4
	scratch_load_b32 v13, off, off offset:8
	;; [unrolled: 1-line block ×4, first 2 shown]
	s_mul_u64 s[36:37], s[28:29], s[2:3]
	s_wait_alu 0xfffe
	s_lshl_b64 s[36:37], s[36:37], 3
	s_wait_loadcnt 0x4
	ds_load_b64 v[2:3], v2
	s_wait_loadcnt 0x3
	ds_load_b64 v[11:12], v11
	;; [unrolled: 2-line block ×5, first 2 shown]
	s_wait_dscnt 0x4
	v_add_f64_e32 v[2:3], 0, v[2:3]
	s_wait_dscnt 0x3
	s_delay_alu instid0(VALU_DEP_1)
	v_add_f64_e32 v[2:3], v[2:3], v[11:12]
	scratch_load_b32 v11, off, off offset:16 ; 4-byte Folded Reload
	s_wait_dscnt 0x2
	v_add_f64_e32 v[2:3], v[2:3], v[13:14]
	scratch_load_b32 v13, off, off offset:20 ; 4-byte Folded Reload
	s_wait_dscnt 0x1
	v_add_f64_e32 v[2:3], v[2:3], v[15:16]
	scratch_load_b32 v15, off, off offset:24 ; 4-byte Folded Reload
	s_wait_loadcnt 0x2
	ds_load_b64 v[11:12], v11
	s_wait_loadcnt 0x1
	ds_load_b64 v[13:14], v13
	s_wait_loadcnt 0x0
	ds_load_b64 v[15:16], v15
	s_wait_dscnt 0x2
	v_add_f64_e32 v[2:3], v[2:3], v[11:12]
	scratch_load_b32 v11, off, off offset:32 ; 4-byte Folded Reload
	s_wait_dscnt 0x1
	v_add_f64_e32 v[2:3], v[2:3], v[13:14]
	scratch_load_b32 v13, off, off offset:36 ; 4-byte Folded Reload
	;; [unrolled: 3-line block ×3, first 2 shown]
	v_add_f64_e32 v[2:3], v[2:3], v[17:18]
	scratch_load_b32 v17, off, off offset:44 ; 4-byte Folded Reload
	s_wait_loadcnt 0x3
	ds_load_b64 v[11:12], v11
	s_wait_loadcnt 0x2
	ds_load_b64 v[13:14], v13
	;; [unrolled: 2-line block ×4, first 2 shown]
	s_wait_dscnt 0x3
	v_add_f64_e32 v[2:3], v[2:3], v[11:12]
	scratch_load_b32 v11, off, off offset:48 ; 4-byte Folded Reload
	s_wait_dscnt 0x2
	v_add_f64_e32 v[2:3], v[2:3], v[13:14]
	scratch_load_b32 v13, off, off offset:52 ; 4-byte Folded Reload
	;; [unrolled: 3-line block ×4, first 2 shown]
	s_wait_loadcnt 0x3
	ds_load_b64 v[11:12], v11
	s_wait_loadcnt 0x2
	ds_load_b64 v[13:14], v13
	;; [unrolled: 2-line block ×4, first 2 shown]
	s_wait_dscnt 0x3
	v_add_f64_e32 v[2:3], v[2:3], v[11:12]
	scratch_load_b32 v11, off, off offset:64 ; 4-byte Folded Reload
	s_wait_dscnt 0x2
	v_add_f64_e32 v[2:3], v[2:3], v[13:14]
	scratch_load_b32 v13, off, off offset:68 ; 4-byte Folded Reload
	;; [unrolled: 3-line block ×4, first 2 shown]
	s_wait_loadcnt 0x3
	ds_load_b64 v[11:12], v11
	s_wait_loadcnt 0x2
	ds_load_b64 v[13:14], v13
	;; [unrolled: 2-line block ×4, first 2 shown]
	s_wait_dscnt 0x3
	v_add_f64_e32 v[2:3], v[2:3], v[11:12]
	s_wait_dscnt 0x2
	s_delay_alu instid0(VALU_DEP_1) | instskip(SKIP_1) | instid1(VALU_DEP_1)
	v_add_f64_e32 v[2:3], v[2:3], v[13:14]
	s_wait_dscnt 0x1
	v_add_f64_e32 v[2:3], v[2:3], v[15:16]
	s_wait_dscnt 0x0
	s_delay_alu instid0(VALU_DEP_1)
	v_add_f64_e32 v[2:3], v[2:3], v[17:18]
	ds_load_b64 v[11:12], v166
	ds_load_b64 v[13:14], v167
	ds_load_b64 v[15:16], v168
	ds_load_b64 v[17:18], v169
	s_wait_dscnt 0x3
	v_add_f64_e32 v[2:3], v[2:3], v[11:12]
	s_wait_dscnt 0x2
	s_delay_alu instid0(VALU_DEP_1) | instskip(SKIP_1) | instid1(VALU_DEP_1)
	v_add_f64_e32 v[2:3], v[2:3], v[13:14]
	s_wait_dscnt 0x1
	v_add_f64_e32 v[2:3], v[2:3], v[15:16]
	s_wait_dscnt 0x0
	s_delay_alu instid0(VALU_DEP_1)
	v_add_f64_e32 v[2:3], v[2:3], v[17:18]
	ds_load_b64 v[11:12], v170
	ds_load_b64 v[13:14], v171
	ds_load_b64 v[15:16], v172
	ds_load_b64 v[17:18], v173
	;; [unrolled: 14-line block ×10, first 2 shown]
	s_wait_dscnt 0x3
	v_add_f64_e32 v[19:20], v[2:3], v[11:12]
	s_wait_alu 0xfffe
	v_add_co_u32 v11, vcc_lo, v210, s36
	s_wait_alu 0xfffd
	v_add_co_ci_u32_e64 v12, null, s37, v211, vcc_lo
	s_mov_b32 s36, 0
	global_load_b64 v[2:3], v[11:12], off
	s_wait_dscnt 0x2
	v_add_f64_e32 v[13:14], v[19:20], v[13:14]
	s_wait_dscnt 0x1
	s_delay_alu instid0(VALU_DEP_1) | instskip(SKIP_1) | instid1(VALU_DEP_1)
	v_add_f64_e32 v[13:14], v[13:14], v[15:16]
	s_wait_dscnt 0x0
	v_add_f64_e32 v[13:14], v[13:14], v[17:18]
	ds_load_b64 v[15:16], v206
	ds_load_b64 v[17:18], v207
	;; [unrolled: 1-line block ×4, first 2 shown]
	s_wait_dscnt 0x3
	v_add_f64_e32 v[13:14], v[13:14], v[15:16]
	s_wait_dscnt 0x2
	s_delay_alu instid0(VALU_DEP_1) | instskip(SKIP_1) | instid1(VALU_DEP_1)
	v_add_f64_e32 v[13:14], v[13:14], v[17:18]
	s_wait_dscnt 0x1
	v_add_f64_e32 v[13:14], v[13:14], v[19:20]
	s_wait_dscnt 0x0
	s_delay_alu instid0(VALU_DEP_1) | instskip(NEXT) | instid1(VALU_DEP_1)
	v_add_f64_e32 v[13:14], v[13:14], v[21:22]
	v_mul_f64_e32 v[13:14], v[0:1], v[13:14]
.LBB76_15:                              ;   Parent Loop BB76_4 Depth=1
                                        ; =>  This Inner Loop Header: Depth=2
	s_wait_loadcnt 0x0
	s_delay_alu instid0(VALU_DEP_1)
	v_add_f64_e32 v[0:1], v[2:3], v[13:14]
	global_atomic_cmpswap_b64 v[0:1], v[11:12], v[0:3], off th:TH_ATOMIC_RETURN scope:SCOPE_DEV
	s_wait_loadcnt 0x0
	v_cmp_eq_u64_e32 vcc_lo, v[0:1], v[2:3]
	v_dual_mov_b32 v3, v1 :: v_dual_mov_b32 v2, v0
	s_wait_alu 0xfffe
	s_or_b32 s36, vcc_lo, s36
	s_wait_alu 0xfffe
	s_and_not1_b32 exec_lo, exec_lo, s36
	s_cbranch_execnz .LBB76_15
	s_branch .LBB76_2
.LBB76_16:
	s_nop 0
	s_sendmsg sendmsg(MSG_DEALLOC_VGPRS)
	s_endpgm
	.section	.rodata,"a",@progbits
	.p2align	6, 0x0
	.amdhsa_kernel _ZL36rocblas_gemvt_double_buffered_kernelILb0ELi128ELi4ELi16EdPKddEviiT4_lPKT3_lilS5_lilPT5_lili
		.amdhsa_group_segment_fixed_size 65536
		.amdhsa_private_segment_fixed_size 84
		.amdhsa_kernarg_size 384
		.amdhsa_user_sgpr_count 2
		.amdhsa_user_sgpr_dispatch_ptr 0
		.amdhsa_user_sgpr_queue_ptr 0
		.amdhsa_user_sgpr_kernarg_segment_ptr 1
		.amdhsa_user_sgpr_dispatch_id 0
		.amdhsa_user_sgpr_private_segment_size 0
		.amdhsa_wavefront_size32 1
		.amdhsa_uses_dynamic_stack 0
		.amdhsa_enable_private_segment 1
		.amdhsa_system_sgpr_workgroup_id_x 1
		.amdhsa_system_sgpr_workgroup_id_y 1
		.amdhsa_system_sgpr_workgroup_id_z 1
		.amdhsa_system_sgpr_workgroup_info 0
		.amdhsa_system_vgpr_workitem_id 1
		.amdhsa_next_free_vgpr 256
		.amdhsa_next_free_sgpr 43
		.amdhsa_reserve_vcc 1
		.amdhsa_float_round_mode_32 0
		.amdhsa_float_round_mode_16_64 0
		.amdhsa_float_denorm_mode_32 3
		.amdhsa_float_denorm_mode_16_64 3
		.amdhsa_fp16_overflow 0
		.amdhsa_workgroup_processor_mode 1
		.amdhsa_memory_ordered 1
		.amdhsa_forward_progress 1
		.amdhsa_inst_pref_size 63
		.amdhsa_round_robin_scheduling 0
		.amdhsa_exception_fp_ieee_invalid_op 0
		.amdhsa_exception_fp_denorm_src 0
		.amdhsa_exception_fp_ieee_div_zero 0
		.amdhsa_exception_fp_ieee_overflow 0
		.amdhsa_exception_fp_ieee_underflow 0
		.amdhsa_exception_fp_ieee_inexact 0
		.amdhsa_exception_int_div_zero 0
	.end_amdhsa_kernel
	.section	.text._ZL36rocblas_gemvt_double_buffered_kernelILb0ELi128ELi4ELi16EdPKddEviiT4_lPKT3_lilS5_lilPT5_lili,"axG",@progbits,_ZL36rocblas_gemvt_double_buffered_kernelILb0ELi128ELi4ELi16EdPKddEviiT4_lPKT3_lilS5_lilPT5_lili,comdat
.Lfunc_end76:
	.size	_ZL36rocblas_gemvt_double_buffered_kernelILb0ELi128ELi4ELi16EdPKddEviiT4_lPKT3_lilS5_lilPT5_lili, .Lfunc_end76-_ZL36rocblas_gemvt_double_buffered_kernelILb0ELi128ELi4ELi16EdPKddEviiT4_lPKT3_lilS5_lilPT5_lili
                                        ; -- End function
	.set _ZL36rocblas_gemvt_double_buffered_kernelILb0ELi128ELi4ELi16EdPKddEviiT4_lPKT3_lilS5_lilPT5_lili.num_vgpr, 256
	.set _ZL36rocblas_gemvt_double_buffered_kernelILb0ELi128ELi4ELi16EdPKddEviiT4_lPKT3_lilS5_lilPT5_lili.num_agpr, 0
	.set _ZL36rocblas_gemvt_double_buffered_kernelILb0ELi128ELi4ELi16EdPKddEviiT4_lPKT3_lilS5_lilPT5_lili.numbered_sgpr, 43
	.set _ZL36rocblas_gemvt_double_buffered_kernelILb0ELi128ELi4ELi16EdPKddEviiT4_lPKT3_lilS5_lilPT5_lili.num_named_barrier, 0
	.set _ZL36rocblas_gemvt_double_buffered_kernelILb0ELi128ELi4ELi16EdPKddEviiT4_lPKT3_lilS5_lilPT5_lili.private_seg_size, 84
	.set _ZL36rocblas_gemvt_double_buffered_kernelILb0ELi128ELi4ELi16EdPKddEviiT4_lPKT3_lilS5_lilPT5_lili.uses_vcc, 1
	.set _ZL36rocblas_gemvt_double_buffered_kernelILb0ELi128ELi4ELi16EdPKddEviiT4_lPKT3_lilS5_lilPT5_lili.uses_flat_scratch, 1
	.set _ZL36rocblas_gemvt_double_buffered_kernelILb0ELi128ELi4ELi16EdPKddEviiT4_lPKT3_lilS5_lilPT5_lili.has_dyn_sized_stack, 0
	.set _ZL36rocblas_gemvt_double_buffered_kernelILb0ELi128ELi4ELi16EdPKddEviiT4_lPKT3_lilS5_lilPT5_lili.has_recursion, 0
	.set _ZL36rocblas_gemvt_double_buffered_kernelILb0ELi128ELi4ELi16EdPKddEviiT4_lPKT3_lilS5_lilPT5_lili.has_indirect_call, 0
	.section	.AMDGPU.csdata,"",@progbits
; Kernel info:
; codeLenInByte = 8000
; TotalNumSgprs: 45
; NumVgprs: 256
; ScratchSize: 84
; MemoryBound: 0
; FloatMode: 240
; IeeeMode: 1
; LDSByteSize: 65536 bytes/workgroup (compile time only)
; SGPRBlocks: 0
; VGPRBlocks: 31
; NumSGPRsForWavesPerEU: 45
; NumVGPRsForWavesPerEU: 256
; Occupancy: 5
; WaveLimiterHint : 0
; COMPUTE_PGM_RSRC2:SCRATCH_EN: 1
; COMPUTE_PGM_RSRC2:USER_SGPR: 2
; COMPUTE_PGM_RSRC2:TRAP_HANDLER: 0
; COMPUTE_PGM_RSRC2:TGID_X_EN: 1
; COMPUTE_PGM_RSRC2:TGID_Y_EN: 1
; COMPUTE_PGM_RSRC2:TGID_Z_EN: 1
; COMPUTE_PGM_RSRC2:TIDIG_COMP_CNT: 1
	.section	.text._ZL36rocblas_gemvt_double_buffered_kernelILb0ELi128ELi4ELi16EdddEviiT4_lPKT3_lilS3_lilPT5_lili,"axG",@progbits,_ZL36rocblas_gemvt_double_buffered_kernelILb0ELi128ELi4ELi16EdddEviiT4_lPKT3_lilS3_lilPT5_lili,comdat
	.globl	_ZL36rocblas_gemvt_double_buffered_kernelILb0ELi128ELi4ELi16EdddEviiT4_lPKT3_lilS3_lilPT5_lili ; -- Begin function _ZL36rocblas_gemvt_double_buffered_kernelILb0ELi128ELi4ELi16EdddEviiT4_lPKT3_lilS3_lilPT5_lili
	.p2align	8
	.type	_ZL36rocblas_gemvt_double_buffered_kernelILb0ELi128ELi4ELi16EdddEviiT4_lPKT3_lilS3_lilPT5_lili,@function
_ZL36rocblas_gemvt_double_buffered_kernelILb0ELi128ELi4ELi16EdddEviiT4_lPKT3_lilS3_lilPT5_lili: ; @_ZL36rocblas_gemvt_double_buffered_kernelILb0ELi128ELi4ELi16EdddEviiT4_lPKT3_lilS3_lilPT5_lili
; %bb.0:
	s_load_b32 s33, s[0:1], 0x78
	s_lshr_b32 s2, ttmp7, 16
	s_wait_kmcnt 0x0
	s_cmp_ge_u32 s2, s33
	s_cbranch_scc1 .LBB77_16
; %bb.1:
	v_and_b32_e32 v4, 0x3ff, v0
	v_bfe_u32 v5, v0, 10, 10
	s_clause 0x8
	s_load_b32 s34, s[0:1], 0x28
	s_load_b96 s[16:18], s[0:1], 0x40
	s_load_b96 s[20:22], s[0:1], 0x60
	s_load_b128 s[12:15], s[0:1], 0x18
	s_load_b32 s3, s[0:1], 0x0
	s_load_b128 s[8:11], s[0:1], 0x50
	s_load_b128 s[4:7], s[0:1], 0x30
	s_load_b64 s[24:25], s[0:1], 0x8
	s_load_b64 s[26:27], s[0:1], 0x70
	v_dual_mov_b32 v3, 0 :: v_dual_and_b32 v2, 63, v0
	s_lshl_b32 s30, ttmp9, 7
	v_lshl_add_u32 v8, v5, 7, v4
	s_ashr_i32 s31, s30, 31
	s_delay_alu instid0(VALU_DEP_2)
	v_lshlrev_b32_e32 v142, 3, v2
	v_lshlrev_b32_e32 v11, 9, v4
	v_add_nc_u32_e32 v12, 6, v4
	v_lshrrev_b32_e32 v9, 2, v8
	s_and_b32 s40, ttmp7, 0xffff
	s_wait_kmcnt 0x0
	s_ashr_i32 s35, s34, 31
	v_and_b32_e32 v12, 63, v12
	v_and_b32_e32 v10, 0x7ff0, v9
	s_lshl_b64 s[14:15], s[14:15], 3
	v_lshl_or_b32 v14, v9, 9, 0x1e00
	s_add_nc_u64 s[36:37], s[12:13], s[14:15]
	s_mul_u64 s[14:15], s[34:35], s[30:31]
	v_mad_co_i64_i32 v[0:1], null, s34, v10, v[2:3]
	v_add_nc_u32_e32 v3, 1, v4
	s_add_nc_u64 s[12:13], s[0:1], 0x80
	s_lshl_b64 s[0:1], s[14:15], 3
	v_add_nc_u32_e32 v9, 4, v4
	s_add_nc_u64 s[14:15], s[36:37], s[0:1]
	v_and_b32_e32 v3, 63, v3
	v_cmp_eq_u32_e64 s0, 0, v5
	v_or_b32_e32 v5, v11, v142
	v_lshlrev_b32_e32 v13, 9, v10
	v_add_nc_u32_e32 v10, 5, v4
	v_lshl_or_b32 v3, v3, 3, v11
	v_and_b32_e32 v9, 63, v9
	scratch_store_b32 off, v5, off          ; 4-byte Folded Spill
	v_add_nc_u32_e32 v5, 3, v4
	v_and_b32_e32 v10, 63, v10
	scratch_store_b32 off, v3, off offset:4 ; 4-byte Folded Spill
	v_add_nc_u32_e32 v3, 2, v4
	v_xor_b32_e32 v2, 32, v2
	v_and_b32_e32 v5, 63, v5
	s_lshl_b64 s[20:21], s[20:21], 3
	s_ashr_i32 s23, s3, 31
	v_and_b32_e32 v3, 63, v3
	v_lshl_or_b32 v175, v2, 3, v11
	s_ashr_i32 s29, s22, 31
	s_mov_b32 s28, s22
	s_add_nc_u64 s[20:21], s[10:11], s[20:21]
	v_lshl_or_b32 v3, v3, 3, v11
	s_lshr_b32 s10, s23, 25
	s_mul_u64 s[28:29], s[28:29], s[30:31]
	v_cvt_f64_i32_e32 v[6:7], s40
	s_lshl_b64 s[28:29], s[28:29], 3
	scratch_store_b32 off, v3, off offset:8 ; 4-byte Folded Spill
	v_lshl_or_b32 v3, v5, 3, v11
	v_add_nc_u32_e32 v5, 8, v4
	s_add_nc_u64 s[28:29], s[20:21], s[28:29]
	s_add_co_i32 s3, s3, s10
	v_add_nc_u32_e32 v239, v142, v13
	scratch_store_b32 off, v3, off offset:12 ; 4-byte Folded Spill
	v_lshl_or_b32 v3, v9, 3, v11
	v_add_nc_u32_e32 v9, 9, v4
	v_and_b32_e32 v5, 63, v5
	v_add_nc_u32_e32 v240, v142, v14
	s_ashr_i32 s19, s18, 31
	scratch_store_b32 off, v3, off offset:16 ; 4-byte Folded Spill
	v_lshl_or_b32 v3, v10, 3, v11
	v_add_nc_u32_e32 v10, 10, v4
	v_and_b32_e32 v9, 63, v9
	s_ashr_i32 s10, s3, 7
	s_mov_b32 s3, 0
	scratch_store_b32 off, v3, off offset:20 ; 4-byte Folded Spill
	v_lshl_or_b32 v3, v12, 3, v11
	v_add_nc_u32_e32 v12, 11, v4
	v_and_b32_e32 v10, 63, v10
	s_mul_u64 s[38:39], s[34:35], 15
	s_lshl_b64 s[16:17], s[16:17], 3
	scratch_store_b32 off, v3, off offset:24 ; 4-byte Folded Spill
	v_add_nc_u32_e32 v3, 7, v4
	v_and_b32_e32 v12, 63, v12
	s_lshl_b64 s[20:21], s[18:19], 10
	s_mov_b32 s11, s3
	s_add_nc_u64 s[6:7], s[6:7], s[16:17]
	v_and_b32_e32 v3, 63, v3
	s_lshl_b64 s[8:9], s[8:9], 3
	s_lshl_b64 s[16:17], s[38:39], 3
	s_delay_alu instid0(VALU_DEP_1)
	v_lshl_or_b32 v3, v3, 3, v11
	v_max_num_f64_e32 v[6:7], v[6:7], v[6:7]
	scratch_store_b32 off, v3, off offset:28 ; 4-byte Folded Spill
	v_lshl_or_b32 v3, v5, 3, v11
	v_add_nc_u32_e32 v5, 13, v4
	scratch_store_b32 off, v3, off offset:32 ; 4-byte Folded Spill
	v_lshl_or_b32 v3, v9, 3, v11
	v_add_nc_u32_e32 v9, 14, v4
	v_and_b32_e32 v5, 63, v5
	scratch_store_b32 off, v3, off offset:36 ; 4-byte Folded Spill
	v_lshl_or_b32 v3, v10, 3, v11
	v_add_nc_u32_e32 v10, 15, v4
	v_and_b32_e32 v9, 63, v9
	;; [unrolled: 4-line block ×3, first 2 shown]
	scratch_store_b32 off, v3, off offset:44 ; 4-byte Folded Spill
	v_add_nc_u32_e32 v3, 12, v4
	v_and_b32_e32 v12, 63, v12
	s_delay_alu instid0(VALU_DEP_2) | instskip(NEXT) | instid1(VALU_DEP_1)
	v_and_b32_e32 v3, 63, v3
	v_lshl_or_b32 v3, v3, 3, v11
	scratch_store_b32 off, v3, off offset:48 ; 4-byte Folded Spill
	v_lshl_or_b32 v3, v5, 3, v11
	v_add_nc_u32_e32 v5, 18, v4
	scratch_store_b32 off, v3, off offset:52 ; 4-byte Folded Spill
	v_lshl_or_b32 v3, v9, 3, v11
	v_add_nc_u32_e32 v9, 19, v4
	v_and_b32_e32 v5, 63, v5
	scratch_store_b32 off, v3, off offset:56 ; 4-byte Folded Spill
	v_lshl_or_b32 v3, v10, 3, v11
	v_add_nc_u32_e32 v10, 20, v4
	v_and_b32_e32 v9, 63, v9
	v_lshl_or_b32 v161, v5, 3, v11
	v_add_nc_u32_e32 v5, 23, v4
	scratch_store_b32 off, v3, off offset:60 ; 4-byte Folded Spill
	v_lshl_or_b32 v3, v12, 3, v11
	v_and_b32_e32 v10, 63, v10
	v_lshl_or_b32 v162, v9, 3, v11
	v_add_nc_u32_e32 v9, 24, v4
	v_and_b32_e32 v5, 63, v5
	scratch_store_b32 off, v3, off offset:64 ; 4-byte Folded Spill
	v_add_nc_u32_e32 v3, 17, v4
	v_lshl_or_b32 v163, v10, 3, v11
	v_add_nc_u32_e32 v10, 25, v4
	v_and_b32_e32 v9, 63, v9
	v_lshl_or_b32 v166, v5, 3, v11
	v_and_b32_e32 v3, 63, v3
	v_add_nc_u32_e32 v5, 28, v4
	v_and_b32_e32 v10, 63, v10
	v_lshl_or_b32 v167, v9, 3, v11
	v_add_nc_u32_e32 v9, 29, v4
	v_lshl_or_b32 v160, v3, 3, v11
	v_add_nc_u32_e32 v3, 22, v4
	;; [unrolled: 2-line block ×3, first 2 shown]
	v_and_b32_e32 v9, 63, v9
	v_and_b32_e32 v5, 63, v5
	;; [unrolled: 1-line block ×3, first 2 shown]
	v_add_nc_u32_e32 v12, 21, v4
	v_and_b32_e32 v10, 63, v10
	v_lshl_or_b32 v172, v9, 3, v11
	v_add_nc_u32_e32 v9, 35, v4
	v_lshl_or_b32 v165, v3, 3, v11
	v_add_nc_u32_e32 v3, 27, v4
	;; [unrolled: 2-line block ×3, first 2 shown]
	v_and_b32_e32 v2, 63, v9
	v_lshl_or_b32 v171, v5, 3, v11
	v_and_b32_e32 v3, 63, v3
	v_add_nc_u32_e32 v5, 34, v4
	v_and_b32_e32 v9, 63, v10
	v_lshl_or_b32 v178, v2, 3, v11
	v_add_nc_u32_e32 v2, 38, v4
	v_lshl_or_b32 v170, v3, 3, v11
	v_add_nc_u32_e32 v3, 33, v4
	v_and_b32_e32 v5, 63, v5
	v_lshl_or_b32 v179, v9, 3, v11
	v_add_nc_u32_e32 v9, 40, v4
	v_add_nc_u32_e32 v10, 41, v4
	v_and_b32_e32 v3, 63, v3
	v_and_b32_e32 v2, 63, v2
	v_lshl_or_b32 v177, v5, 3, v11
	v_add_nc_u32_e32 v5, 39, v4
	v_and_b32_e32 v12, 63, v12
	v_lshl_or_b32 v176, v3, 3, v11
	v_add_nc_u32_e32 v3, 37, v4
	v_lshl_or_b32 v181, v2, 3, v11
	v_add_nc_u32_e32 v2, 42, v4
	v_and_b32_e32 v5, 63, v5
	v_lshl_or_b32 v164, v12, 3, v11
	v_and_b32_e32 v3, 63, v3
	v_add_nc_u32_e32 v12, 26, v4
	v_and_b32_e32 v2, 63, v2
	v_lshl_or_b32 v182, v5, 3, v11
	v_add_nc_u32_e32 v5, 44, v4
	v_lshl_or_b32 v180, v3, 3, v11
	v_and_b32_e32 v3, 63, v9
	v_and_b32_e32 v9, 63, v10
	v_add_nc_u32_e32 v10, 46, v4
	v_lshl_or_b32 v185, v2, 3, v11
	v_and_b32_e32 v5, 63, v5
	v_lshl_or_b32 v183, v3, 3, v11
	v_lshl_or_b32 v184, v9, 3, v11
	v_add_nc_u32_e32 v3, 43, v4
	v_add_nc_u32_e32 v9, 45, v4
	v_lshl_or_b32 v187, v5, 3, v11
	v_add_nc_u32_e32 v5, 49, v4
	v_and_b32_e32 v12, 63, v12
	v_and_b32_e32 v3, 63, v3
	;; [unrolled: 1-line block ×4, first 2 shown]
	v_add_nc_u32_e32 v10, 51, v4
	v_and_b32_e32 v5, 63, v5
	v_lshl_or_b32 v186, v3, 3, v11
	v_add_nc_u32_e32 v3, 47, v4
	v_lshl_or_b32 v188, v2, 3, v11
	v_add_nc_u32_e32 v2, 48, v4
	;; [unrolled: 2-line block ×3, first 2 shown]
	v_and_b32_e32 v3, 63, v3
	v_lshl_or_b32 v192, v5, 3, v11
	v_and_b32_e32 v2, 63, v2
	v_add_nc_u32_e32 v5, 54, v4
	v_lshl_or_b32 v169, v12, 3, v11
	v_lshl_or_b32 v190, v3, 3, v11
	v_and_b32_e32 v3, 63, v9
	v_and_b32_e32 v9, 63, v10
	v_lshl_or_b32 v191, v2, 3, v11
	v_add_nc_u32_e32 v2, 52, v4
	v_add_nc_u32_e32 v10, 56, v4
	v_lshl_or_b32 v193, v3, 3, v11
	v_lshl_or_b32 v194, v9, 3, v11
	v_add_nc_u32_e32 v3, 53, v4
	v_and_b32_e32 v2, 63, v2
	v_add_nc_u32_e32 v9, 55, v4
	v_and_b32_e32 v5, 63, v5
	;; [unrolled: 2-line block ×3, first 2 shown]
	v_lshl_or_b32 v195, v2, 3, v11
	v_and_b32_e32 v2, 63, v9
	v_and_b32_e32 v9, 63, v10
	v_lshl_or_b32 v197, v5, 3, v11
	v_lshl_or_b32 v196, v3, 3, v11
	v_add_nc_u32_e32 v3, 57, v4
	v_lshl_or_b32 v198, v2, 3, v11
	v_add_nc_u32_e32 v2, 58, v4
	v_add_nc_u32_e32 v5, 59, v4
	v_lshl_or_b32 v199, v9, 3, v11
	v_and_b32_e32 v3, 63, v3
	v_add_nc_u32_e32 v9, 60, v4
	v_add_nc_u32_e32 v10, 61, v4
	v_and_b32_e32 v2, 63, v2
	v_and_b32_e32 v5, 63, v5
	v_lshl_or_b32 v200, v3, 3, v11
	v_and_b32_e32 v3, 63, v9
	v_and_b32_e32 v9, 63, v10
	v_lshl_or_b32 v201, v2, 3, v11
	v_lshl_or_b32 v202, v5, 3, v11
	v_add_nc_u32_e32 v2, 62, v4
	v_lshlrev_b32_e32 v5, 1, v8
	v_and_b32_e32 v12, 63, v12
	v_lshl_or_b32 v203, v3, 3, v11
	v_lshl_or_b32 v204, v9, 3, v11
	v_add_nc_u32_e32 v8, -1, v4
	v_and_b32_e32 v9, 63, v2
	v_mad_co_i64_i32 v[2:3], null, s22, v4, 0
	v_and_b32_e32 v4, 0x3ff80, v5
	s_lshl_b64 s[22:23], s[30:31], 3
	v_lshl_or_b32 v174, v12, 3, v11
	v_and_b32_e32 v5, 63, v8
	v_lshl_or_b32 v205, v9, 3, v11
	s_wait_alu 0xfffe
	v_add_co_u32 v12, s1, v4, s22
	s_delay_alu instid0(VALU_DEP_1) | instskip(SKIP_1) | instid1(VALU_DEP_3)
	v_add_co_ci_u32_e64 v8, null, 0, s23, s1
	v_lshl_or_b32 v206, v5, 3, v11
	v_mad_co_u64_u32 v[4:5], null, v12, s34, s[36:37]
	v_mul_lo_u32 v11, v12, s35
	s_delay_alu instid0(VALU_DEP_4)
	v_mul_lo_u32 v15, v8, s34
	v_lshlrev_b64_e32 v[2:3], 3, v[2:3]
	v_or_b32_e32 v10, 8, v12
	v_or_b32_e32 v17, 24, v12
	v_cmp_neq_f64_e64 s1, s[24:25], 0
	s_lshl_b64 s[22:23], s[34:35], 3
	s_lshl_b64 s[30:31], s[4:5], 3
	v_mad_co_u64_u32 v[8:9], null, v10, s34, s[36:37]
	v_add3_u32 v5, v15, v5, v11
	v_or_b32_e32 v11, 16, v12
	v_mul_lo_u32 v10, v10, s35
	v_add_co_u32 v207, vcc_lo, s28, v2
	s_delay_alu instid0(VALU_DEP_1) | instskip(NEXT) | instid1(VALU_DEP_4)
	v_add_co_ci_u32_e64 v208, null, s29, v3, vcc_lo
	v_mad_co_u64_u32 v[2:3], null, v11, s34, s[36:37]
	v_mul_lo_u32 v11, v11, s35
	v_add3_u32 v16, v15, v9, v10
	v_mad_co_u64_u32 v[9:10], null, v17, s34, s[36:37]
	v_mul_lo_u32 v17, v17, s35
	v_add_co_u32 v209, vcc_lo, 0x400, v8
	v_or_b32_e32 v8, 32, v12
	v_add3_u32 v3, v15, v3, v11
	s_wait_alu 0xfffd
	v_add_co_ci_u32_e64 v210, null, 0, v16, vcc_lo
	v_add_co_u32 v211, vcc_lo, 0x400, v2
	s_wait_alu 0xfffd
	v_add_co_ci_u32_e64 v212, null, 0, v3, vcc_lo
	v_add3_u32 v16, v15, v10, v17
	v_or_b32_e32 v17, 40, v12
	v_mad_co_u64_u32 v[2:3], null, v8, s34, s[36:37]
	v_mul_lo_u32 v8, v8, s35
	v_add_co_u32 v213, vcc_lo, 0x400, v9
	s_delay_alu instid0(VALU_DEP_4)
	v_mad_co_u64_u32 v[10:11], null, v17, s34, s[36:37]
	v_mul_lo_u32 v17, v17, s35
	s_wait_alu 0xfffd
	v_add_co_ci_u32_e64 v214, null, 0, v16, vcc_lo
	v_add3_u32 v3, v15, v3, v8
	v_or_b32_e32 v8, 48, v12
	v_add_co_u32 v215, vcc_lo, 0x400, v2
	v_or_b32_e32 v16, 56, v12
	s_wait_alu 0xfffd
	v_add_co_ci_u32_e64 v216, null, 0, v3, vcc_lo
	v_add3_u32 v11, v15, v11, v17
	v_mad_co_u64_u32 v[2:3], null, v8, s34, s[36:37]
	v_mul_lo_u32 v17, v8, s35
	v_add_co_u32 v217, vcc_lo, 0x400, v10
	v_or_b32_e32 v10, 64, v12
	v_mad_co_u64_u32 v[8:9], null, v16, s34, s[36:37]
	v_mul_lo_u32 v16, v16, s35
	s_wait_alu 0xfffd
	v_add_co_ci_u32_e64 v218, null, 0, v11, vcc_lo
	v_add3_u32 v3, v15, v3, v17
	v_add_co_u32 v219, vcc_lo, 0x400, v2
	v_mul_lo_u32 v17, v10, s35
	s_wait_alu 0xfffe
	s_sub_nc_u64 s[28:29], 0, s[22:23]
	s_wait_alu 0xfffd
	v_add_co_ci_u32_e64 v220, null, 0, v3, vcc_lo
	v_mad_co_u64_u32 v[2:3], null, v10, s34, s[36:37]
	v_add3_u32 v11, v15, v9, v16
	v_or_b32_e32 v16, 0x48, v12
	v_add_co_u32 v221, vcc_lo, 0x400, v8
	v_or_b32_e32 v8, 0x50, v12
	s_wait_alu 0xfffd
	v_add_co_ci_u32_e64 v222, null, 0, v11, vcc_lo
	v_add3_u32 v3, v15, v3, v17
	v_mad_co_u64_u32 v[9:10], null, v16, s34, s[36:37]
	v_mul_lo_u32 v16, v16, s35
	v_add_co_u32 v223, vcc_lo, 0x400, v2
	s_wait_alu 0xfffd
	v_add_co_ci_u32_e64 v224, null, 0, v3, vcc_lo
	v_or_b32_e32 v17, 0x58, v12
	v_mad_co_u64_u32 v[2:3], null, v8, s34, s[36:37]
	v_mul_lo_u32 v8, v8, s35
	v_add3_u32 v16, v15, v10, v16
	s_delay_alu instid0(VALU_DEP_4)
	v_mad_co_u64_u32 v[10:11], null, v17, s34, s[36:37]
	v_mul_lo_u32 v17, v17, s35
	v_add_co_u32 v225, vcc_lo, 0x400, v9
	s_wait_alu 0xfffd
	v_add_co_ci_u32_e64 v226, null, 0, v16, vcc_lo
	v_add3_u32 v3, v15, v3, v8
	v_or_b32_e32 v8, 0x60, v12
	v_add_co_u32 v227, vcc_lo, 0x400, v2
	v_or_b32_e32 v16, 0x68, v12
	s_wait_alu 0xfffd
	v_add_co_ci_u32_e64 v228, null, 0, v3, vcc_lo
	v_add3_u32 v11, v15, v11, v17
	v_mad_co_u64_u32 v[2:3], null, v8, s34, s[36:37]
	v_mul_lo_u32 v17, v8, s35
	v_mad_co_u64_u32 v[8:9], null, v16, s34, s[36:37]
	v_mul_lo_u32 v16, v16, s35
	v_add_co_u32 v229, vcc_lo, 0x400, v10
	s_wait_alu 0xfffd
	v_add_co_ci_u32_e64 v230, null, 0, v11, vcc_lo
	v_or_b32_e32 v11, 0x70, v12
	v_add3_u32 v3, v15, v3, v17
	v_or_b32_e32 v17, 0x78, v12
	v_add3_u32 v16, v15, v9, v16
	v_add_co_u32 v231, vcc_lo, 0x400, v2
	v_mad_co_u64_u32 v[9:10], null, v11, s34, s[36:37]
	v_mul_lo_u32 v18, v11, s35
	v_mad_co_u64_u32 v[11:12], null, v17, s34, s[36:37]
	v_mul_lo_u32 v17, v17, s35
	s_wait_alu 0xfffd
	v_add_co_ci_u32_e64 v232, null, 0, v3, vcc_lo
	v_add_co_u32 v233, vcc_lo, 0x400, v8
	v_add3_u32 v2, v15, v10, v18
	s_wait_alu 0xfffd
	v_add_co_ci_u32_e64 v234, null, 0, v16, vcc_lo
	v_add3_u32 v3, v15, v12, v17
	v_add_co_u32 v235, vcc_lo, 0x400, v9
	s_wait_alu 0xfffd
	v_add_co_ci_u32_e64 v236, null, 0, v2, vcc_lo
	v_add_co_u32 v237, vcc_lo, 0x400, v11
	v_lshlrev_b64_e32 v[8:9], 3, v[0:1]
	s_wait_alu 0xfffd
	v_add_co_ci_u32_e64 v238, null, 0, v3, vcc_lo
	s_branch .LBB77_4
.LBB77_2:                               ;   in Loop: Header=BB77_4 Depth=1
	s_wait_alu 0xfffe
	s_or_b32 exec_lo, exec_lo, s34
.LBB77_3:                               ;   in Loop: Header=BB77_4 Depth=1
	s_add_co_i32 s2, s2, 0x10000
	s_delay_alu instid0(SALU_CYCLE_1)
	s_cmp_lt_u32 s2, s33
	s_cbranch_scc0 .LBB77_16
.LBB77_4:                               ; =>This Loop Header: Depth=1
                                        ;     Child Loop BB77_8 Depth 2
                                        ;     Child Loop BB77_15 Depth 2
	s_and_not1_b32 vcc_lo, exec_lo, s1
	s_wait_alu 0xfffe
	s_cbranch_vccnz .LBB77_3
; %bb.5:                                ;   in Loop: Header=BB77_4 Depth=1
	s_load_b32 s36, s[12:13], 0x4
	s_wait_kmcnt 0x0
	s_cvt_f32_u32 s34, s36
	s_sub_co_i32 s35, 0, s36
	s_wait_alu 0xfffe
	s_delay_alu instid0(SALU_CYCLE_1) | instskip(NEXT) | instid1(TRANS32_DEP_1)
	v_rcp_iflag_f32_e32 v0, s34
	v_readfirstlane_b32 s34, v0
	s_mul_f32 s34, s34, 0x4f7ffffe
	s_wait_alu 0xfffe
	s_delay_alu instid0(SALU_CYCLE_2) | instskip(SKIP_1) | instid1(SALU_CYCLE_2)
	s_cvt_u32_f32 s34, s34
	s_wait_alu 0xfffe
	s_mul_i32 s35, s35, s34
	s_wait_alu 0xfffe
	s_mul_hi_u32 s35, s34, s35
	s_wait_alu 0xfffe
	s_add_co_i32 s34, s34, s35
	s_mov_b32 s35, s3
	s_wait_alu 0xfffe
	s_mul_u64 s[34:35], s[10:11], s[34:35]
	s_wait_alu 0xfffe
	s_mul_i32 s34, s35, s36
	s_add_co_i32 s37, s35, 1
	s_wait_alu 0xfffe
	s_sub_co_i32 s34, s10, s34
	s_wait_alu 0xfffe
	s_sub_co_i32 s38, s34, s36
	s_cmp_ge_u32 s34, s36
	s_cselect_b32 s35, s37, s35
	s_wait_alu 0xfffe
	s_cselect_b32 s34, s38, s34
	s_add_co_i32 s37, s35, 1
	s_wait_alu 0xfffe
	s_cmp_ge_u32 s34, s36
	s_cselect_b32 s34, s37, s35
	s_wait_alu 0xfffe
	s_mul_i32 s35, s34, s36
	s_wait_alu 0xfffe
	s_sub_co_i32 s35, s10, s35
	s_wait_alu 0xfffe
	s_cmp_lt_u32 s40, s35
	s_cselect_b32 s36, -1, 0
	s_wait_alu 0xfffe
	s_cmp_lg_u32 s36, 0
	s_add_co_ci_u32 s41, s34, 0
	s_wait_alu 0xfffe
	s_cmp_eq_u32 s41, 0
	s_cbranch_scc1 .LBB77_3
; %bb.6:                                ;   in Loop: Header=BB77_4 Depth=1
	s_cmp_lt_i32 s41, 1
	s_cbranch_scc1 .LBB77_12
; %bb.7:                                ;   in Loop: Header=BB77_4 Depth=1
	v_cvt_f64_u32_e32 v[0:1], s35
	s_mul_i32 s34, s34, s40
	v_or_b32_e32 v70, 0x200, v142
	s_wait_alu 0xfffe
	v_cvt_f64_u32_e32 v[2:3], s34
	s_mul_u64 s[34:35], s[4:5], s[2:3]
	v_mov_b32_e32 v44, 0
	s_wait_alu 0xfffe
	s_lshl_b64 s[34:35], s[34:35], 3
	v_mov_b32_e32 v38, 0
	s_wait_alu 0xfffe
	s_add_nc_u64 s[38:39], s[14:15], s[34:35]
	v_dual_mov_b32 v34, 0 :: v_dual_mov_b32 v45, 0
	v_dual_mov_b32 v46, 0 :: v_dual_mov_b32 v39, 0
	;; [unrolled: 1-line block ×4, first 2 shown]
	v_mov_b32_e32 v41, 0
	v_dual_mov_b32 v37, 0 :: v_dual_mov_b32 v30, 0
	v_dual_mov_b32 v31, 0 :: v_dual_mov_b32 v48, 0
	;; [unrolled: 1-line block ×3, first 2 shown]
	v_mov_b32_e32 v33, 0
	v_min_num_f64_e32 v[0:1], v[6:7], v[0:1]
	s_delay_alu instid0(VALU_DEP_1) | instskip(NEXT) | instid1(VALU_DEP_1)
	v_add_f64_e32 v[0:1], v[0:1], v[2:3]
	v_cvt_i32_f64_e32 v0, v[0:1]
	s_delay_alu instid0(VALU_DEP_1)
	v_readfirstlane_b32 s36, v0
	s_lshl_b32 s36, s36, 7
	s_wait_alu 0xfffe
	s_ashr_i32 s37, s36, 31
	s_wait_alu 0xfffe
	s_lshl_b64 s[34:35], s[36:37], 3
	s_wait_alu 0xfffe
	s_add_nc_u64 s[36:37], s[38:39], s[34:35]
	s_mul_u64 s[38:39], s[30:31], s[2:3]
	s_wait_alu 0xfffe
	v_add_co_u32 v0, vcc_lo, s36, v8
	s_wait_alu 0xfffd
	v_add_co_ci_u32_e64 v1, null, s37, v9, vcc_lo
	s_add_nc_u64 s[38:39], s[38:39], s[34:35]
	v_add_co_u32 v14, vcc_lo, v0, s16
	s_wait_alu 0xfffd
	v_add_co_ci_u32_e64 v15, null, s17, v1, vcc_lo
	v_or_b32_e32 v71, s34, v142
	s_delay_alu instid0(VALU_DEP_3) | instskip(SKIP_1) | instid1(VALU_DEP_3)
	v_add_co_u32 v10, vcc_lo, v14, s28
	s_wait_alu 0xfffd
	v_add_co_ci_u32_e64 v11, null, s29, v15, vcc_lo
	v_or_b32_e32 v72, s34, v70
	s_delay_alu instid0(VALU_DEP_3) | instskip(SKIP_1) | instid1(VALU_DEP_3)
	v_add_co_u32 v12, vcc_lo, v10, s28
	s_wait_alu 0xfffd
	v_add_co_ci_u32_e64 v13, null, s29, v11, vcc_lo
	v_mul_lo_u32 v74, s19, v71
	s_delay_alu instid0(VALU_DEP_3) | instskip(SKIP_1) | instid1(VALU_DEP_3)
	v_add_co_u32 v16, vcc_lo, v12, s28
	s_wait_alu 0xfffd
	v_add_co_ci_u32_e64 v17, null, s29, v13, vcc_lo
	s_clause 0x2
	global_load_b64 v[2:3], v[0:1], off
	global_load_b64 v[10:11], v[10:11], off
	;; [unrolled: 1-line block ×3, first 2 shown]
	v_add_co_u32 v18, vcc_lo, v16, s28
	s_wait_alu 0xfffd
	v_add_co_ci_u32_e64 v19, null, s29, v17, vcc_lo
	s_clause 0x1
	global_load_b64 v[20:21], v[16:17], off
	global_load_b64 v[26:27], v[18:19], off
	v_add_co_u32 v22, vcc_lo, v18, s28
	s_wait_alu 0xfffd
	v_add_co_ci_u32_e64 v23, null, s29, v19, vcc_lo
	v_mad_co_u64_u32 v[70:71], null, s18, v71, 0
	s_delay_alu instid0(VALU_DEP_3) | instskip(SKIP_1) | instid1(VALU_DEP_3)
	v_add_co_u32 v24, vcc_lo, v22, s28
	s_wait_alu 0xfffd
	v_add_co_ci_u32_e64 v25, null, s29, v23, vcc_lo
	global_load_b64 v[42:43], v[22:23], off
	v_add_co_u32 v28, vcc_lo, v24, s28
	s_wait_alu 0xfffd
	v_add_co_ci_u32_e64 v29, null, s29, v25, vcc_lo
	global_load_b64 v[50:51], v[24:25], off
	;; [unrolled: 4-line block ×5, first 2 shown]
	v_add_co_u32 v22, vcc_lo, v18, s28
	s_wait_alu 0xfffd
	v_add_co_ci_u32_e64 v23, null, s29, v19, vcc_lo
	v_mul_lo_u32 v75, s19, v72
	s_delay_alu instid0(VALU_DEP_3) | instskip(SKIP_1) | instid1(VALU_DEP_3)
	v_add_co_u32 v24, vcc_lo, v22, s28
	s_wait_alu 0xfffd
	v_add_co_ci_u32_e64 v25, null, s29, v23, vcc_lo
	v_mad_co_u64_u32 v[72:73], null, s18, v72, 0
	s_delay_alu instid0(VALU_DEP_3) | instskip(SKIP_1) | instid1(VALU_DEP_3)
	v_add_co_u32 v0, vcc_lo, v24, s28
	s_wait_alu 0xfffd
	v_add_co_ci_u32_e64 v1, null, s29, v25, vcc_lo
	v_mov_b32_e32 v28, 0
	s_delay_alu instid0(VALU_DEP_3) | instskip(SKIP_1) | instid1(VALU_DEP_3)
	v_add_co_u32 v16, vcc_lo, v0, s28
	s_wait_alu 0xfffd
	v_add_co_ci_u32_e64 v17, null, s29, v1, vcc_lo
	global_load_b64 v[58:59], v[18:19], off
	global_load_b64 v[60:61], v[22:23], off
	;; [unrolled: 1-line block ×6, first 2 shown]
	s_wait_alu 0xfffe
	v_add_co_u32 v241, vcc_lo, v4, s38
	s_wait_alu 0xfffd
	v_add_co_ci_u32_e64 v242, null, s39, v5, vcc_lo
	v_add_co_u32 v243, vcc_lo, v209, s38
	s_wait_alu 0xfffd
	v_add_co_ci_u32_e64 v244, null, s39, v210, vcc_lo
	;; [unrolled: 3-line block ×14, first 2 shown]
	v_add_co_u32 v156, vcc_lo, v235, s38
	v_mov_b32_e32 v0, 0
	v_mov_b32_e32 v22, 0
	;; [unrolled: 1-line block ×4, first 2 shown]
	s_mul_i32 s35, s18, s35
	s_wait_alu 0xfffd
	v_add_co_ci_u32_e64 v157, null, s39, v236, vcc_lo
	v_add_co_u32 v158, vcc_lo, v237, s38
	v_mov_b32_e32 v1, 0
	v_mov_b32_e32 v29, 0
	v_dual_mov_b32 v23, 0 :: v_dual_mov_b32 v24, 0
	v_dual_mov_b32 v17, 0 :: v_dual_mov_b32 v18, 0
	v_mov_b32_e32 v15, 0
	v_mov_b32_e32 v25, 0
	;; [unrolled: 1-line block ×3, first 2 shown]
	s_wait_alu 0xfffd
	v_add_co_ci_u32_e64 v159, null, s39, v238, vcc_lo
	s_wait_alu 0xfffe
	v_add3_u32 v71, v71, s35, v74
	v_add3_u32 v73, v73, s35, v75
	s_mul_u64 s[36:37], s[8:9], s[2:3]
	s_wait_alu 0xfffe
	s_add_nc_u64 s[34:35], s[6:7], s[36:37]
	s_add_co_i32 s36, s41, -1
	s_mov_b32 s37, 0
	s_wait_loadcnt 0xf
	v_dual_mov_b32 v75, v3 :: v_dual_mov_b32 v74, v2
	s_wait_loadcnt 0xe
	v_dual_mov_b32 v103, v11 :: v_dual_mov_b32 v102, v10
	;; [unrolled: 2-line block ×16, first 2 shown]
.LBB77_8:                               ;   Parent Loop BB77_4 Depth=1
                                        ; =>  This Inner Loop Header: Depth=2
	v_add_co_u32 v138, vcc_lo, v241, v142
	s_wait_alu 0xfffd
	v_add_co_ci_u32_e64 v139, null, 0, v242, vcc_lo
	s_wait_alu 0xfffe
	s_cmp_lg_u32 s36, s37
	v_add_co_u32 v106, vcc_lo, 0x200, v138
	s_wait_alu 0xfffd
	v_add_co_ci_u32_e64 v107, null, 0, v139, vcc_lo
	s_delay_alu instid0(VALU_DEP_2) | instskip(SKIP_1) | instid1(VALU_DEP_2)
	v_add_co_u32 v130, vcc_lo, v106, s22
	s_wait_alu 0xfffd
	v_add_co_ci_u32_e64 v131, null, s23, v107, vcc_lo
	s_delay_alu instid0(VALU_DEP_2) | instskip(SKIP_1) | instid1(VALU_DEP_2)
	;; [unrolled: 4-line block ×8, first 2 shown]
	v_add_co_u32 v114, vcc_lo, v112, s22
	s_wait_alu 0xfffd
	v_add_co_ci_u32_e64 v115, null, s23, v113, vcc_lo
	v_add_co_u32 v116, vcc_lo, s34, v70
	s_wait_alu 0xfffd
	v_add_co_ci_u32_e64 v117, null, s35, v71, vcc_lo
	;; [unrolled: 3-line block ×3, first 2 shown]
	global_load_b64 v[140:141], v[116:117], off
	v_add_co_u32 v120, vcc_lo, v118, s22
	s_wait_alu 0xfffd
	v_add_co_ci_u32_e64 v121, null, s23, v119, vcc_lo
	s_clause 0x3
	global_load_b64 v[106:107], v[106:107], off
	global_load_b64 v[108:109], v[108:109], off
	;; [unrolled: 1-line block ×4, first 2 shown]
	v_add_co_u32 v122, vcc_lo, v120, s22
	s_wait_alu 0xfffd
	v_add_co_ci_u32_e64 v123, null, s23, v121, vcc_lo
	global_load_b64 v[114:115], v[114:115], off
	v_add_co_u32 v124, vcc_lo, v122, s22
	s_wait_alu 0xfffd
	v_add_co_ci_u32_e64 v125, null, s23, v123, vcc_lo
	global_load_b64 v[116:117], v[118:119], off
	;; [unrolled: 4-line block ×3, first 2 shown]
	v_add_co_u32 v128, vcc_lo, v126, s22
	s_wait_alu 0xfffd
	v_add_co_ci_u32_e64 v129, null, s23, v127, vcc_lo
	s_delay_alu instid0(VALU_DEP_2) | instskip(SKIP_1) | instid1(VALU_DEP_2)
	v_add_co_u32 v136, vcc_lo, v128, s22
	s_wait_alu 0xfffd
	v_add_co_ci_u32_e64 v137, null, s23, v129, vcc_lo
	global_load_b64 v[120:121], v[122:123], off
	global_load_b64 v[122:123], v[124:125], off
	;; [unrolled: 1-line block ×5, first 2 shown]
	s_clause 0x3
	global_load_b64 v[130:131], v[130:131], off
	global_load_b64 v[132:133], v[132:133], off
	;; [unrolled: 1-line block ×3, first 2 shown]
	global_load_b64 v[136:137], v[138:139], off offset:512
	s_cbranch_scc0 .LBB77_10
; %bb.9:                                ;   in Loop: Header=BB77_8 Depth=2
	v_add_co_u32 v76, vcc_lo, v243, v142
	s_wait_alu 0xfffd
	v_add_co_ci_u32_e64 v77, null, 0, v244, vcc_lo
	v_add_co_u32 v78, vcc_lo, v245, v142
	s_wait_alu 0xfffd
	v_add_co_ci_u32_e64 v79, null, 0, v246, vcc_lo
	v_add_co_u32 v80, vcc_lo, v247, v142
	s_wait_alu 0xfffd
	v_add_co_ci_u32_e64 v81, null, 0, v248, vcc_lo
	v_add_co_u32 v82, vcc_lo, v249, v142
	s_wait_alu 0xfffd
	v_add_co_ci_u32_e64 v83, null, 0, v250, vcc_lo
	v_add_co_u32 v84, vcc_lo, v251, v142
	s_wait_alu 0xfffd
	v_add_co_ci_u32_e64 v85, null, 0, v252, vcc_lo
	v_add_co_u32 v86, vcc_lo, v253, v142
	s_wait_alu 0xfffd
	v_add_co_ci_u32_e64 v87, null, 0, v254, vcc_lo
	v_add_co_u32 v88, vcc_lo, v255, v142
	s_wait_alu 0xfffd
	v_add_co_ci_u32_e64 v89, null, 0, v143, vcc_lo
	v_add_co_u32 v90, vcc_lo, v144, v142
	s_wait_alu 0xfffd
	v_add_co_ci_u32_e64 v91, null, 0, v145, vcc_lo
	v_add_co_u32 v92, vcc_lo, v146, v142
	s_wait_alu 0xfffd
	v_add_co_ci_u32_e64 v93, null, 0, v147, vcc_lo
	v_add_co_u32 v94, vcc_lo, v148, v142
	s_wait_alu 0xfffd
	v_add_co_ci_u32_e64 v95, null, 0, v149, vcc_lo
	v_add_co_u32 v96, vcc_lo, v150, v142
	s_wait_alu 0xfffd
	v_add_co_ci_u32_e64 v97, null, 0, v151, vcc_lo
	v_add_co_u32 v98, vcc_lo, v152, v142
	s_wait_alu 0xfffd
	v_add_co_ci_u32_e64 v99, null, 0, v153, vcc_lo
	v_add_co_u32 v100, vcc_lo, v154, v142
	s_wait_alu 0xfffd
	v_add_co_ci_u32_e64 v101, null, 0, v155, vcc_lo
	v_add_co_u32 v102, vcc_lo, v156, v142
	s_wait_alu 0xfffd
	v_add_co_ci_u32_e64 v103, null, 0, v157, vcc_lo
	v_add_co_u32 v104, vcc_lo, v158, v142
	s_wait_alu 0xfffd
	v_add_co_ci_u32_e64 v105, null, 0, v159, vcc_lo
	global_load_b64 v[74:75], v[138:139], off offset:1024
	global_load_b64 v[76:77], v[76:77], off
	global_load_b64 v[78:79], v[78:79], off
	;; [unrolled: 1-line block ×15, first 2 shown]
.LBB77_10:                              ;   in Loop: Header=BB77_8 Depth=2
	s_wait_loadcnt 0x10
	v_fma_f64 v[10:11], v[10:11], v[140:141], v[14:15]
	v_add_co_u32 v14, vcc_lo, s34, v72
	s_wait_alu 0xfffd
	v_add_co_ci_u32_e64 v15, null, s35, v73, vcc_lo
	v_fma_f64 v[24:25], v[26:27], v[140:141], v[24:25]
	v_fma_f64 v[0:1], v[2:3], v[140:141], v[0:1]
	;; [unrolled: 1-line block ×3, first 2 shown]
	global_load_b64 v[26:27], v[14:15], off
	v_fma_f64 v[44:45], v[64:65], v[140:141], v[44:45]
	v_fma_f64 v[46:47], v[62:63], v[140:141], v[46:47]
	;; [unrolled: 1-line block ×12, first 2 shown]
	v_add_co_u32 v241, vcc_lo, 0x400, v241
	s_wait_alu 0xfffd
	v_add_co_ci_u32_e64 v242, null, 0, v242, vcc_lo
	v_add_co_u32 v243, vcc_lo, 0x400, v243
	s_wait_alu 0xfffd
	v_add_co_ci_u32_e64 v244, null, 0, v244, vcc_lo
	;; [unrolled: 3-line block ×16, first 2 shown]
	s_add_co_i32 s37, s37, 1
	s_add_nc_u64 s[34:35], s[34:35], s[20:21]
	s_wait_alu 0xfffe
	s_cmp_ge_i32 s37, s41
	s_wait_loadcnt 0x0
	v_fma_f64 v[0:1], v[136:137], v[26:27], v[0:1]
	v_fma_f64 v[48:49], v[130:131], v[26:27], v[2:3]
	;; [unrolled: 1-line block ×16, first 2 shown]
	s_cbranch_scc1 .LBB77_13
; %bb.11:                               ;   in Loop: Header=BB77_8 Depth=2
	v_dual_mov_b32 v2, v74 :: v_dual_mov_b32 v3, v75
	v_dual_mov_b32 v66, v76 :: v_dual_mov_b32 v67, v77
	;; [unrolled: 1-line block ×16, first 2 shown]
	s_branch .LBB77_8
.LBB77_12:                              ;   in Loop: Header=BB77_4 Depth=1
	v_mov_b32_e32 v32, 0
	v_mov_b32_e32 v18, 0
	v_mov_b32_e32 v24, 0
	v_mov_b32_e32 v30, 0
	v_mov_b32_e32 v36, 0
	v_mov_b32_e32 v40, 0
	v_mov_b32_e32 v46, 0
	v_dual_mov_b32 v48, 0 :: v_dual_mov_b32 v33, 0
	v_dual_mov_b32 v14, 0 :: v_dual_mov_b32 v19, 0
	;; [unrolled: 1-line block ×9, first 2 shown]
	v_mov_b32_e32 v17, 0
	v_mov_b32_e32 v23, 0
	;; [unrolled: 1-line block ×7, first 2 shown]
.LBB77_13:                              ;   in Loop: Header=BB77_4 Depth=1
	ds_store_2addr_stride64_b64 v239, v[0:1], v[48:49] offset1:1
	ds_store_2addr_stride64_b64 v239, v[44:45], v[46:47] offset0:2 offset1:3
	ds_store_2addr_stride64_b64 v239, v[38:39], v[40:41] offset0:4 offset1:5
	;; [unrolled: 1-line block ×6, first 2 shown]
	ds_store_b64 v239, v[14:15] offset:7168
	ds_store_b64 v240, v[32:33]
	s_wait_storecnt_dscnt 0x0
	s_barrier_signal -1
	s_barrier_wait -1
	global_inv scope:SCOPE_SE
	s_and_saveexec_b32 s34, s0
	s_cbranch_execz .LBB77_2
; %bb.14:                               ;   in Loop: Header=BB77_4 Depth=1
	s_clause 0x4
	scratch_load_b32 v0, off, off
	scratch_load_b32 v2, off, off offset:4
	scratch_load_b32 v10, off, off offset:8
	;; [unrolled: 1-line block ×4, first 2 shown]
	s_mul_u64 s[36:37], s[26:27], s[2:3]
	s_mov_b32 s35, 0
	s_wait_alu 0xfffe
	s_lshl_b64 s[36:37], s[36:37], 3
	s_wait_loadcnt 0x4
	ds_load_b64 v[0:1], v0
	s_wait_loadcnt 0x3
	ds_load_b64 v[2:3], v2
	;; [unrolled: 2-line block ×5, first 2 shown]
	s_wait_dscnt 0x4
	v_add_f64_e32 v[0:1], 0, v[0:1]
	s_wait_dscnt 0x3
	s_delay_alu instid0(VALU_DEP_1)
	v_add_f64_e32 v[0:1], v[0:1], v[2:3]
	scratch_load_b32 v2, off, off offset:16 ; 4-byte Folded Reload
	s_wait_dscnt 0x2
	v_add_f64_e32 v[0:1], v[0:1], v[10:11]
	scratch_load_b32 v10, off, off offset:20 ; 4-byte Folded Reload
	s_wait_dscnt 0x1
	v_add_f64_e32 v[0:1], v[0:1], v[12:13]
	scratch_load_b32 v12, off, off offset:24 ; 4-byte Folded Reload
	s_wait_loadcnt 0x2
	ds_load_b64 v[2:3], v2
	s_wait_loadcnt 0x1
	ds_load_b64 v[10:11], v10
	;; [unrolled: 2-line block ×3, first 2 shown]
	s_wait_dscnt 0x2
	v_add_f64_e32 v[0:1], v[0:1], v[2:3]
	scratch_load_b32 v2, off, off offset:32 ; 4-byte Folded Reload
	s_wait_dscnt 0x1
	v_add_f64_e32 v[0:1], v[0:1], v[10:11]
	scratch_load_b32 v10, off, off offset:36 ; 4-byte Folded Reload
	;; [unrolled: 3-line block ×3, first 2 shown]
	v_add_f64_e32 v[0:1], v[0:1], v[14:15]
	scratch_load_b32 v14, off, off offset:44 ; 4-byte Folded Reload
	s_wait_loadcnt 0x3
	ds_load_b64 v[2:3], v2
	s_wait_loadcnt 0x2
	ds_load_b64 v[10:11], v10
	;; [unrolled: 2-line block ×4, first 2 shown]
	s_wait_dscnt 0x3
	v_add_f64_e32 v[0:1], v[0:1], v[2:3]
	scratch_load_b32 v2, off, off offset:48 ; 4-byte Folded Reload
	s_wait_dscnt 0x2
	v_add_f64_e32 v[0:1], v[0:1], v[10:11]
	scratch_load_b32 v10, off, off offset:52 ; 4-byte Folded Reload
	;; [unrolled: 3-line block ×4, first 2 shown]
	s_wait_loadcnt 0x3
	ds_load_b64 v[2:3], v2
	s_wait_loadcnt 0x2
	ds_load_b64 v[10:11], v10
	;; [unrolled: 2-line block ×4, first 2 shown]
	s_wait_dscnt 0x3
	v_add_f64_e32 v[0:1], v[0:1], v[2:3]
	scratch_load_b32 v2, off, off offset:64 ; 4-byte Folded Reload
	s_wait_dscnt 0x2
	v_add_f64_e32 v[0:1], v[0:1], v[10:11]
	s_wait_dscnt 0x1
	s_delay_alu instid0(VALU_DEP_1) | instskip(SKIP_1) | instid1(VALU_DEP_1)
	v_add_f64_e32 v[0:1], v[0:1], v[12:13]
	s_wait_dscnt 0x0
	v_add_f64_e32 v[0:1], v[0:1], v[14:15]
	s_wait_loadcnt 0x0
	ds_load_b64 v[2:3], v2
	ds_load_b64 v[10:11], v160
	ds_load_b64 v[12:13], v161
	ds_load_b64 v[14:15], v162
	s_wait_dscnt 0x3
	v_add_f64_e32 v[0:1], v[0:1], v[2:3]
	s_wait_dscnt 0x2
	s_delay_alu instid0(VALU_DEP_1) | instskip(SKIP_1) | instid1(VALU_DEP_1)
	v_add_f64_e32 v[0:1], v[0:1], v[10:11]
	s_wait_dscnt 0x1
	v_add_f64_e32 v[0:1], v[0:1], v[12:13]
	s_wait_dscnt 0x0
	s_delay_alu instid0(VALU_DEP_1)
	v_add_f64_e32 v[0:1], v[0:1], v[14:15]
	ds_load_b64 v[2:3], v163
	ds_load_b64 v[10:11], v164
	ds_load_b64 v[12:13], v165
	ds_load_b64 v[14:15], v166
	s_wait_dscnt 0x3
	v_add_f64_e32 v[0:1], v[0:1], v[2:3]
	s_wait_dscnt 0x2
	s_delay_alu instid0(VALU_DEP_1) | instskip(SKIP_1) | instid1(VALU_DEP_1)
	v_add_f64_e32 v[0:1], v[0:1], v[10:11]
	s_wait_dscnt 0x1
	v_add_f64_e32 v[0:1], v[0:1], v[12:13]
	s_wait_dscnt 0x0
	s_delay_alu instid0(VALU_DEP_1)
	v_add_f64_e32 v[0:1], v[0:1], v[14:15]
	;; [unrolled: 14-line block ×9, first 2 shown]
	ds_load_b64 v[2:3], v195
	ds_load_b64 v[10:11], v196
	;; [unrolled: 1-line block ×4, first 2 shown]
	s_wait_dscnt 0x3
	v_add_f64_e32 v[0:1], v[0:1], v[2:3]
	s_wait_dscnt 0x2
	s_delay_alu instid0(VALU_DEP_1)
	v_add_f64_e32 v[0:1], v[0:1], v[10:11]
	s_wait_alu 0xfffe
	v_add_co_u32 v10, vcc_lo, v207, s36
	s_wait_alu 0xfffd
	v_add_co_ci_u32_e64 v11, null, s37, v208, vcc_lo
	s_wait_dscnt 0x1
	s_delay_alu instid0(VALU_DEP_3) | instskip(SKIP_1) | instid1(VALU_DEP_1)
	v_add_f64_e32 v[0:1], v[0:1], v[12:13]
	s_wait_dscnt 0x0
	v_add_f64_e32 v[0:1], v[0:1], v[14:15]
	ds_load_b64 v[2:3], v199
	ds_load_b64 v[12:13], v200
	;; [unrolled: 1-line block ×4, first 2 shown]
	s_wait_dscnt 0x3
	v_add_f64_e32 v[0:1], v[0:1], v[2:3]
	global_load_b64 v[2:3], v[10:11], off
	s_wait_dscnt 0x2
	v_add_f64_e32 v[0:1], v[0:1], v[12:13]
	s_wait_dscnt 0x1
	s_delay_alu instid0(VALU_DEP_1) | instskip(SKIP_1) | instid1(VALU_DEP_1)
	v_add_f64_e32 v[0:1], v[0:1], v[14:15]
	s_wait_dscnt 0x0
	v_add_f64_e32 v[0:1], v[0:1], v[16:17]
	ds_load_b64 v[12:13], v203
	ds_load_b64 v[14:15], v204
	;; [unrolled: 1-line block ×4, first 2 shown]
	s_wait_dscnt 0x3
	v_add_f64_e32 v[0:1], v[0:1], v[12:13]
	s_wait_dscnt 0x2
	s_delay_alu instid0(VALU_DEP_1) | instskip(SKIP_1) | instid1(VALU_DEP_1)
	v_add_f64_e32 v[0:1], v[0:1], v[14:15]
	s_wait_dscnt 0x1
	v_add_f64_e32 v[0:1], v[0:1], v[16:17]
	s_wait_dscnt 0x0
	s_delay_alu instid0(VALU_DEP_1) | instskip(NEXT) | instid1(VALU_DEP_1)
	v_add_f64_e32 v[0:1], v[0:1], v[18:19]
	v_mul_f64_e32 v[12:13], s[24:25], v[0:1]
.LBB77_15:                              ;   Parent Loop BB77_4 Depth=1
                                        ; =>  This Inner Loop Header: Depth=2
	s_wait_loadcnt 0x0
	s_delay_alu instid0(VALU_DEP_1)
	v_add_f64_e32 v[0:1], v[2:3], v[12:13]
	global_atomic_cmpswap_b64 v[0:1], v[10:11], v[0:3], off th:TH_ATOMIC_RETURN scope:SCOPE_DEV
	s_wait_loadcnt 0x0
	v_cmp_eq_u64_e32 vcc_lo, v[0:1], v[2:3]
	v_dual_mov_b32 v3, v1 :: v_dual_mov_b32 v2, v0
	s_or_b32 s35, vcc_lo, s35
	s_wait_alu 0xfffe
	s_and_not1_b32 exec_lo, exec_lo, s35
	s_cbranch_execnz .LBB77_15
	s_branch .LBB77_2
.LBB77_16:
	s_nop 0
	s_sendmsg sendmsg(MSG_DEALLOC_VGPRS)
	s_endpgm
	.section	.rodata,"a",@progbits
	.p2align	6, 0x0
	.amdhsa_kernel _ZL36rocblas_gemvt_double_buffered_kernelILb0ELi128ELi4ELi16EdddEviiT4_lPKT3_lilS3_lilPT5_lili
		.amdhsa_group_segment_fixed_size 65536
		.amdhsa_private_segment_fixed_size 72
		.amdhsa_kernarg_size 384
		.amdhsa_user_sgpr_count 2
		.amdhsa_user_sgpr_dispatch_ptr 0
		.amdhsa_user_sgpr_queue_ptr 0
		.amdhsa_user_sgpr_kernarg_segment_ptr 1
		.amdhsa_user_sgpr_dispatch_id 0
		.amdhsa_user_sgpr_private_segment_size 0
		.amdhsa_wavefront_size32 1
		.amdhsa_uses_dynamic_stack 0
		.amdhsa_enable_private_segment 1
		.amdhsa_system_sgpr_workgroup_id_x 1
		.amdhsa_system_sgpr_workgroup_id_y 1
		.amdhsa_system_sgpr_workgroup_id_z 1
		.amdhsa_system_sgpr_workgroup_info 0
		.amdhsa_system_vgpr_workitem_id 1
		.amdhsa_next_free_vgpr 256
		.amdhsa_next_free_sgpr 42
		.amdhsa_reserve_vcc 1
		.amdhsa_float_round_mode_32 0
		.amdhsa_float_round_mode_16_64 0
		.amdhsa_float_denorm_mode_32 3
		.amdhsa_float_denorm_mode_16_64 3
		.amdhsa_fp16_overflow 0
		.amdhsa_workgroup_processor_mode 1
		.amdhsa_memory_ordered 1
		.amdhsa_forward_progress 1
		.amdhsa_inst_pref_size 62
		.amdhsa_round_robin_scheduling 0
		.amdhsa_exception_fp_ieee_invalid_op 0
		.amdhsa_exception_fp_denorm_src 0
		.amdhsa_exception_fp_ieee_div_zero 0
		.amdhsa_exception_fp_ieee_overflow 0
		.amdhsa_exception_fp_ieee_underflow 0
		.amdhsa_exception_fp_ieee_inexact 0
		.amdhsa_exception_int_div_zero 0
	.end_amdhsa_kernel
	.section	.text._ZL36rocblas_gemvt_double_buffered_kernelILb0ELi128ELi4ELi16EdddEviiT4_lPKT3_lilS3_lilPT5_lili,"axG",@progbits,_ZL36rocblas_gemvt_double_buffered_kernelILb0ELi128ELi4ELi16EdddEviiT4_lPKT3_lilS3_lilPT5_lili,comdat
.Lfunc_end77:
	.size	_ZL36rocblas_gemvt_double_buffered_kernelILb0ELi128ELi4ELi16EdddEviiT4_lPKT3_lilS3_lilPT5_lili, .Lfunc_end77-_ZL36rocblas_gemvt_double_buffered_kernelILb0ELi128ELi4ELi16EdddEviiT4_lPKT3_lilS3_lilPT5_lili
                                        ; -- End function
	.set _ZL36rocblas_gemvt_double_buffered_kernelILb0ELi128ELi4ELi16EdddEviiT4_lPKT3_lilS3_lilPT5_lili.num_vgpr, 256
	.set _ZL36rocblas_gemvt_double_buffered_kernelILb0ELi128ELi4ELi16EdddEviiT4_lPKT3_lilS3_lilPT5_lili.num_agpr, 0
	.set _ZL36rocblas_gemvt_double_buffered_kernelILb0ELi128ELi4ELi16EdddEviiT4_lPKT3_lilS3_lilPT5_lili.numbered_sgpr, 42
	.set _ZL36rocblas_gemvt_double_buffered_kernelILb0ELi128ELi4ELi16EdddEviiT4_lPKT3_lilS3_lilPT5_lili.num_named_barrier, 0
	.set _ZL36rocblas_gemvt_double_buffered_kernelILb0ELi128ELi4ELi16EdddEviiT4_lPKT3_lilS3_lilPT5_lili.private_seg_size, 72
	.set _ZL36rocblas_gemvt_double_buffered_kernelILb0ELi128ELi4ELi16EdddEviiT4_lPKT3_lilS3_lilPT5_lili.uses_vcc, 1
	.set _ZL36rocblas_gemvt_double_buffered_kernelILb0ELi128ELi4ELi16EdddEviiT4_lPKT3_lilS3_lilPT5_lili.uses_flat_scratch, 1
	.set _ZL36rocblas_gemvt_double_buffered_kernelILb0ELi128ELi4ELi16EdddEviiT4_lPKT3_lilS3_lilPT5_lili.has_dyn_sized_stack, 0
	.set _ZL36rocblas_gemvt_double_buffered_kernelILb0ELi128ELi4ELi16EdddEviiT4_lPKT3_lilS3_lilPT5_lili.has_recursion, 0
	.set _ZL36rocblas_gemvt_double_buffered_kernelILb0ELi128ELi4ELi16EdddEviiT4_lPKT3_lilS3_lilPT5_lili.has_indirect_call, 0
	.section	.AMDGPU.csdata,"",@progbits
; Kernel info:
; codeLenInByte = 7852
; TotalNumSgprs: 44
; NumVgprs: 256
; ScratchSize: 72
; MemoryBound: 0
; FloatMode: 240
; IeeeMode: 1
; LDSByteSize: 65536 bytes/workgroup (compile time only)
; SGPRBlocks: 0
; VGPRBlocks: 31
; NumSGPRsForWavesPerEU: 44
; NumVGPRsForWavesPerEU: 256
; Occupancy: 5
; WaveLimiterHint : 0
; COMPUTE_PGM_RSRC2:SCRATCH_EN: 1
; COMPUTE_PGM_RSRC2:USER_SGPR: 2
; COMPUTE_PGM_RSRC2:TRAP_HANDLER: 0
; COMPUTE_PGM_RSRC2:TGID_X_EN: 1
; COMPUTE_PGM_RSRC2:TGID_Y_EN: 1
; COMPUTE_PGM_RSRC2:TGID_Z_EN: 1
; COMPUTE_PGM_RSRC2:TIDIG_COMP_CNT: 1
	.section	.text._ZL32rocblas_gemvt_warp_reduce_kernelILb0ELi256EidPKddEviiT3_lPKT2_lT1_lS5_lS6_lS2_lPT4_lS6_li,"axG",@progbits,_ZL32rocblas_gemvt_warp_reduce_kernelILb0ELi256EidPKddEviiT3_lPKT2_lT1_lS5_lS6_lS2_lPT4_lS6_li,comdat
	.globl	_ZL32rocblas_gemvt_warp_reduce_kernelILb0ELi256EidPKddEviiT3_lPKT2_lT1_lS5_lS6_lS2_lPT4_lS6_li ; -- Begin function _ZL32rocblas_gemvt_warp_reduce_kernelILb0ELi256EidPKddEviiT3_lPKT2_lT1_lS5_lS6_lS2_lPT4_lS6_li
	.p2align	8
	.type	_ZL32rocblas_gemvt_warp_reduce_kernelILb0ELi256EidPKddEviiT3_lPKT2_lT1_lS5_lS6_lS2_lPT4_lS6_li,@function
_ZL32rocblas_gemvt_warp_reduce_kernelILb0ELi256EidPKddEviiT3_lPKT2_lT1_lS5_lS6_lS2_lPT4_lS6_li: ; @_ZL32rocblas_gemvt_warp_reduce_kernelILb0ELi256EidPKddEviiT3_lPKT2_lT1_lS5_lS6_lS2_lPT4_lS6_li
; %bb.0:
	s_load_b32 s7, s[0:1], 0x88
	s_lshr_b32 s28, ttmp7, 16
	s_wait_kmcnt 0x0
	s_cmp_ge_u32 s28, s7
	s_cbranch_scc1 .LBB78_34
; %bb.1:
	s_clause 0x7
	s_load_b96 s[4:6], s[0:1], 0x40
	s_load_b96 s[36:38], s[0:1], 0x70
	s_load_b256 s[8:15], s[0:1], 0x8
	s_load_b32 s33, s[0:1], 0x0
	s_load_b32 s39, s[0:1], 0x28
	s_load_b128 s[24:27], s[0:1], 0x30
	s_load_b256 s[16:23], s[0:1], 0x50
	s_load_b64 s[30:31], s[0:1], 0x80
	v_mbcnt_lo_u32_b32 v21, -1, 0
	v_cmp_eq_u32_e64 s0, 0, v0
	s_mov_b32 s29, 0
	v_lshl_or_b32 v23, v21, 2, 64
	s_wait_kmcnt 0x0
	s_lshl_b64 s[2:3], s[4:5], 3
	s_lshl_b64 s[4:5], s[36:37], 3
	s_lshl_b64 s[34:35], s[14:15], 3
	v_cmp_gt_i32_e32 vcc_lo, s33, v0
	s_ashr_i32 s1, s33, 31
	v_mov_b32_e32 v1, 0
	s_lshr_b32 s1, s1, 24
	s_add_nc_u64 s[14:15], s[26:27], s[2:3]
	v_cndmask_b32_e32 v2, 0, v0, vcc_lo
	s_add_co_i32 s1, s33, s1
	s_add_nc_u64 s[2:3], s[12:13], s[34:35]
	s_and_b32 s26, s1, 0xffffff00
	s_mul_i32 s36, s38, ttmp9
	v_or_b32_e32 v3, s26, v0
	v_lshlrev_b32_e32 v2, 3, v2
	s_mul_i32 s38, s39, ttmp9
	v_mul_lo_u32 v22, v0, s6
	s_ashr_i32 s39, s38, 31
	v_mul_lo_u32 v5, s6, v3
	v_add_co_u32 v4, s1, s2, v2
	s_delay_alu instid0(VALU_DEP_1)
	v_add_co_ci_u32_e64 v6, null, s3, 0, s1
	s_lshl_b64 s[38:39], s[38:39], 3
	v_cmp_gt_i32_e64 s2, s33, v3
	v_add_co_u32 v17, vcc_lo, v4, s38
	v_and_b32_e32 v3, 31, v0
	s_wait_alu 0xfffd
	v_add_co_ci_u32_e64 v18, null, s39, v6, vcc_lo
	v_ashrrev_i32_e32 v6, 31, v5
	s_add_nc_u64 s[34:35], s[34:35], s[38:39]
	v_lshrrev_b32_e32 v4, 2, v0
	s_add_nc_u64 s[12:13], s[12:13], s[34:35]
	s_add_nc_u64 s[22:23], s[22:23], s[4:5]
	v_lshlrev_b32_e32 v19, 3, v3
	v_cmp_eq_u32_e64 s4, 0, v3
	v_add_co_u32 v3, s12, s12, v2
	v_lshlrev_b64_e32 v[5:6], 3, v[5:6]
	v_cmp_gt_i32_e64 s1, s26, v0
	v_cmp_gt_u32_e64 s3, 32, v0
	v_and_b32_e32 v20, 56, v4
	v_cmp_gt_u32_e64 s5, 8, v0
	s_wait_alu 0xf1ff
	v_add_co_ci_u32_e64 v4, null, s13, 0, s12
	s_ashr_i32 s37, s36, 31
	s_ashr_i32 s27, s26, 31
	s_lshl_b64 s[12:13], s[24:25], 3
	s_lshl_b32 s33, s6, 8
	s_lshl_b64 s[34:35], s[36:37], 3
	s_wait_alu 0xfffe
	s_lshl_b64 s[36:37], s[26:27], 3
	s_branch .LBB78_4
.LBB78_2:                               ;   in Loop: Header=BB78_4 Depth=1
	s_wait_alu 0xfffe
	s_or_b32 exec_lo, exec_lo, s6
.LBB78_3:                               ;   in Loop: Header=BB78_4 Depth=1
	s_add_co_i32 s28, s28, 0x10000
	s_wait_alu 0xfffe
	s_cmp_lt_u32 s28, s7
	s_cbranch_scc0 .LBB78_34
.LBB78_4:                               ; =>This Loop Header: Depth=1
                                        ;     Child Loop BB78_23 Depth 2
	s_mul_u64 s[38:39], s[10:11], s[28:29]
	s_mul_u64 s[40:41], s[20:21], s[28:29]
	s_wait_alu 0xfffe
	s_lshl_b64 s[38:39], s[38:39], 3
	s_lshl_b64 s[40:41], s[40:41], 3
	s_wait_alu 0xfffe
	s_add_nc_u64 s[38:39], s[8:9], s[38:39]
	s_add_nc_u64 s[40:41], s[18:19], s[40:41]
	s_clause 0x1
	global_load_b64 v[9:10], v1, s[38:39]
	global_load_b64 v[7:8], v1, s[40:41]
	s_wait_loadcnt 0x1
	v_cmp_eq_f64_e32 vcc_lo, 0, v[9:10]
	s_wait_loadcnt 0x0
	v_cmp_eq_f64_e64 s6, 1.0, v[7:8]
	s_and_b32 s6, vcc_lo, s6
	s_wait_alu 0xfffe
	s_and_b32 vcc_lo, exec_lo, s6
	s_wait_alu 0xfffe
	s_cbranch_vccnz .LBB78_3
; %bb.5:                                ;   in Loop: Header=BB78_4 Depth=1
	v_cmp_neq_f64_e32 vcc_lo, 0, v[9:10]
	s_mul_u64 s[38:39], s[30:31], s[28:29]
	s_wait_alu 0xfffe
	s_lshl_b64 s[38:39], s[38:39], 3
	s_wait_alu 0xfffe
	s_add_nc_u64 s[38:39], s[22:23], s[38:39]
	s_cbranch_vccnz .LBB78_9
; %bb.6:                                ;   in Loop: Header=BB78_4 Depth=1
	s_mov_b32 s6, 0
	s_mov_b32 s27, 0
                                        ; implicit-def: $vgpr11_vgpr12
	s_and_saveexec_b32 s40, s0
	s_cbranch_execz .LBB78_10
; %bb.7:                                ;   in Loop: Header=BB78_4 Depth=1
	v_cmp_eq_f64_e32 vcc_lo, 0, v[7:8]
	s_cbranch_vccnz .LBB78_11
; %bb.8:                                ;   in Loop: Header=BB78_4 Depth=1
	s_wait_alu 0xfffe
	s_add_nc_u64 s[42:43], s[38:39], s[34:35]
	global_load_b64 v[11:12], v1, s[42:43]
	s_wait_loadcnt 0x0
	v_mul_f64_e32 v[11:12], v[7:8], v[11:12]
	s_branch .LBB78_12
.LBB78_9:                               ;   in Loop: Header=BB78_4 Depth=1
	s_mov_b32 s27, 0
                                        ; implicit-def: $vgpr11_vgpr12
	s_cbranch_execnz .LBB78_13
	s_branch .LBB78_32
.LBB78_10:                              ;   in Loop: Header=BB78_4 Depth=1
	s_wait_alu 0xfffe
	s_or_b32 exec_lo, exec_lo, s40
	s_delay_alu instid0(SALU_CYCLE_1)
	s_and_b32 vcc_lo, exec_lo, s6
	s_wait_alu 0xfffe
	s_cbranch_vccnz .LBB78_13
	s_branch .LBB78_32
.LBB78_11:                              ;   in Loop: Header=BB78_4 Depth=1
	v_mov_b32_e32 v11, 0
	v_mov_b32_e32 v12, 0
.LBB78_12:                              ;   in Loop: Header=BB78_4 Depth=1
	s_mov_b32 s27, exec_lo
	s_wait_alu 0xfffe
	s_or_b32 exec_lo, exec_lo, s40
	s_delay_alu instid0(SALU_CYCLE_1)
	s_and_b32 vcc_lo, exec_lo, s6
	s_wait_alu 0xfffe
	s_cbranch_vccz .LBB78_32
.LBB78_13:                              ;   in Loop: Header=BB78_4 Depth=1
	s_mul_u64 s[40:41], s[16:17], s[28:29]
	v_mov_b32_e32 v11, 0
	v_mov_b32_e32 v12, 0
	s_wait_alu 0xfffe
	s_lshl_b64 s[40:41], s[40:41], 3
	s_wait_alu 0xfffe
	s_add_nc_u64 s[40:41], s[14:15], s[40:41]
	s_and_saveexec_b32 s42, s1
	s_cbranch_execnz .LBB78_22
; %bb.14:                               ;   in Loop: Header=BB78_4 Depth=1
	s_wait_alu 0xfffe
	s_or_b32 exec_lo, exec_lo, s42
	s_and_saveexec_b32 s6, s2
	s_cbranch_execnz .LBB78_25
.LBB78_15:                              ;   in Loop: Header=BB78_4 Depth=1
	s_wait_alu 0xfffe
	s_or_b32 exec_lo, exec_lo, s6
	s_and_saveexec_b32 s6, s3
.LBB78_16:                              ;   in Loop: Header=BB78_4 Depth=1
	v_mov_b32_e32 v2, v1
	ds_store_b64 v19, v[1:2]
.LBB78_17:                              ;   in Loop: Header=BB78_4 Depth=1
	s_wait_alu 0xfffe
	s_or_b32 exec_lo, exec_lo, s6
	s_wait_dscnt 0x0
	ds_bpermute_b32 v13, v23, v11
	ds_bpermute_b32 v14, v23, v12
	v_cmp_gt_u32_e32 vcc_lo, 24, v21
	s_wait_dscnt 0x0
	s_barrier_signal -1
	s_barrier_wait -1
	global_inv scope:SCOPE_SE
	s_wait_alu 0xfffd
	v_cndmask_b32_e64 v2, 0, 8, vcc_lo
	v_cmp_gt_u32_e32 vcc_lo, 28, v21
	s_delay_alu instid0(VALU_DEP_2)
	v_add_lshl_u32 v2, v2, v21, 2
	v_add_f64_e32 v[11:12], v[11:12], v[13:14]
	ds_bpermute_b32 v13, v2, v11
	ds_bpermute_b32 v14, v2, v12
	s_wait_alu 0xfffd
	v_cndmask_b32_e64 v2, 0, 4, vcc_lo
	v_cmp_gt_u32_e32 vcc_lo, 30, v21
	s_delay_alu instid0(VALU_DEP_2)
	v_add_lshl_u32 v2, v2, v21, 2
	s_wait_dscnt 0x0
	v_add_f64_e32 v[11:12], v[11:12], v[13:14]
	ds_bpermute_b32 v13, v2, v11
	ds_bpermute_b32 v14, v2, v12
	s_wait_dscnt 0x0
	v_add_f64_e32 v[11:12], v[11:12], v[13:14]
	s_wait_alu 0xfffd
	v_cndmask_b32_e64 v13, 0, 2, vcc_lo
	v_cmp_ne_u32_e32 vcc_lo, 31, v21
	s_delay_alu instid0(VALU_DEP_2)
	v_add_lshl_u32 v15, v13, v21, 2
	ds_bpermute_b32 v13, v15, v11
	ds_bpermute_b32 v14, v15, v12
	s_wait_dscnt 0x0
	v_add_f64_e32 v[11:12], v[11:12], v[13:14]
	s_wait_alu 0xfffd
	v_add_co_ci_u32_e64 v13, null, 0, v21, vcc_lo
	s_delay_alu instid0(VALU_DEP_1)
	v_lshlrev_b32_e32 v16, 2, v13
	ds_bpermute_b32 v13, v16, v11
	ds_bpermute_b32 v14, v16, v12
	s_and_saveexec_b32 s6, s4
	s_cbranch_execz .LBB78_19
; %bb.18:                               ;   in Loop: Header=BB78_4 Depth=1
	s_wait_dscnt 0x0
	v_add_f64_e32 v[11:12], v[11:12], v[13:14]
	ds_store_b64 v20, v[11:12]
.LBB78_19:                              ;   in Loop: Header=BB78_4 Depth=1
	s_wait_alu 0xfffe
	s_or_b32 exec_lo, exec_lo, s6
	s_wait_dscnt 0x0
	v_mov_b32_e32 v13, 0
	v_mov_b32_e32 v14, 0
	s_wait_loadcnt 0x0
	s_barrier_signal -1
	s_barrier_wait -1
	global_inv scope:SCOPE_SE
	s_and_saveexec_b32 s6, s5
	s_cbranch_execnz .LBB78_26
; %bb.20:                               ;   in Loop: Header=BB78_4 Depth=1
	s_wait_alu 0xfffe
	s_or_b32 exec_lo, exec_lo, s6
	s_and_saveexec_b32 s6, s3
	s_cbranch_execnz .LBB78_27
.LBB78_21:                              ;   in Loop: Header=BB78_4 Depth=1
	s_wait_alu 0xfffe
	s_or_b32 exec_lo, exec_lo, s6
                                        ; implicit-def: $vgpr11_vgpr12
	s_and_saveexec_b32 s6, s0
	s_cbranch_execnz .LBB78_28
	s_branch .LBB78_31
.LBB78_22:                              ;   in Loop: Header=BB78_4 Depth=1
	s_wait_dscnt 0x0
	v_mad_co_u64_u32 v[13:14], null, s12, s28, v[3:4]
	s_mov_b32 s43, 0
	v_mov_b32_e32 v11, 0
	v_mov_b32_e32 v12, 0
	;; [unrolled: 1-line block ×3, first 2 shown]
	s_delay_alu instid0(VALU_DEP_1)
	v_mad_co_u64_u32 v[14:15], null, s13, s28, v[2:3]
	v_dual_mov_b32 v15, v22 :: v_dual_mov_b32 v2, v0
.LBB78_23:                              ;   Parent Loop BB78_4 Depth=1
                                        ; =>  This Inner Loop Header: Depth=2
	s_delay_alu instid0(VALU_DEP_1) | instskip(NEXT) | instid1(VALU_DEP_2)
	v_ashrrev_i32_e32 v16, 31, v15
	v_add_nc_u32_e32 v2, 0x100, v2
	s_delay_alu instid0(VALU_DEP_2) | instskip(NEXT) | instid1(VALU_DEP_2)
	v_lshlrev_b64_e32 v[24:25], 3, v[15:16]
	v_cmp_le_i32_e64 s6, s26, v2
	v_add_nc_u32_e32 v15, s33, v15
	s_wait_alu 0xfffe
	s_or_b32 s43, s6, s43
	v_add_co_u32 v24, vcc_lo, s40, v24
	s_wait_alu 0xfffd
	v_add_co_ci_u32_e64 v25, null, s41, v25, vcc_lo
	global_load_b64 v[26:27], v[13:14], off
	global_load_b64 v[24:25], v[24:25], off
	v_add_co_u32 v13, vcc_lo, 0x800, v13
	s_wait_alu 0xfffd
	v_add_co_ci_u32_e64 v14, null, 0, v14, vcc_lo
	s_wait_loadcnt 0x0
	v_fma_f64 v[11:12], v[26:27], v[24:25], v[11:12]
	s_wait_alu 0xfffe
	s_and_not1_b32 exec_lo, exec_lo, s43
	s_cbranch_execnz .LBB78_23
; %bb.24:                               ;   in Loop: Header=BB78_4 Depth=1
	s_or_b32 exec_lo, exec_lo, s43
	s_delay_alu instid0(SALU_CYCLE_1)
	s_or_b32 exec_lo, exec_lo, s42
	s_and_saveexec_b32 s6, s2
	s_cbranch_execz .LBB78_15
.LBB78_25:                              ;   in Loop: Header=BB78_4 Depth=1
	s_mul_u64 s[42:43], s[24:25], s[28:29]
	s_wait_alu 0xfffe
	s_lshl_b64 s[42:43], s[42:43], 3
	s_wait_alu 0xfffe
	v_add_co_u32 v2, vcc_lo, v17, s42
	s_wait_dscnt 0x0
	s_wait_alu 0xfffd
	v_add_co_ci_u32_e64 v14, null, s43, v18, vcc_lo
	s_delay_alu instid0(VALU_DEP_2) | instskip(SKIP_1) | instid1(VALU_DEP_2)
	v_add_co_u32 v13, vcc_lo, v2, s36
	s_wait_alu 0xfffd
	v_add_co_ci_u32_e64 v14, null, s37, v14, vcc_lo
	v_add_co_u32 v15, vcc_lo, s40, v5
	s_wait_alu 0xfffd
	v_add_co_ci_u32_e64 v16, null, s41, v6, vcc_lo
	global_load_b64 v[13:14], v[13:14], off
	global_load_b64 v[15:16], v[15:16], off
	s_wait_loadcnt 0x0
	v_fma_f64 v[11:12], v[13:14], v[15:16], v[11:12]
	s_or_b32 exec_lo, exec_lo, s6
	s_and_saveexec_b32 s6, s3
	s_cbranch_execnz .LBB78_16
	s_branch .LBB78_17
.LBB78_26:                              ;   in Loop: Header=BB78_4 Depth=1
	ds_load_b64 v[13:14], v19
	s_wait_alu 0xfffe
	s_or_b32 exec_lo, exec_lo, s6
	s_and_saveexec_b32 s6, s3
	s_cbranch_execz .LBB78_21
.LBB78_27:                              ;   in Loop: Header=BB78_4 Depth=1
	s_wait_dscnt 0x0
	ds_bpermute_b32 v11, v2, v13
	ds_bpermute_b32 v12, v2, v14
	s_wait_dscnt 0x0
	v_add_f64_e32 v[11:12], v[13:14], v[11:12]
	ds_bpermute_b32 v13, v15, v11
	ds_bpermute_b32 v14, v15, v12
	s_wait_dscnt 0x0
	v_add_f64_e32 v[11:12], v[11:12], v[13:14]
	;; [unrolled: 4-line block ×3, first 2 shown]
	s_wait_alu 0xfffe
	s_or_b32 exec_lo, exec_lo, s6
                                        ; implicit-def: $vgpr11_vgpr12
	s_and_saveexec_b32 s6, s0
	s_cbranch_execz .LBB78_31
.LBB78_28:                              ;   in Loop: Header=BB78_4 Depth=1
	v_cmp_eq_f64_e32 vcc_lo, 0, v[7:8]
	s_wait_dscnt 0x0
	s_delay_alu instid0(VALU_DEP_2)
	v_mul_f64_e32 v[11:12], v[9:10], v[13:14]
	s_cbranch_vccnz .LBB78_30
; %bb.29:                               ;   in Loop: Header=BB78_4 Depth=1
	s_add_nc_u64 s[40:41], s[38:39], s[34:35]
	global_load_b64 v[9:10], v1, s[40:41]
	s_wait_loadcnt 0x0
	v_fma_f64 v[11:12], v[7:8], v[9:10], v[11:12]
.LBB78_30:                              ;   in Loop: Header=BB78_4 Depth=1
	s_or_b32 s27, s27, exec_lo
.LBB78_31:                              ;   in Loop: Header=BB78_4 Depth=1
	s_wait_alu 0xfffe
	s_or_b32 exec_lo, exec_lo, s6
.LBB78_32:                              ;   in Loop: Header=BB78_4 Depth=1
	s_wait_alu 0xfffe
	s_and_saveexec_b32 s6, s27
	s_cbranch_execz .LBB78_2
; %bb.33:                               ;   in Loop: Header=BB78_4 Depth=1
	s_add_nc_u64 s[38:39], s[38:39], s[34:35]
	global_store_b64 v1, v[11:12], s[38:39]
	s_branch .LBB78_2
.LBB78_34:
	s_endpgm
	.section	.rodata,"a",@progbits
	.p2align	6, 0x0
	.amdhsa_kernel _ZL32rocblas_gemvt_warp_reduce_kernelILb0ELi256EidPKddEviiT3_lPKT2_lT1_lS5_lS6_lS2_lPT4_lS6_li
		.amdhsa_group_segment_fixed_size 256
		.amdhsa_private_segment_fixed_size 0
		.amdhsa_kernarg_size 140
		.amdhsa_user_sgpr_count 2
		.amdhsa_user_sgpr_dispatch_ptr 0
		.amdhsa_user_sgpr_queue_ptr 0
		.amdhsa_user_sgpr_kernarg_segment_ptr 1
		.amdhsa_user_sgpr_dispatch_id 0
		.amdhsa_user_sgpr_private_segment_size 0
		.amdhsa_wavefront_size32 1
		.amdhsa_uses_dynamic_stack 0
		.amdhsa_enable_private_segment 0
		.amdhsa_system_sgpr_workgroup_id_x 1
		.amdhsa_system_sgpr_workgroup_id_y 0
		.amdhsa_system_sgpr_workgroup_id_z 1
		.amdhsa_system_sgpr_workgroup_info 0
		.amdhsa_system_vgpr_workitem_id 0
		.amdhsa_next_free_vgpr 28
		.amdhsa_next_free_sgpr 44
		.amdhsa_reserve_vcc 1
		.amdhsa_float_round_mode_32 0
		.amdhsa_float_round_mode_16_64 0
		.amdhsa_float_denorm_mode_32 3
		.amdhsa_float_denorm_mode_16_64 3
		.amdhsa_fp16_overflow 0
		.amdhsa_workgroup_processor_mode 1
		.amdhsa_memory_ordered 1
		.amdhsa_forward_progress 1
		.amdhsa_inst_pref_size 13
		.amdhsa_round_robin_scheduling 0
		.amdhsa_exception_fp_ieee_invalid_op 0
		.amdhsa_exception_fp_denorm_src 0
		.amdhsa_exception_fp_ieee_div_zero 0
		.amdhsa_exception_fp_ieee_overflow 0
		.amdhsa_exception_fp_ieee_underflow 0
		.amdhsa_exception_fp_ieee_inexact 0
		.amdhsa_exception_int_div_zero 0
	.end_amdhsa_kernel
	.section	.text._ZL32rocblas_gemvt_warp_reduce_kernelILb0ELi256EidPKddEviiT3_lPKT2_lT1_lS5_lS6_lS2_lPT4_lS6_li,"axG",@progbits,_ZL32rocblas_gemvt_warp_reduce_kernelILb0ELi256EidPKddEviiT3_lPKT2_lT1_lS5_lS6_lS2_lPT4_lS6_li,comdat
.Lfunc_end78:
	.size	_ZL32rocblas_gemvt_warp_reduce_kernelILb0ELi256EidPKddEviiT3_lPKT2_lT1_lS5_lS6_lS2_lPT4_lS6_li, .Lfunc_end78-_ZL32rocblas_gemvt_warp_reduce_kernelILb0ELi256EidPKddEviiT3_lPKT2_lT1_lS5_lS6_lS2_lPT4_lS6_li
                                        ; -- End function
	.set _ZL32rocblas_gemvt_warp_reduce_kernelILb0ELi256EidPKddEviiT3_lPKT2_lT1_lS5_lS6_lS2_lPT4_lS6_li.num_vgpr, 28
	.set _ZL32rocblas_gemvt_warp_reduce_kernelILb0ELi256EidPKddEviiT3_lPKT2_lT1_lS5_lS6_lS2_lPT4_lS6_li.num_agpr, 0
	.set _ZL32rocblas_gemvt_warp_reduce_kernelILb0ELi256EidPKddEviiT3_lPKT2_lT1_lS5_lS6_lS2_lPT4_lS6_li.numbered_sgpr, 44
	.set _ZL32rocblas_gemvt_warp_reduce_kernelILb0ELi256EidPKddEviiT3_lPKT2_lT1_lS5_lS6_lS2_lPT4_lS6_li.num_named_barrier, 0
	.set _ZL32rocblas_gemvt_warp_reduce_kernelILb0ELi256EidPKddEviiT3_lPKT2_lT1_lS5_lS6_lS2_lPT4_lS6_li.private_seg_size, 0
	.set _ZL32rocblas_gemvt_warp_reduce_kernelILb0ELi256EidPKddEviiT3_lPKT2_lT1_lS5_lS6_lS2_lPT4_lS6_li.uses_vcc, 1
	.set _ZL32rocblas_gemvt_warp_reduce_kernelILb0ELi256EidPKddEviiT3_lPKT2_lT1_lS5_lS6_lS2_lPT4_lS6_li.uses_flat_scratch, 0
	.set _ZL32rocblas_gemvt_warp_reduce_kernelILb0ELi256EidPKddEviiT3_lPKT2_lT1_lS5_lS6_lS2_lPT4_lS6_li.has_dyn_sized_stack, 0
	.set _ZL32rocblas_gemvt_warp_reduce_kernelILb0ELi256EidPKddEviiT3_lPKT2_lT1_lS5_lS6_lS2_lPT4_lS6_li.has_recursion, 0
	.set _ZL32rocblas_gemvt_warp_reduce_kernelILb0ELi256EidPKddEviiT3_lPKT2_lT1_lS5_lS6_lS2_lPT4_lS6_li.has_indirect_call, 0
	.section	.AMDGPU.csdata,"",@progbits
; Kernel info:
; codeLenInByte = 1664
; TotalNumSgprs: 46
; NumVgprs: 28
; ScratchSize: 0
; MemoryBound: 0
; FloatMode: 240
; IeeeMode: 1
; LDSByteSize: 256 bytes/workgroup (compile time only)
; SGPRBlocks: 0
; VGPRBlocks: 3
; NumSGPRsForWavesPerEU: 46
; NumVGPRsForWavesPerEU: 28
; Occupancy: 16
; WaveLimiterHint : 0
; COMPUTE_PGM_RSRC2:SCRATCH_EN: 0
; COMPUTE_PGM_RSRC2:USER_SGPR: 2
; COMPUTE_PGM_RSRC2:TRAP_HANDLER: 0
; COMPUTE_PGM_RSRC2:TGID_X_EN: 1
; COMPUTE_PGM_RSRC2:TGID_Y_EN: 0
; COMPUTE_PGM_RSRC2:TGID_Z_EN: 1
; COMPUTE_PGM_RSRC2:TIDIG_COMP_CNT: 0
	.section	.text._ZL32rocblas_gemvt_warp_reduce_kernelILb0ELi256EldPKddEviiT3_lPKT2_lT1_lS5_lS6_lS2_lPT4_lS6_li,"axG",@progbits,_ZL32rocblas_gemvt_warp_reduce_kernelILb0ELi256EldPKddEviiT3_lPKT2_lT1_lS5_lS6_lS2_lPT4_lS6_li,comdat
	.globl	_ZL32rocblas_gemvt_warp_reduce_kernelILb0ELi256EldPKddEviiT3_lPKT2_lT1_lS5_lS6_lS2_lPT4_lS6_li ; -- Begin function _ZL32rocblas_gemvt_warp_reduce_kernelILb0ELi256EldPKddEviiT3_lPKT2_lT1_lS5_lS6_lS2_lPT4_lS6_li
	.p2align	8
	.type	_ZL32rocblas_gemvt_warp_reduce_kernelILb0ELi256EldPKddEviiT3_lPKT2_lT1_lS5_lS6_lS2_lPT4_lS6_li,@function
_ZL32rocblas_gemvt_warp_reduce_kernelILb0ELi256EldPKddEviiT3_lPKT2_lT1_lS5_lS6_lS2_lPT4_lS6_li: ; @_ZL32rocblas_gemvt_warp_reduce_kernelILb0ELi256EldPKddEviiT3_lPKT2_lT1_lS5_lS6_lS2_lPT4_lS6_li
; %bb.0:
	s_load_b32 s7, s[0:1], 0x88
	s_lshr_b32 s24, ttmp7, 16
	s_wait_kmcnt 0x0
	s_cmp_ge_u32 s24, s7
	s_cbranch_scc1 .LBB79_34
; %bb.1:
	s_clause 0x2
	s_load_b512 s[8:23], s[0:1], 0x8
	s_load_b512 s[36:51], s[0:1], 0x48
	s_load_b32 s6, s[0:1], 0x0
	s_mov_b32 s2, ttmp9
	s_ashr_i32 s3, ttmp9, 31
	v_mbcnt_lo_u32_b32 v23, -1, 0
	v_cmp_eq_u32_e64 s0, 0, v0
	s_mov_b32 s25, 0
	v_lshl_or_b32 v24, v23, 2, 64
	s_wait_kmcnt 0x0
	s_lshl_b64 s[4:5], s[22:23], 3
	s_lshl_b64 s[26:27], s[14:15], 3
	v_cmp_gt_i32_e32 vcc_lo, s6, v0
	v_mov_b32_e32 v1, 0
	s_ashr_i32 s1, s6, 31
	v_mad_co_u64_u32 v[2:3], null, s36, v0, 0
	v_cndmask_b32_e32 v4, 0, v0, vcc_lo
	s_lshr_b32 s1, s1, 24
	s_add_nc_u64 s[14:15], s[20:21], s[4:5]
	s_add_nc_u64 s[4:5], s[12:13], s[26:27]
	s_add_co_i32 s1, s6, s1
	v_lshlrev_b32_e32 v9, 3, v4
	s_and_b32 s20, s1, 0xffffff00
	s_lshl_b64 s[22:23], s[46:47], 3
	s_mul_u64 s[28:29], s[48:49], s[2:3]
	s_mul_u64 s[2:3], s[16:17], s[2:3]
	v_add_co_u32 v4, s1, s4, v9
	v_or_b32_e32 v5, s20, v0
	s_add_nc_u64 s[16:17], s[44:45], s[22:23]
	s_lshl_b64 s[22:23], s[2:3], 3
	v_add_co_ci_u32_e64 v6, null, s5, 0, s1
	v_add_co_u32 v19, vcc_lo, v4, s22
	v_mad_co_u64_u32 v[3:4], null, s37, v0, v[3:4]
	v_mul_lo_u32 v10, s37, v5
	v_mad_co_u64_u32 v[7:8], null, s36, v5, 0
	v_cmp_gt_i32_e64 s2, s6, v5
	v_lshrrev_b32_e32 v5, 2, v0
	s_ashr_i32 s21, s20, 31
	s_wait_alu 0xfffd
	v_add_co_ci_u32_e64 v20, null, s23, v6, vcc_lo
	s_wait_alu 0xfffe
	s_mul_i32 s3, s36, s21
	v_and_b32_e32 v22, 56, v5
	v_lshlrev_b64_e32 v[5:6], 3, v[2:3]
	v_add3_u32 v8, v8, s3, v10
	s_add_nc_u64 s[22:23], s[22:23], s[26:27]
	v_and_b32_e32 v4, 31, v0
	s_wait_alu 0xfffe
	s_add_nc_u64 s[12:13], s[12:13], s[22:23]
	v_cmp_gt_i32_e64 s1, s20, v0
	v_add_co_u32 v3, s6, s12, v9
	v_add_co_u32 v5, vcc_lo, s14, v5
	v_lshlrev_b64_e32 v[7:8], 3, v[7:8]
	v_cmp_gt_u32_e64 s3, 32, v0
	v_lshlrev_b32_e32 v21, 3, v4
	v_cmp_eq_u32_e64 s4, 0, v4
	v_cmp_gt_u32_e64 s5, 8, v0
	s_wait_alu 0xf1ff
	v_add_co_ci_u32_e64 v4, null, s13, 0, s6
	s_wait_alu 0xfffd
	v_add_co_ci_u32_e64 v6, null, s15, v6, vcc_lo
	s_lshl_b64 s[12:13], s[18:19], 3
	s_lshl_b64 s[22:23], s[38:39], 3
	;; [unrolled: 1-line block ×5, first 2 shown]
	s_branch .LBB79_4
.LBB79_2:                               ;   in Loop: Header=BB79_4 Depth=1
	s_wait_alu 0xfffe
	s_or_b32 exec_lo, exec_lo, s6
.LBB79_3:                               ;   in Loop: Header=BB79_4 Depth=1
	s_add_co_i32 s24, s24, 0x10000
	s_wait_alu 0xfffe
	s_cmp_lt_u32 s24, s7
	s_cbranch_scc0 .LBB79_34
.LBB79_4:                               ; =>This Loop Header: Depth=1
                                        ;     Child Loop BB79_23 Depth 2
	s_mul_u64 s[34:35], s[10:11], s[24:25]
	s_mul_u64 s[36:37], s[42:43], s[24:25]
	s_lshl_b64 s[34:35], s[34:35], 3
	s_wait_alu 0xfffe
	s_lshl_b64 s[36:37], s[36:37], 3
	s_add_nc_u64 s[34:35], s[8:9], s[34:35]
	s_wait_alu 0xfffe
	s_add_nc_u64 s[36:37], s[40:41], s[36:37]
	s_clause 0x1
	global_load_b64 v[11:12], v1, s[34:35]
	global_load_b64 v[9:10], v1, s[36:37]
	s_wait_loadcnt 0x1
	v_cmp_eq_f64_e32 vcc_lo, 0, v[11:12]
	s_wait_loadcnt 0x0
	v_cmp_eq_f64_e64 s6, 1.0, v[9:10]
	s_and_b32 s6, vcc_lo, s6
	s_wait_alu 0xfffe
	s_and_b32 vcc_lo, exec_lo, s6
	s_wait_alu 0xfffe
	s_cbranch_vccnz .LBB79_3
; %bb.5:                                ;   in Loop: Header=BB79_4 Depth=1
	v_cmp_neq_f64_e32 vcc_lo, 0, v[11:12]
	s_mul_u64 s[34:35], s[50:51], s[24:25]
	s_delay_alu instid0(SALU_CYCLE_1) | instskip(NEXT) | instid1(SALU_CYCLE_1)
	s_lshl_b64 s[34:35], s[34:35], 3
	s_add_nc_u64 s[34:35], s[16:17], s[34:35]
	s_cbranch_vccnz .LBB79_9
; %bb.6:                                ;   in Loop: Header=BB79_4 Depth=1
	s_mov_b32 s6, 0
	s_mov_b32 s21, 0
                                        ; implicit-def: $vgpr13_vgpr14
	s_and_saveexec_b32 s33, s0
	s_cbranch_execz .LBB79_10
; %bb.7:                                ;   in Loop: Header=BB79_4 Depth=1
	v_cmp_eq_f64_e32 vcc_lo, 0, v[9:10]
	s_cbranch_vccnz .LBB79_11
; %bb.8:                                ;   in Loop: Header=BB79_4 Depth=1
	s_add_nc_u64 s[36:37], s[34:35], s[28:29]
	global_load_b64 v[13:14], v1, s[36:37]
	s_wait_loadcnt 0x0
	v_mul_f64_e32 v[13:14], v[9:10], v[13:14]
	s_branch .LBB79_12
.LBB79_9:                               ;   in Loop: Header=BB79_4 Depth=1
	s_mov_b32 s21, 0
                                        ; implicit-def: $vgpr13_vgpr14
	s_cbranch_execnz .LBB79_13
	s_branch .LBB79_32
.LBB79_10:                              ;   in Loop: Header=BB79_4 Depth=1
	s_or_b32 exec_lo, exec_lo, s33
	s_wait_alu 0xfffe
	s_and_b32 vcc_lo, exec_lo, s6
	s_wait_alu 0xfffe
	s_cbranch_vccnz .LBB79_13
	s_branch .LBB79_32
.LBB79_11:                              ;   in Loop: Header=BB79_4 Depth=1
	v_mov_b32_e32 v13, 0
	v_mov_b32_e32 v14, 0
.LBB79_12:                              ;   in Loop: Header=BB79_4 Depth=1
	s_mov_b32 s21, exec_lo
	s_or_b32 exec_lo, exec_lo, s33
	s_wait_alu 0xfffe
	s_and_b32 vcc_lo, exec_lo, s6
	s_wait_alu 0xfffe
	s_cbranch_vccz .LBB79_32
.LBB79_13:                              ;   in Loop: Header=BB79_4 Depth=1
	v_mov_b32_e32 v13, 0
	v_mov_b32_e32 v14, 0
	s_and_saveexec_b32 s33, s1
	s_cbranch_execnz .LBB79_22
; %bb.14:                               ;   in Loop: Header=BB79_4 Depth=1
	s_or_b32 exec_lo, exec_lo, s33
	s_and_saveexec_b32 s6, s2
	s_cbranch_execnz .LBB79_25
.LBB79_15:                              ;   in Loop: Header=BB79_4 Depth=1
	s_wait_alu 0xfffe
	s_or_b32 exec_lo, exec_lo, s6
	s_and_saveexec_b32 s6, s3
.LBB79_16:                              ;   in Loop: Header=BB79_4 Depth=1
	v_mov_b32_e32 v2, v1
	ds_store_b64 v21, v[1:2]
.LBB79_17:                              ;   in Loop: Header=BB79_4 Depth=1
	s_wait_alu 0xfffe
	s_or_b32 exec_lo, exec_lo, s6
	s_wait_dscnt 0x0
	ds_bpermute_b32 v15, v24, v13
	ds_bpermute_b32 v16, v24, v14
	v_cmp_gt_u32_e32 vcc_lo, 24, v23
	s_wait_dscnt 0x0
	s_barrier_signal -1
	s_barrier_wait -1
	global_inv scope:SCOPE_SE
	s_wait_alu 0xfffd
	v_cndmask_b32_e64 v2, 0, 8, vcc_lo
	v_cmp_gt_u32_e32 vcc_lo, 28, v23
	s_delay_alu instid0(VALU_DEP_2)
	v_add_lshl_u32 v2, v2, v23, 2
	v_add_f64_e32 v[13:14], v[13:14], v[15:16]
	ds_bpermute_b32 v15, v2, v13
	ds_bpermute_b32 v16, v2, v14
	s_wait_alu 0xfffd
	v_cndmask_b32_e64 v2, 0, 4, vcc_lo
	v_cmp_gt_u32_e32 vcc_lo, 30, v23
	s_delay_alu instid0(VALU_DEP_2)
	v_add_lshl_u32 v2, v2, v23, 2
	s_wait_dscnt 0x0
	v_add_f64_e32 v[13:14], v[13:14], v[15:16]
	ds_bpermute_b32 v15, v2, v13
	ds_bpermute_b32 v16, v2, v14
	s_wait_dscnt 0x0
	v_add_f64_e32 v[13:14], v[13:14], v[15:16]
	s_wait_alu 0xfffd
	v_cndmask_b32_e64 v15, 0, 2, vcc_lo
	v_cmp_ne_u32_e32 vcc_lo, 31, v23
	s_delay_alu instid0(VALU_DEP_2)
	v_add_lshl_u32 v17, v15, v23, 2
	ds_bpermute_b32 v15, v17, v13
	ds_bpermute_b32 v16, v17, v14
	s_wait_dscnt 0x0
	v_add_f64_e32 v[13:14], v[13:14], v[15:16]
	s_wait_alu 0xfffd
	v_add_co_ci_u32_e64 v15, null, 0, v23, vcc_lo
	s_delay_alu instid0(VALU_DEP_1)
	v_lshlrev_b32_e32 v18, 2, v15
	ds_bpermute_b32 v15, v18, v13
	ds_bpermute_b32 v16, v18, v14
	s_and_saveexec_b32 s6, s4
	s_cbranch_execz .LBB79_19
; %bb.18:                               ;   in Loop: Header=BB79_4 Depth=1
	s_wait_dscnt 0x0
	v_add_f64_e32 v[13:14], v[13:14], v[15:16]
	ds_store_b64 v22, v[13:14]
.LBB79_19:                              ;   in Loop: Header=BB79_4 Depth=1
	s_wait_alu 0xfffe
	s_or_b32 exec_lo, exec_lo, s6
	s_wait_dscnt 0x0
	v_mov_b32_e32 v15, 0
	v_mov_b32_e32 v16, 0
	s_wait_loadcnt 0x0
	s_barrier_signal -1
	s_barrier_wait -1
	global_inv scope:SCOPE_SE
	s_and_saveexec_b32 s6, s5
	s_cbranch_execnz .LBB79_26
; %bb.20:                               ;   in Loop: Header=BB79_4 Depth=1
	s_wait_alu 0xfffe
	s_or_b32 exec_lo, exec_lo, s6
	s_and_saveexec_b32 s6, s3
	s_cbranch_execnz .LBB79_27
.LBB79_21:                              ;   in Loop: Header=BB79_4 Depth=1
	s_wait_alu 0xfffe
	s_or_b32 exec_lo, exec_lo, s6
                                        ; implicit-def: $vgpr13_vgpr14
	s_and_saveexec_b32 s6, s0
	s_cbranch_execnz .LBB79_28
	s_branch .LBB79_31
.LBB79_22:                              ;   in Loop: Header=BB79_4 Depth=1
	s_wait_dscnt 0x0
	v_mad_co_u64_u32 v[15:16], null, s12, s24, v[3:4]
	v_mad_co_u64_u32 v[17:18], null, s22, s24, v[5:6]
	s_mov_b32 s36, 0
	v_dual_mov_b32 v2, v16 :: v_dual_mov_b32 v13, v18
	s_delay_alu instid0(VALU_DEP_1) | instskip(NEXT) | instid1(VALU_DEP_2)
	v_mad_co_u64_u32 v[25:26], null, s13, s24, v[2:3]
	v_mad_co_u64_u32 v[26:27], null, s23, s24, v[13:14]
	v_mov_b32_e32 v13, 0
	v_mov_b32_e32 v14, 0
	;; [unrolled: 1-line block ×5, first 2 shown]
.LBB79_23:                              ;   Parent Loop BB79_4 Depth=1
                                        ; =>  This Inner Loop Header: Depth=2
	global_load_b64 v[25:26], v[15:16], off
	global_load_b64 v[27:28], v[17:18], off
	v_add_nc_u32_e32 v2, 0x100, v2
	v_add_co_u32 v15, vcc_lo, 0x800, v15
	s_wait_alu 0xfffd
	v_add_co_ci_u32_e64 v16, null, 0, v16, vcc_lo
	s_delay_alu instid0(VALU_DEP_3)
	v_cmp_le_i32_e32 vcc_lo, s20, v2
	v_add_co_u32 v17, s6, v17, s26
	s_wait_alu 0xf1ff
	v_add_co_ci_u32_e64 v18, null, s27, v18, s6
	s_wait_alu 0xfffe
	s_or_b32 s36, vcc_lo, s36
	s_wait_loadcnt 0x0
	v_fma_f64 v[13:14], v[25:26], v[27:28], v[13:14]
	s_wait_alu 0xfffe
	s_and_not1_b32 exec_lo, exec_lo, s36
	s_cbranch_execnz .LBB79_23
; %bb.24:                               ;   in Loop: Header=BB79_4 Depth=1
	s_or_b32 exec_lo, exec_lo, s36
	s_delay_alu instid0(SALU_CYCLE_1)
	s_or_b32 exec_lo, exec_lo, s33
	s_and_saveexec_b32 s6, s2
	s_cbranch_execz .LBB79_15
.LBB79_25:                              ;   in Loop: Header=BB79_4 Depth=1
	s_mul_u64 s[36:37], s[18:19], s[24:25]
	s_mul_u64 s[44:45], s[38:39], s[24:25]
	s_wait_alu 0xfffe
	s_lshl_b64 s[36:37], s[36:37], 3
	s_lshl_b64 s[44:45], s[44:45], 3
	s_wait_alu 0xfffe
	v_add_co_u32 v2, vcc_lo, v19, s36
	s_wait_dscnt 0x0
	s_wait_alu 0xfffd
	v_add_co_ci_u32_e64 v16, null, s37, v20, vcc_lo
	s_add_nc_u64 s[36:37], s[14:15], s[44:45]
	v_add_co_u32 v15, vcc_lo, v2, s30
	s_wait_alu 0xfffd
	v_add_co_ci_u32_e64 v16, null, s31, v16, vcc_lo
	s_wait_alu 0xfffe
	v_add_co_u32 v17, vcc_lo, s36, v7
	s_wait_alu 0xfffd
	v_add_co_ci_u32_e64 v18, null, s37, v8, vcc_lo
	global_load_b64 v[15:16], v[15:16], off
	global_load_b64 v[17:18], v[17:18], off
	s_wait_loadcnt 0x0
	v_fma_f64 v[13:14], v[15:16], v[17:18], v[13:14]
	s_or_b32 exec_lo, exec_lo, s6
	s_and_saveexec_b32 s6, s3
	s_cbranch_execnz .LBB79_16
	s_branch .LBB79_17
.LBB79_26:                              ;   in Loop: Header=BB79_4 Depth=1
	ds_load_b64 v[15:16], v21
	s_wait_alu 0xfffe
	s_or_b32 exec_lo, exec_lo, s6
	s_and_saveexec_b32 s6, s3
	s_cbranch_execz .LBB79_21
.LBB79_27:                              ;   in Loop: Header=BB79_4 Depth=1
	s_wait_dscnt 0x0
	ds_bpermute_b32 v13, v2, v15
	ds_bpermute_b32 v14, v2, v16
	s_wait_dscnt 0x0
	v_add_f64_e32 v[13:14], v[15:16], v[13:14]
	ds_bpermute_b32 v15, v17, v13
	ds_bpermute_b32 v16, v17, v14
	s_wait_dscnt 0x0
	v_add_f64_e32 v[13:14], v[13:14], v[15:16]
	;; [unrolled: 4-line block ×3, first 2 shown]
	s_wait_alu 0xfffe
	s_or_b32 exec_lo, exec_lo, s6
                                        ; implicit-def: $vgpr13_vgpr14
	s_and_saveexec_b32 s6, s0
	s_cbranch_execz .LBB79_31
.LBB79_28:                              ;   in Loop: Header=BB79_4 Depth=1
	v_cmp_eq_f64_e32 vcc_lo, 0, v[9:10]
	s_wait_dscnt 0x0
	s_delay_alu instid0(VALU_DEP_2)
	v_mul_f64_e32 v[13:14], v[11:12], v[15:16]
	s_cbranch_vccnz .LBB79_30
; %bb.29:                               ;   in Loop: Header=BB79_4 Depth=1
	s_add_nc_u64 s[36:37], s[34:35], s[28:29]
	global_load_b64 v[11:12], v1, s[36:37]
	s_wait_loadcnt 0x0
	v_fma_f64 v[13:14], v[9:10], v[11:12], v[13:14]
.LBB79_30:                              ;   in Loop: Header=BB79_4 Depth=1
	s_or_b32 s21, s21, exec_lo
.LBB79_31:                              ;   in Loop: Header=BB79_4 Depth=1
	s_wait_alu 0xfffe
	s_or_b32 exec_lo, exec_lo, s6
.LBB79_32:                              ;   in Loop: Header=BB79_4 Depth=1
	s_wait_alu 0xfffe
	s_and_saveexec_b32 s6, s21
	s_cbranch_execz .LBB79_2
; %bb.33:                               ;   in Loop: Header=BB79_4 Depth=1
	s_add_nc_u64 s[34:35], s[34:35], s[28:29]
	global_store_b64 v1, v[13:14], s[34:35]
	s_branch .LBB79_2
.LBB79_34:
	s_endpgm
	.section	.rodata,"a",@progbits
	.p2align	6, 0x0
	.amdhsa_kernel _ZL32rocblas_gemvt_warp_reduce_kernelILb0ELi256EldPKddEviiT3_lPKT2_lT1_lS5_lS6_lS2_lPT4_lS6_li
		.amdhsa_group_segment_fixed_size 256
		.amdhsa_private_segment_fixed_size 0
		.amdhsa_kernarg_size 140
		.amdhsa_user_sgpr_count 2
		.amdhsa_user_sgpr_dispatch_ptr 0
		.amdhsa_user_sgpr_queue_ptr 0
		.amdhsa_user_sgpr_kernarg_segment_ptr 1
		.amdhsa_user_sgpr_dispatch_id 0
		.amdhsa_user_sgpr_private_segment_size 0
		.amdhsa_wavefront_size32 1
		.amdhsa_uses_dynamic_stack 0
		.amdhsa_enable_private_segment 0
		.amdhsa_system_sgpr_workgroup_id_x 1
		.amdhsa_system_sgpr_workgroup_id_y 0
		.amdhsa_system_sgpr_workgroup_id_z 1
		.amdhsa_system_sgpr_workgroup_info 0
		.amdhsa_system_vgpr_workitem_id 0
		.amdhsa_next_free_vgpr 29
		.amdhsa_next_free_sgpr 52
		.amdhsa_reserve_vcc 1
		.amdhsa_float_round_mode_32 0
		.amdhsa_float_round_mode_16_64 0
		.amdhsa_float_denorm_mode_32 3
		.amdhsa_float_denorm_mode_16_64 3
		.amdhsa_fp16_overflow 0
		.amdhsa_workgroup_processor_mode 1
		.amdhsa_memory_ordered 1
		.amdhsa_forward_progress 1
		.amdhsa_inst_pref_size 13
		.amdhsa_round_robin_scheduling 0
		.amdhsa_exception_fp_ieee_invalid_op 0
		.amdhsa_exception_fp_denorm_src 0
		.amdhsa_exception_fp_ieee_div_zero 0
		.amdhsa_exception_fp_ieee_overflow 0
		.amdhsa_exception_fp_ieee_underflow 0
		.amdhsa_exception_fp_ieee_inexact 0
		.amdhsa_exception_int_div_zero 0
	.end_amdhsa_kernel
	.section	.text._ZL32rocblas_gemvt_warp_reduce_kernelILb0ELi256EldPKddEviiT3_lPKT2_lT1_lS5_lS6_lS2_lPT4_lS6_li,"axG",@progbits,_ZL32rocblas_gemvt_warp_reduce_kernelILb0ELi256EldPKddEviiT3_lPKT2_lT1_lS5_lS6_lS2_lPT4_lS6_li,comdat
.Lfunc_end79:
	.size	_ZL32rocblas_gemvt_warp_reduce_kernelILb0ELi256EldPKddEviiT3_lPKT2_lT1_lS5_lS6_lS2_lPT4_lS6_li, .Lfunc_end79-_ZL32rocblas_gemvt_warp_reduce_kernelILb0ELi256EldPKddEviiT3_lPKT2_lT1_lS5_lS6_lS2_lPT4_lS6_li
                                        ; -- End function
	.set _ZL32rocblas_gemvt_warp_reduce_kernelILb0ELi256EldPKddEviiT3_lPKT2_lT1_lS5_lS6_lS2_lPT4_lS6_li.num_vgpr, 29
	.set _ZL32rocblas_gemvt_warp_reduce_kernelILb0ELi256EldPKddEviiT3_lPKT2_lT1_lS5_lS6_lS2_lPT4_lS6_li.num_agpr, 0
	.set _ZL32rocblas_gemvt_warp_reduce_kernelILb0ELi256EldPKddEviiT3_lPKT2_lT1_lS5_lS6_lS2_lPT4_lS6_li.numbered_sgpr, 52
	.set _ZL32rocblas_gemvt_warp_reduce_kernelILb0ELi256EldPKddEviiT3_lPKT2_lT1_lS5_lS6_lS2_lPT4_lS6_li.num_named_barrier, 0
	.set _ZL32rocblas_gemvt_warp_reduce_kernelILb0ELi256EldPKddEviiT3_lPKT2_lT1_lS5_lS6_lS2_lPT4_lS6_li.private_seg_size, 0
	.set _ZL32rocblas_gemvt_warp_reduce_kernelILb0ELi256EldPKddEviiT3_lPKT2_lT1_lS5_lS6_lS2_lPT4_lS6_li.uses_vcc, 1
	.set _ZL32rocblas_gemvt_warp_reduce_kernelILb0ELi256EldPKddEviiT3_lPKT2_lT1_lS5_lS6_lS2_lPT4_lS6_li.uses_flat_scratch, 0
	.set _ZL32rocblas_gemvt_warp_reduce_kernelILb0ELi256EldPKddEviiT3_lPKT2_lT1_lS5_lS6_lS2_lPT4_lS6_li.has_dyn_sized_stack, 0
	.set _ZL32rocblas_gemvt_warp_reduce_kernelILb0ELi256EldPKddEviiT3_lPKT2_lT1_lS5_lS6_lS2_lPT4_lS6_li.has_recursion, 0
	.set _ZL32rocblas_gemvt_warp_reduce_kernelILb0ELi256EldPKddEviiT3_lPKT2_lT1_lS5_lS6_lS2_lPT4_lS6_li.has_indirect_call, 0
	.section	.AMDGPU.csdata,"",@progbits
; Kernel info:
; codeLenInByte = 1652
; TotalNumSgprs: 54
; NumVgprs: 29
; ScratchSize: 0
; MemoryBound: 0
; FloatMode: 240
; IeeeMode: 1
; LDSByteSize: 256 bytes/workgroup (compile time only)
; SGPRBlocks: 0
; VGPRBlocks: 3
; NumSGPRsForWavesPerEU: 54
; NumVGPRsForWavesPerEU: 29
; Occupancy: 16
; WaveLimiterHint : 0
; COMPUTE_PGM_RSRC2:SCRATCH_EN: 0
; COMPUTE_PGM_RSRC2:USER_SGPR: 2
; COMPUTE_PGM_RSRC2:TRAP_HANDLER: 0
; COMPUTE_PGM_RSRC2:TGID_X_EN: 1
; COMPUTE_PGM_RSRC2:TGID_Y_EN: 0
; COMPUTE_PGM_RSRC2:TGID_Z_EN: 1
; COMPUTE_PGM_RSRC2:TIDIG_COMP_CNT: 0
	.section	.text._ZL32rocblas_gemvt_warp_reduce_kernelILb0ELi256EidddEviiT3_lPKT2_lT1_lS3_lS4_lS0_lPT4_lS4_li,"axG",@progbits,_ZL32rocblas_gemvt_warp_reduce_kernelILb0ELi256EidddEviiT3_lPKT2_lT1_lS3_lS4_lS0_lPT4_lS4_li,comdat
	.globl	_ZL32rocblas_gemvt_warp_reduce_kernelILb0ELi256EidddEviiT3_lPKT2_lT1_lS3_lS4_lS0_lPT4_lS4_li ; -- Begin function _ZL32rocblas_gemvt_warp_reduce_kernelILb0ELi256EidddEviiT3_lPKT2_lT1_lS3_lS4_lS0_lPT4_lS4_li
	.p2align	8
	.type	_ZL32rocblas_gemvt_warp_reduce_kernelILb0ELi256EidddEviiT3_lPKT2_lT1_lS3_lS4_lS0_lPT4_lS4_li,@function
_ZL32rocblas_gemvt_warp_reduce_kernelILb0ELi256EidddEviiT3_lPKT2_lT1_lS3_lS4_lS0_lPT4_lS4_li: ; @_ZL32rocblas_gemvt_warp_reduce_kernelILb0ELi256EidddEviiT3_lPKT2_lT1_lS3_lS4_lS0_lPT4_lS4_li
; %bb.0:
	s_load_b32 s33, s[0:1], 0x88
	s_lshr_b32 s24, ttmp7, 16
	s_wait_kmcnt 0x0
	s_cmp_ge_u32 s24, s33
	s_cbranch_scc1 .LBB80_34
; %bb.1:
	s_clause 0x9
	s_load_b96 s[20:22], s[0:1], 0x40
	s_load_b128 s[4:7], s[0:1], 0x68
	s_load_b128 s[16:19], s[0:1], 0x18
	s_load_b64 s[26:27], s[0:1], 0x8
	s_load_b128 s[8:11], s[0:1], 0x50
	s_load_b32 s23, s[0:1], 0x78
	s_load_b32 s36, s[0:1], 0x0
	s_load_b128 s[12:15], s[0:1], 0x30
	s_load_b32 s37, s[0:1], 0x28
	s_load_b64 s[28:29], s[0:1], 0x80
	v_mbcnt_lo_u32_b32 v18, -1, 0
	v_cmp_eq_u32_e64 s0, 0, v0
	s_mov_b32 s25, 0
	v_lshl_or_b32 v19, v18, 2, 64
	s_wait_kmcnt 0x0
	s_lshl_b64 s[2:3], s[20:21], 3
	s_lshl_b64 s[6:7], s[6:7], 3
	;; [unrolled: 1-line block ×3, first 2 shown]
	v_cmp_neq_f64_e64 s38, s[26:27], 0
	v_cmp_neq_f64_e64 s39, s[10:11], 1.0
	s_add_nc_u64 s[18:19], s[4:5], s[6:7]
	v_cmp_gt_i32_e32 vcc_lo, s36, v0
	s_ashr_i32 s1, s36, 31
	s_add_nc_u64 s[14:15], s[14:15], s[2:3]
	s_lshr_b32 s1, s1, 24
	s_add_nc_u64 s[2:3], s[16:17], s[30:31]
	v_cndmask_b32_e32 v1, 0, v0, vcc_lo
	s_add_co_i32 s1, s36, s1
	s_mul_i32 s4, s37, ttmp9
	s_and_b32 s20, s1, 0xffffff00
	s_ashr_i32 s5, s4, 31
	v_dual_mov_b32 v1, 0 :: v_dual_lshlrev_b32 v2, 3, v1
	v_or_b32_e32 v3, s20, v0
	s_lshl_b64 s[6:7], s[4:5], 3
	v_mul_lo_u32 v17, v0, s22
	s_delay_alu instid0(VALU_DEP_3) | instskip(NEXT) | instid1(VALU_DEP_1)
	v_add_co_u32 v4, s1, s2, v2
	v_add_co_ci_u32_e64 v6, null, s3, 0, s1
	v_mul_lo_u32 v5, s22, v3
	s_delay_alu instid0(VALU_DEP_3)
	v_add_co_u32 v13, vcc_lo, v4, s6
	v_cmp_gt_i32_e64 s2, s36, v3
	v_and_b32_e32 v3, 31, v0
	s_wait_alu 0xfffd
	v_add_co_ci_u32_e64 v14, null, s7, v6, vcc_lo
	s_add_nc_u64 s[6:7], s[30:31], s[6:7]
	v_lshrrev_b32_e32 v4, 2, v0
	s_wait_alu 0xfffe
	s_add_nc_u64 s[6:7], s[16:17], s[6:7]
	v_lshlrev_b32_e32 v15, 3, v3
	v_cmp_eq_u32_e64 s4, 0, v3
	s_wait_alu 0xfffe
	v_add_co_u32 v3, s6, s6, v2
	v_and_b32_e32 v16, 56, v4
	s_wait_alu 0xf1ff
	v_add_co_ci_u32_e64 v4, null, s7, 0, s6
	s_or_b32 s7, s38, s39
	v_cmp_eq_f64_e64 s38, s[26:27], 0
	v_cmp_neq_f64_e64 s39, s[10:11], 0
	v_ashrrev_i32_e32 v6, 31, v5
	s_mul_i32 s34, s23, ttmp9
	v_cmp_gt_i32_e64 s1, s20, v0
	v_cmp_gt_u32_e64 s3, 32, v0
	v_cmp_gt_u32_e64 s5, 8, v0
	v_lshlrev_b64_e32 v[5:6], 3, v[5:6]
	s_ashr_i32 s35, s34, 31
	s_ashr_i32 s21, s20, 31
	s_lshl_b64 s[16:17], s[12:13], 3
	s_lshl_b32 s40, s22, 8
	s_lshl_b64 s[22:23], s[34:35], 3
	s_wait_alu 0xfffe
	s_lshl_b64 s[30:31], s[20:21], 3
	s_branch .LBB80_4
.LBB80_2:                               ;   in Loop: Header=BB80_4 Depth=1
	s_wait_alu 0xfffe
	s_or_b32 exec_lo, exec_lo, s6
.LBB80_3:                               ;   in Loop: Header=BB80_4 Depth=1
	s_add_co_i32 s24, s24, 0x10000
	s_wait_alu 0xfffe
	s_cmp_lt_u32 s24, s33
	s_cbranch_scc0 .LBB80_34
.LBB80_4:                               ; =>This Loop Header: Depth=1
                                        ;     Child Loop BB80_23 Depth 2
	s_and_not1_b32 vcc_lo, exec_lo, s7
	s_wait_alu 0xfffe
	s_cbranch_vccnz .LBB80_3
; %bb.5:                                ;   in Loop: Header=BB80_4 Depth=1
	s_mul_u64 s[34:35], s[28:29], s[24:25]
	s_and_not1_b32 vcc_lo, exec_lo, s38
	s_lshl_b64 s[34:35], s[34:35], 3
	s_delay_alu instid0(SALU_CYCLE_1)
	s_add_nc_u64 s[34:35], s[18:19], s[34:35]
	s_wait_alu 0xfffe
	s_cbranch_vccnz .LBB80_9
; %bb.6:                                ;   in Loop: Header=BB80_4 Depth=1
	s_mov_b32 s6, 0
	s_mov_b32 s21, 0
                                        ; implicit-def: $vgpr7_vgpr8
	s_and_saveexec_b32 s36, s0
	s_cbranch_execz .LBB80_10
; %bb.7:                                ;   in Loop: Header=BB80_4 Depth=1
	s_and_not1_b32 vcc_lo, exec_lo, s39
	s_wait_alu 0xfffe
	s_cbranch_vccnz .LBB80_11
; %bb.8:                                ;   in Loop: Header=BB80_4 Depth=1
	s_add_nc_u64 s[42:43], s[34:35], s[22:23]
	global_load_b64 v[7:8], v1, s[42:43]
	s_wait_loadcnt 0x0
	v_mul_f64_e32 v[7:8], s[10:11], v[7:8]
	s_branch .LBB80_12
.LBB80_9:                               ;   in Loop: Header=BB80_4 Depth=1
	s_mov_b32 s21, 0
                                        ; implicit-def: $vgpr7_vgpr8
	s_cbranch_execnz .LBB80_13
	s_branch .LBB80_32
.LBB80_10:                              ;   in Loop: Header=BB80_4 Depth=1
	s_wait_alu 0xfffe
	s_or_b32 exec_lo, exec_lo, s36
	s_delay_alu instid0(SALU_CYCLE_1)
	s_and_b32 vcc_lo, exec_lo, s6
	s_wait_alu 0xfffe
	s_cbranch_vccnz .LBB80_13
	s_branch .LBB80_32
.LBB80_11:                              ;   in Loop: Header=BB80_4 Depth=1
	v_mov_b32_e32 v7, 0
	v_mov_b32_e32 v8, 0
.LBB80_12:                              ;   in Loop: Header=BB80_4 Depth=1
	s_mov_b32 s21, exec_lo
	s_or_b32 exec_lo, exec_lo, s36
	s_delay_alu instid0(SALU_CYCLE_1)
	s_and_b32 vcc_lo, exec_lo, s6
	s_wait_alu 0xfffe
	s_cbranch_vccz .LBB80_32
.LBB80_13:                              ;   in Loop: Header=BB80_4 Depth=1
	s_mul_u64 s[36:37], s[8:9], s[24:25]
	v_mov_b32_e32 v7, 0
	v_mov_b32_e32 v8, 0
	s_wait_alu 0xfffe
	s_lshl_b64 s[36:37], s[36:37], 3
	s_wait_alu 0xfffe
	s_add_nc_u64 s[36:37], s[14:15], s[36:37]
	s_and_saveexec_b32 s41, s1
	s_cbranch_execnz .LBB80_22
; %bb.14:                               ;   in Loop: Header=BB80_4 Depth=1
	s_wait_alu 0xfffe
	s_or_b32 exec_lo, exec_lo, s41
	s_and_saveexec_b32 s6, s2
	s_cbranch_execnz .LBB80_25
.LBB80_15:                              ;   in Loop: Header=BB80_4 Depth=1
	s_wait_alu 0xfffe
	s_or_b32 exec_lo, exec_lo, s6
	s_and_saveexec_b32 s6, s3
.LBB80_16:                              ;   in Loop: Header=BB80_4 Depth=1
	v_mov_b32_e32 v2, v1
	ds_store_b64 v15, v[1:2]
.LBB80_17:                              ;   in Loop: Header=BB80_4 Depth=1
	s_wait_alu 0xfffe
	s_or_b32 exec_lo, exec_lo, s6
	s_wait_dscnt 0x0
	ds_bpermute_b32 v9, v19, v7
	ds_bpermute_b32 v10, v19, v8
	v_cmp_gt_u32_e32 vcc_lo, 24, v18
	s_wait_dscnt 0x0
	s_barrier_signal -1
	s_barrier_wait -1
	global_inv scope:SCOPE_SE
	s_wait_alu 0xfffd
	v_cndmask_b32_e64 v2, 0, 8, vcc_lo
	v_cmp_gt_u32_e32 vcc_lo, 28, v18
	s_delay_alu instid0(VALU_DEP_2)
	v_add_lshl_u32 v2, v2, v18, 2
	v_add_f64_e32 v[7:8], v[7:8], v[9:10]
	ds_bpermute_b32 v9, v2, v7
	ds_bpermute_b32 v10, v2, v8
	s_wait_alu 0xfffd
	v_cndmask_b32_e64 v2, 0, 4, vcc_lo
	v_cmp_gt_u32_e32 vcc_lo, 30, v18
	s_delay_alu instid0(VALU_DEP_2)
	v_add_lshl_u32 v2, v2, v18, 2
	s_wait_dscnt 0x0
	v_add_f64_e32 v[7:8], v[7:8], v[9:10]
	ds_bpermute_b32 v9, v2, v7
	ds_bpermute_b32 v10, v2, v8
	s_wait_dscnt 0x0
	v_add_f64_e32 v[7:8], v[7:8], v[9:10]
	s_wait_alu 0xfffd
	v_cndmask_b32_e64 v9, 0, 2, vcc_lo
	v_cmp_ne_u32_e32 vcc_lo, 31, v18
	s_delay_alu instid0(VALU_DEP_2)
	v_add_lshl_u32 v11, v9, v18, 2
	ds_bpermute_b32 v9, v11, v7
	ds_bpermute_b32 v10, v11, v8
	s_wait_dscnt 0x0
	v_add_f64_e32 v[7:8], v[7:8], v[9:10]
	s_wait_alu 0xfffd
	v_add_co_ci_u32_e64 v9, null, 0, v18, vcc_lo
	s_delay_alu instid0(VALU_DEP_1)
	v_lshlrev_b32_e32 v12, 2, v9
	ds_bpermute_b32 v9, v12, v7
	ds_bpermute_b32 v10, v12, v8
	s_and_saveexec_b32 s6, s4
	s_cbranch_execz .LBB80_19
; %bb.18:                               ;   in Loop: Header=BB80_4 Depth=1
	s_wait_dscnt 0x0
	v_add_f64_e32 v[7:8], v[7:8], v[9:10]
	ds_store_b64 v16, v[7:8]
.LBB80_19:                              ;   in Loop: Header=BB80_4 Depth=1
	s_wait_alu 0xfffe
	s_or_b32 exec_lo, exec_lo, s6
	s_wait_dscnt 0x0
	v_mov_b32_e32 v9, 0
	v_mov_b32_e32 v10, 0
	s_wait_loadcnt 0x0
	s_barrier_signal -1
	s_barrier_wait -1
	global_inv scope:SCOPE_SE
	s_and_saveexec_b32 s6, s5
	s_cbranch_execnz .LBB80_26
; %bb.20:                               ;   in Loop: Header=BB80_4 Depth=1
	s_wait_alu 0xfffe
	s_or_b32 exec_lo, exec_lo, s6
	s_and_saveexec_b32 s6, s3
	s_cbranch_execnz .LBB80_27
.LBB80_21:                              ;   in Loop: Header=BB80_4 Depth=1
	s_wait_alu 0xfffe
	s_or_b32 exec_lo, exec_lo, s6
                                        ; implicit-def: $vgpr7_vgpr8
	s_and_saveexec_b32 s6, s0
	s_cbranch_execnz .LBB80_28
	s_branch .LBB80_31
.LBB80_22:                              ;   in Loop: Header=BB80_4 Depth=1
	s_wait_dscnt 0x0
	v_mad_co_u64_u32 v[9:10], null, s16, s24, v[3:4]
	s_mov_b32 s42, 0
	v_mov_b32_e32 v7, 0
	v_mov_b32_e32 v8, 0
	;; [unrolled: 1-line block ×3, first 2 shown]
	s_delay_alu instid0(VALU_DEP_1)
	v_mad_co_u64_u32 v[10:11], null, s17, s24, v[2:3]
	v_dual_mov_b32 v11, v17 :: v_dual_mov_b32 v2, v0
.LBB80_23:                              ;   Parent Loop BB80_4 Depth=1
                                        ; =>  This Inner Loop Header: Depth=2
	s_delay_alu instid0(VALU_DEP_1) | instskip(NEXT) | instid1(VALU_DEP_2)
	v_ashrrev_i32_e32 v12, 31, v11
	v_add_nc_u32_e32 v2, 0x100, v2
	s_delay_alu instid0(VALU_DEP_2) | instskip(NEXT) | instid1(VALU_DEP_2)
	v_lshlrev_b64_e32 v[20:21], 3, v[11:12]
	v_cmp_le_i32_e64 s6, s20, v2
	v_add_nc_u32_e32 v11, s40, v11
	s_wait_alu 0xfffe
	s_or_b32 s42, s6, s42
	v_add_co_u32 v20, vcc_lo, s36, v20
	s_wait_alu 0xfffd
	v_add_co_ci_u32_e64 v21, null, s37, v21, vcc_lo
	global_load_b64 v[22:23], v[9:10], off
	global_load_b64 v[20:21], v[20:21], off
	v_add_co_u32 v9, vcc_lo, 0x800, v9
	s_wait_alu 0xfffd
	v_add_co_ci_u32_e64 v10, null, 0, v10, vcc_lo
	s_wait_loadcnt 0x0
	v_fma_f64 v[7:8], v[22:23], v[20:21], v[7:8]
	s_wait_alu 0xfffe
	s_and_not1_b32 exec_lo, exec_lo, s42
	s_cbranch_execnz .LBB80_23
; %bb.24:                               ;   in Loop: Header=BB80_4 Depth=1
	s_or_b32 exec_lo, exec_lo, s42
	s_delay_alu instid0(SALU_CYCLE_1)
	s_or_b32 exec_lo, exec_lo, s41
	s_and_saveexec_b32 s6, s2
	s_cbranch_execz .LBB80_15
.LBB80_25:                              ;   in Loop: Header=BB80_4 Depth=1
	s_mul_u64 s[42:43], s[12:13], s[24:25]
	s_wait_alu 0xfffe
	s_lshl_b64 s[42:43], s[42:43], 3
	s_wait_alu 0xfffe
	v_add_co_u32 v2, vcc_lo, v13, s42
	s_wait_dscnt 0x0
	s_wait_alu 0xfffd
	v_add_co_ci_u32_e64 v10, null, s43, v14, vcc_lo
	s_delay_alu instid0(VALU_DEP_2) | instskip(SKIP_1) | instid1(VALU_DEP_2)
	v_add_co_u32 v9, vcc_lo, v2, s30
	s_wait_alu 0xfffd
	v_add_co_ci_u32_e64 v10, null, s31, v10, vcc_lo
	v_add_co_u32 v11, vcc_lo, s36, v5
	s_wait_alu 0xfffd
	v_add_co_ci_u32_e64 v12, null, s37, v6, vcc_lo
	global_load_b64 v[9:10], v[9:10], off
	global_load_b64 v[11:12], v[11:12], off
	s_wait_loadcnt 0x0
	v_fma_f64 v[7:8], v[9:10], v[11:12], v[7:8]
	s_or_b32 exec_lo, exec_lo, s6
	s_and_saveexec_b32 s6, s3
	s_cbranch_execnz .LBB80_16
	s_branch .LBB80_17
.LBB80_26:                              ;   in Loop: Header=BB80_4 Depth=1
	ds_load_b64 v[9:10], v15
	s_wait_alu 0xfffe
	s_or_b32 exec_lo, exec_lo, s6
	s_and_saveexec_b32 s6, s3
	s_cbranch_execz .LBB80_21
.LBB80_27:                              ;   in Loop: Header=BB80_4 Depth=1
	s_wait_dscnt 0x0
	ds_bpermute_b32 v7, v2, v9
	ds_bpermute_b32 v8, v2, v10
	s_wait_dscnt 0x0
	v_add_f64_e32 v[7:8], v[9:10], v[7:8]
	ds_bpermute_b32 v9, v11, v7
	ds_bpermute_b32 v10, v11, v8
	s_wait_dscnt 0x0
	v_add_f64_e32 v[7:8], v[7:8], v[9:10]
	;; [unrolled: 4-line block ×3, first 2 shown]
	s_wait_alu 0xfffe
	s_or_b32 exec_lo, exec_lo, s6
                                        ; implicit-def: $vgpr7_vgpr8
	s_and_saveexec_b32 s6, s0
	s_cbranch_execz .LBB80_31
.LBB80_28:                              ;   in Loop: Header=BB80_4 Depth=1
	s_wait_dscnt 0x0
	s_delay_alu instid0(VALU_DEP_1)
	v_mul_f64_e32 v[7:8], s[26:27], v[9:10]
	s_and_not1_b32 vcc_lo, exec_lo, s39
	s_wait_alu 0xfffe
	s_cbranch_vccnz .LBB80_30
; %bb.29:                               ;   in Loop: Header=BB80_4 Depth=1
	s_add_nc_u64 s[36:37], s[34:35], s[22:23]
	global_load_b64 v[9:10], v1, s[36:37]
	s_wait_loadcnt 0x0
	v_fma_f64 v[7:8], s[10:11], v[9:10], v[7:8]
.LBB80_30:                              ;   in Loop: Header=BB80_4 Depth=1
	s_or_b32 s21, s21, exec_lo
.LBB80_31:                              ;   in Loop: Header=BB80_4 Depth=1
	s_wait_alu 0xfffe
	s_or_b32 exec_lo, exec_lo, s6
.LBB80_32:                              ;   in Loop: Header=BB80_4 Depth=1
	s_wait_alu 0xfffe
	s_and_saveexec_b32 s6, s21
	s_cbranch_execz .LBB80_2
; %bb.33:                               ;   in Loop: Header=BB80_4 Depth=1
	s_add_nc_u64 s[34:35], s[34:35], s[22:23]
	global_store_b64 v1, v[7:8], s[34:35]
	s_branch .LBB80_2
.LBB80_34:
	s_endpgm
	.section	.rodata,"a",@progbits
	.p2align	6, 0x0
	.amdhsa_kernel _ZL32rocblas_gemvt_warp_reduce_kernelILb0ELi256EidddEviiT3_lPKT2_lT1_lS3_lS4_lS0_lPT4_lS4_li
		.amdhsa_group_segment_fixed_size 256
		.amdhsa_private_segment_fixed_size 0
		.amdhsa_kernarg_size 140
		.amdhsa_user_sgpr_count 2
		.amdhsa_user_sgpr_dispatch_ptr 0
		.amdhsa_user_sgpr_queue_ptr 0
		.amdhsa_user_sgpr_kernarg_segment_ptr 1
		.amdhsa_user_sgpr_dispatch_id 0
		.amdhsa_user_sgpr_private_segment_size 0
		.amdhsa_wavefront_size32 1
		.amdhsa_uses_dynamic_stack 0
		.amdhsa_enable_private_segment 0
		.amdhsa_system_sgpr_workgroup_id_x 1
		.amdhsa_system_sgpr_workgroup_id_y 0
		.amdhsa_system_sgpr_workgroup_id_z 1
		.amdhsa_system_sgpr_workgroup_info 0
		.amdhsa_system_vgpr_workitem_id 0
		.amdhsa_next_free_vgpr 24
		.amdhsa_next_free_sgpr 44
		.amdhsa_reserve_vcc 1
		.amdhsa_float_round_mode_32 0
		.amdhsa_float_round_mode_16_64 0
		.amdhsa_float_denorm_mode_32 3
		.amdhsa_float_denorm_mode_16_64 3
		.amdhsa_fp16_overflow 0
		.amdhsa_workgroup_processor_mode 1
		.amdhsa_memory_ordered 1
		.amdhsa_forward_progress 1
		.amdhsa_inst_pref_size 13
		.amdhsa_round_robin_scheduling 0
		.amdhsa_exception_fp_ieee_invalid_op 0
		.amdhsa_exception_fp_denorm_src 0
		.amdhsa_exception_fp_ieee_div_zero 0
		.amdhsa_exception_fp_ieee_overflow 0
		.amdhsa_exception_fp_ieee_underflow 0
		.amdhsa_exception_fp_ieee_inexact 0
		.amdhsa_exception_int_div_zero 0
	.end_amdhsa_kernel
	.section	.text._ZL32rocblas_gemvt_warp_reduce_kernelILb0ELi256EidddEviiT3_lPKT2_lT1_lS3_lS4_lS0_lPT4_lS4_li,"axG",@progbits,_ZL32rocblas_gemvt_warp_reduce_kernelILb0ELi256EidddEviiT3_lPKT2_lT1_lS3_lS4_lS0_lPT4_lS4_li,comdat
.Lfunc_end80:
	.size	_ZL32rocblas_gemvt_warp_reduce_kernelILb0ELi256EidddEviiT3_lPKT2_lT1_lS3_lS4_lS0_lPT4_lS4_li, .Lfunc_end80-_ZL32rocblas_gemvt_warp_reduce_kernelILb0ELi256EidddEviiT3_lPKT2_lT1_lS3_lS4_lS0_lPT4_lS4_li
                                        ; -- End function
	.set _ZL32rocblas_gemvt_warp_reduce_kernelILb0ELi256EidddEviiT3_lPKT2_lT1_lS3_lS4_lS0_lPT4_lS4_li.num_vgpr, 24
	.set _ZL32rocblas_gemvt_warp_reduce_kernelILb0ELi256EidddEviiT3_lPKT2_lT1_lS3_lS4_lS0_lPT4_lS4_li.num_agpr, 0
	.set _ZL32rocblas_gemvt_warp_reduce_kernelILb0ELi256EidddEviiT3_lPKT2_lT1_lS3_lS4_lS0_lPT4_lS4_li.numbered_sgpr, 44
	.set _ZL32rocblas_gemvt_warp_reduce_kernelILb0ELi256EidddEviiT3_lPKT2_lT1_lS3_lS4_lS0_lPT4_lS4_li.num_named_barrier, 0
	.set _ZL32rocblas_gemvt_warp_reduce_kernelILb0ELi256EidddEviiT3_lPKT2_lT1_lS3_lS4_lS0_lPT4_lS4_li.private_seg_size, 0
	.set _ZL32rocblas_gemvt_warp_reduce_kernelILb0ELi256EidddEviiT3_lPKT2_lT1_lS3_lS4_lS0_lPT4_lS4_li.uses_vcc, 1
	.set _ZL32rocblas_gemvt_warp_reduce_kernelILb0ELi256EidddEviiT3_lPKT2_lT1_lS3_lS4_lS0_lPT4_lS4_li.uses_flat_scratch, 0
	.set _ZL32rocblas_gemvt_warp_reduce_kernelILb0ELi256EidddEviiT3_lPKT2_lT1_lS3_lS4_lS0_lPT4_lS4_li.has_dyn_sized_stack, 0
	.set _ZL32rocblas_gemvt_warp_reduce_kernelILb0ELi256EidddEviiT3_lPKT2_lT1_lS3_lS4_lS0_lPT4_lS4_li.has_recursion, 0
	.set _ZL32rocblas_gemvt_warp_reduce_kernelILb0ELi256EidddEviiT3_lPKT2_lT1_lS3_lS4_lS0_lPT4_lS4_li.has_indirect_call, 0
	.section	.AMDGPU.csdata,"",@progbits
; Kernel info:
; codeLenInByte = 1640
; TotalNumSgprs: 46
; NumVgprs: 24
; ScratchSize: 0
; MemoryBound: 0
; FloatMode: 240
; IeeeMode: 1
; LDSByteSize: 256 bytes/workgroup (compile time only)
; SGPRBlocks: 0
; VGPRBlocks: 2
; NumSGPRsForWavesPerEU: 46
; NumVGPRsForWavesPerEU: 24
; Occupancy: 16
; WaveLimiterHint : 0
; COMPUTE_PGM_RSRC2:SCRATCH_EN: 0
; COMPUTE_PGM_RSRC2:USER_SGPR: 2
; COMPUTE_PGM_RSRC2:TRAP_HANDLER: 0
; COMPUTE_PGM_RSRC2:TGID_X_EN: 1
; COMPUTE_PGM_RSRC2:TGID_Y_EN: 0
; COMPUTE_PGM_RSRC2:TGID_Z_EN: 1
; COMPUTE_PGM_RSRC2:TIDIG_COMP_CNT: 0
	.section	.text._ZL32rocblas_gemvt_warp_reduce_kernelILb0ELi256EldddEviiT3_lPKT2_lT1_lS3_lS4_lS0_lPT4_lS4_li,"axG",@progbits,_ZL32rocblas_gemvt_warp_reduce_kernelILb0ELi256EldddEviiT3_lPKT2_lT1_lS3_lS4_lS0_lPT4_lS4_li,comdat
	.globl	_ZL32rocblas_gemvt_warp_reduce_kernelILb0ELi256EldddEviiT3_lPKT2_lT1_lS3_lS4_lS0_lPT4_lS4_li ; -- Begin function _ZL32rocblas_gemvt_warp_reduce_kernelILb0ELi256EldddEviiT3_lPKT2_lT1_lS3_lS4_lS0_lPT4_lS4_li
	.p2align	8
	.type	_ZL32rocblas_gemvt_warp_reduce_kernelILb0ELi256EldddEviiT3_lPKT2_lT1_lS3_lS4_lS0_lPT4_lS4_li,@function
_ZL32rocblas_gemvt_warp_reduce_kernelILb0ELi256EldddEviiT3_lPKT2_lT1_lS3_lS4_lS0_lPT4_lS4_li: ; @_ZL32rocblas_gemvt_warp_reduce_kernelILb0ELi256EldddEviiT3_lPKT2_lT1_lS3_lS4_lS0_lPT4_lS4_li
; %bb.0:
	s_load_b32 s7, s[0:1], 0x88
	s_lshr_b32 s34, ttmp7, 16
	s_wait_kmcnt 0x0
	s_cmp_ge_u32 s34, s7
	s_cbranch_scc1 .LBB81_34
; %bb.1:
	s_clause 0x4
	s_load_b512 s[8:23], s[0:1], 0x18
	s_load_b256 s[24:31], s[0:1], 0x68
	s_load_b64 s[36:37], s[0:1], 0x8
	s_load_b64 s[38:39], s[0:1], 0x58
	s_load_b32 s6, s[0:1], 0x0
	s_mov_b32 s2, ttmp9
	s_ashr_i32 s3, ttmp9, 31
	v_mbcnt_lo_u32_b32 v19, -1, 0
	v_cmp_eq_u32_e64 s0, 0, v0
	s_mov_b32 s35, 0
	v_lshl_or_b32 v20, v19, 2, 64
	s_wait_kmcnt 0x0
	s_lshl_b64 s[4:5], s[18:19], 3
	s_lshl_b64 s[18:19], s[26:27], 3
	v_cmp_neq_f64_e64 s33, s[36:37], 0
	v_cmp_neq_f64_e64 s40, s[38:39], 1.0
	v_cmp_gt_i32_e32 vcc_lo, s6, v0
	v_mov_b32_e32 v1, 0
	s_ashr_i32 s1, s6, 31
	v_cmp_neq_f64_e64 s41, s[38:39], 0
	s_lshl_b64 s[26:27], s[10:11], 3
	v_cndmask_b32_e32 v2, 0, v0, vcc_lo
	s_lshr_b32 s1, s1, 24
	s_add_nc_u64 s[10:11], s[16:17], s[4:5]
	s_add_co_i32 s1, s6, s1
	s_add_nc_u64 s[4:5], s[8:9], s[26:27]
	v_lshlrev_b32_e32 v9, 3, v2
	s_and_b32 s16, s1, 0xffffff00
	s_mul_u64 s[28:29], s[28:29], s[2:3]
	s_mul_u64 s[2:3], s[12:13], s[2:3]
	v_or_b32_e32 v6, s16, v0
	v_add_co_u32 v4, s1, s4, v9
	s_delay_alu instid0(VALU_DEP_1)
	v_add_co_ci_u32_e64 v5, null, s5, 0, s1
	s_add_nc_u64 s[12:13], s[24:25], s[18:19]
	s_lshl_b64 s[18:19], s[2:3], 3
	v_mad_co_u64_u32 v[2:3], null, s20, v0, 0
	v_add_co_u32 v15, vcc_lo, v4, s18
	s_wait_alu 0xfffd
	v_add_co_ci_u32_e64 v16, null, s19, v5, vcc_lo
	v_mul_lo_u32 v5, s21, v6
	v_mad_co_u64_u32 v[7:8], null, s20, v6, 0
	s_ashr_i32 s17, s16, 31
	v_mad_co_u64_u32 v[3:4], null, s21, v0, v[3:4]
	s_wait_alu 0xfffe
	s_mul_i32 s3, s20, s17
	v_cmp_gt_i32_e64 s2, s6, v6
	s_add_nc_u64 s[18:19], s[18:19], s[26:27]
	v_add3_u32 v8, v8, s3, v5
	s_or_b32 s33, s33, s40
	v_cmp_eq_f64_e64 s40, s[36:37], 0
	v_lshrrev_b32_e32 v5, 2, v0
	v_and_b32_e32 v4, 31, v0
	s_wait_alu 0xfffe
	s_add_nc_u64 s[8:9], s[8:9], s[18:19]
	v_lshlrev_b64_e32 v[7:8], 3, v[7:8]
	v_cmp_gt_i32_e64 s1, s16, v0
	v_and_b32_e32 v18, 56, v5
	v_lshlrev_b64_e32 v[5:6], 3, v[2:3]
	v_add_co_u32 v3, s6, s8, v9
	v_cmp_gt_u32_e64 s3, 32, v0
	v_lshlrev_b32_e32 v17, 3, v4
	v_cmp_eq_u32_e64 s4, 0, v4
	v_add_co_u32 v5, vcc_lo, s10, v5
	v_cmp_gt_u32_e64 s5, 8, v0
	s_wait_alu 0xf1ff
	v_add_co_ci_u32_e64 v4, null, s9, 0, s6
	s_wait_alu 0xfffd
	v_add_co_ci_u32_e64 v6, null, s11, v6, vcc_lo
	s_lshl_b64 s[8:9], s[14:15], 3
	s_lshl_b64 s[18:19], s[22:23], 3
	;; [unrolled: 1-line block ×5, first 2 shown]
	s_branch .LBB81_4
.LBB81_2:                               ;   in Loop: Header=BB81_4 Depth=1
	s_wait_alu 0xfffe
	s_or_b32 exec_lo, exec_lo, s6
.LBB81_3:                               ;   in Loop: Header=BB81_4 Depth=1
	s_add_co_i32 s34, s34, 0x10000
	s_wait_alu 0xfffe
	s_cmp_lt_u32 s34, s7
	s_cbranch_scc0 .LBB81_34
.LBB81_4:                               ; =>This Loop Header: Depth=1
                                        ;     Child Loop BB81_23 Depth 2
	s_and_not1_b32 vcc_lo, exec_lo, s33
	s_wait_alu 0xfffe
	s_cbranch_vccnz .LBB81_3
; %bb.5:                                ;   in Loop: Header=BB81_4 Depth=1
	s_mul_u64 s[28:29], s[30:31], s[34:35]
	s_and_not1_b32 vcc_lo, exec_lo, s40
	s_lshl_b64 s[28:29], s[28:29], 3
	s_delay_alu instid0(SALU_CYCLE_1)
	s_add_nc_u64 s[28:29], s[12:13], s[28:29]
	s_wait_alu 0xfffe
	s_cbranch_vccnz .LBB81_9
; %bb.6:                                ;   in Loop: Header=BB81_4 Depth=1
	s_mov_b32 s6, 0
	s_mov_b32 s17, 0
                                        ; implicit-def: $vgpr9_vgpr10
	s_and_saveexec_b32 s42, s0
	s_cbranch_execz .LBB81_10
; %bb.7:                                ;   in Loop: Header=BB81_4 Depth=1
	s_and_not1_b32 vcc_lo, exec_lo, s41
	s_wait_alu 0xfffe
	s_cbranch_vccnz .LBB81_11
; %bb.8:                                ;   in Loop: Header=BB81_4 Depth=1
	s_add_nc_u64 s[44:45], s[28:29], s[24:25]
	global_load_b64 v[9:10], v1, s[44:45]
	s_wait_loadcnt 0x0
	v_mul_f64_e32 v[9:10], s[38:39], v[9:10]
	s_branch .LBB81_12
.LBB81_9:                               ;   in Loop: Header=BB81_4 Depth=1
	s_mov_b32 s17, 0
                                        ; implicit-def: $vgpr9_vgpr10
	s_cbranch_execnz .LBB81_13
	s_branch .LBB81_32
.LBB81_10:                              ;   in Loop: Header=BB81_4 Depth=1
	s_wait_alu 0xfffe
	s_or_b32 exec_lo, exec_lo, s42
	s_delay_alu instid0(SALU_CYCLE_1)
	s_and_b32 vcc_lo, exec_lo, s6
	s_wait_alu 0xfffe
	s_cbranch_vccnz .LBB81_13
	s_branch .LBB81_32
.LBB81_11:                              ;   in Loop: Header=BB81_4 Depth=1
	v_mov_b32_e32 v9, 0
	v_mov_b32_e32 v10, 0
.LBB81_12:                              ;   in Loop: Header=BB81_4 Depth=1
	s_mov_b32 s17, exec_lo
	s_or_b32 exec_lo, exec_lo, s42
	s_delay_alu instid0(SALU_CYCLE_1)
	s_and_b32 vcc_lo, exec_lo, s6
	s_wait_alu 0xfffe
	s_cbranch_vccz .LBB81_32
.LBB81_13:                              ;   in Loop: Header=BB81_4 Depth=1
	v_mov_b32_e32 v9, 0
	v_mov_b32_e32 v10, 0
	s_and_saveexec_b32 s42, s1
	s_cbranch_execnz .LBB81_22
; %bb.14:                               ;   in Loop: Header=BB81_4 Depth=1
	s_wait_alu 0xfffe
	s_or_b32 exec_lo, exec_lo, s42
	s_and_saveexec_b32 s6, s2
	s_cbranch_execnz .LBB81_25
.LBB81_15:                              ;   in Loop: Header=BB81_4 Depth=1
	s_wait_alu 0xfffe
	s_or_b32 exec_lo, exec_lo, s6
	s_and_saveexec_b32 s6, s3
.LBB81_16:                              ;   in Loop: Header=BB81_4 Depth=1
	v_mov_b32_e32 v2, v1
	ds_store_b64 v17, v[1:2]
.LBB81_17:                              ;   in Loop: Header=BB81_4 Depth=1
	s_wait_alu 0xfffe
	s_or_b32 exec_lo, exec_lo, s6
	s_wait_dscnt 0x0
	ds_bpermute_b32 v11, v20, v9
	ds_bpermute_b32 v12, v20, v10
	v_cmp_gt_u32_e32 vcc_lo, 24, v19
	s_wait_dscnt 0x0
	s_barrier_signal -1
	s_barrier_wait -1
	global_inv scope:SCOPE_SE
	s_wait_alu 0xfffd
	v_cndmask_b32_e64 v2, 0, 8, vcc_lo
	v_cmp_gt_u32_e32 vcc_lo, 28, v19
	s_delay_alu instid0(VALU_DEP_2)
	v_add_lshl_u32 v2, v2, v19, 2
	v_add_f64_e32 v[9:10], v[9:10], v[11:12]
	ds_bpermute_b32 v11, v2, v9
	ds_bpermute_b32 v12, v2, v10
	s_wait_alu 0xfffd
	v_cndmask_b32_e64 v2, 0, 4, vcc_lo
	v_cmp_gt_u32_e32 vcc_lo, 30, v19
	s_delay_alu instid0(VALU_DEP_2)
	v_add_lshl_u32 v2, v2, v19, 2
	s_wait_dscnt 0x0
	v_add_f64_e32 v[9:10], v[9:10], v[11:12]
	ds_bpermute_b32 v11, v2, v9
	ds_bpermute_b32 v12, v2, v10
	s_wait_dscnt 0x0
	v_add_f64_e32 v[9:10], v[9:10], v[11:12]
	s_wait_alu 0xfffd
	v_cndmask_b32_e64 v11, 0, 2, vcc_lo
	v_cmp_ne_u32_e32 vcc_lo, 31, v19
	s_delay_alu instid0(VALU_DEP_2)
	v_add_lshl_u32 v13, v11, v19, 2
	ds_bpermute_b32 v11, v13, v9
	ds_bpermute_b32 v12, v13, v10
	s_wait_dscnt 0x0
	v_add_f64_e32 v[9:10], v[9:10], v[11:12]
	s_wait_alu 0xfffd
	v_add_co_ci_u32_e64 v11, null, 0, v19, vcc_lo
	s_delay_alu instid0(VALU_DEP_1)
	v_lshlrev_b32_e32 v14, 2, v11
	ds_bpermute_b32 v11, v14, v9
	ds_bpermute_b32 v12, v14, v10
	s_and_saveexec_b32 s6, s4
	s_cbranch_execz .LBB81_19
; %bb.18:                               ;   in Loop: Header=BB81_4 Depth=1
	s_wait_dscnt 0x0
	v_add_f64_e32 v[9:10], v[9:10], v[11:12]
	ds_store_b64 v18, v[9:10]
.LBB81_19:                              ;   in Loop: Header=BB81_4 Depth=1
	s_wait_alu 0xfffe
	s_or_b32 exec_lo, exec_lo, s6
	s_wait_dscnt 0x0
	v_mov_b32_e32 v11, 0
	v_mov_b32_e32 v12, 0
	s_wait_loadcnt 0x0
	s_barrier_signal -1
	s_barrier_wait -1
	global_inv scope:SCOPE_SE
	s_and_saveexec_b32 s6, s5
	s_cbranch_execnz .LBB81_26
; %bb.20:                               ;   in Loop: Header=BB81_4 Depth=1
	s_wait_alu 0xfffe
	s_or_b32 exec_lo, exec_lo, s6
	s_and_saveexec_b32 s6, s3
	s_cbranch_execnz .LBB81_27
.LBB81_21:                              ;   in Loop: Header=BB81_4 Depth=1
	s_wait_alu 0xfffe
	s_or_b32 exec_lo, exec_lo, s6
                                        ; implicit-def: $vgpr9_vgpr10
	s_and_saveexec_b32 s6, s0
	s_cbranch_execnz .LBB81_28
	s_branch .LBB81_31
.LBB81_22:                              ;   in Loop: Header=BB81_4 Depth=1
	s_wait_dscnt 0x0
	v_mad_co_u64_u32 v[11:12], null, s8, s34, v[3:4]
	v_mad_co_u64_u32 v[13:14], null, s18, s34, v[5:6]
	s_mov_b32 s43, 0
	v_dual_mov_b32 v2, v12 :: v_dual_mov_b32 v9, v14
	s_delay_alu instid0(VALU_DEP_1) | instskip(NEXT) | instid1(VALU_DEP_2)
	v_mad_co_u64_u32 v[21:22], null, s9, s34, v[2:3]
	v_mad_co_u64_u32 v[22:23], null, s19, s34, v[9:10]
	v_mov_b32_e32 v9, 0
	v_mov_b32_e32 v10, 0
	;; [unrolled: 1-line block ×5, first 2 shown]
.LBB81_23:                              ;   Parent Loop BB81_4 Depth=1
                                        ; =>  This Inner Loop Header: Depth=2
	global_load_b64 v[21:22], v[11:12], off
	global_load_b64 v[23:24], v[13:14], off
	v_add_nc_u32_e32 v2, 0x100, v2
	v_add_co_u32 v11, vcc_lo, 0x800, v11
	s_wait_alu 0xfffd
	v_add_co_ci_u32_e64 v12, null, 0, v12, vcc_lo
	s_delay_alu instid0(VALU_DEP_3)
	v_cmp_le_i32_e32 vcc_lo, s16, v2
	v_add_co_u32 v13, s6, v13, s20
	s_wait_alu 0xf1ff
	v_add_co_ci_u32_e64 v14, null, s21, v14, s6
	s_wait_alu 0xfffe
	s_or_b32 s43, vcc_lo, s43
	s_wait_loadcnt 0x0
	v_fma_f64 v[9:10], v[21:22], v[23:24], v[9:10]
	s_wait_alu 0xfffe
	s_and_not1_b32 exec_lo, exec_lo, s43
	s_cbranch_execnz .LBB81_23
; %bb.24:                               ;   in Loop: Header=BB81_4 Depth=1
	s_or_b32 exec_lo, exec_lo, s43
	s_delay_alu instid0(SALU_CYCLE_1)
	s_or_b32 exec_lo, exec_lo, s42
	s_and_saveexec_b32 s6, s2
	s_cbranch_execz .LBB81_15
.LBB81_25:                              ;   in Loop: Header=BB81_4 Depth=1
	s_mul_u64 s[42:43], s[14:15], s[34:35]
	s_mul_u64 s[44:45], s[22:23], s[34:35]
	s_wait_alu 0xfffe
	s_lshl_b64 s[42:43], s[42:43], 3
	s_lshl_b64 s[44:45], s[44:45], 3
	s_wait_alu 0xfffe
	v_add_co_u32 v2, vcc_lo, v15, s42
	s_wait_dscnt 0x0
	s_wait_alu 0xfffd
	v_add_co_ci_u32_e64 v12, null, s43, v16, vcc_lo
	s_add_nc_u64 s[42:43], s[10:11], s[44:45]
	v_add_co_u32 v11, vcc_lo, v2, s26
	s_wait_alu 0xfffd
	v_add_co_ci_u32_e64 v12, null, s27, v12, vcc_lo
	s_wait_alu 0xfffe
	v_add_co_u32 v13, vcc_lo, s42, v7
	s_wait_alu 0xfffd
	v_add_co_ci_u32_e64 v14, null, s43, v8, vcc_lo
	global_load_b64 v[11:12], v[11:12], off
	global_load_b64 v[13:14], v[13:14], off
	s_wait_loadcnt 0x0
	v_fma_f64 v[9:10], v[11:12], v[13:14], v[9:10]
	s_or_b32 exec_lo, exec_lo, s6
	s_and_saveexec_b32 s6, s3
	s_cbranch_execnz .LBB81_16
	s_branch .LBB81_17
.LBB81_26:                              ;   in Loop: Header=BB81_4 Depth=1
	ds_load_b64 v[11:12], v17
	s_wait_alu 0xfffe
	s_or_b32 exec_lo, exec_lo, s6
	s_and_saveexec_b32 s6, s3
	s_cbranch_execz .LBB81_21
.LBB81_27:                              ;   in Loop: Header=BB81_4 Depth=1
	s_wait_dscnt 0x0
	ds_bpermute_b32 v9, v2, v11
	ds_bpermute_b32 v10, v2, v12
	s_wait_dscnt 0x0
	v_add_f64_e32 v[9:10], v[11:12], v[9:10]
	ds_bpermute_b32 v11, v13, v9
	ds_bpermute_b32 v12, v13, v10
	s_wait_dscnt 0x0
	v_add_f64_e32 v[9:10], v[9:10], v[11:12]
	;; [unrolled: 4-line block ×3, first 2 shown]
	s_wait_alu 0xfffe
	s_or_b32 exec_lo, exec_lo, s6
                                        ; implicit-def: $vgpr9_vgpr10
	s_and_saveexec_b32 s6, s0
	s_cbranch_execz .LBB81_31
.LBB81_28:                              ;   in Loop: Header=BB81_4 Depth=1
	s_wait_dscnt 0x0
	s_delay_alu instid0(VALU_DEP_1)
	v_mul_f64_e32 v[9:10], s[36:37], v[11:12]
	s_and_not1_b32 vcc_lo, exec_lo, s41
	s_wait_alu 0xfffe
	s_cbranch_vccnz .LBB81_30
; %bb.29:                               ;   in Loop: Header=BB81_4 Depth=1
	s_add_nc_u64 s[42:43], s[28:29], s[24:25]
	global_load_b64 v[11:12], v1, s[42:43]
	s_wait_loadcnt 0x0
	v_fma_f64 v[9:10], s[38:39], v[11:12], v[9:10]
.LBB81_30:                              ;   in Loop: Header=BB81_4 Depth=1
	s_or_b32 s17, s17, exec_lo
.LBB81_31:                              ;   in Loop: Header=BB81_4 Depth=1
	s_wait_alu 0xfffe
	s_or_b32 exec_lo, exec_lo, s6
.LBB81_32:                              ;   in Loop: Header=BB81_4 Depth=1
	s_wait_alu 0xfffe
	s_and_saveexec_b32 s6, s17
	s_cbranch_execz .LBB81_2
; %bb.33:                               ;   in Loop: Header=BB81_4 Depth=1
	s_add_nc_u64 s[28:29], s[28:29], s[24:25]
	global_store_b64 v1, v[9:10], s[28:29]
	s_branch .LBB81_2
.LBB81_34:
	s_endpgm
	.section	.rodata,"a",@progbits
	.p2align	6, 0x0
	.amdhsa_kernel _ZL32rocblas_gemvt_warp_reduce_kernelILb0ELi256EldddEviiT3_lPKT2_lT1_lS3_lS4_lS0_lPT4_lS4_li
		.amdhsa_group_segment_fixed_size 256
		.amdhsa_private_segment_fixed_size 0
		.amdhsa_kernarg_size 140
		.amdhsa_user_sgpr_count 2
		.amdhsa_user_sgpr_dispatch_ptr 0
		.amdhsa_user_sgpr_queue_ptr 0
		.amdhsa_user_sgpr_kernarg_segment_ptr 1
		.amdhsa_user_sgpr_dispatch_id 0
		.amdhsa_user_sgpr_private_segment_size 0
		.amdhsa_wavefront_size32 1
		.amdhsa_uses_dynamic_stack 0
		.amdhsa_enable_private_segment 0
		.amdhsa_system_sgpr_workgroup_id_x 1
		.amdhsa_system_sgpr_workgroup_id_y 0
		.amdhsa_system_sgpr_workgroup_id_z 1
		.amdhsa_system_sgpr_workgroup_info 0
		.amdhsa_system_vgpr_workitem_id 0
		.amdhsa_next_free_vgpr 25
		.amdhsa_next_free_sgpr 46
		.amdhsa_reserve_vcc 1
		.amdhsa_float_round_mode_32 0
		.amdhsa_float_round_mode_16_64 0
		.amdhsa_float_denorm_mode_32 3
		.amdhsa_float_denorm_mode_16_64 3
		.amdhsa_fp16_overflow 0
		.amdhsa_workgroup_processor_mode 1
		.amdhsa_memory_ordered 1
		.amdhsa_forward_progress 1
		.amdhsa_inst_pref_size 13
		.amdhsa_round_robin_scheduling 0
		.amdhsa_exception_fp_ieee_invalid_op 0
		.amdhsa_exception_fp_denorm_src 0
		.amdhsa_exception_fp_ieee_div_zero 0
		.amdhsa_exception_fp_ieee_overflow 0
		.amdhsa_exception_fp_ieee_underflow 0
		.amdhsa_exception_fp_ieee_inexact 0
		.amdhsa_exception_int_div_zero 0
	.end_amdhsa_kernel
	.section	.text._ZL32rocblas_gemvt_warp_reduce_kernelILb0ELi256EldddEviiT3_lPKT2_lT1_lS3_lS4_lS0_lPT4_lS4_li,"axG",@progbits,_ZL32rocblas_gemvt_warp_reduce_kernelILb0ELi256EldddEviiT3_lPKT2_lT1_lS3_lS4_lS0_lPT4_lS4_li,comdat
.Lfunc_end81:
	.size	_ZL32rocblas_gemvt_warp_reduce_kernelILb0ELi256EldddEviiT3_lPKT2_lT1_lS3_lS4_lS0_lPT4_lS4_li, .Lfunc_end81-_ZL32rocblas_gemvt_warp_reduce_kernelILb0ELi256EldddEviiT3_lPKT2_lT1_lS3_lS4_lS0_lPT4_lS4_li
                                        ; -- End function
	.set _ZL32rocblas_gemvt_warp_reduce_kernelILb0ELi256EldddEviiT3_lPKT2_lT1_lS3_lS4_lS0_lPT4_lS4_li.num_vgpr, 25
	.set _ZL32rocblas_gemvt_warp_reduce_kernelILb0ELi256EldddEviiT3_lPKT2_lT1_lS3_lS4_lS0_lPT4_lS4_li.num_agpr, 0
	.set _ZL32rocblas_gemvt_warp_reduce_kernelILb0ELi256EldddEviiT3_lPKT2_lT1_lS3_lS4_lS0_lPT4_lS4_li.numbered_sgpr, 46
	.set _ZL32rocblas_gemvt_warp_reduce_kernelILb0ELi256EldddEviiT3_lPKT2_lT1_lS3_lS4_lS0_lPT4_lS4_li.num_named_barrier, 0
	.set _ZL32rocblas_gemvt_warp_reduce_kernelILb0ELi256EldddEviiT3_lPKT2_lT1_lS3_lS4_lS0_lPT4_lS4_li.private_seg_size, 0
	.set _ZL32rocblas_gemvt_warp_reduce_kernelILb0ELi256EldddEviiT3_lPKT2_lT1_lS3_lS4_lS0_lPT4_lS4_li.uses_vcc, 1
	.set _ZL32rocblas_gemvt_warp_reduce_kernelILb0ELi256EldddEviiT3_lPKT2_lT1_lS3_lS4_lS0_lPT4_lS4_li.uses_flat_scratch, 0
	.set _ZL32rocblas_gemvt_warp_reduce_kernelILb0ELi256EldddEviiT3_lPKT2_lT1_lS3_lS4_lS0_lPT4_lS4_li.has_dyn_sized_stack, 0
	.set _ZL32rocblas_gemvt_warp_reduce_kernelILb0ELi256EldddEviiT3_lPKT2_lT1_lS3_lS4_lS0_lPT4_lS4_li.has_recursion, 0
	.set _ZL32rocblas_gemvt_warp_reduce_kernelILb0ELi256EldddEviiT3_lPKT2_lT1_lS3_lS4_lS0_lPT4_lS4_li.has_indirect_call, 0
	.section	.AMDGPU.csdata,"",@progbits
; Kernel info:
; codeLenInByte = 1640
; TotalNumSgprs: 48
; NumVgprs: 25
; ScratchSize: 0
; MemoryBound: 0
; FloatMode: 240
; IeeeMode: 1
; LDSByteSize: 256 bytes/workgroup (compile time only)
; SGPRBlocks: 0
; VGPRBlocks: 3
; NumSGPRsForWavesPerEU: 48
; NumVGPRsForWavesPerEU: 25
; Occupancy: 16
; WaveLimiterHint : 0
; COMPUTE_PGM_RSRC2:SCRATCH_EN: 0
; COMPUTE_PGM_RSRC2:USER_SGPR: 2
; COMPUTE_PGM_RSRC2:TRAP_HANDLER: 0
; COMPUTE_PGM_RSRC2:TGID_X_EN: 1
; COMPUTE_PGM_RSRC2:TGID_Y_EN: 0
; COMPUTE_PGM_RSRC2:TGID_Z_EN: 1
; COMPUTE_PGM_RSRC2:TIDIG_COMP_CNT: 0
	.section	.text._ZL20rocblas_gemvt_kernelILb0ELi256EdPKddEviiT2_lPKT1_lilS5_lilS2_lPT3_lili,"axG",@progbits,_ZL20rocblas_gemvt_kernelILb0ELi256EdPKddEviiT2_lPKT1_lilS5_lilS2_lPT3_lili,comdat
	.globl	_ZL20rocblas_gemvt_kernelILb0ELi256EdPKddEviiT2_lPKT1_lilS5_lilS2_lPT3_lili ; -- Begin function _ZL20rocblas_gemvt_kernelILb0ELi256EdPKddEviiT2_lPKT1_lilS5_lilS2_lPT3_lili
	.p2align	8
	.type	_ZL20rocblas_gemvt_kernelILb0ELi256EdPKddEviiT2_lPKT1_lilS5_lilS2_lPT3_lili,@function
_ZL20rocblas_gemvt_kernelILb0ELi256EdPKddEviiT2_lPKT1_lilS5_lilS2_lPT3_lili: ; @_ZL20rocblas_gemvt_kernelILb0ELi256EdPKddEviiT2_lPKT1_lilS5_lilS2_lPT3_lili
; %bb.0:
	s_load_b32 s33, s[0:1], 0x88
	s_lshr_b32 s10, ttmp7, 16
	s_wait_kmcnt 0x0
	s_cmp_ge_u32 s10, s33
	s_cbranch_scc1 .LBB82_41
; %bb.1:
	s_clause 0x7
	s_load_b32 s8, s[0:1], 0x28
	s_load_b96 s[4:6], s[0:1], 0x40
	s_load_b96 s[36:38], s[0:1], 0x70
	s_load_b256 s[12:19], s[0:1], 0x8
	s_load_b32 s7, s[0:1], 0x0
	s_load_b128 s[28:31], s[0:1], 0x30
	s_load_b256 s[20:27], s[0:1], 0x50
	s_load_b64 s[34:35], s[0:1], 0x80
	s_mov_b32 s2, ttmp9
	s_ashr_i32 s3, ttmp9, 31
	v_lshlrev_b32_e32 v19, 3, v0
	s_mov_b32 s11, 0
	v_mov_b32_e32 v16, 0
	s_wait_kmcnt 0x0
	s_ashr_i32 s9, s8, 31
	s_lshl_b64 s[0:1], s[4:5], 3
	s_lshl_b64 s[4:5], s[36:37], 3
	;; [unrolled: 1-line block ×3, first 2 shown]
	v_cmp_gt_i32_e32 vcc_lo, s7, v0
	s_ashr_i32 s39, s38, 31
	s_add_nc_u64 s[26:27], s[26:27], s[4:5]
	s_add_nc_u64 s[4:5], s[16:17], s[42:43]
	s_mul_u64 s[44:45], s[38:39], s[2:3]
	v_cndmask_b32_e32 v1, 0, v0, vcc_lo
	s_mul_u64 s[2:3], s[8:9], s[2:3]
	s_add_nc_u64 s[18:19], s[30:31], s[0:1]
	s_ashr_i32 s1, s7, 31
	s_lshl_b64 s[38:39], s[2:3], 3
	v_lshlrev_b32_e32 v3, 3, v1
	s_lshr_b32 s1, s1, 24
	s_add_nc_u64 s[42:43], s[38:39], s[42:43]
	s_add_co_i32 s1, s7, s1
	s_ashr_i32 s41, s6, 31
	v_add_co_u32 v1, s4, s4, v3
	s_wait_alu 0xf1ff
	v_add_co_ci_u32_e64 v2, null, s5, 0, s4
	s_and_b32 s30, s1, 0xffffff00
	v_add_co_u32 v17, vcc_lo, v1, s38
	s_wait_alu 0xfffd
	v_add_co_ci_u32_e64 v18, null, s39, v2, vcc_lo
	v_mad_co_i64_i32 v[1:2], null, s6, v0, 0
	v_or_b32_e32 v4, s30, v0
	s_mov_b32 s40, s6
	v_cmp_eq_u32_e64 s0, 0, v0
	s_cmp_gt_i32 s7, 0xff
	v_cmp_gt_u32_e64 s2, 0x80, v0
	v_cmp_gt_i32_e64 s1, s7, v4
	v_lshlrev_b64_e32 v[1:2], 3, v[1:2]
	v_mad_co_i64_i32 v[4:5], null, s6, v4, 0
	v_cmp_gt_u32_e64 s3, 64, v0
	v_cmp_gt_u32_e64 s4, 32, v0
	;; [unrolled: 1-line block ×6, first 2 shown]
	v_add_co_u32 v0, vcc_lo, s18, v1
	s_add_nc_u64 s[16:17], s[16:17], s[42:43]
	s_wait_alu 0xfffd
	v_add_co_ci_u32_e64 v1, null, s19, v2, vcc_lo
	v_add_co_u32 v2, s9, s16, v3
	v_lshlrev_b64_e32 v[4:5], 3, v[4:5]
	v_add_co_ci_u32_e64 v3, null, s17, 0, s9
	s_cselect_b32 s46, -1, 0
	s_ashr_i32 s31, s30, 31
	s_lshl_b64 s[36:37], s[20:21], 3
	s_lshl_b64 s[38:39], s[40:41], 11
	;; [unrolled: 1-line block ×4, first 2 shown]
	s_wait_alu 0xfffe
	s_lshl_b64 s[42:43], s[30:31], 3
	s_branch .LBB82_4
.LBB82_2:                               ;   in Loop: Header=BB82_4 Depth=1
	s_wait_alu 0xfffe
	s_or_b32 exec_lo, exec_lo, s31
.LBB82_3:                               ;   in Loop: Header=BB82_4 Depth=1
	s_add_co_i32 s10, s10, 0x10000
	s_wait_alu 0xfffe
	s_cmp_lt_u32 s10, s33
	s_cbranch_scc0 .LBB82_41
.LBB82_4:                               ; =>This Loop Header: Depth=1
                                        ;     Child Loop BB82_15 Depth 2
	s_mul_u64 s[44:45], s[14:15], s[10:11]
	s_mul_u64 s[48:49], s[24:25], s[10:11]
	s_lshl_b64 s[44:45], s[44:45], 3
	s_wait_alu 0xfffe
	s_lshl_b64 s[48:49], s[48:49], 3
	s_add_nc_u64 s[44:45], s[12:13], s[44:45]
	s_wait_alu 0xfffe
	s_add_nc_u64 s[48:49], s[22:23], s[48:49]
	s_clause 0x1
	global_load_b64 v[8:9], v16, s[44:45]
	global_load_b64 v[6:7], v16, s[48:49]
	s_wait_loadcnt 0x1
	v_cmp_eq_f64_e32 vcc_lo, 0, v[8:9]
	s_wait_loadcnt 0x0
	v_cmp_eq_f64_e64 s9, 1.0, v[6:7]
	s_and_b32 s9, vcc_lo, s9
	s_wait_alu 0xfffe
	s_and_b32 vcc_lo, exec_lo, s9
	s_wait_alu 0xfffe
	s_cbranch_vccnz .LBB82_3
; %bb.5:                                ;   in Loop: Header=BB82_4 Depth=1
	v_cmp_neq_f64_e32 vcc_lo, 0, v[8:9]
	s_mul_u64 s[44:45], s[34:35], s[10:11]
	s_delay_alu instid0(SALU_CYCLE_1) | instskip(NEXT) | instid1(SALU_CYCLE_1)
	s_lshl_b64 s[44:45], s[44:45], 3
	s_add_nc_u64 s[44:45], s[26:27], s[44:45]
	s_cbranch_vccnz .LBB82_9
; %bb.6:                                ;   in Loop: Header=BB82_4 Depth=1
	s_mov_b32 s31, 0
	s_mov_b32 s9, 0
                                        ; implicit-def: $vgpr10_vgpr11
	s_and_saveexec_b32 s47, s0
	s_cbranch_execz .LBB82_10
; %bb.7:                                ;   in Loop: Header=BB82_4 Depth=1
	v_cmp_eq_f64_e32 vcc_lo, 0, v[6:7]
	s_cbranch_vccnz .LBB82_11
; %bb.8:                                ;   in Loop: Header=BB82_4 Depth=1
	s_add_nc_u64 s[48:49], s[44:45], s[40:41]
	global_load_b64 v[10:11], v16, s[48:49]
	s_wait_loadcnt 0x0
	v_mul_f64_e32 v[10:11], v[6:7], v[10:11]
	s_branch .LBB82_12
.LBB82_9:                               ;   in Loop: Header=BB82_4 Depth=1
	s_mov_b32 s9, 0
                                        ; implicit-def: $vgpr10_vgpr11
	s_cbranch_execnz .LBB82_13
	s_branch .LBB82_39
.LBB82_10:                              ;   in Loop: Header=BB82_4 Depth=1
	s_or_b32 exec_lo, exec_lo, s47
	s_wait_alu 0xfffe
	s_and_b32 vcc_lo, exec_lo, s31
	s_wait_alu 0xfffe
	s_cbranch_vccnz .LBB82_13
	s_branch .LBB82_39
.LBB82_11:                              ;   in Loop: Header=BB82_4 Depth=1
	v_mov_b32_e32 v10, 0
	v_mov_b32_e32 v11, 0
.LBB82_12:                              ;   in Loop: Header=BB82_4 Depth=1
	s_mov_b32 s9, exec_lo
	s_or_b32 exec_lo, exec_lo, s47
	s_wait_alu 0xfffe
	s_and_b32 vcc_lo, exec_lo, s31
	s_wait_alu 0xfffe
	s_cbranch_vccz .LBB82_39
.LBB82_13:                              ;   in Loop: Header=BB82_4 Depth=1
	v_mov_b32_e32 v10, 0
	v_mov_b32_e32 v11, 0
	s_and_not1_b32 vcc_lo, exec_lo, s46
	s_wait_alu 0xfffe
	s_cbranch_vccnz .LBB82_16
; %bb.14:                               ;   in Loop: Header=BB82_4 Depth=1
	v_mad_co_u64_u32 v[12:13], null, s36, s10, v[0:1]
	v_mad_co_u64_u32 v[14:15], null, s16, s10, v[2:3]
	s_mov_b32 s31, 0
	v_dual_mov_b32 v10, v13 :: v_dual_mov_b32 v11, v15
	s_delay_alu instid0(VALU_DEP_1) | instskip(SKIP_3) | instid1(VALU_DEP_4)
	v_mad_co_u64_u32 v[20:21], null, s37, s10, v[10:11]
	v_mad_co_u64_u32 v[21:22], null, s17, s10, v[11:12]
	v_mov_b32_e32 v10, 0
	v_mov_b32_e32 v11, 0
	;; [unrolled: 1-line block ×3, first 2 shown]
	s_delay_alu instid0(VALU_DEP_4)
	v_mov_b32_e32 v15, v21
.LBB82_15:                              ;   Parent Loop BB82_4 Depth=1
                                        ; =>  This Inner Loop Header: Depth=2
	global_load_b64 v[20:21], v[14:15], off
	global_load_b64 v[22:23], v[12:13], off
	v_add_co_u32 v12, vcc_lo, v12, s38
	s_wait_alu 0xfffd
	v_add_co_ci_u32_e64 v13, null, s39, v13, vcc_lo
	v_add_co_u32 v14, vcc_lo, 0x800, v14
	s_wait_alu 0xfffd
	v_add_co_ci_u32_e64 v15, null, 0, v15, vcc_lo
	s_wait_alu 0xfffe
	s_addk_co_i32 s31, 0x100
	s_wait_alu 0xfffe
	s_cmp_ge_i32 s31, s30
	s_wait_loadcnt 0x0
	v_fma_f64 v[10:11], v[20:21], v[22:23], v[10:11]
	s_cbranch_scc0 .LBB82_15
.LBB82_16:                              ;   in Loop: Header=BB82_4 Depth=1
	s_and_saveexec_b32 s31, s1
	s_cbranch_execz .LBB82_18
; %bb.17:                               ;   in Loop: Header=BB82_4 Depth=1
	s_mul_u64 s[48:49], s[28:29], s[10:11]
	s_mul_u64 s[50:51], s[20:21], s[10:11]
	s_wait_alu 0xfffe
	s_lshl_b64 s[48:49], s[48:49], 3
	s_lshl_b64 s[50:51], s[50:51], 3
	s_wait_alu 0xfffe
	v_add_co_u32 v12, vcc_lo, v17, s48
	s_wait_alu 0xfffd
	v_add_co_ci_u32_e64 v13, null, s49, v18, vcc_lo
	s_add_nc_u64 s[48:49], s[18:19], s[50:51]
	v_add_co_u32 v12, vcc_lo, v12, s42
	s_wait_alu 0xfffd
	v_add_co_ci_u32_e64 v13, null, s43, v13, vcc_lo
	s_wait_alu 0xfffe
	v_add_co_u32 v14, vcc_lo, s48, v4
	s_wait_alu 0xfffd
	v_add_co_ci_u32_e64 v15, null, s49, v5, vcc_lo
	global_load_b64 v[12:13], v[12:13], off
	global_load_b64 v[14:15], v[14:15], off
	s_wait_loadcnt 0x0
	v_fma_f64 v[10:11], v[12:13], v[14:15], v[10:11]
.LBB82_18:                              ;   in Loop: Header=BB82_4 Depth=1
	s_wait_alu 0xfffe
	s_or_b32 exec_lo, exec_lo, s31
	ds_store_b64 v19, v[10:11]
	s_wait_dscnt 0x0
	s_barrier_signal -1
	s_barrier_wait -1
	global_inv scope:SCOPE_SE
	s_and_saveexec_b32 s31, s2
	s_cbranch_execz .LBB82_20
; %bb.19:                               ;   in Loop: Header=BB82_4 Depth=1
	ds_load_2addr_stride64_b64 v[10:13], v19 offset1:2
	s_wait_dscnt 0x0
	v_add_f64_e32 v[10:11], v[12:13], v[10:11]
	ds_store_b64 v19, v[10:11]
.LBB82_20:                              ;   in Loop: Header=BB82_4 Depth=1
	s_wait_alu 0xfffe
	s_or_b32 exec_lo, exec_lo, s31
	s_wait_loadcnt_dscnt 0x0
	s_barrier_signal -1
	s_barrier_wait -1
	global_inv scope:SCOPE_SE
	s_and_saveexec_b32 s31, s3
	s_cbranch_execz .LBB82_22
; %bb.21:                               ;   in Loop: Header=BB82_4 Depth=1
	ds_load_2addr_stride64_b64 v[10:13], v19 offset1:1
	s_wait_dscnt 0x0
	v_add_f64_e32 v[10:11], v[12:13], v[10:11]
	ds_store_b64 v19, v[10:11]
.LBB82_22:                              ;   in Loop: Header=BB82_4 Depth=1
	s_wait_alu 0xfffe
	s_or_b32 exec_lo, exec_lo, s31
	s_wait_loadcnt_dscnt 0x0
	s_barrier_signal -1
	s_barrier_wait -1
	global_inv scope:SCOPE_SE
	s_and_saveexec_b32 s31, s4
	s_cbranch_execz .LBB82_24
; %bb.23:                               ;   in Loop: Header=BB82_4 Depth=1
	ds_load_2addr_b64 v[10:13], v19 offset1:32
	s_wait_dscnt 0x0
	v_add_f64_e32 v[10:11], v[12:13], v[10:11]
	ds_store_b64 v19, v[10:11]
.LBB82_24:                              ;   in Loop: Header=BB82_4 Depth=1
	s_wait_alu 0xfffe
	s_or_b32 exec_lo, exec_lo, s31
	s_wait_loadcnt_dscnt 0x0
	s_barrier_signal -1
	s_barrier_wait -1
	global_inv scope:SCOPE_SE
	s_and_saveexec_b32 s31, s5
	s_cbranch_execz .LBB82_26
; %bb.25:                               ;   in Loop: Header=BB82_4 Depth=1
	ds_load_2addr_b64 v[10:13], v19 offset1:16
	s_wait_dscnt 0x0
	v_add_f64_e32 v[10:11], v[12:13], v[10:11]
	ds_store_b64 v19, v[10:11]
.LBB82_26:                              ;   in Loop: Header=BB82_4 Depth=1
	;; [unrolled: 14-line block ×5, first 2 shown]
	s_wait_alu 0xfffe
	s_or_b32 exec_lo, exec_lo, s31
	s_wait_loadcnt_dscnt 0x0
	s_barrier_signal -1
	s_barrier_wait -1
	global_inv scope:SCOPE_SE
	s_and_saveexec_b32 s31, s0
	s_cbranch_execz .LBB82_34
; %bb.33:                               ;   in Loop: Header=BB82_4 Depth=1
	ds_load_b128 v[10:13], v16
	s_wait_dscnt 0x0
	v_add_f64_e32 v[10:11], v[12:13], v[10:11]
	ds_store_b64 v16, v[10:11]
.LBB82_34:                              ;   in Loop: Header=BB82_4 Depth=1
	s_wait_alu 0xfffe
	s_or_b32 exec_lo, exec_lo, s31
	s_wait_loadcnt_dscnt 0x0
	s_barrier_signal -1
	s_barrier_wait -1
	global_inv scope:SCOPE_SE
                                        ; implicit-def: $vgpr10_vgpr11
	s_and_saveexec_b32 s31, s0
	s_cbranch_execz .LBB82_38
; %bb.35:                               ;   in Loop: Header=BB82_4 Depth=1
	ds_load_b64 v[10:11], v16
	v_cmp_eq_f64_e32 vcc_lo, 0, v[6:7]
	s_wait_dscnt 0x0
	v_mul_f64_e32 v[10:11], v[8:9], v[10:11]
	s_cbranch_vccnz .LBB82_37
; %bb.36:                               ;   in Loop: Header=BB82_4 Depth=1
	s_add_nc_u64 s[48:49], s[44:45], s[40:41]
	global_load_b64 v[8:9], v16, s[48:49]
	s_wait_loadcnt 0x0
	v_fma_f64 v[10:11], v[6:7], v[8:9], v[10:11]
.LBB82_37:                              ;   in Loop: Header=BB82_4 Depth=1
	s_or_b32 s9, s9, exec_lo
.LBB82_38:                              ;   in Loop: Header=BB82_4 Depth=1
	s_wait_alu 0xfffe
	s_or_b32 exec_lo, exec_lo, s31
.LBB82_39:                              ;   in Loop: Header=BB82_4 Depth=1
	s_wait_alu 0xfffe
	s_and_saveexec_b32 s31, s9
	s_cbranch_execz .LBB82_2
; %bb.40:                               ;   in Loop: Header=BB82_4 Depth=1
	s_add_nc_u64 s[44:45], s[44:45], s[40:41]
	global_store_b64 v16, v[10:11], s[44:45]
	s_branch .LBB82_2
.LBB82_41:
	s_endpgm
	.section	.rodata,"a",@progbits
	.p2align	6, 0x0
	.amdhsa_kernel _ZL20rocblas_gemvt_kernelILb0ELi256EdPKddEviiT2_lPKT1_lilS5_lilS2_lPT3_lili
		.amdhsa_group_segment_fixed_size 2048
		.amdhsa_private_segment_fixed_size 0
		.amdhsa_kernarg_size 140
		.amdhsa_user_sgpr_count 2
		.amdhsa_user_sgpr_dispatch_ptr 0
		.amdhsa_user_sgpr_queue_ptr 0
		.amdhsa_user_sgpr_kernarg_segment_ptr 1
		.amdhsa_user_sgpr_dispatch_id 0
		.amdhsa_user_sgpr_private_segment_size 0
		.amdhsa_wavefront_size32 1
		.amdhsa_uses_dynamic_stack 0
		.amdhsa_enable_private_segment 0
		.amdhsa_system_sgpr_workgroup_id_x 1
		.amdhsa_system_sgpr_workgroup_id_y 0
		.amdhsa_system_sgpr_workgroup_id_z 1
		.amdhsa_system_sgpr_workgroup_info 0
		.amdhsa_system_vgpr_workitem_id 0
		.amdhsa_next_free_vgpr 24
		.amdhsa_next_free_sgpr 52
		.amdhsa_reserve_vcc 1
		.amdhsa_float_round_mode_32 0
		.amdhsa_float_round_mode_16_64 0
		.amdhsa_float_denorm_mode_32 3
		.amdhsa_float_denorm_mode_16_64 3
		.amdhsa_fp16_overflow 0
		.amdhsa_workgroup_processor_mode 1
		.amdhsa_memory_ordered 1
		.amdhsa_forward_progress 1
		.amdhsa_inst_pref_size 14
		.amdhsa_round_robin_scheduling 0
		.amdhsa_exception_fp_ieee_invalid_op 0
		.amdhsa_exception_fp_denorm_src 0
		.amdhsa_exception_fp_ieee_div_zero 0
		.amdhsa_exception_fp_ieee_overflow 0
		.amdhsa_exception_fp_ieee_underflow 0
		.amdhsa_exception_fp_ieee_inexact 0
		.amdhsa_exception_int_div_zero 0
	.end_amdhsa_kernel
	.section	.text._ZL20rocblas_gemvt_kernelILb0ELi256EdPKddEviiT2_lPKT1_lilS5_lilS2_lPT3_lili,"axG",@progbits,_ZL20rocblas_gemvt_kernelILb0ELi256EdPKddEviiT2_lPKT1_lilS5_lilS2_lPT3_lili,comdat
.Lfunc_end82:
	.size	_ZL20rocblas_gemvt_kernelILb0ELi256EdPKddEviiT2_lPKT1_lilS5_lilS2_lPT3_lili, .Lfunc_end82-_ZL20rocblas_gemvt_kernelILb0ELi256EdPKddEviiT2_lPKT1_lilS5_lilS2_lPT3_lili
                                        ; -- End function
	.set _ZL20rocblas_gemvt_kernelILb0ELi256EdPKddEviiT2_lPKT1_lilS5_lilS2_lPT3_lili.num_vgpr, 24
	.set _ZL20rocblas_gemvt_kernelILb0ELi256EdPKddEviiT2_lPKT1_lilS5_lilS2_lPT3_lili.num_agpr, 0
	.set _ZL20rocblas_gemvt_kernelILb0ELi256EdPKddEviiT2_lPKT1_lilS5_lilS2_lPT3_lili.numbered_sgpr, 52
	.set _ZL20rocblas_gemvt_kernelILb0ELi256EdPKddEviiT2_lPKT1_lilS5_lilS2_lPT3_lili.num_named_barrier, 0
	.set _ZL20rocblas_gemvt_kernelILb0ELi256EdPKddEviiT2_lPKT1_lilS5_lilS2_lPT3_lili.private_seg_size, 0
	.set _ZL20rocblas_gemvt_kernelILb0ELi256EdPKddEviiT2_lPKT1_lilS5_lilS2_lPT3_lili.uses_vcc, 1
	.set _ZL20rocblas_gemvt_kernelILb0ELi256EdPKddEviiT2_lPKT1_lilS5_lilS2_lPT3_lili.uses_flat_scratch, 0
	.set _ZL20rocblas_gemvt_kernelILb0ELi256EdPKddEviiT2_lPKT1_lilS5_lilS2_lPT3_lili.has_dyn_sized_stack, 0
	.set _ZL20rocblas_gemvt_kernelILb0ELi256EdPKddEviiT2_lPKT1_lilS5_lilS2_lPT3_lili.has_recursion, 0
	.set _ZL20rocblas_gemvt_kernelILb0ELi256EdPKddEviiT2_lPKT1_lilS5_lilS2_lPT3_lili.has_indirect_call, 0
	.section	.AMDGPU.csdata,"",@progbits
; Kernel info:
; codeLenInByte = 1688
; TotalNumSgprs: 54
; NumVgprs: 24
; ScratchSize: 0
; MemoryBound: 0
; FloatMode: 240
; IeeeMode: 1
; LDSByteSize: 2048 bytes/workgroup (compile time only)
; SGPRBlocks: 0
; VGPRBlocks: 2
; NumSGPRsForWavesPerEU: 54
; NumVGPRsForWavesPerEU: 24
; Occupancy: 16
; WaveLimiterHint : 0
; COMPUTE_PGM_RSRC2:SCRATCH_EN: 0
; COMPUTE_PGM_RSRC2:USER_SGPR: 2
; COMPUTE_PGM_RSRC2:TRAP_HANDLER: 0
; COMPUTE_PGM_RSRC2:TGID_X_EN: 1
; COMPUTE_PGM_RSRC2:TGID_Y_EN: 0
; COMPUTE_PGM_RSRC2:TGID_Z_EN: 1
; COMPUTE_PGM_RSRC2:TIDIG_COMP_CNT: 0
	.section	.text._ZL20rocblas_gemvt_kernelILb0ELi256EdddEviiT2_lPKT1_lilS3_lilS0_lPT3_lili,"axG",@progbits,_ZL20rocblas_gemvt_kernelILb0ELi256EdddEviiT2_lPKT1_lilS3_lilS0_lPT3_lili,comdat
	.globl	_ZL20rocblas_gemvt_kernelILb0ELi256EdddEviiT2_lPKT1_lilS3_lilS0_lPT3_lili ; -- Begin function _ZL20rocblas_gemvt_kernelILb0ELi256EdddEviiT2_lPKT1_lilS3_lilS0_lPT3_lili
	.p2align	8
	.type	_ZL20rocblas_gemvt_kernelILb0ELi256EdddEviiT2_lPKT1_lilS3_lilS0_lPT3_lili,@function
_ZL20rocblas_gemvt_kernelILb0ELi256EdddEviiT2_lPKT1_lilS3_lilS0_lPT3_lili: ; @_ZL20rocblas_gemvt_kernelILb0ELi256EdddEviiT2_lPKT1_lilS3_lilS0_lPT3_lili
; %bb.0:
	s_load_b32 s33, s[0:1], 0x88
	s_lshr_b32 s28, ttmp7, 16
	s_wait_kmcnt 0x0
	s_cmp_ge_u32 s28, s33
	s_cbranch_scc1 .LBB83_41
; %bb.1:
	s_clause 0x9
	s_load_b64 s[30:31], s[0:1], 0x8
	s_load_b128 s[12:15], s[0:1], 0x50
	s_load_b32 s36, s[0:1], 0x28
	s_load_b96 s[24:26], s[0:1], 0x40
	s_load_b32 s27, s[0:1], 0x0
	s_load_b32 s38, s[0:1], 0x78
	s_load_b128 s[20:23], s[0:1], 0x18
	s_load_b128 s[8:11], s[0:1], 0x68
	;; [unrolled: 1-line block ×3, first 2 shown]
	s_load_b64 s[34:35], s[0:1], 0x80
	s_mov_b32 s6, ttmp9
	s_ashr_i32 s7, ttmp9, 31
	v_cmp_eq_u32_e64 s0, 0, v0
	v_dual_mov_b32 v12, 0 :: v_dual_lshlrev_b32 v13, 3, v0
	v_cmp_gt_u32_e64 s1, 0x80, v0
	v_cmp_gt_u32_e64 s2, 64, v0
	;; [unrolled: 1-line block ×5, first 2 shown]
	s_wait_kmcnt 0x0
	v_cmp_neq_f64_e64 s46, s[30:31], 0
	v_cmp_neq_f64_e64 s47, s[14:15], 1.0
	s_ashr_i32 s37, s36, 31
	s_lshl_b64 s[24:25], s[24:25], 3
	v_cmp_gt_i32_e32 vcc_lo, s27, v0
	s_ashr_i32 s39, s38, 31
	s_lshl_b64 s[44:45], s[22:23], 3
	s_ashr_i32 s22, s27, 31
	s_lshl_b64 s[42:43], s[10:11], 3
	v_cndmask_b32_e32 v3, 0, v0, vcc_lo
	s_lshr_b32 s22, s22, 24
	s_add_nc_u64 s[10:11], s[18:19], s[24:25]
	s_add_nc_u64 s[18:19], s[8:9], s[42:43]
	;; [unrolled: 1-line block ×3, first 2 shown]
	v_lshlrev_b32_e32 v3, 3, v3
	s_mul_u64 s[24:25], s[36:37], s[6:7]
	s_mul_u64 s[36:37], s[38:39], s[6:7]
	s_add_co_i32 s6, s27, s22
	s_lshl_b64 s[38:39], s[24:25], 3
	s_and_b32 s22, s6, 0xffffff00
	v_add_co_u32 v6, s6, s8, v3
	s_delay_alu instid0(VALU_DEP_1) | instskip(SKIP_1) | instid1(VALU_DEP_3)
	v_add_co_ci_u32_e64 v7, null, s9, 0, s6
	v_cmp_eq_f64_e64 s43, s[30:31], 0
	v_add_co_u32 v14, vcc_lo, v6, s38
	s_wait_alu 0xfffd
	s_delay_alu instid0(VALU_DEP_3)
	v_add_co_ci_u32_e64 v15, null, s39, v7, vcc_lo
	s_add_nc_u64 s[38:39], s[38:39], s[44:45]
	v_cmp_neq_f64_e64 s44, s[14:15], 0
	v_mad_co_i64_i32 v[1:2], null, s26, v0, 0
	v_or_b32_e32 v4, s22, v0
	v_cmp_gt_u32_e64 s7, 4, v0
	v_cmp_gt_u32_e64 s8, 2, v0
	s_wait_alu 0xfffe
	s_add_nc_u64 s[20:21], s[20:21], s[38:39]
	s_ashr_i32 s41, s26, 31
	v_cmp_gt_i32_e64 s6, s27, v4
	v_lshlrev_b64_e32 v[1:2], 3, v[1:2]
	v_mad_co_i64_i32 v[4:5], null, s26, v4, 0
	s_or_b32 s9, s46, s47
	s_cmp_gt_i32 s27, 0xff
	s_mov_b32 s40, s26
	v_add_co_u32 v0, vcc_lo, s10, v1
	s_wait_alu 0xfffd
	v_add_co_ci_u32_e64 v1, null, s11, v2, vcc_lo
	v_add_co_u32 v2, s20, s20, v3
	v_lshlrev_b64_e32 v[4:5], 3, v[4:5]
	s_wait_alu 0xf1ff
	v_add_co_ci_u32_e64 v3, null, s21, 0, s20
	s_cselect_b32 s42, -1, 0
	s_ashr_i32 s23, s22, 31
	s_mov_b32 s29, 0
	s_lshl_b64 s[24:25], s[12:13], 3
	s_lshl_b64 s[26:27], s[40:41], 11
	s_lshl_b64 s[20:21], s[16:17], 3
	s_lshl_b64 s[36:37], s[36:37], 3
	s_wait_alu 0xfffe
	s_lshl_b64 s[38:39], s[22:23], 3
	s_branch .LBB83_4
.LBB83_2:                               ;   in Loop: Header=BB83_4 Depth=1
	s_or_b32 exec_lo, exec_lo, s45
.LBB83_3:                               ;   in Loop: Header=BB83_4 Depth=1
	s_add_co_i32 s28, s28, 0x10000
	s_wait_alu 0xfffe
	s_cmp_lt_u32 s28, s33
	s_cbranch_scc0 .LBB83_41
.LBB83_4:                               ; =>This Loop Header: Depth=1
                                        ;     Child Loop BB83_15 Depth 2
	s_and_not1_b32 vcc_lo, exec_lo, s9
	s_wait_alu 0xfffe
	s_cbranch_vccnz .LBB83_3
; %bb.5:                                ;   in Loop: Header=BB83_4 Depth=1
	s_mul_u64 s[40:41], s[34:35], s[28:29]
	s_and_not1_b32 vcc_lo, exec_lo, s43
	s_lshl_b64 s[40:41], s[40:41], 3
	s_delay_alu instid0(SALU_CYCLE_1)
	s_add_nc_u64 s[40:41], s[18:19], s[40:41]
	s_wait_alu 0xfffe
	s_cbranch_vccnz .LBB83_9
; %bb.6:                                ;   in Loop: Header=BB83_4 Depth=1
	s_mov_b32 s45, 0
	s_mov_b32 s23, 0
                                        ; implicit-def: $vgpr6_vgpr7
	s_and_saveexec_b32 s46, s0
	s_cbranch_execz .LBB83_10
; %bb.7:                                ;   in Loop: Header=BB83_4 Depth=1
	s_and_not1_b32 vcc_lo, exec_lo, s44
	s_wait_alu 0xfffe
	s_cbranch_vccnz .LBB83_11
; %bb.8:                                ;   in Loop: Header=BB83_4 Depth=1
	s_add_nc_u64 s[48:49], s[40:41], s[36:37]
	global_load_b64 v[6:7], v12, s[48:49]
	s_wait_loadcnt 0x0
	v_mul_f64_e32 v[6:7], s[14:15], v[6:7]
	s_branch .LBB83_12
.LBB83_9:                               ;   in Loop: Header=BB83_4 Depth=1
	s_mov_b32 s23, 0
                                        ; implicit-def: $vgpr6_vgpr7
	s_cbranch_execnz .LBB83_13
	s_branch .LBB83_39
.LBB83_10:                              ;   in Loop: Header=BB83_4 Depth=1
	s_wait_alu 0xfffe
	s_or_b32 exec_lo, exec_lo, s46
	s_delay_alu instid0(SALU_CYCLE_1)
	s_and_b32 vcc_lo, exec_lo, s45
	s_wait_alu 0xfffe
	s_cbranch_vccnz .LBB83_13
	s_branch .LBB83_39
.LBB83_11:                              ;   in Loop: Header=BB83_4 Depth=1
	v_mov_b32_e32 v6, 0
	v_mov_b32_e32 v7, 0
.LBB83_12:                              ;   in Loop: Header=BB83_4 Depth=1
	s_mov_b32 s23, exec_lo
	s_or_b32 exec_lo, exec_lo, s46
	s_delay_alu instid0(SALU_CYCLE_1)
	s_and_b32 vcc_lo, exec_lo, s45
	s_wait_alu 0xfffe
	s_cbranch_vccz .LBB83_39
.LBB83_13:                              ;   in Loop: Header=BB83_4 Depth=1
	v_mov_b32_e32 v6, 0
	v_mov_b32_e32 v7, 0
	s_and_not1_b32 vcc_lo, exec_lo, s42
	s_wait_alu 0xfffe
	s_cbranch_vccnz .LBB83_16
; %bb.14:                               ;   in Loop: Header=BB83_4 Depth=1
	v_mad_co_u64_u32 v[8:9], null, s24, s28, v[0:1]
	v_mad_co_u64_u32 v[10:11], null, s20, s28, v[2:3]
	s_mov_b32 s45, 0
	v_dual_mov_b32 v6, v9 :: v_dual_mov_b32 v7, v11
	s_delay_alu instid0(VALU_DEP_1) | instskip(SKIP_3) | instid1(VALU_DEP_4)
	v_mad_co_u64_u32 v[16:17], null, s25, s28, v[6:7]
	v_mad_co_u64_u32 v[17:18], null, s21, s28, v[7:8]
	v_mov_b32_e32 v6, 0
	v_mov_b32_e32 v7, 0
	;; [unrolled: 1-line block ×3, first 2 shown]
	s_delay_alu instid0(VALU_DEP_4)
	v_mov_b32_e32 v11, v17
.LBB83_15:                              ;   Parent Loop BB83_4 Depth=1
                                        ; =>  This Inner Loop Header: Depth=2
	global_load_b64 v[16:17], v[10:11], off
	global_load_b64 v[18:19], v[8:9], off
	v_add_co_u32 v8, vcc_lo, v8, s26
	s_wait_alu 0xfffd
	v_add_co_ci_u32_e64 v9, null, s27, v9, vcc_lo
	v_add_co_u32 v10, vcc_lo, 0x800, v10
	s_wait_alu 0xfffd
	v_add_co_ci_u32_e64 v11, null, 0, v11, vcc_lo
	s_addk_co_i32 s45, 0x100
	s_delay_alu instid0(SALU_CYCLE_1)
	s_cmp_ge_i32 s45, s22
	s_wait_loadcnt 0x0
	v_fma_f64 v[6:7], v[16:17], v[18:19], v[6:7]
	s_cbranch_scc0 .LBB83_15
.LBB83_16:                              ;   in Loop: Header=BB83_4 Depth=1
	s_and_saveexec_b32 s45, s6
	s_cbranch_execz .LBB83_18
; %bb.17:                               ;   in Loop: Header=BB83_4 Depth=1
	s_mul_u64 s[46:47], s[16:17], s[28:29]
	s_mul_u64 s[48:49], s[12:13], s[28:29]
	s_wait_alu 0xfffe
	s_lshl_b64 s[46:47], s[46:47], 3
	s_lshl_b64 s[48:49], s[48:49], 3
	s_wait_alu 0xfffe
	v_add_co_u32 v8, vcc_lo, v14, s46
	s_wait_alu 0xfffd
	v_add_co_ci_u32_e64 v9, null, s47, v15, vcc_lo
	s_add_nc_u64 s[46:47], s[10:11], s[48:49]
	v_add_co_u32 v8, vcc_lo, v8, s38
	s_wait_alu 0xfffd
	v_add_co_ci_u32_e64 v9, null, s39, v9, vcc_lo
	s_wait_alu 0xfffe
	v_add_co_u32 v10, vcc_lo, s46, v4
	s_wait_alu 0xfffd
	v_add_co_ci_u32_e64 v11, null, s47, v5, vcc_lo
	global_load_b64 v[8:9], v[8:9], off
	global_load_b64 v[10:11], v[10:11], off
	s_wait_loadcnt 0x0
	v_fma_f64 v[6:7], v[8:9], v[10:11], v[6:7]
.LBB83_18:                              ;   in Loop: Header=BB83_4 Depth=1
	s_or_b32 exec_lo, exec_lo, s45
	ds_store_b64 v13, v[6:7]
	s_wait_dscnt 0x0
	s_barrier_signal -1
	s_barrier_wait -1
	global_inv scope:SCOPE_SE
	s_and_saveexec_b32 s45, s1
	s_cbranch_execz .LBB83_20
; %bb.19:                               ;   in Loop: Header=BB83_4 Depth=1
	ds_load_2addr_stride64_b64 v[6:9], v13 offset1:2
	s_wait_dscnt 0x0
	v_add_f64_e32 v[6:7], v[8:9], v[6:7]
	ds_store_b64 v13, v[6:7]
.LBB83_20:                              ;   in Loop: Header=BB83_4 Depth=1
	s_or_b32 exec_lo, exec_lo, s45
	s_wait_loadcnt_dscnt 0x0
	s_barrier_signal -1
	s_barrier_wait -1
	global_inv scope:SCOPE_SE
	s_and_saveexec_b32 s45, s2
	s_cbranch_execz .LBB83_22
; %bb.21:                               ;   in Loop: Header=BB83_4 Depth=1
	ds_load_2addr_stride64_b64 v[6:9], v13 offset1:1
	s_wait_dscnt 0x0
	v_add_f64_e32 v[6:7], v[8:9], v[6:7]
	ds_store_b64 v13, v[6:7]
.LBB83_22:                              ;   in Loop: Header=BB83_4 Depth=1
	s_or_b32 exec_lo, exec_lo, s45
	s_wait_loadcnt_dscnt 0x0
	s_barrier_signal -1
	s_barrier_wait -1
	global_inv scope:SCOPE_SE
	s_and_saveexec_b32 s45, s3
	s_cbranch_execz .LBB83_24
; %bb.23:                               ;   in Loop: Header=BB83_4 Depth=1
	ds_load_2addr_b64 v[6:9], v13 offset1:32
	s_wait_dscnt 0x0
	v_add_f64_e32 v[6:7], v[8:9], v[6:7]
	ds_store_b64 v13, v[6:7]
.LBB83_24:                              ;   in Loop: Header=BB83_4 Depth=1
	s_or_b32 exec_lo, exec_lo, s45
	s_wait_loadcnt_dscnt 0x0
	s_barrier_signal -1
	s_barrier_wait -1
	global_inv scope:SCOPE_SE
	s_and_saveexec_b32 s45, s4
	s_cbranch_execz .LBB83_26
; %bb.25:                               ;   in Loop: Header=BB83_4 Depth=1
	ds_load_2addr_b64 v[6:9], v13 offset1:16
	s_wait_dscnt 0x0
	v_add_f64_e32 v[6:7], v[8:9], v[6:7]
	ds_store_b64 v13, v[6:7]
.LBB83_26:                              ;   in Loop: Header=BB83_4 Depth=1
	s_or_b32 exec_lo, exec_lo, s45
	s_wait_loadcnt_dscnt 0x0
	s_barrier_signal -1
	s_barrier_wait -1
	global_inv scope:SCOPE_SE
	s_and_saveexec_b32 s45, s5
	s_cbranch_execz .LBB83_28
; %bb.27:                               ;   in Loop: Header=BB83_4 Depth=1
	ds_load_2addr_b64 v[6:9], v13 offset1:8
	s_wait_dscnt 0x0
	v_add_f64_e32 v[6:7], v[8:9], v[6:7]
	ds_store_b64 v13, v[6:7]
.LBB83_28:                              ;   in Loop: Header=BB83_4 Depth=1
	s_or_b32 exec_lo, exec_lo, s45
	s_wait_loadcnt_dscnt 0x0
	s_barrier_signal -1
	s_barrier_wait -1
	global_inv scope:SCOPE_SE
	s_and_saveexec_b32 s45, s7
	s_cbranch_execz .LBB83_30
; %bb.29:                               ;   in Loop: Header=BB83_4 Depth=1
	ds_load_2addr_b64 v[6:9], v13 offset1:4
	s_wait_dscnt 0x0
	v_add_f64_e32 v[6:7], v[8:9], v[6:7]
	ds_store_b64 v13, v[6:7]
.LBB83_30:                              ;   in Loop: Header=BB83_4 Depth=1
	s_or_b32 exec_lo, exec_lo, s45
	s_wait_loadcnt_dscnt 0x0
	s_barrier_signal -1
	s_barrier_wait -1
	global_inv scope:SCOPE_SE
	s_and_saveexec_b32 s45, s8
	s_cbranch_execz .LBB83_32
; %bb.31:                               ;   in Loop: Header=BB83_4 Depth=1
	ds_load_2addr_b64 v[6:9], v13 offset1:2
	s_wait_dscnt 0x0
	v_add_f64_e32 v[6:7], v[8:9], v[6:7]
	ds_store_b64 v13, v[6:7]
.LBB83_32:                              ;   in Loop: Header=BB83_4 Depth=1
	s_or_b32 exec_lo, exec_lo, s45
	s_wait_loadcnt_dscnt 0x0
	s_barrier_signal -1
	s_barrier_wait -1
	global_inv scope:SCOPE_SE
	s_and_saveexec_b32 s45, s0
	s_cbranch_execz .LBB83_34
; %bb.33:                               ;   in Loop: Header=BB83_4 Depth=1
	ds_load_b128 v[6:9], v12
	s_wait_dscnt 0x0
	v_add_f64_e32 v[6:7], v[8:9], v[6:7]
	ds_store_b64 v12, v[6:7]
.LBB83_34:                              ;   in Loop: Header=BB83_4 Depth=1
	s_or_b32 exec_lo, exec_lo, s45
	s_wait_loadcnt_dscnt 0x0
	s_barrier_signal -1
	s_barrier_wait -1
	global_inv scope:SCOPE_SE
                                        ; implicit-def: $vgpr6_vgpr7
	s_and_saveexec_b32 s45, s0
	s_cbranch_execz .LBB83_38
; %bb.35:                               ;   in Loop: Header=BB83_4 Depth=1
	ds_load_b64 v[6:7], v12
	s_and_not1_b32 vcc_lo, exec_lo, s44
	s_wait_dscnt 0x0
	v_mul_f64_e32 v[6:7], s[30:31], v[6:7]
	s_wait_alu 0xfffe
	s_cbranch_vccnz .LBB83_37
; %bb.36:                               ;   in Loop: Header=BB83_4 Depth=1
	s_add_nc_u64 s[46:47], s[40:41], s[36:37]
	global_load_b64 v[8:9], v12, s[46:47]
	s_wait_loadcnt 0x0
	v_fma_f64 v[6:7], s[14:15], v[8:9], v[6:7]
.LBB83_37:                              ;   in Loop: Header=BB83_4 Depth=1
	s_or_b32 s23, s23, exec_lo
.LBB83_38:                              ;   in Loop: Header=BB83_4 Depth=1
	s_or_b32 exec_lo, exec_lo, s45
.LBB83_39:                              ;   in Loop: Header=BB83_4 Depth=1
	s_wait_alu 0xfffe
	s_and_saveexec_b32 s45, s23
	s_cbranch_execz .LBB83_2
; %bb.40:                               ;   in Loop: Header=BB83_4 Depth=1
	s_add_nc_u64 s[40:41], s[40:41], s[36:37]
	global_store_b64 v12, v[6:7], s[40:41]
	s_branch .LBB83_2
.LBB83_41:
	s_endpgm
	.section	.rodata,"a",@progbits
	.p2align	6, 0x0
	.amdhsa_kernel _ZL20rocblas_gemvt_kernelILb0ELi256EdddEviiT2_lPKT1_lilS3_lilS0_lPT3_lili
		.amdhsa_group_segment_fixed_size 2048
		.amdhsa_private_segment_fixed_size 0
		.amdhsa_kernarg_size 140
		.amdhsa_user_sgpr_count 2
		.amdhsa_user_sgpr_dispatch_ptr 0
		.amdhsa_user_sgpr_queue_ptr 0
		.amdhsa_user_sgpr_kernarg_segment_ptr 1
		.amdhsa_user_sgpr_dispatch_id 0
		.amdhsa_user_sgpr_private_segment_size 0
		.amdhsa_wavefront_size32 1
		.amdhsa_uses_dynamic_stack 0
		.amdhsa_enable_private_segment 0
		.amdhsa_system_sgpr_workgroup_id_x 1
		.amdhsa_system_sgpr_workgroup_id_y 0
		.amdhsa_system_sgpr_workgroup_id_z 1
		.amdhsa_system_sgpr_workgroup_info 0
		.amdhsa_system_vgpr_workitem_id 0
		.amdhsa_next_free_vgpr 20
		.amdhsa_next_free_sgpr 50
		.amdhsa_reserve_vcc 1
		.amdhsa_float_round_mode_32 0
		.amdhsa_float_round_mode_16_64 0
		.amdhsa_float_denorm_mode_32 3
		.amdhsa_float_denorm_mode_16_64 3
		.amdhsa_fp16_overflow 0
		.amdhsa_workgroup_processor_mode 1
		.amdhsa_memory_ordered 1
		.amdhsa_forward_progress 1
		.amdhsa_inst_pref_size 13
		.amdhsa_round_robin_scheduling 0
		.amdhsa_exception_fp_ieee_invalid_op 0
		.amdhsa_exception_fp_denorm_src 0
		.amdhsa_exception_fp_ieee_div_zero 0
		.amdhsa_exception_fp_ieee_overflow 0
		.amdhsa_exception_fp_ieee_underflow 0
		.amdhsa_exception_fp_ieee_inexact 0
		.amdhsa_exception_int_div_zero 0
	.end_amdhsa_kernel
	.section	.text._ZL20rocblas_gemvt_kernelILb0ELi256EdddEviiT2_lPKT1_lilS3_lilS0_lPT3_lili,"axG",@progbits,_ZL20rocblas_gemvt_kernelILb0ELi256EdddEviiT2_lPKT1_lilS3_lilS0_lPT3_lili,comdat
.Lfunc_end83:
	.size	_ZL20rocblas_gemvt_kernelILb0ELi256EdddEviiT2_lPKT1_lilS3_lilS0_lPT3_lili, .Lfunc_end83-_ZL20rocblas_gemvt_kernelILb0ELi256EdddEviiT2_lPKT1_lilS3_lilS0_lPT3_lili
                                        ; -- End function
	.set _ZL20rocblas_gemvt_kernelILb0ELi256EdddEviiT2_lPKT1_lilS3_lilS0_lPT3_lili.num_vgpr, 20
	.set _ZL20rocblas_gemvt_kernelILb0ELi256EdddEviiT2_lPKT1_lilS3_lilS0_lPT3_lili.num_agpr, 0
	.set _ZL20rocblas_gemvt_kernelILb0ELi256EdddEviiT2_lPKT1_lilS3_lilS0_lPT3_lili.numbered_sgpr, 50
	.set _ZL20rocblas_gemvt_kernelILb0ELi256EdddEviiT2_lPKT1_lilS3_lilS0_lPT3_lili.num_named_barrier, 0
	.set _ZL20rocblas_gemvt_kernelILb0ELi256EdddEviiT2_lPKT1_lilS3_lilS0_lPT3_lili.private_seg_size, 0
	.set _ZL20rocblas_gemvt_kernelILb0ELi256EdddEviiT2_lPKT1_lilS3_lilS0_lPT3_lili.uses_vcc, 1
	.set _ZL20rocblas_gemvt_kernelILb0ELi256EdddEviiT2_lPKT1_lilS3_lilS0_lPT3_lili.uses_flat_scratch, 0
	.set _ZL20rocblas_gemvt_kernelILb0ELi256EdddEviiT2_lPKT1_lilS3_lilS0_lPT3_lili.has_dyn_sized_stack, 0
	.set _ZL20rocblas_gemvt_kernelILb0ELi256EdddEviiT2_lPKT1_lilS3_lilS0_lPT3_lili.has_recursion, 0
	.set _ZL20rocblas_gemvt_kernelILb0ELi256EdddEviiT2_lPKT1_lilS3_lilS0_lPT3_lili.has_indirect_call, 0
	.section	.AMDGPU.csdata,"",@progbits
; Kernel info:
; codeLenInByte = 1632
; TotalNumSgprs: 52
; NumVgprs: 20
; ScratchSize: 0
; MemoryBound: 0
; FloatMode: 240
; IeeeMode: 1
; LDSByteSize: 2048 bytes/workgroup (compile time only)
; SGPRBlocks: 0
; VGPRBlocks: 2
; NumSGPRsForWavesPerEU: 52
; NumVGPRsForWavesPerEU: 20
; Occupancy: 16
; WaveLimiterHint : 0
; COMPUTE_PGM_RSRC2:SCRATCH_EN: 0
; COMPUTE_PGM_RSRC2:USER_SGPR: 2
; COMPUTE_PGM_RSRC2:TRAP_HANDLER: 0
; COMPUTE_PGM_RSRC2:TGID_X_EN: 1
; COMPUTE_PGM_RSRC2:TGID_Y_EN: 0
; COMPUTE_PGM_RSRC2:TGID_Z_EN: 1
; COMPUTE_PGM_RSRC2:TIDIG_COMP_CNT: 0
	.section	.text._ZL32rocblas_gemvt_warp_reduce_kernelILb0ELi1024EidPKddEviiT3_lPKT2_lT1_lS5_lS6_lS2_lPT4_lS6_li,"axG",@progbits,_ZL32rocblas_gemvt_warp_reduce_kernelILb0ELi1024EidPKddEviiT3_lPKT2_lT1_lS5_lS6_lS2_lPT4_lS6_li,comdat
	.globl	_ZL32rocblas_gemvt_warp_reduce_kernelILb0ELi1024EidPKddEviiT3_lPKT2_lT1_lS5_lS6_lS2_lPT4_lS6_li ; -- Begin function _ZL32rocblas_gemvt_warp_reduce_kernelILb0ELi1024EidPKddEviiT3_lPKT2_lT1_lS5_lS6_lS2_lPT4_lS6_li
	.p2align	8
	.type	_ZL32rocblas_gemvt_warp_reduce_kernelILb0ELi1024EidPKddEviiT3_lPKT2_lT1_lS5_lS6_lS2_lPT4_lS6_li,@function
_ZL32rocblas_gemvt_warp_reduce_kernelILb0ELi1024EidPKddEviiT3_lPKT2_lT1_lS5_lS6_lS2_lPT4_lS6_li: ; @_ZL32rocblas_gemvt_warp_reduce_kernelILb0ELi1024EidPKddEviiT3_lPKT2_lT1_lS5_lS6_lS2_lPT4_lS6_li
; %bb.0:
	s_load_b32 s33, s[0:1], 0x88
	s_lshr_b32 s28, ttmp7, 16
	s_wait_kmcnt 0x0
	s_cmp_ge_u32 s28, s33
	s_cbranch_scc1 .LBB84_34
; %bb.1:
	s_clause 0x7
	s_load_b96 s[4:6], s[0:1], 0x40
	s_load_b96 s[36:38], s[0:1], 0x70
	s_load_b256 s[8:15], s[0:1], 0x8
	s_load_b32 s7, s[0:1], 0x0
	s_load_b32 s39, s[0:1], 0x28
	s_load_b128 s[24:27], s[0:1], 0x30
	s_load_b256 s[16:23], s[0:1], 0x50
	s_load_b64 s[30:31], s[0:1], 0x80
	v_mbcnt_lo_u32_b32 v22, -1, 0
	v_cmp_eq_u32_e64 s0, 0, v0
	s_mov_b32 s29, 0
	v_lshl_or_b32 v23, v22, 2, 64
	s_wait_kmcnt 0x0
	s_lshl_b64 s[2:3], s[4:5], 3
	s_lshl_b64 s[4:5], s[36:37], 3
	;; [unrolled: 1-line block ×3, first 2 shown]
	v_cmp_gt_i32_e32 vcc_lo, s7, v0
	s_ashr_i32 s1, s7, 31
	v_mov_b32_e32 v1, 0
	s_lshr_b32 s1, s1, 22
	s_add_nc_u64 s[14:15], s[26:27], s[2:3]
	v_cndmask_b32_e32 v2, 0, v0, vcc_lo
	s_add_co_i32 s1, s7, s1
	s_add_nc_u64 s[2:3], s[12:13], s[34:35]
	s_and_b32 s26, s1, 0xfffffc00
	s_mul_i32 s36, s38, ttmp9
	v_or_b32_e32 v3, s26, v0
	v_lshlrev_b32_e32 v2, 3, v2
	s_mul_i32 s38, s39, ttmp9
	v_mul_lo_u32 v21, v0, s6
	s_ashr_i32 s39, s38, 31
	v_mul_lo_u32 v5, s6, v3
	v_add_co_u32 v4, s1, s2, v2
	s_delay_alu instid0(VALU_DEP_1)
	v_add_co_ci_u32_e64 v6, null, s3, 0, s1
	s_lshl_b64 s[38:39], s[38:39], 3
	v_cmp_gt_i32_e64 s2, s7, v3
	v_add_co_u32 v17, vcc_lo, v4, s38
	v_and_b32_e32 v3, 31, v0
	s_wait_alu 0xfffd
	v_add_co_ci_u32_e64 v18, null, s39, v6, vcc_lo
	v_ashrrev_i32_e32 v6, 31, v5
	s_add_nc_u64 s[34:35], s[34:35], s[38:39]
	v_lshrrev_b32_e32 v4, 2, v0
	s_lshl_b32 s40, s6, 10
	s_add_nc_u64 s[6:7], s[12:13], s[34:35]
	s_add_nc_u64 s[22:23], s[22:23], s[4:5]
	v_lshlrev_b32_e32 v19, 3, v3
	v_cmp_eq_u32_e64 s4, 0, v3
	s_wait_alu 0xfffe
	v_add_co_u32 v3, s5, s6, v2
	v_lshlrev_b64_e32 v[5:6], 3, v[5:6]
	v_cmp_gt_i32_e64 s1, s26, v0
	v_cmp_gt_u32_e64 s3, 32, v0
	v_and_b32_e32 v20, 0xf8, v4
	v_add_co_ci_u32_e64 v4, null, s7, 0, s5
	s_ashr_i32 s37, s36, 31
	s_ashr_i32 s27, s26, 31
	s_lshl_b64 s[6:7], s[24:25], 3
	s_lshl_b64 s[12:13], s[36:37], 3
	s_wait_alu 0xfffe
	s_lshl_b64 s[34:35], s[26:27], 3
	s_branch .LBB84_4
.LBB84_2:                               ;   in Loop: Header=BB84_4 Depth=1
	s_wait_alu 0xfffe
	s_or_b32 exec_lo, exec_lo, s5
.LBB84_3:                               ;   in Loop: Header=BB84_4 Depth=1
	s_add_co_i32 s28, s28, 0x10000
	s_wait_alu 0xfffe
	s_cmp_lt_u32 s28, s33
	s_cbranch_scc0 .LBB84_34
.LBB84_4:                               ; =>This Loop Header: Depth=1
                                        ;     Child Loop BB84_23 Depth 2
	s_mul_u64 s[36:37], s[10:11], s[28:29]
	s_mul_u64 s[38:39], s[20:21], s[28:29]
	s_lshl_b64 s[36:37], s[36:37], 3
	s_wait_alu 0xfffe
	s_lshl_b64 s[38:39], s[38:39], 3
	s_add_nc_u64 s[36:37], s[8:9], s[36:37]
	s_wait_alu 0xfffe
	s_add_nc_u64 s[38:39], s[18:19], s[38:39]
	s_clause 0x1
	global_load_b64 v[9:10], v1, s[36:37]
	global_load_b64 v[7:8], v1, s[38:39]
	s_wait_loadcnt 0x1
	v_cmp_eq_f64_e32 vcc_lo, 0, v[9:10]
	s_wait_loadcnt 0x0
	v_cmp_eq_f64_e64 s5, 1.0, v[7:8]
	s_and_b32 s5, vcc_lo, s5
	s_wait_alu 0xfffe
	s_and_b32 vcc_lo, exec_lo, s5
	s_wait_alu 0xfffe
	s_cbranch_vccnz .LBB84_3
; %bb.5:                                ;   in Loop: Header=BB84_4 Depth=1
	v_cmp_neq_f64_e32 vcc_lo, 0, v[9:10]
	s_mul_u64 s[36:37], s[30:31], s[28:29]
	s_delay_alu instid0(SALU_CYCLE_1) | instskip(NEXT) | instid1(SALU_CYCLE_1)
	s_lshl_b64 s[36:37], s[36:37], 3
	s_add_nc_u64 s[36:37], s[22:23], s[36:37]
	s_cbranch_vccnz .LBB84_9
; %bb.6:                                ;   in Loop: Header=BB84_4 Depth=1
	s_mov_b32 s5, 0
	s_mov_b32 s27, 0
                                        ; implicit-def: $vgpr11_vgpr12
	s_and_saveexec_b32 s38, s0
	s_cbranch_execz .LBB84_10
; %bb.7:                                ;   in Loop: Header=BB84_4 Depth=1
	v_cmp_eq_f64_e32 vcc_lo, 0, v[7:8]
	s_cbranch_vccnz .LBB84_11
; %bb.8:                                ;   in Loop: Header=BB84_4 Depth=1
	s_add_nc_u64 s[42:43], s[36:37], s[12:13]
	global_load_b64 v[11:12], v1, s[42:43]
	s_wait_loadcnt 0x0
	v_mul_f64_e32 v[11:12], v[7:8], v[11:12]
	s_branch .LBB84_12
.LBB84_9:                               ;   in Loop: Header=BB84_4 Depth=1
	s_mov_b32 s27, 0
                                        ; implicit-def: $vgpr11_vgpr12
	s_cbranch_execnz .LBB84_13
	s_branch .LBB84_32
.LBB84_10:                              ;   in Loop: Header=BB84_4 Depth=1
	s_wait_alu 0xfffe
	s_or_b32 exec_lo, exec_lo, s38
	s_delay_alu instid0(SALU_CYCLE_1)
	s_and_b32 vcc_lo, exec_lo, s5
	s_wait_alu 0xfffe
	s_cbranch_vccnz .LBB84_13
	s_branch .LBB84_32
.LBB84_11:                              ;   in Loop: Header=BB84_4 Depth=1
	v_mov_b32_e32 v11, 0
	v_mov_b32_e32 v12, 0
.LBB84_12:                              ;   in Loop: Header=BB84_4 Depth=1
	s_mov_b32 s27, exec_lo
	s_wait_alu 0xfffe
	s_or_b32 exec_lo, exec_lo, s38
	s_delay_alu instid0(SALU_CYCLE_1)
	s_and_b32 vcc_lo, exec_lo, s5
	s_wait_alu 0xfffe
	s_cbranch_vccz .LBB84_32
.LBB84_13:                              ;   in Loop: Header=BB84_4 Depth=1
	s_mul_u64 s[38:39], s[16:17], s[28:29]
	v_mov_b32_e32 v11, 0
	v_mov_b32_e32 v12, 0
	s_wait_alu 0xfffe
	s_lshl_b64 s[38:39], s[38:39], 3
	s_wait_alu 0xfffe
	s_add_nc_u64 s[38:39], s[14:15], s[38:39]
	s_and_saveexec_b32 s41, s1
	s_cbranch_execnz .LBB84_22
; %bb.14:                               ;   in Loop: Header=BB84_4 Depth=1
	s_wait_alu 0xfffe
	s_or_b32 exec_lo, exec_lo, s41
	s_and_saveexec_b32 s5, s2
	s_cbranch_execnz .LBB84_25
.LBB84_15:                              ;   in Loop: Header=BB84_4 Depth=1
	s_wait_alu 0xfffe
	s_or_b32 exec_lo, exec_lo, s5
	s_and_saveexec_b32 s5, s3
.LBB84_16:                              ;   in Loop: Header=BB84_4 Depth=1
	v_mov_b32_e32 v2, v1
	ds_store_b64 v19, v[1:2]
.LBB84_17:                              ;   in Loop: Header=BB84_4 Depth=1
	s_wait_alu 0xfffe
	s_or_b32 exec_lo, exec_lo, s5
	s_wait_dscnt 0x0
	ds_bpermute_b32 v13, v23, v11
	ds_bpermute_b32 v14, v23, v12
	v_cmp_gt_u32_e32 vcc_lo, 24, v22
	s_wait_dscnt 0x0
	s_barrier_signal -1
	s_barrier_wait -1
	global_inv scope:SCOPE_SE
	s_wait_alu 0xfffd
	v_cndmask_b32_e64 v2, 0, 8, vcc_lo
	v_cmp_gt_u32_e32 vcc_lo, 28, v22
	s_delay_alu instid0(VALU_DEP_2)
	v_add_lshl_u32 v2, v2, v22, 2
	v_add_f64_e32 v[11:12], v[11:12], v[13:14]
	ds_bpermute_b32 v13, v2, v11
	ds_bpermute_b32 v14, v2, v12
	s_wait_dscnt 0x0
	v_add_f64_e32 v[11:12], v[11:12], v[13:14]
	s_wait_alu 0xfffd
	v_cndmask_b32_e64 v13, 0, 4, vcc_lo
	v_cmp_gt_u32_e32 vcc_lo, 30, v22
	s_delay_alu instid0(VALU_DEP_2)
	v_add_lshl_u32 v15, v13, v22, 2
	ds_bpermute_b32 v13, v15, v11
	ds_bpermute_b32 v14, v15, v12
	s_wait_dscnt 0x0
	v_add_f64_e32 v[11:12], v[11:12], v[13:14]
	s_wait_alu 0xfffd
	v_cndmask_b32_e64 v13, 0, 2, vcc_lo
	v_cmp_ne_u32_e32 vcc_lo, 31, v22
	s_delay_alu instid0(VALU_DEP_2)
	v_add_lshl_u32 v16, v13, v22, 2
	ds_bpermute_b32 v13, v16, v11
	ds_bpermute_b32 v14, v16, v12
	s_wait_dscnt 0x0
	v_add_f64_e32 v[11:12], v[11:12], v[13:14]
	s_wait_alu 0xfffd
	v_add_co_ci_u32_e64 v13, null, 0, v22, vcc_lo
	s_delay_alu instid0(VALU_DEP_1)
	v_lshlrev_b32_e32 v24, 2, v13
	ds_bpermute_b32 v13, v24, v11
	ds_bpermute_b32 v14, v24, v12
	s_and_saveexec_b32 s5, s4
	s_cbranch_execz .LBB84_19
; %bb.18:                               ;   in Loop: Header=BB84_4 Depth=1
	s_wait_dscnt 0x0
	v_add_f64_e32 v[11:12], v[11:12], v[13:14]
	ds_store_b64 v20, v[11:12]
.LBB84_19:                              ;   in Loop: Header=BB84_4 Depth=1
	s_wait_alu 0xfffe
	s_or_b32 exec_lo, exec_lo, s5
	s_wait_dscnt 0x0
	v_mov_b32_e32 v13, 0
	v_mov_b32_e32 v14, 0
	s_wait_loadcnt 0x0
	s_barrier_signal -1
	s_barrier_wait -1
	global_inv scope:SCOPE_SE
	s_and_saveexec_b32 s5, s3
	s_cbranch_execnz .LBB84_26
; %bb.20:                               ;   in Loop: Header=BB84_4 Depth=1
	s_wait_alu 0xfffe
	s_or_b32 exec_lo, exec_lo, s5
	s_and_saveexec_b32 s5, s3
	s_cbranch_execnz .LBB84_27
.LBB84_21:                              ;   in Loop: Header=BB84_4 Depth=1
	s_wait_alu 0xfffe
	s_or_b32 exec_lo, exec_lo, s5
                                        ; implicit-def: $vgpr11_vgpr12
	s_and_saveexec_b32 s5, s0
	s_cbranch_execnz .LBB84_28
	s_branch .LBB84_31
.LBB84_22:                              ;   in Loop: Header=BB84_4 Depth=1
	s_wait_dscnt 0x0
	v_mad_co_u64_u32 v[13:14], null, s6, s28, v[3:4]
	s_mov_b32 s42, 0
	v_mov_b32_e32 v11, 0
	v_mov_b32_e32 v12, 0
	;; [unrolled: 1-line block ×3, first 2 shown]
	s_delay_alu instid0(VALU_DEP_1)
	v_mad_co_u64_u32 v[14:15], null, s7, s28, v[2:3]
	v_dual_mov_b32 v2, v0 :: v_dual_mov_b32 v15, v21
.LBB84_23:                              ;   Parent Loop BB84_4 Depth=1
                                        ; =>  This Inner Loop Header: Depth=2
	s_delay_alu instid0(VALU_DEP_1) | instskip(NEXT) | instid1(VALU_DEP_2)
	v_ashrrev_i32_e32 v16, 31, v15
	v_add_nc_u32_e32 v2, 0x400, v2
	s_delay_alu instid0(VALU_DEP_2) | instskip(NEXT) | instid1(VALU_DEP_2)
	v_lshlrev_b64_e32 v[24:25], 3, v[15:16]
	v_cmp_le_i32_e64 s5, s26, v2
	v_add_nc_u32_e32 v15, s40, v15
	s_wait_alu 0xfffe
	s_or_b32 s42, s5, s42
	v_add_co_u32 v24, vcc_lo, s38, v24
	s_wait_alu 0xfffd
	v_add_co_ci_u32_e64 v25, null, s39, v25, vcc_lo
	global_load_b64 v[26:27], v[13:14], off
	global_load_b64 v[24:25], v[24:25], off
	v_add_co_u32 v13, vcc_lo, 0x2000, v13
	s_wait_alu 0xfffd
	v_add_co_ci_u32_e64 v14, null, 0, v14, vcc_lo
	s_wait_loadcnt 0x0
	v_fma_f64 v[11:12], v[26:27], v[24:25], v[11:12]
	s_wait_alu 0xfffe
	s_and_not1_b32 exec_lo, exec_lo, s42
	s_cbranch_execnz .LBB84_23
; %bb.24:                               ;   in Loop: Header=BB84_4 Depth=1
	s_or_b32 exec_lo, exec_lo, s42
	s_delay_alu instid0(SALU_CYCLE_1)
	s_or_b32 exec_lo, exec_lo, s41
	s_and_saveexec_b32 s5, s2
	s_cbranch_execz .LBB84_15
.LBB84_25:                              ;   in Loop: Header=BB84_4 Depth=1
	s_mul_u64 s[42:43], s[24:25], s[28:29]
	s_wait_alu 0xfffe
	s_lshl_b64 s[42:43], s[42:43], 3
	s_wait_alu 0xfffe
	v_add_co_u32 v2, vcc_lo, v17, s42
	s_wait_dscnt 0x0
	s_wait_alu 0xfffd
	v_add_co_ci_u32_e64 v14, null, s43, v18, vcc_lo
	s_delay_alu instid0(VALU_DEP_2) | instskip(SKIP_1) | instid1(VALU_DEP_2)
	v_add_co_u32 v13, vcc_lo, v2, s34
	s_wait_alu 0xfffd
	v_add_co_ci_u32_e64 v14, null, s35, v14, vcc_lo
	v_add_co_u32 v15, vcc_lo, s38, v5
	s_wait_alu 0xfffd
	v_add_co_ci_u32_e64 v16, null, s39, v6, vcc_lo
	global_load_b64 v[13:14], v[13:14], off
	global_load_b64 v[15:16], v[15:16], off
	s_wait_loadcnt 0x0
	v_fma_f64 v[11:12], v[13:14], v[15:16], v[11:12]
	s_or_b32 exec_lo, exec_lo, s5
	s_and_saveexec_b32 s5, s3
	s_cbranch_execnz .LBB84_16
	s_branch .LBB84_17
.LBB84_26:                              ;   in Loop: Header=BB84_4 Depth=1
	ds_load_b64 v[13:14], v19
	s_wait_alu 0xfffe
	s_or_b32 exec_lo, exec_lo, s5
	s_and_saveexec_b32 s5, s3
	s_cbranch_execz .LBB84_21
.LBB84_27:                              ;   in Loop: Header=BB84_4 Depth=1
	s_wait_dscnt 0x0
	ds_bpermute_b32 v11, v23, v13
	ds_bpermute_b32 v12, v23, v14
	s_wait_dscnt 0x0
	v_add_f64_e32 v[11:12], v[13:14], v[11:12]
	ds_bpermute_b32 v13, v2, v11
	ds_bpermute_b32 v14, v2, v12
	s_wait_dscnt 0x0
	v_add_f64_e32 v[11:12], v[11:12], v[13:14]
	;; [unrolled: 4-line block ×5, first 2 shown]
	s_wait_alu 0xfffe
	s_or_b32 exec_lo, exec_lo, s5
                                        ; implicit-def: $vgpr11_vgpr12
	s_and_saveexec_b32 s5, s0
	s_cbranch_execz .LBB84_31
.LBB84_28:                              ;   in Loop: Header=BB84_4 Depth=1
	v_cmp_eq_f64_e32 vcc_lo, 0, v[7:8]
	s_wait_dscnt 0x0
	s_delay_alu instid0(VALU_DEP_2)
	v_mul_f64_e32 v[11:12], v[9:10], v[13:14]
	s_cbranch_vccnz .LBB84_30
; %bb.29:                               ;   in Loop: Header=BB84_4 Depth=1
	s_add_nc_u64 s[38:39], s[36:37], s[12:13]
	global_load_b64 v[9:10], v1, s[38:39]
	s_wait_loadcnt 0x0
	v_fma_f64 v[11:12], v[7:8], v[9:10], v[11:12]
.LBB84_30:                              ;   in Loop: Header=BB84_4 Depth=1
	s_or_b32 s27, s27, exec_lo
.LBB84_31:                              ;   in Loop: Header=BB84_4 Depth=1
	s_wait_alu 0xfffe
	s_or_b32 exec_lo, exec_lo, s5
.LBB84_32:                              ;   in Loop: Header=BB84_4 Depth=1
	s_wait_alu 0xfffe
	s_and_saveexec_b32 s5, s27
	s_cbranch_execz .LBB84_2
; %bb.33:                               ;   in Loop: Header=BB84_4 Depth=1
	s_add_nc_u64 s[36:37], s[36:37], s[12:13]
	global_store_b64 v1, v[11:12], s[36:37]
	s_branch .LBB84_2
.LBB84_34:
	s_endpgm
	.section	.rodata,"a",@progbits
	.p2align	6, 0x0
	.amdhsa_kernel _ZL32rocblas_gemvt_warp_reduce_kernelILb0ELi1024EidPKddEviiT3_lPKT2_lT1_lS5_lS6_lS2_lPT4_lS6_li
		.amdhsa_group_segment_fixed_size 256
		.amdhsa_private_segment_fixed_size 0
		.amdhsa_kernarg_size 140
		.amdhsa_user_sgpr_count 2
		.amdhsa_user_sgpr_dispatch_ptr 0
		.amdhsa_user_sgpr_queue_ptr 0
		.amdhsa_user_sgpr_kernarg_segment_ptr 1
		.amdhsa_user_sgpr_dispatch_id 0
		.amdhsa_user_sgpr_private_segment_size 0
		.amdhsa_wavefront_size32 1
		.amdhsa_uses_dynamic_stack 0
		.amdhsa_enable_private_segment 0
		.amdhsa_system_sgpr_workgroup_id_x 1
		.amdhsa_system_sgpr_workgroup_id_y 0
		.amdhsa_system_sgpr_workgroup_id_z 1
		.amdhsa_system_sgpr_workgroup_info 0
		.amdhsa_system_vgpr_workitem_id 0
		.amdhsa_next_free_vgpr 28
		.amdhsa_next_free_sgpr 44
		.amdhsa_reserve_vcc 1
		.amdhsa_float_round_mode_32 0
		.amdhsa_float_round_mode_16_64 0
		.amdhsa_float_denorm_mode_32 3
		.amdhsa_float_denorm_mode_16_64 3
		.amdhsa_fp16_overflow 0
		.amdhsa_workgroup_processor_mode 1
		.amdhsa_memory_ordered 1
		.amdhsa_forward_progress 1
		.amdhsa_inst_pref_size 14
		.amdhsa_round_robin_scheduling 0
		.amdhsa_exception_fp_ieee_invalid_op 0
		.amdhsa_exception_fp_denorm_src 0
		.amdhsa_exception_fp_ieee_div_zero 0
		.amdhsa_exception_fp_ieee_overflow 0
		.amdhsa_exception_fp_ieee_underflow 0
		.amdhsa_exception_fp_ieee_inexact 0
		.amdhsa_exception_int_div_zero 0
	.end_amdhsa_kernel
	.section	.text._ZL32rocblas_gemvt_warp_reduce_kernelILb0ELi1024EidPKddEviiT3_lPKT2_lT1_lS5_lS6_lS2_lPT4_lS6_li,"axG",@progbits,_ZL32rocblas_gemvt_warp_reduce_kernelILb0ELi1024EidPKddEviiT3_lPKT2_lT1_lS5_lS6_lS2_lPT4_lS6_li,comdat
.Lfunc_end84:
	.size	_ZL32rocblas_gemvt_warp_reduce_kernelILb0ELi1024EidPKddEviiT3_lPKT2_lT1_lS5_lS6_lS2_lPT4_lS6_li, .Lfunc_end84-_ZL32rocblas_gemvt_warp_reduce_kernelILb0ELi1024EidPKddEviiT3_lPKT2_lT1_lS5_lS6_lS2_lPT4_lS6_li
                                        ; -- End function
	.set _ZL32rocblas_gemvt_warp_reduce_kernelILb0ELi1024EidPKddEviiT3_lPKT2_lT1_lS5_lS6_lS2_lPT4_lS6_li.num_vgpr, 28
	.set _ZL32rocblas_gemvt_warp_reduce_kernelILb0ELi1024EidPKddEviiT3_lPKT2_lT1_lS5_lS6_lS2_lPT4_lS6_li.num_agpr, 0
	.set _ZL32rocblas_gemvt_warp_reduce_kernelILb0ELi1024EidPKddEviiT3_lPKT2_lT1_lS5_lS6_lS2_lPT4_lS6_li.numbered_sgpr, 44
	.set _ZL32rocblas_gemvt_warp_reduce_kernelILb0ELi1024EidPKddEviiT3_lPKT2_lT1_lS5_lS6_lS2_lPT4_lS6_li.num_named_barrier, 0
	.set _ZL32rocblas_gemvt_warp_reduce_kernelILb0ELi1024EidPKddEviiT3_lPKT2_lT1_lS5_lS6_lS2_lPT4_lS6_li.private_seg_size, 0
	.set _ZL32rocblas_gemvt_warp_reduce_kernelILb0ELi1024EidPKddEviiT3_lPKT2_lT1_lS5_lS6_lS2_lPT4_lS6_li.uses_vcc, 1
	.set _ZL32rocblas_gemvt_warp_reduce_kernelILb0ELi1024EidPKddEviiT3_lPKT2_lT1_lS5_lS6_lS2_lPT4_lS6_li.uses_flat_scratch, 0
	.set _ZL32rocblas_gemvt_warp_reduce_kernelILb0ELi1024EidPKddEviiT3_lPKT2_lT1_lS5_lS6_lS2_lPT4_lS6_li.has_dyn_sized_stack, 0
	.set _ZL32rocblas_gemvt_warp_reduce_kernelILb0ELi1024EidPKddEviiT3_lPKT2_lT1_lS5_lS6_lS2_lPT4_lS6_li.has_recursion, 0
	.set _ZL32rocblas_gemvt_warp_reduce_kernelILb0ELi1024EidPKddEviiT3_lPKT2_lT1_lS5_lS6_lS2_lPT4_lS6_li.has_indirect_call, 0
	.section	.AMDGPU.csdata,"",@progbits
; Kernel info:
; codeLenInByte = 1700
; TotalNumSgprs: 46
; NumVgprs: 28
; ScratchSize: 0
; MemoryBound: 0
; FloatMode: 240
; IeeeMode: 1
; LDSByteSize: 256 bytes/workgroup (compile time only)
; SGPRBlocks: 0
; VGPRBlocks: 3
; NumSGPRsForWavesPerEU: 46
; NumVGPRsForWavesPerEU: 28
; Occupancy: 16
; WaveLimiterHint : 0
; COMPUTE_PGM_RSRC2:SCRATCH_EN: 0
; COMPUTE_PGM_RSRC2:USER_SGPR: 2
; COMPUTE_PGM_RSRC2:TRAP_HANDLER: 0
; COMPUTE_PGM_RSRC2:TGID_X_EN: 1
; COMPUTE_PGM_RSRC2:TGID_Y_EN: 0
; COMPUTE_PGM_RSRC2:TGID_Z_EN: 1
; COMPUTE_PGM_RSRC2:TIDIG_COMP_CNT: 0
	.section	.text._ZL32rocblas_gemvt_warp_reduce_kernelILb0ELi1024EldPKddEviiT3_lPKT2_lT1_lS5_lS6_lS2_lPT4_lS6_li,"axG",@progbits,_ZL32rocblas_gemvt_warp_reduce_kernelILb0ELi1024EldPKddEviiT3_lPKT2_lT1_lS5_lS6_lS2_lPT4_lS6_li,comdat
	.globl	_ZL32rocblas_gemvt_warp_reduce_kernelILb0ELi1024EldPKddEviiT3_lPKT2_lT1_lS5_lS6_lS2_lPT4_lS6_li ; -- Begin function _ZL32rocblas_gemvt_warp_reduce_kernelILb0ELi1024EldPKddEviiT3_lPKT2_lT1_lS5_lS6_lS2_lPT4_lS6_li
	.p2align	8
	.type	_ZL32rocblas_gemvt_warp_reduce_kernelILb0ELi1024EldPKddEviiT3_lPKT2_lT1_lS5_lS6_lS2_lPT4_lS6_li,@function
_ZL32rocblas_gemvt_warp_reduce_kernelILb0ELi1024EldPKddEviiT3_lPKT2_lT1_lS5_lS6_lS2_lPT4_lS6_li: ; @_ZL32rocblas_gemvt_warp_reduce_kernelILb0ELi1024EldPKddEviiT3_lPKT2_lT1_lS5_lS6_lS2_lPT4_lS6_li
; %bb.0:
	s_load_b32 s33, s[0:1], 0x88
	s_lshr_b32 s6, ttmp7, 16
	s_wait_kmcnt 0x0
	s_cmp_ge_u32 s6, s33
	s_cbranch_scc1 .LBB85_34
; %bb.1:
	s_clause 0x2
	s_load_b512 s[8:23], s[0:1], 0x8
	s_load_b512 s[36:51], s[0:1], 0x48
	s_load_b32 s28, s[0:1], 0x0
	s_mov_b32 s2, ttmp9
	s_ashr_i32 s3, ttmp9, 31
	v_mbcnt_lo_u32_b32 v23, -1, 0
	v_cmp_eq_u32_e64 s0, 0, v0
	s_mov_b32 s7, 0
	v_lshl_or_b32 v24, v23, 2, 64
	s_wait_kmcnt 0x0
	s_lshl_b64 s[4:5], s[22:23], 3
	s_lshl_b64 s[24:25], s[14:15], 3
	v_cmp_gt_i32_e32 vcc_lo, s28, v0
	v_mov_b32_e32 v1, 0
	s_ashr_i32 s1, s28, 31
	v_mad_co_u64_u32 v[2:3], null, s36, v0, 0
	v_cndmask_b32_e32 v4, 0, v0, vcc_lo
	s_lshr_b32 s1, s1, 22
	s_add_nc_u64 s[14:15], s[20:21], s[4:5]
	s_add_nc_u64 s[4:5], s[12:13], s[24:25]
	s_add_co_i32 s1, s28, s1
	v_lshlrev_b32_e32 v9, 3, v4
	s_and_b32 s20, s1, 0xfffffc00
	s_lshl_b64 s[22:23], s[46:47], 3
	s_mul_u64 s[26:27], s[48:49], s[2:3]
	s_mul_u64 s[2:3], s[16:17], s[2:3]
	v_add_co_u32 v4, s1, s4, v9
	v_or_b32_e32 v5, s20, v0
	s_add_nc_u64 s[16:17], s[44:45], s[22:23]
	s_lshl_b64 s[22:23], s[2:3], 3
	v_add_co_ci_u32_e64 v6, null, s5, 0, s1
	v_add_co_u32 v19, vcc_lo, v4, s22
	v_mad_co_u64_u32 v[3:4], null, s37, v0, v[3:4]
	v_mul_lo_u32 v10, s37, v5
	v_mad_co_u64_u32 v[7:8], null, s36, v5, 0
	v_cmp_gt_i32_e64 s2, s28, v5
	v_lshrrev_b32_e32 v5, 2, v0
	s_ashr_i32 s21, s20, 31
	s_wait_alu 0xfffd
	v_add_co_ci_u32_e64 v20, null, s23, v6, vcc_lo
	s_wait_alu 0xfffe
	s_mul_i32 s3, s36, s21
	v_and_b32_e32 v22, 0xf8, v5
	v_lshlrev_b64_e32 v[5:6], 3, v[2:3]
	v_add3_u32 v8, v8, s3, v10
	s_add_nc_u64 s[22:23], s[22:23], s[24:25]
	v_and_b32_e32 v4, 31, v0
	s_wait_alu 0xfffe
	s_add_nc_u64 s[12:13], s[12:13], s[22:23]
	v_cmp_gt_i32_e64 s1, s20, v0
	v_add_co_u32 v3, s5, s12, v9
	v_add_co_u32 v5, vcc_lo, s14, v5
	v_lshlrev_b64_e32 v[7:8], 3, v[7:8]
	v_cmp_gt_u32_e64 s3, 32, v0
	v_lshlrev_b32_e32 v21, 3, v4
	v_cmp_eq_u32_e64 s4, 0, v4
	s_wait_alu 0xf1ff
	v_add_co_ci_u32_e64 v4, null, s13, 0, s5
	s_wait_alu 0xfffd
	v_add_co_ci_u32_e64 v6, null, s15, v6, vcc_lo
	s_lshl_b64 s[12:13], s[18:19], 3
	s_lshl_b64 s[22:23], s[38:39], 3
	;; [unrolled: 1-line block ×5, first 2 shown]
	s_branch .LBB85_4
.LBB85_2:                               ;   in Loop: Header=BB85_4 Depth=1
	s_wait_alu 0xfffe
	s_or_b32 exec_lo, exec_lo, s5
.LBB85_3:                               ;   in Loop: Header=BB85_4 Depth=1
	s_add_co_i32 s6, s6, 0x10000
	s_wait_alu 0xfffe
	s_cmp_lt_u32 s6, s33
	s_cbranch_scc0 .LBB85_34
.LBB85_4:                               ; =>This Loop Header: Depth=1
                                        ;     Child Loop BB85_23 Depth 2
	s_mul_u64 s[30:31], s[10:11], s[6:7]
	s_mul_u64 s[34:35], s[42:43], s[6:7]
	s_lshl_b64 s[30:31], s[30:31], 3
	s_wait_alu 0xfffe
	s_lshl_b64 s[34:35], s[34:35], 3
	s_add_nc_u64 s[30:31], s[8:9], s[30:31]
	s_wait_alu 0xfffe
	s_add_nc_u64 s[34:35], s[40:41], s[34:35]
	s_clause 0x1
	global_load_b64 v[11:12], v1, s[30:31]
	global_load_b64 v[9:10], v1, s[34:35]
	s_wait_loadcnt 0x1
	v_cmp_eq_f64_e32 vcc_lo, 0, v[11:12]
	s_wait_loadcnt 0x0
	v_cmp_eq_f64_e64 s5, 1.0, v[9:10]
	s_and_b32 s5, vcc_lo, s5
	s_wait_alu 0xfffe
	s_and_b32 vcc_lo, exec_lo, s5
	s_wait_alu 0xfffe
	s_cbranch_vccnz .LBB85_3
; %bb.5:                                ;   in Loop: Header=BB85_4 Depth=1
	v_cmp_neq_f64_e32 vcc_lo, 0, v[11:12]
	s_mul_u64 s[30:31], s[50:51], s[6:7]
	s_delay_alu instid0(SALU_CYCLE_1) | instskip(NEXT) | instid1(SALU_CYCLE_1)
	s_lshl_b64 s[30:31], s[30:31], 3
	s_add_nc_u64 s[30:31], s[16:17], s[30:31]
	s_cbranch_vccnz .LBB85_9
; %bb.6:                                ;   in Loop: Header=BB85_4 Depth=1
	s_mov_b32 s5, 0
	s_mov_b32 s21, 0
                                        ; implicit-def: $vgpr13_vgpr14
	s_and_saveexec_b32 s34, s0
	s_cbranch_execz .LBB85_10
; %bb.7:                                ;   in Loop: Header=BB85_4 Depth=1
	v_cmp_eq_f64_e32 vcc_lo, 0, v[9:10]
	s_cbranch_vccnz .LBB85_11
; %bb.8:                                ;   in Loop: Header=BB85_4 Depth=1
	s_add_nc_u64 s[36:37], s[30:31], s[26:27]
	global_load_b64 v[13:14], v1, s[36:37]
	s_wait_loadcnt 0x0
	v_mul_f64_e32 v[13:14], v[9:10], v[13:14]
	s_branch .LBB85_12
.LBB85_9:                               ;   in Loop: Header=BB85_4 Depth=1
	s_mov_b32 s21, 0
                                        ; implicit-def: $vgpr13_vgpr14
	s_cbranch_execnz .LBB85_13
	s_branch .LBB85_32
.LBB85_10:                              ;   in Loop: Header=BB85_4 Depth=1
	s_wait_alu 0xfffe
	s_or_b32 exec_lo, exec_lo, s34
	s_delay_alu instid0(SALU_CYCLE_1)
	s_and_b32 vcc_lo, exec_lo, s5
	s_wait_alu 0xfffe
	s_cbranch_vccnz .LBB85_13
	s_branch .LBB85_32
.LBB85_11:                              ;   in Loop: Header=BB85_4 Depth=1
	v_mov_b32_e32 v13, 0
	v_mov_b32_e32 v14, 0
.LBB85_12:                              ;   in Loop: Header=BB85_4 Depth=1
	s_mov_b32 s21, exec_lo
	s_wait_alu 0xfffe
	s_or_b32 exec_lo, exec_lo, s34
	s_delay_alu instid0(SALU_CYCLE_1)
	s_and_b32 vcc_lo, exec_lo, s5
	s_wait_alu 0xfffe
	s_cbranch_vccz .LBB85_32
.LBB85_13:                              ;   in Loop: Header=BB85_4 Depth=1
	v_mov_b32_e32 v13, 0
	v_mov_b32_e32 v14, 0
	s_and_saveexec_b32 s34, s1
	s_cbranch_execnz .LBB85_22
; %bb.14:                               ;   in Loop: Header=BB85_4 Depth=1
	s_wait_alu 0xfffe
	s_or_b32 exec_lo, exec_lo, s34
	s_and_saveexec_b32 s5, s2
	s_cbranch_execnz .LBB85_25
.LBB85_15:                              ;   in Loop: Header=BB85_4 Depth=1
	s_wait_alu 0xfffe
	s_or_b32 exec_lo, exec_lo, s5
	s_and_saveexec_b32 s5, s3
.LBB85_16:                              ;   in Loop: Header=BB85_4 Depth=1
	v_mov_b32_e32 v2, v1
	ds_store_b64 v21, v[1:2]
.LBB85_17:                              ;   in Loop: Header=BB85_4 Depth=1
	s_wait_alu 0xfffe
	s_or_b32 exec_lo, exec_lo, s5
	s_wait_dscnt 0x0
	ds_bpermute_b32 v15, v24, v13
	ds_bpermute_b32 v16, v24, v14
	v_cmp_gt_u32_e32 vcc_lo, 24, v23
	s_wait_dscnt 0x0
	s_barrier_signal -1
	s_barrier_wait -1
	global_inv scope:SCOPE_SE
	s_wait_alu 0xfffd
	v_cndmask_b32_e64 v2, 0, 8, vcc_lo
	v_cmp_gt_u32_e32 vcc_lo, 28, v23
	s_delay_alu instid0(VALU_DEP_2)
	v_add_lshl_u32 v2, v2, v23, 2
	v_add_f64_e32 v[13:14], v[13:14], v[15:16]
	ds_bpermute_b32 v15, v2, v13
	ds_bpermute_b32 v16, v2, v14
	s_wait_dscnt 0x0
	v_add_f64_e32 v[13:14], v[13:14], v[15:16]
	s_wait_alu 0xfffd
	v_cndmask_b32_e64 v15, 0, 4, vcc_lo
	v_cmp_gt_u32_e32 vcc_lo, 30, v23
	s_delay_alu instid0(VALU_DEP_2)
	v_add_lshl_u32 v17, v15, v23, 2
	ds_bpermute_b32 v15, v17, v13
	ds_bpermute_b32 v16, v17, v14
	s_wait_dscnt 0x0
	v_add_f64_e32 v[13:14], v[13:14], v[15:16]
	s_wait_alu 0xfffd
	v_cndmask_b32_e64 v15, 0, 2, vcc_lo
	v_cmp_ne_u32_e32 vcc_lo, 31, v23
	s_delay_alu instid0(VALU_DEP_2)
	v_add_lshl_u32 v18, v15, v23, 2
	ds_bpermute_b32 v15, v18, v13
	ds_bpermute_b32 v16, v18, v14
	s_wait_dscnt 0x0
	v_add_f64_e32 v[13:14], v[13:14], v[15:16]
	s_wait_alu 0xfffd
	v_add_co_ci_u32_e64 v15, null, 0, v23, vcc_lo
	s_delay_alu instid0(VALU_DEP_1)
	v_lshlrev_b32_e32 v25, 2, v15
	ds_bpermute_b32 v15, v25, v13
	ds_bpermute_b32 v16, v25, v14
	s_and_saveexec_b32 s5, s4
	s_cbranch_execz .LBB85_19
; %bb.18:                               ;   in Loop: Header=BB85_4 Depth=1
	s_wait_dscnt 0x0
	v_add_f64_e32 v[13:14], v[13:14], v[15:16]
	ds_store_b64 v22, v[13:14]
.LBB85_19:                              ;   in Loop: Header=BB85_4 Depth=1
	s_wait_alu 0xfffe
	s_or_b32 exec_lo, exec_lo, s5
	s_wait_dscnt 0x0
	v_mov_b32_e32 v15, 0
	v_mov_b32_e32 v16, 0
	s_wait_loadcnt 0x0
	s_barrier_signal -1
	s_barrier_wait -1
	global_inv scope:SCOPE_SE
	s_and_saveexec_b32 s5, s3
	s_cbranch_execnz .LBB85_26
; %bb.20:                               ;   in Loop: Header=BB85_4 Depth=1
	s_wait_alu 0xfffe
	s_or_b32 exec_lo, exec_lo, s5
	s_and_saveexec_b32 s5, s3
	s_cbranch_execnz .LBB85_27
.LBB85_21:                              ;   in Loop: Header=BB85_4 Depth=1
	s_wait_alu 0xfffe
	s_or_b32 exec_lo, exec_lo, s5
                                        ; implicit-def: $vgpr13_vgpr14
	s_and_saveexec_b32 s5, s0
	s_cbranch_execnz .LBB85_28
	s_branch .LBB85_31
.LBB85_22:                              ;   in Loop: Header=BB85_4 Depth=1
	s_wait_dscnt 0x0
	v_mad_co_u64_u32 v[15:16], null, s12, s6, v[3:4]
	v_mad_co_u64_u32 v[17:18], null, s22, s6, v[5:6]
	s_mov_b32 s35, 0
	v_dual_mov_b32 v2, v16 :: v_dual_mov_b32 v13, v18
	s_delay_alu instid0(VALU_DEP_1) | instskip(NEXT) | instid1(VALU_DEP_2)
	v_mad_co_u64_u32 v[25:26], null, s13, s6, v[2:3]
	v_mad_co_u64_u32 v[26:27], null, s23, s6, v[13:14]
	v_mov_b32_e32 v13, 0
	v_mov_b32_e32 v14, 0
	;; [unrolled: 1-line block ×5, first 2 shown]
.LBB85_23:                              ;   Parent Loop BB85_4 Depth=1
                                        ; =>  This Inner Loop Header: Depth=2
	global_load_b64 v[25:26], v[15:16], off
	global_load_b64 v[27:28], v[17:18], off
	v_add_nc_u32_e32 v2, 0x400, v2
	v_add_co_u32 v15, vcc_lo, 0x2000, v15
	s_wait_alu 0xfffd
	v_add_co_ci_u32_e64 v16, null, 0, v16, vcc_lo
	s_delay_alu instid0(VALU_DEP_3)
	v_cmp_le_i32_e32 vcc_lo, s20, v2
	v_add_co_u32 v17, s5, v17, s24
	s_wait_alu 0xf1ff
	v_add_co_ci_u32_e64 v18, null, s25, v18, s5
	s_wait_alu 0xfffe
	s_or_b32 s35, vcc_lo, s35
	s_wait_loadcnt 0x0
	v_fma_f64 v[13:14], v[25:26], v[27:28], v[13:14]
	s_wait_alu 0xfffe
	s_and_not1_b32 exec_lo, exec_lo, s35
	s_cbranch_execnz .LBB85_23
; %bb.24:                               ;   in Loop: Header=BB85_4 Depth=1
	s_or_b32 exec_lo, exec_lo, s35
	s_delay_alu instid0(SALU_CYCLE_1)
	s_or_b32 exec_lo, exec_lo, s34
	s_and_saveexec_b32 s5, s2
	s_cbranch_execz .LBB85_15
.LBB85_25:                              ;   in Loop: Header=BB85_4 Depth=1
	s_mul_u64 s[34:35], s[18:19], s[6:7]
	s_mul_u64 s[36:37], s[38:39], s[6:7]
	s_wait_alu 0xfffe
	s_lshl_b64 s[34:35], s[34:35], 3
	s_lshl_b64 s[36:37], s[36:37], 3
	s_wait_alu 0xfffe
	v_add_co_u32 v2, vcc_lo, v19, s34
	s_wait_dscnt 0x0
	s_wait_alu 0xfffd
	v_add_co_ci_u32_e64 v16, null, s35, v20, vcc_lo
	s_add_nc_u64 s[34:35], s[14:15], s[36:37]
	v_add_co_u32 v15, vcc_lo, v2, s28
	s_wait_alu 0xfffd
	v_add_co_ci_u32_e64 v16, null, s29, v16, vcc_lo
	s_wait_alu 0xfffe
	v_add_co_u32 v17, vcc_lo, s34, v7
	s_wait_alu 0xfffd
	v_add_co_ci_u32_e64 v18, null, s35, v8, vcc_lo
	global_load_b64 v[15:16], v[15:16], off
	global_load_b64 v[17:18], v[17:18], off
	s_wait_loadcnt 0x0
	v_fma_f64 v[13:14], v[15:16], v[17:18], v[13:14]
	s_or_b32 exec_lo, exec_lo, s5
	s_and_saveexec_b32 s5, s3
	s_cbranch_execnz .LBB85_16
	s_branch .LBB85_17
.LBB85_26:                              ;   in Loop: Header=BB85_4 Depth=1
	ds_load_b64 v[15:16], v21
	s_wait_alu 0xfffe
	s_or_b32 exec_lo, exec_lo, s5
	s_and_saveexec_b32 s5, s3
	s_cbranch_execz .LBB85_21
.LBB85_27:                              ;   in Loop: Header=BB85_4 Depth=1
	s_wait_dscnt 0x0
	ds_bpermute_b32 v13, v24, v15
	ds_bpermute_b32 v14, v24, v16
	s_wait_dscnt 0x0
	v_add_f64_e32 v[13:14], v[15:16], v[13:14]
	ds_bpermute_b32 v15, v2, v13
	ds_bpermute_b32 v16, v2, v14
	s_wait_dscnt 0x0
	v_add_f64_e32 v[13:14], v[13:14], v[15:16]
	;; [unrolled: 4-line block ×5, first 2 shown]
	s_wait_alu 0xfffe
	s_or_b32 exec_lo, exec_lo, s5
                                        ; implicit-def: $vgpr13_vgpr14
	s_and_saveexec_b32 s5, s0
	s_cbranch_execz .LBB85_31
.LBB85_28:                              ;   in Loop: Header=BB85_4 Depth=1
	v_cmp_eq_f64_e32 vcc_lo, 0, v[9:10]
	s_wait_dscnt 0x0
	s_delay_alu instid0(VALU_DEP_2)
	v_mul_f64_e32 v[13:14], v[11:12], v[15:16]
	s_cbranch_vccnz .LBB85_30
; %bb.29:                               ;   in Loop: Header=BB85_4 Depth=1
	s_add_nc_u64 s[34:35], s[30:31], s[26:27]
	global_load_b64 v[11:12], v1, s[34:35]
	s_wait_loadcnt 0x0
	v_fma_f64 v[13:14], v[9:10], v[11:12], v[13:14]
.LBB85_30:                              ;   in Loop: Header=BB85_4 Depth=1
	s_or_b32 s21, s21, exec_lo
.LBB85_31:                              ;   in Loop: Header=BB85_4 Depth=1
	s_wait_alu 0xfffe
	s_or_b32 exec_lo, exec_lo, s5
.LBB85_32:                              ;   in Loop: Header=BB85_4 Depth=1
	s_wait_alu 0xfffe
	s_and_saveexec_b32 s5, s21
	s_cbranch_execz .LBB85_2
; %bb.33:                               ;   in Loop: Header=BB85_4 Depth=1
	s_add_nc_u64 s[30:31], s[30:31], s[26:27]
	global_store_b64 v1, v[13:14], s[30:31]
	s_branch .LBB85_2
.LBB85_34:
	s_endpgm
	.section	.rodata,"a",@progbits
	.p2align	6, 0x0
	.amdhsa_kernel _ZL32rocblas_gemvt_warp_reduce_kernelILb0ELi1024EldPKddEviiT3_lPKT2_lT1_lS5_lS6_lS2_lPT4_lS6_li
		.amdhsa_group_segment_fixed_size 256
		.amdhsa_private_segment_fixed_size 0
		.amdhsa_kernarg_size 140
		.amdhsa_user_sgpr_count 2
		.amdhsa_user_sgpr_dispatch_ptr 0
		.amdhsa_user_sgpr_queue_ptr 0
		.amdhsa_user_sgpr_kernarg_segment_ptr 1
		.amdhsa_user_sgpr_dispatch_id 0
		.amdhsa_user_sgpr_private_segment_size 0
		.amdhsa_wavefront_size32 1
		.amdhsa_uses_dynamic_stack 0
		.amdhsa_enable_private_segment 0
		.amdhsa_system_sgpr_workgroup_id_x 1
		.amdhsa_system_sgpr_workgroup_id_y 0
		.amdhsa_system_sgpr_workgroup_id_z 1
		.amdhsa_system_sgpr_workgroup_info 0
		.amdhsa_system_vgpr_workitem_id 0
		.amdhsa_next_free_vgpr 29
		.amdhsa_next_free_sgpr 52
		.amdhsa_reserve_vcc 1
		.amdhsa_float_round_mode_32 0
		.amdhsa_float_round_mode_16_64 0
		.amdhsa_float_denorm_mode_32 3
		.amdhsa_float_denorm_mode_16_64 3
		.amdhsa_fp16_overflow 0
		.amdhsa_workgroup_processor_mode 1
		.amdhsa_memory_ordered 1
		.amdhsa_forward_progress 1
		.amdhsa_inst_pref_size 14
		.amdhsa_round_robin_scheduling 0
		.amdhsa_exception_fp_ieee_invalid_op 0
		.amdhsa_exception_fp_denorm_src 0
		.amdhsa_exception_fp_ieee_div_zero 0
		.amdhsa_exception_fp_ieee_overflow 0
		.amdhsa_exception_fp_ieee_underflow 0
		.amdhsa_exception_fp_ieee_inexact 0
		.amdhsa_exception_int_div_zero 0
	.end_amdhsa_kernel
	.section	.text._ZL32rocblas_gemvt_warp_reduce_kernelILb0ELi1024EldPKddEviiT3_lPKT2_lT1_lS5_lS6_lS2_lPT4_lS6_li,"axG",@progbits,_ZL32rocblas_gemvt_warp_reduce_kernelILb0ELi1024EldPKddEviiT3_lPKT2_lT1_lS5_lS6_lS2_lPT4_lS6_li,comdat
.Lfunc_end85:
	.size	_ZL32rocblas_gemvt_warp_reduce_kernelILb0ELi1024EldPKddEviiT3_lPKT2_lT1_lS5_lS6_lS2_lPT4_lS6_li, .Lfunc_end85-_ZL32rocblas_gemvt_warp_reduce_kernelILb0ELi1024EldPKddEviiT3_lPKT2_lT1_lS5_lS6_lS2_lPT4_lS6_li
                                        ; -- End function
	.set _ZL32rocblas_gemvt_warp_reduce_kernelILb0ELi1024EldPKddEviiT3_lPKT2_lT1_lS5_lS6_lS2_lPT4_lS6_li.num_vgpr, 29
	.set _ZL32rocblas_gemvt_warp_reduce_kernelILb0ELi1024EldPKddEviiT3_lPKT2_lT1_lS5_lS6_lS2_lPT4_lS6_li.num_agpr, 0
	.set _ZL32rocblas_gemvt_warp_reduce_kernelILb0ELi1024EldPKddEviiT3_lPKT2_lT1_lS5_lS6_lS2_lPT4_lS6_li.numbered_sgpr, 52
	.set _ZL32rocblas_gemvt_warp_reduce_kernelILb0ELi1024EldPKddEviiT3_lPKT2_lT1_lS5_lS6_lS2_lPT4_lS6_li.num_named_barrier, 0
	.set _ZL32rocblas_gemvt_warp_reduce_kernelILb0ELi1024EldPKddEviiT3_lPKT2_lT1_lS5_lS6_lS2_lPT4_lS6_li.private_seg_size, 0
	.set _ZL32rocblas_gemvt_warp_reduce_kernelILb0ELi1024EldPKddEviiT3_lPKT2_lT1_lS5_lS6_lS2_lPT4_lS6_li.uses_vcc, 1
	.set _ZL32rocblas_gemvt_warp_reduce_kernelILb0ELi1024EldPKddEviiT3_lPKT2_lT1_lS5_lS6_lS2_lPT4_lS6_li.uses_flat_scratch, 0
	.set _ZL32rocblas_gemvt_warp_reduce_kernelILb0ELi1024EldPKddEviiT3_lPKT2_lT1_lS5_lS6_lS2_lPT4_lS6_li.has_dyn_sized_stack, 0
	.set _ZL32rocblas_gemvt_warp_reduce_kernelILb0ELi1024EldPKddEviiT3_lPKT2_lT1_lS5_lS6_lS2_lPT4_lS6_li.has_recursion, 0
	.set _ZL32rocblas_gemvt_warp_reduce_kernelILb0ELi1024EldPKddEviiT3_lPKT2_lT1_lS5_lS6_lS2_lPT4_lS6_li.has_indirect_call, 0
	.section	.AMDGPU.csdata,"",@progbits
; Kernel info:
; codeLenInByte = 1708
; TotalNumSgprs: 54
; NumVgprs: 29
; ScratchSize: 0
; MemoryBound: 0
; FloatMode: 240
; IeeeMode: 1
; LDSByteSize: 256 bytes/workgroup (compile time only)
; SGPRBlocks: 0
; VGPRBlocks: 3
; NumSGPRsForWavesPerEU: 54
; NumVGPRsForWavesPerEU: 29
; Occupancy: 16
; WaveLimiterHint : 0
; COMPUTE_PGM_RSRC2:SCRATCH_EN: 0
; COMPUTE_PGM_RSRC2:USER_SGPR: 2
; COMPUTE_PGM_RSRC2:TRAP_HANDLER: 0
; COMPUTE_PGM_RSRC2:TGID_X_EN: 1
; COMPUTE_PGM_RSRC2:TGID_Y_EN: 0
; COMPUTE_PGM_RSRC2:TGID_Z_EN: 1
; COMPUTE_PGM_RSRC2:TIDIG_COMP_CNT: 0
	.section	.text._ZL32rocblas_gemvt_warp_reduce_kernelILb0ELi1024EidddEviiT3_lPKT2_lT1_lS3_lS4_lS0_lPT4_lS4_li,"axG",@progbits,_ZL32rocblas_gemvt_warp_reduce_kernelILb0ELi1024EidddEviiT3_lPKT2_lT1_lS3_lS4_lS0_lPT4_lS4_li,comdat
	.globl	_ZL32rocblas_gemvt_warp_reduce_kernelILb0ELi1024EidddEviiT3_lPKT2_lT1_lS3_lS4_lS0_lPT4_lS4_li ; -- Begin function _ZL32rocblas_gemvt_warp_reduce_kernelILb0ELi1024EidddEviiT3_lPKT2_lT1_lS3_lS4_lS0_lPT4_lS4_li
	.p2align	8
	.type	_ZL32rocblas_gemvt_warp_reduce_kernelILb0ELi1024EidddEviiT3_lPKT2_lT1_lS3_lS4_lS0_lPT4_lS4_li,@function
_ZL32rocblas_gemvt_warp_reduce_kernelILb0ELi1024EidddEviiT3_lPKT2_lT1_lS3_lS4_lS0_lPT4_lS4_li: ; @_ZL32rocblas_gemvt_warp_reduce_kernelILb0ELi1024EidddEviiT3_lPKT2_lT1_lS3_lS4_lS0_lPT4_lS4_li
; %bb.0:
	s_load_b32 s33, s[0:1], 0x88
	s_lshr_b32 s24, ttmp7, 16
	s_wait_kmcnt 0x0
	s_cmp_ge_u32 s24, s33
	s_cbranch_scc1 .LBB86_34
; %bb.1:
	s_clause 0x9
	s_load_b96 s[20:22], s[0:1], 0x40
	s_load_b128 s[4:7], s[0:1], 0x68
	s_load_b128 s[16:19], s[0:1], 0x18
	s_load_b64 s[26:27], s[0:1], 0x8
	s_load_b128 s[8:11], s[0:1], 0x50
	s_load_b32 s23, s[0:1], 0x78
	s_load_b32 s36, s[0:1], 0x0
	s_load_b128 s[12:15], s[0:1], 0x30
	s_load_b32 s37, s[0:1], 0x28
	s_load_b64 s[28:29], s[0:1], 0x80
	v_mbcnt_lo_u32_b32 v18, -1, 0
	v_cmp_eq_u32_e64 s0, 0, v0
	s_mov_b32 s25, 0
	v_lshl_or_b32 v19, v18, 2, 64
	s_wait_kmcnt 0x0
	s_lshl_b64 s[2:3], s[20:21], 3
	s_lshl_b64 s[20:21], s[6:7], 3
	;; [unrolled: 1-line block ×3, first 2 shown]
	v_cmp_neq_f64_e64 s38, s[26:27], 0
	v_cmp_neq_f64_e64 s39, s[10:11], 1.0
	v_mul_lo_u32 v17, v0, s22
	v_cmp_gt_i32_e32 vcc_lo, s36, v0
	s_add_nc_u64 s[6:7], s[14:15], s[2:3]
	s_add_nc_u64 s[14:15], s[4:5], s[20:21]
	s_mul_i32 s4, s37, ttmp9
	s_ashr_i32 s1, s36, 31
	v_cndmask_b32_e32 v1, 0, v0, vcc_lo
	s_lshr_b32 s1, s1, 22
	s_add_nc_u64 s[2:3], s[16:17], s[30:31]
	s_add_co_i32 s1, s36, s1
	s_ashr_i32 s5, s4, 31
	s_and_b32 s18, s1, 0xfffffc00
	v_dual_mov_b32 v1, 0 :: v_dual_lshlrev_b32 v2, 3, v1
	v_or_b32_e32 v3, s18, v0
	s_lshl_b64 s[20:21], s[4:5], 3
	s_mul_i32 s34, s23, ttmp9
	s_delay_alu instid0(VALU_DEP_2) | instskip(NEXT) | instid1(VALU_DEP_2)
	v_add_co_u32 v4, s1, s2, v2
	v_mul_lo_u32 v5, s22, v3
	v_add_co_ci_u32_e64 v6, null, s3, 0, s1
	s_delay_alu instid0(VALU_DEP_3)
	v_add_co_u32 v13, vcc_lo, v4, s20
	v_cmp_gt_i32_e64 s2, s36, v3
	v_and_b32_e32 v3, 31, v0
	s_wait_alu 0xfffd
	v_add_co_ci_u32_e64 v14, null, s21, v6, vcc_lo
	v_ashrrev_i32_e32 v6, 31, v5
	s_add_nc_u64 s[20:21], s[30:31], s[20:21]
	v_lshrrev_b32_e32 v4, 2, v0
	s_wait_alu 0xfffe
	s_add_nc_u64 s[16:17], s[16:17], s[20:21]
	v_lshlrev_b32_e32 v15, 3, v3
	v_cmp_eq_u32_e64 s4, 0, v3
	v_add_co_u32 v3, s5, s16, v2
	v_lshlrev_b64_e32 v[5:6], 3, v[5:6]
	s_or_b32 s37, s38, s39
	v_cmp_eq_f64_e64 s38, s[26:27], 0
	v_cmp_neq_f64_e64 s39, s[10:11], 0
	v_cmp_gt_i32_e64 s1, s18, v0
	v_cmp_gt_u32_e64 s3, 32, v0
	v_and_b32_e32 v16, 0xf8, v4
	v_add_co_ci_u32_e64 v4, null, s17, 0, s5
	s_ashr_i32 s35, s34, 31
	s_ashr_i32 s19, s18, 31
	s_lshl_b32 s36, s22, 10
	s_lshl_b64 s[16:17], s[12:13], 3
	s_lshl_b64 s[20:21], s[34:35], 3
	s_wait_alu 0xfffe
	s_lshl_b64 s[22:23], s[18:19], 3
	s_branch .LBB86_4
.LBB86_2:                               ;   in Loop: Header=BB86_4 Depth=1
	s_wait_alu 0xfffe
	s_or_b32 exec_lo, exec_lo, s5
.LBB86_3:                               ;   in Loop: Header=BB86_4 Depth=1
	s_add_co_i32 s24, s24, 0x10000
	s_wait_alu 0xfffe
	s_cmp_lt_u32 s24, s33
	s_cbranch_scc0 .LBB86_34
.LBB86_4:                               ; =>This Loop Header: Depth=1
                                        ;     Child Loop BB86_23 Depth 2
	s_and_not1_b32 vcc_lo, exec_lo, s37
	s_wait_alu 0xfffe
	s_cbranch_vccnz .LBB86_3
; %bb.5:                                ;   in Loop: Header=BB86_4 Depth=1
	s_mul_u64 s[30:31], s[28:29], s[24:25]
	s_and_not1_b32 vcc_lo, exec_lo, s38
	s_lshl_b64 s[30:31], s[30:31], 3
	s_delay_alu instid0(SALU_CYCLE_1)
	s_add_nc_u64 s[30:31], s[14:15], s[30:31]
	s_wait_alu 0xfffe
	s_cbranch_vccnz .LBB86_9
; %bb.6:                                ;   in Loop: Header=BB86_4 Depth=1
	s_mov_b32 s5, 0
	s_mov_b32 s19, 0
                                        ; implicit-def: $vgpr7_vgpr8
	s_and_saveexec_b32 s34, s0
	s_cbranch_execz .LBB86_10
; %bb.7:                                ;   in Loop: Header=BB86_4 Depth=1
	s_and_not1_b32 vcc_lo, exec_lo, s39
	s_wait_alu 0xfffe
	s_cbranch_vccnz .LBB86_11
; %bb.8:                                ;   in Loop: Header=BB86_4 Depth=1
	s_add_nc_u64 s[40:41], s[30:31], s[20:21]
	global_load_b64 v[7:8], v1, s[40:41]
	s_wait_loadcnt 0x0
	v_mul_f64_e32 v[7:8], s[10:11], v[7:8]
	s_branch .LBB86_12
.LBB86_9:                               ;   in Loop: Header=BB86_4 Depth=1
	s_mov_b32 s19, 0
                                        ; implicit-def: $vgpr7_vgpr8
	s_cbranch_execnz .LBB86_13
	s_branch .LBB86_32
.LBB86_10:                              ;   in Loop: Header=BB86_4 Depth=1
	s_wait_alu 0xfffe
	s_or_b32 exec_lo, exec_lo, s34
	s_delay_alu instid0(SALU_CYCLE_1)
	s_and_b32 vcc_lo, exec_lo, s5
	s_wait_alu 0xfffe
	s_cbranch_vccnz .LBB86_13
	s_branch .LBB86_32
.LBB86_11:                              ;   in Loop: Header=BB86_4 Depth=1
	v_mov_b32_e32 v7, 0
	v_mov_b32_e32 v8, 0
.LBB86_12:                              ;   in Loop: Header=BB86_4 Depth=1
	s_mov_b32 s19, exec_lo
	s_or_b32 exec_lo, exec_lo, s34
	s_delay_alu instid0(SALU_CYCLE_1)
	s_and_b32 vcc_lo, exec_lo, s5
	s_wait_alu 0xfffe
	s_cbranch_vccz .LBB86_32
.LBB86_13:                              ;   in Loop: Header=BB86_4 Depth=1
	s_mul_u64 s[34:35], s[8:9], s[24:25]
	v_mov_b32_e32 v7, 0
	v_mov_b32_e32 v8, 0
	s_wait_alu 0xfffe
	s_lshl_b64 s[34:35], s[34:35], 3
	s_wait_alu 0xfffe
	s_add_nc_u64 s[34:35], s[6:7], s[34:35]
	s_and_saveexec_b32 s40, s1
	s_cbranch_execnz .LBB86_22
; %bb.14:                               ;   in Loop: Header=BB86_4 Depth=1
	s_wait_alu 0xfffe
	s_or_b32 exec_lo, exec_lo, s40
	s_and_saveexec_b32 s5, s2
	s_cbranch_execnz .LBB86_25
.LBB86_15:                              ;   in Loop: Header=BB86_4 Depth=1
	s_wait_alu 0xfffe
	s_or_b32 exec_lo, exec_lo, s5
	s_and_saveexec_b32 s5, s3
.LBB86_16:                              ;   in Loop: Header=BB86_4 Depth=1
	v_mov_b32_e32 v2, v1
	ds_store_b64 v15, v[1:2]
.LBB86_17:                              ;   in Loop: Header=BB86_4 Depth=1
	s_wait_alu 0xfffe
	s_or_b32 exec_lo, exec_lo, s5
	s_wait_dscnt 0x0
	ds_bpermute_b32 v9, v19, v7
	ds_bpermute_b32 v10, v19, v8
	v_cmp_gt_u32_e32 vcc_lo, 24, v18
	s_wait_dscnt 0x0
	s_barrier_signal -1
	s_barrier_wait -1
	global_inv scope:SCOPE_SE
	s_wait_alu 0xfffd
	v_cndmask_b32_e64 v2, 0, 8, vcc_lo
	v_cmp_gt_u32_e32 vcc_lo, 28, v18
	s_delay_alu instid0(VALU_DEP_2)
	v_add_lshl_u32 v2, v2, v18, 2
	v_add_f64_e32 v[7:8], v[7:8], v[9:10]
	ds_bpermute_b32 v9, v2, v7
	ds_bpermute_b32 v10, v2, v8
	s_wait_dscnt 0x0
	v_add_f64_e32 v[7:8], v[7:8], v[9:10]
	s_wait_alu 0xfffd
	v_cndmask_b32_e64 v9, 0, 4, vcc_lo
	v_cmp_gt_u32_e32 vcc_lo, 30, v18
	s_delay_alu instid0(VALU_DEP_2)
	v_add_lshl_u32 v11, v9, v18, 2
	ds_bpermute_b32 v9, v11, v7
	ds_bpermute_b32 v10, v11, v8
	s_wait_dscnt 0x0
	v_add_f64_e32 v[7:8], v[7:8], v[9:10]
	s_wait_alu 0xfffd
	v_cndmask_b32_e64 v9, 0, 2, vcc_lo
	v_cmp_ne_u32_e32 vcc_lo, 31, v18
	s_delay_alu instid0(VALU_DEP_2)
	v_add_lshl_u32 v12, v9, v18, 2
	ds_bpermute_b32 v9, v12, v7
	ds_bpermute_b32 v10, v12, v8
	s_wait_dscnt 0x0
	v_add_f64_e32 v[7:8], v[7:8], v[9:10]
	s_wait_alu 0xfffd
	v_add_co_ci_u32_e64 v9, null, 0, v18, vcc_lo
	s_delay_alu instid0(VALU_DEP_1)
	v_lshlrev_b32_e32 v20, 2, v9
	ds_bpermute_b32 v9, v20, v7
	ds_bpermute_b32 v10, v20, v8
	s_and_saveexec_b32 s5, s4
	s_cbranch_execz .LBB86_19
; %bb.18:                               ;   in Loop: Header=BB86_4 Depth=1
	s_wait_dscnt 0x0
	v_add_f64_e32 v[7:8], v[7:8], v[9:10]
	ds_store_b64 v16, v[7:8]
.LBB86_19:                              ;   in Loop: Header=BB86_4 Depth=1
	s_wait_alu 0xfffe
	s_or_b32 exec_lo, exec_lo, s5
	s_wait_dscnt 0x0
	v_mov_b32_e32 v9, 0
	v_mov_b32_e32 v10, 0
	s_wait_loadcnt 0x0
	s_barrier_signal -1
	s_barrier_wait -1
	global_inv scope:SCOPE_SE
	s_and_saveexec_b32 s5, s3
	s_cbranch_execnz .LBB86_26
; %bb.20:                               ;   in Loop: Header=BB86_4 Depth=1
	s_wait_alu 0xfffe
	s_or_b32 exec_lo, exec_lo, s5
	s_and_saveexec_b32 s5, s3
	s_cbranch_execnz .LBB86_27
.LBB86_21:                              ;   in Loop: Header=BB86_4 Depth=1
	s_wait_alu 0xfffe
	s_or_b32 exec_lo, exec_lo, s5
                                        ; implicit-def: $vgpr7_vgpr8
	s_and_saveexec_b32 s5, s0
	s_cbranch_execnz .LBB86_28
	s_branch .LBB86_31
.LBB86_22:                              ;   in Loop: Header=BB86_4 Depth=1
	s_wait_dscnt 0x0
	v_mad_co_u64_u32 v[9:10], null, s16, s24, v[3:4]
	s_mov_b32 s41, 0
	v_mov_b32_e32 v7, 0
	v_mov_b32_e32 v8, 0
	v_mov_b32_e32 v2, v10
	s_delay_alu instid0(VALU_DEP_1)
	v_mad_co_u64_u32 v[10:11], null, s17, s24, v[2:3]
	v_dual_mov_b32 v2, v0 :: v_dual_mov_b32 v11, v17
.LBB86_23:                              ;   Parent Loop BB86_4 Depth=1
                                        ; =>  This Inner Loop Header: Depth=2
	s_delay_alu instid0(VALU_DEP_1) | instskip(NEXT) | instid1(VALU_DEP_2)
	v_ashrrev_i32_e32 v12, 31, v11
	v_add_nc_u32_e32 v2, 0x400, v2
	s_delay_alu instid0(VALU_DEP_2) | instskip(NEXT) | instid1(VALU_DEP_2)
	v_lshlrev_b64_e32 v[20:21], 3, v[11:12]
	v_cmp_le_i32_e64 s5, s18, v2
	v_add_nc_u32_e32 v11, s36, v11
	s_wait_alu 0xfffe
	s_or_b32 s41, s5, s41
	v_add_co_u32 v20, vcc_lo, s34, v20
	s_wait_alu 0xfffd
	v_add_co_ci_u32_e64 v21, null, s35, v21, vcc_lo
	global_load_b64 v[22:23], v[9:10], off
	global_load_b64 v[20:21], v[20:21], off
	v_add_co_u32 v9, vcc_lo, 0x2000, v9
	s_wait_alu 0xfffd
	v_add_co_ci_u32_e64 v10, null, 0, v10, vcc_lo
	s_wait_loadcnt 0x0
	v_fma_f64 v[7:8], v[22:23], v[20:21], v[7:8]
	s_wait_alu 0xfffe
	s_and_not1_b32 exec_lo, exec_lo, s41
	s_cbranch_execnz .LBB86_23
; %bb.24:                               ;   in Loop: Header=BB86_4 Depth=1
	s_or_b32 exec_lo, exec_lo, s41
	s_delay_alu instid0(SALU_CYCLE_1)
	s_or_b32 exec_lo, exec_lo, s40
	s_and_saveexec_b32 s5, s2
	s_cbranch_execz .LBB86_15
.LBB86_25:                              ;   in Loop: Header=BB86_4 Depth=1
	s_mul_u64 s[40:41], s[12:13], s[24:25]
	s_wait_alu 0xfffe
	s_lshl_b64 s[40:41], s[40:41], 3
	s_wait_alu 0xfffe
	v_add_co_u32 v2, vcc_lo, v13, s40
	s_wait_dscnt 0x0
	s_wait_alu 0xfffd
	v_add_co_ci_u32_e64 v10, null, s41, v14, vcc_lo
	s_delay_alu instid0(VALU_DEP_2) | instskip(SKIP_1) | instid1(VALU_DEP_2)
	v_add_co_u32 v9, vcc_lo, v2, s22
	s_wait_alu 0xfffd
	v_add_co_ci_u32_e64 v10, null, s23, v10, vcc_lo
	v_add_co_u32 v11, vcc_lo, s34, v5
	s_wait_alu 0xfffd
	v_add_co_ci_u32_e64 v12, null, s35, v6, vcc_lo
	global_load_b64 v[9:10], v[9:10], off
	global_load_b64 v[11:12], v[11:12], off
	s_wait_loadcnt 0x0
	v_fma_f64 v[7:8], v[9:10], v[11:12], v[7:8]
	s_or_b32 exec_lo, exec_lo, s5
	s_and_saveexec_b32 s5, s3
	s_cbranch_execnz .LBB86_16
	s_branch .LBB86_17
.LBB86_26:                              ;   in Loop: Header=BB86_4 Depth=1
	ds_load_b64 v[9:10], v15
	s_wait_alu 0xfffe
	s_or_b32 exec_lo, exec_lo, s5
	s_and_saveexec_b32 s5, s3
	s_cbranch_execz .LBB86_21
.LBB86_27:                              ;   in Loop: Header=BB86_4 Depth=1
	s_wait_dscnt 0x0
	ds_bpermute_b32 v7, v19, v9
	ds_bpermute_b32 v8, v19, v10
	s_wait_dscnt 0x0
	v_add_f64_e32 v[7:8], v[9:10], v[7:8]
	ds_bpermute_b32 v9, v2, v7
	ds_bpermute_b32 v10, v2, v8
	s_wait_dscnt 0x0
	v_add_f64_e32 v[7:8], v[7:8], v[9:10]
	;; [unrolled: 4-line block ×5, first 2 shown]
	s_wait_alu 0xfffe
	s_or_b32 exec_lo, exec_lo, s5
                                        ; implicit-def: $vgpr7_vgpr8
	s_and_saveexec_b32 s5, s0
	s_cbranch_execz .LBB86_31
.LBB86_28:                              ;   in Loop: Header=BB86_4 Depth=1
	s_wait_dscnt 0x0
	s_delay_alu instid0(VALU_DEP_1)
	v_mul_f64_e32 v[7:8], s[26:27], v[9:10]
	s_and_not1_b32 vcc_lo, exec_lo, s39
	s_wait_alu 0xfffe
	s_cbranch_vccnz .LBB86_30
; %bb.29:                               ;   in Loop: Header=BB86_4 Depth=1
	s_add_nc_u64 s[34:35], s[30:31], s[20:21]
	global_load_b64 v[9:10], v1, s[34:35]
	s_wait_loadcnt 0x0
	v_fma_f64 v[7:8], s[10:11], v[9:10], v[7:8]
.LBB86_30:                              ;   in Loop: Header=BB86_4 Depth=1
	s_or_b32 s19, s19, exec_lo
.LBB86_31:                              ;   in Loop: Header=BB86_4 Depth=1
	s_wait_alu 0xfffe
	s_or_b32 exec_lo, exec_lo, s5
.LBB86_32:                              ;   in Loop: Header=BB86_4 Depth=1
	s_wait_alu 0xfffe
	s_and_saveexec_b32 s5, s19
	s_cbranch_execz .LBB86_2
; %bb.33:                               ;   in Loop: Header=BB86_4 Depth=1
	s_add_nc_u64 s[30:31], s[30:31], s[20:21]
	global_store_b64 v1, v[7:8], s[30:31]
	s_branch .LBB86_2
.LBB86_34:
	s_endpgm
	.section	.rodata,"a",@progbits
	.p2align	6, 0x0
	.amdhsa_kernel _ZL32rocblas_gemvt_warp_reduce_kernelILb0ELi1024EidddEviiT3_lPKT2_lT1_lS3_lS4_lS0_lPT4_lS4_li
		.amdhsa_group_segment_fixed_size 256
		.amdhsa_private_segment_fixed_size 0
		.amdhsa_kernarg_size 140
		.amdhsa_user_sgpr_count 2
		.amdhsa_user_sgpr_dispatch_ptr 0
		.amdhsa_user_sgpr_queue_ptr 0
		.amdhsa_user_sgpr_kernarg_segment_ptr 1
		.amdhsa_user_sgpr_dispatch_id 0
		.amdhsa_user_sgpr_private_segment_size 0
		.amdhsa_wavefront_size32 1
		.amdhsa_uses_dynamic_stack 0
		.amdhsa_enable_private_segment 0
		.amdhsa_system_sgpr_workgroup_id_x 1
		.amdhsa_system_sgpr_workgroup_id_y 0
		.amdhsa_system_sgpr_workgroup_id_z 1
		.amdhsa_system_sgpr_workgroup_info 0
		.amdhsa_system_vgpr_workitem_id 0
		.amdhsa_next_free_vgpr 24
		.amdhsa_next_free_sgpr 42
		.amdhsa_reserve_vcc 1
		.amdhsa_float_round_mode_32 0
		.amdhsa_float_round_mode_16_64 0
		.amdhsa_float_denorm_mode_32 3
		.amdhsa_float_denorm_mode_16_64 3
		.amdhsa_fp16_overflow 0
		.amdhsa_workgroup_processor_mode 1
		.amdhsa_memory_ordered 1
		.amdhsa_forward_progress 1
		.amdhsa_inst_pref_size 14
		.amdhsa_round_robin_scheduling 0
		.amdhsa_exception_fp_ieee_invalid_op 0
		.amdhsa_exception_fp_denorm_src 0
		.amdhsa_exception_fp_ieee_div_zero 0
		.amdhsa_exception_fp_ieee_overflow 0
		.amdhsa_exception_fp_ieee_underflow 0
		.amdhsa_exception_fp_ieee_inexact 0
		.amdhsa_exception_int_div_zero 0
	.end_amdhsa_kernel
	.section	.text._ZL32rocblas_gemvt_warp_reduce_kernelILb0ELi1024EidddEviiT3_lPKT2_lT1_lS3_lS4_lS0_lPT4_lS4_li,"axG",@progbits,_ZL32rocblas_gemvt_warp_reduce_kernelILb0ELi1024EidddEviiT3_lPKT2_lT1_lS3_lS4_lS0_lPT4_lS4_li,comdat
.Lfunc_end86:
	.size	_ZL32rocblas_gemvt_warp_reduce_kernelILb0ELi1024EidddEviiT3_lPKT2_lT1_lS3_lS4_lS0_lPT4_lS4_li, .Lfunc_end86-_ZL32rocblas_gemvt_warp_reduce_kernelILb0ELi1024EidddEviiT3_lPKT2_lT1_lS3_lS4_lS0_lPT4_lS4_li
                                        ; -- End function
	.set _ZL32rocblas_gemvt_warp_reduce_kernelILb0ELi1024EidddEviiT3_lPKT2_lT1_lS3_lS4_lS0_lPT4_lS4_li.num_vgpr, 24
	.set _ZL32rocblas_gemvt_warp_reduce_kernelILb0ELi1024EidddEviiT3_lPKT2_lT1_lS3_lS4_lS0_lPT4_lS4_li.num_agpr, 0
	.set _ZL32rocblas_gemvt_warp_reduce_kernelILb0ELi1024EidddEviiT3_lPKT2_lT1_lS3_lS4_lS0_lPT4_lS4_li.numbered_sgpr, 42
	.set _ZL32rocblas_gemvt_warp_reduce_kernelILb0ELi1024EidddEviiT3_lPKT2_lT1_lS3_lS4_lS0_lPT4_lS4_li.num_named_barrier, 0
	.set _ZL32rocblas_gemvt_warp_reduce_kernelILb0ELi1024EidddEviiT3_lPKT2_lT1_lS3_lS4_lS0_lPT4_lS4_li.private_seg_size, 0
	.set _ZL32rocblas_gemvt_warp_reduce_kernelILb0ELi1024EidddEviiT3_lPKT2_lT1_lS3_lS4_lS0_lPT4_lS4_li.uses_vcc, 1
	.set _ZL32rocblas_gemvt_warp_reduce_kernelILb0ELi1024EidddEviiT3_lPKT2_lT1_lS3_lS4_lS0_lPT4_lS4_li.uses_flat_scratch, 0
	.set _ZL32rocblas_gemvt_warp_reduce_kernelILb0ELi1024EidddEviiT3_lPKT2_lT1_lS3_lS4_lS0_lPT4_lS4_li.has_dyn_sized_stack, 0
	.set _ZL32rocblas_gemvt_warp_reduce_kernelILb0ELi1024EidddEviiT3_lPKT2_lT1_lS3_lS4_lS0_lPT4_lS4_li.has_recursion, 0
	.set _ZL32rocblas_gemvt_warp_reduce_kernelILb0ELi1024EidddEviiT3_lPKT2_lT1_lS3_lS4_lS0_lPT4_lS4_li.has_indirect_call, 0
	.section	.AMDGPU.csdata,"",@progbits
; Kernel info:
; codeLenInByte = 1676
; TotalNumSgprs: 44
; NumVgprs: 24
; ScratchSize: 0
; MemoryBound: 0
; FloatMode: 240
; IeeeMode: 1
; LDSByteSize: 256 bytes/workgroup (compile time only)
; SGPRBlocks: 0
; VGPRBlocks: 2
; NumSGPRsForWavesPerEU: 44
; NumVGPRsForWavesPerEU: 24
; Occupancy: 16
; WaveLimiterHint : 0
; COMPUTE_PGM_RSRC2:SCRATCH_EN: 0
; COMPUTE_PGM_RSRC2:USER_SGPR: 2
; COMPUTE_PGM_RSRC2:TRAP_HANDLER: 0
; COMPUTE_PGM_RSRC2:TGID_X_EN: 1
; COMPUTE_PGM_RSRC2:TGID_Y_EN: 0
; COMPUTE_PGM_RSRC2:TGID_Z_EN: 1
; COMPUTE_PGM_RSRC2:TIDIG_COMP_CNT: 0
	.section	.text._ZL32rocblas_gemvt_warp_reduce_kernelILb0ELi1024EldddEviiT3_lPKT2_lT1_lS3_lS4_lS0_lPT4_lS4_li,"axG",@progbits,_ZL32rocblas_gemvt_warp_reduce_kernelILb0ELi1024EldddEviiT3_lPKT2_lT1_lS3_lS4_lS0_lPT4_lS4_li,comdat
	.globl	_ZL32rocblas_gemvt_warp_reduce_kernelILb0ELi1024EldddEviiT3_lPKT2_lT1_lS3_lS4_lS0_lPT4_lS4_li ; -- Begin function _ZL32rocblas_gemvt_warp_reduce_kernelILb0ELi1024EldddEviiT3_lPKT2_lT1_lS3_lS4_lS0_lPT4_lS4_li
	.p2align	8
	.type	_ZL32rocblas_gemvt_warp_reduce_kernelILb0ELi1024EldddEviiT3_lPKT2_lT1_lS3_lS4_lS0_lPT4_lS4_li,@function
_ZL32rocblas_gemvt_warp_reduce_kernelILb0ELi1024EldddEviiT3_lPKT2_lT1_lS3_lS4_lS0_lPT4_lS4_li: ; @_ZL32rocblas_gemvt_warp_reduce_kernelILb0ELi1024EldddEviiT3_lPKT2_lT1_lS3_lS4_lS0_lPT4_lS4_li
; %bb.0:
	s_load_b32 s33, s[0:1], 0x88
	s_lshr_b32 s6, ttmp7, 16
	s_wait_kmcnt 0x0
	s_cmp_ge_u32 s6, s33
	s_cbranch_scc1 .LBB87_34
; %bb.1:
	s_clause 0x4
	s_load_b512 s[8:23], s[0:1], 0x18
	s_load_b256 s[24:31], s[0:1], 0x68
	s_load_b64 s[34:35], s[0:1], 0x8
	s_load_b64 s[36:37], s[0:1], 0x58
	s_load_b32 s38, s[0:1], 0x0
	s_mov_b32 s2, ttmp9
	s_ashr_i32 s3, ttmp9, 31
	v_mbcnt_lo_u32_b32 v19, -1, 0
	v_cmp_eq_u32_e64 s0, 0, v0
	s_mov_b32 s7, 0
	v_lshl_or_b32 v20, v19, 2, 64
	s_wait_kmcnt 0x0
	s_lshl_b64 s[4:5], s[18:19], 3
	s_lshl_b64 s[18:19], s[26:27], 3
	v_cmp_neq_f64_e64 s39, s[34:35], 0
	v_cmp_neq_f64_e64 s40, s[36:37], 1.0
	s_ashr_i32 s1, s38, 31
	v_cmp_gt_i32_e32 vcc_lo, s38, v0
	s_lshr_b32 s1, s1, 22
	s_lshl_b64 s[26:27], s[10:11], 3
	s_add_co_i32 s1, s38, s1
	s_add_nc_u64 s[10:11], s[16:17], s[4:5]
	s_and_b32 s16, s1, 0xfffffc00
	v_dual_mov_b32 v1, 0 :: v_dual_cndmask_b32 v2, 0, v0
	v_or_b32_e32 v6, s16, v0
	s_mul_u64 s[28:29], s[28:29], s[2:3]
	s_mul_u64 s[2:3], s[12:13], s[2:3]
	s_add_nc_u64 s[12:13], s[24:25], s[18:19]
	v_lshlrev_b32_e32 v9, 3, v2
	s_lshl_b64 s[18:19], s[2:3], 3
	v_cmp_gt_i32_e64 s2, s38, v6
	s_add_nc_u64 s[4:5], s[8:9], s[26:27]
	v_mad_co_u64_u32 v[2:3], null, s20, v0, 0
	v_add_co_u32 v4, s1, s4, v9
	s_delay_alu instid0(VALU_DEP_1) | instskip(SKIP_1) | instid1(VALU_DEP_3)
	v_add_co_ci_u32_e64 v5, null, s5, 0, s1
	v_mad_co_u64_u32 v[7:8], null, s20, v6, 0
	v_add_co_u32 v15, vcc_lo, v4, s18
	s_wait_alu 0xfffd
	s_delay_alu instid0(VALU_DEP_3)
	v_add_co_ci_u32_e64 v16, null, s19, v5, vcc_lo
	v_mul_lo_u32 v5, s21, v6
	s_ashr_i32 s17, s16, 31
	v_mad_co_u64_u32 v[3:4], null, s21, v0, v[3:4]
	s_wait_alu 0xfffe
	s_mul_i32 s3, s20, s17
	s_add_nc_u64 s[18:19], s[18:19], s[26:27]
	v_and_b32_e32 v4, 31, v0
	s_wait_alu 0xfffe
	s_add_nc_u64 s[8:9], s[8:9], s[18:19]
	s_or_b32 s38, s39, s40
	v_cmp_eq_f64_e64 s39, s[34:35], 0
	v_cmp_neq_f64_e64 s40, s[36:37], 0
	v_add3_u32 v8, v8, s3, v5
	v_lshrrev_b32_e32 v5, 2, v0
	v_cmp_gt_i32_e64 s1, s16, v0
	v_cmp_gt_u32_e64 s3, 32, v0
	v_lshlrev_b32_e32 v17, 3, v4
	v_lshlrev_b64_e32 v[7:8], 3, v[7:8]
	v_and_b32_e32 v18, 0xf8, v5
	v_lshlrev_b64_e32 v[5:6], 3, v[2:3]
	v_add_co_u32 v3, s5, s8, v9
	v_cmp_eq_u32_e64 s4, 0, v4
	s_wait_alu 0xf1ff
	v_add_co_ci_u32_e64 v4, null, s9, 0, s5
	s_delay_alu instid0(VALU_DEP_4)
	v_add_co_u32 v5, vcc_lo, s10, v5
	s_wait_alu 0xfffd
	v_add_co_ci_u32_e64 v6, null, s11, v6, vcc_lo
	s_lshl_b64 s[8:9], s[14:15], 3
	s_lshl_b64 s[18:19], s[22:23], 3
	;; [unrolled: 1-line block ×5, first 2 shown]
	s_branch .LBB87_4
.LBB87_2:                               ;   in Loop: Header=BB87_4 Depth=1
	s_wait_alu 0xfffe
	s_or_b32 exec_lo, exec_lo, s5
.LBB87_3:                               ;   in Loop: Header=BB87_4 Depth=1
	s_add_co_i32 s6, s6, 0x10000
	s_wait_alu 0xfffe
	s_cmp_lt_u32 s6, s33
	s_cbranch_scc0 .LBB87_34
.LBB87_4:                               ; =>This Loop Header: Depth=1
                                        ;     Child Loop BB87_23 Depth 2
	s_wait_alu 0xfffe
	s_and_not1_b32 vcc_lo, exec_lo, s38
	s_wait_alu 0xfffe
	s_cbranch_vccnz .LBB87_3
; %bb.5:                                ;   in Loop: Header=BB87_4 Depth=1
	s_mul_u64 s[28:29], s[30:31], s[6:7]
	s_and_not1_b32 vcc_lo, exec_lo, s39
	s_lshl_b64 s[28:29], s[28:29], 3
	s_delay_alu instid0(SALU_CYCLE_1)
	s_add_nc_u64 s[28:29], s[12:13], s[28:29]
	s_wait_alu 0xfffe
	s_cbranch_vccnz .LBB87_9
; %bb.6:                                ;   in Loop: Header=BB87_4 Depth=1
	s_mov_b32 s5, 0
	s_mov_b32 s17, 0
                                        ; implicit-def: $vgpr9_vgpr10
	s_and_saveexec_b32 s41, s0
	s_cbranch_execz .LBB87_10
; %bb.7:                                ;   in Loop: Header=BB87_4 Depth=1
	s_and_not1_b32 vcc_lo, exec_lo, s40
	s_wait_alu 0xfffe
	s_cbranch_vccnz .LBB87_11
; %bb.8:                                ;   in Loop: Header=BB87_4 Depth=1
	s_add_nc_u64 s[42:43], s[28:29], s[24:25]
	global_load_b64 v[9:10], v1, s[42:43]
	s_wait_loadcnt 0x0
	v_mul_f64_e32 v[9:10], s[36:37], v[9:10]
	s_branch .LBB87_12
.LBB87_9:                               ;   in Loop: Header=BB87_4 Depth=1
	s_mov_b32 s17, 0
                                        ; implicit-def: $vgpr9_vgpr10
	s_cbranch_execnz .LBB87_13
	s_branch .LBB87_32
.LBB87_10:                              ;   in Loop: Header=BB87_4 Depth=1
	s_or_b32 exec_lo, exec_lo, s41
	s_wait_alu 0xfffe
	s_and_b32 vcc_lo, exec_lo, s5
	s_wait_alu 0xfffe
	s_cbranch_vccnz .LBB87_13
	s_branch .LBB87_32
.LBB87_11:                              ;   in Loop: Header=BB87_4 Depth=1
	v_mov_b32_e32 v9, 0
	v_mov_b32_e32 v10, 0
.LBB87_12:                              ;   in Loop: Header=BB87_4 Depth=1
	s_mov_b32 s17, exec_lo
	s_or_b32 exec_lo, exec_lo, s41
	s_delay_alu instid0(SALU_CYCLE_1)
	s_and_b32 vcc_lo, exec_lo, s5
	s_wait_alu 0xfffe
	s_cbranch_vccz .LBB87_32
.LBB87_13:                              ;   in Loop: Header=BB87_4 Depth=1
	v_mov_b32_e32 v9, 0
	v_mov_b32_e32 v10, 0
	s_and_saveexec_b32 s41, s1
	s_cbranch_execnz .LBB87_22
; %bb.14:                               ;   in Loop: Header=BB87_4 Depth=1
	s_or_b32 exec_lo, exec_lo, s41
	s_and_saveexec_b32 s5, s2
	s_cbranch_execnz .LBB87_25
.LBB87_15:                              ;   in Loop: Header=BB87_4 Depth=1
	s_wait_alu 0xfffe
	s_or_b32 exec_lo, exec_lo, s5
	s_and_saveexec_b32 s5, s3
.LBB87_16:                              ;   in Loop: Header=BB87_4 Depth=1
	v_mov_b32_e32 v2, v1
	ds_store_b64 v17, v[1:2]
.LBB87_17:                              ;   in Loop: Header=BB87_4 Depth=1
	s_wait_alu 0xfffe
	s_or_b32 exec_lo, exec_lo, s5
	s_wait_dscnt 0x0
	ds_bpermute_b32 v11, v20, v9
	ds_bpermute_b32 v12, v20, v10
	v_cmp_gt_u32_e32 vcc_lo, 24, v19
	s_wait_dscnt 0x0
	s_barrier_signal -1
	s_barrier_wait -1
	global_inv scope:SCOPE_SE
	s_wait_alu 0xfffd
	v_cndmask_b32_e64 v2, 0, 8, vcc_lo
	v_cmp_gt_u32_e32 vcc_lo, 28, v19
	s_delay_alu instid0(VALU_DEP_2)
	v_add_lshl_u32 v2, v2, v19, 2
	v_add_f64_e32 v[9:10], v[9:10], v[11:12]
	ds_bpermute_b32 v11, v2, v9
	ds_bpermute_b32 v12, v2, v10
	s_wait_dscnt 0x0
	v_add_f64_e32 v[9:10], v[9:10], v[11:12]
	s_wait_alu 0xfffd
	v_cndmask_b32_e64 v11, 0, 4, vcc_lo
	v_cmp_gt_u32_e32 vcc_lo, 30, v19
	s_delay_alu instid0(VALU_DEP_2)
	v_add_lshl_u32 v13, v11, v19, 2
	ds_bpermute_b32 v11, v13, v9
	ds_bpermute_b32 v12, v13, v10
	s_wait_dscnt 0x0
	v_add_f64_e32 v[9:10], v[9:10], v[11:12]
	s_wait_alu 0xfffd
	v_cndmask_b32_e64 v11, 0, 2, vcc_lo
	v_cmp_ne_u32_e32 vcc_lo, 31, v19
	s_delay_alu instid0(VALU_DEP_2)
	v_add_lshl_u32 v14, v11, v19, 2
	ds_bpermute_b32 v11, v14, v9
	ds_bpermute_b32 v12, v14, v10
	s_wait_dscnt 0x0
	v_add_f64_e32 v[9:10], v[9:10], v[11:12]
	s_wait_alu 0xfffd
	v_add_co_ci_u32_e64 v11, null, 0, v19, vcc_lo
	s_delay_alu instid0(VALU_DEP_1)
	v_lshlrev_b32_e32 v21, 2, v11
	ds_bpermute_b32 v11, v21, v9
	ds_bpermute_b32 v12, v21, v10
	s_and_saveexec_b32 s5, s4
	s_cbranch_execz .LBB87_19
; %bb.18:                               ;   in Loop: Header=BB87_4 Depth=1
	s_wait_dscnt 0x0
	v_add_f64_e32 v[9:10], v[9:10], v[11:12]
	ds_store_b64 v18, v[9:10]
.LBB87_19:                              ;   in Loop: Header=BB87_4 Depth=1
	s_wait_alu 0xfffe
	s_or_b32 exec_lo, exec_lo, s5
	s_wait_dscnt 0x0
	v_mov_b32_e32 v11, 0
	v_mov_b32_e32 v12, 0
	s_wait_loadcnt 0x0
	s_barrier_signal -1
	s_barrier_wait -1
	global_inv scope:SCOPE_SE
	s_and_saveexec_b32 s5, s3
	s_cbranch_execnz .LBB87_26
; %bb.20:                               ;   in Loop: Header=BB87_4 Depth=1
	s_wait_alu 0xfffe
	s_or_b32 exec_lo, exec_lo, s5
	s_and_saveexec_b32 s5, s3
	s_cbranch_execnz .LBB87_27
.LBB87_21:                              ;   in Loop: Header=BB87_4 Depth=1
	s_wait_alu 0xfffe
	s_or_b32 exec_lo, exec_lo, s5
                                        ; implicit-def: $vgpr9_vgpr10
	s_and_saveexec_b32 s5, s0
	s_cbranch_execnz .LBB87_28
	s_branch .LBB87_31
.LBB87_22:                              ;   in Loop: Header=BB87_4 Depth=1
	s_wait_dscnt 0x0
	v_mad_co_u64_u32 v[11:12], null, s8, s6, v[3:4]
	v_mad_co_u64_u32 v[13:14], null, s18, s6, v[5:6]
	s_mov_b32 s42, 0
	v_dual_mov_b32 v2, v12 :: v_dual_mov_b32 v9, v14
	s_delay_alu instid0(VALU_DEP_1) | instskip(NEXT) | instid1(VALU_DEP_2)
	v_mad_co_u64_u32 v[21:22], null, s9, s6, v[2:3]
	v_mad_co_u64_u32 v[22:23], null, s19, s6, v[9:10]
	v_mov_b32_e32 v9, 0
	v_mov_b32_e32 v10, 0
	;; [unrolled: 1-line block ×5, first 2 shown]
.LBB87_23:                              ;   Parent Loop BB87_4 Depth=1
                                        ; =>  This Inner Loop Header: Depth=2
	global_load_b64 v[21:22], v[11:12], off
	global_load_b64 v[23:24], v[13:14], off
	v_add_nc_u32_e32 v2, 0x400, v2
	v_add_co_u32 v11, vcc_lo, 0x2000, v11
	s_wait_alu 0xfffd
	v_add_co_ci_u32_e64 v12, null, 0, v12, vcc_lo
	s_delay_alu instid0(VALU_DEP_3)
	v_cmp_le_i32_e32 vcc_lo, s16, v2
	v_add_co_u32 v13, s5, v13, s20
	s_wait_alu 0xf1ff
	v_add_co_ci_u32_e64 v14, null, s21, v14, s5
	s_wait_alu 0xfffe
	s_or_b32 s42, vcc_lo, s42
	s_wait_loadcnt 0x0
	v_fma_f64 v[9:10], v[21:22], v[23:24], v[9:10]
	s_wait_alu 0xfffe
	s_and_not1_b32 exec_lo, exec_lo, s42
	s_cbranch_execnz .LBB87_23
; %bb.24:                               ;   in Loop: Header=BB87_4 Depth=1
	s_or_b32 exec_lo, exec_lo, s42
	s_delay_alu instid0(SALU_CYCLE_1)
	s_or_b32 exec_lo, exec_lo, s41
	s_and_saveexec_b32 s5, s2
	s_cbranch_execz .LBB87_15
.LBB87_25:                              ;   in Loop: Header=BB87_4 Depth=1
	s_mul_u64 s[42:43], s[14:15], s[6:7]
	s_mul_u64 s[44:45], s[22:23], s[6:7]
	s_wait_alu 0xfffe
	s_lshl_b64 s[42:43], s[42:43], 3
	s_lshl_b64 s[44:45], s[44:45], 3
	s_wait_alu 0xfffe
	v_add_co_u32 v2, vcc_lo, v15, s42
	s_wait_dscnt 0x0
	s_wait_alu 0xfffd
	v_add_co_ci_u32_e64 v12, null, s43, v16, vcc_lo
	s_add_nc_u64 s[42:43], s[10:11], s[44:45]
	v_add_co_u32 v11, vcc_lo, v2, s26
	s_wait_alu 0xfffd
	v_add_co_ci_u32_e64 v12, null, s27, v12, vcc_lo
	s_wait_alu 0xfffe
	v_add_co_u32 v13, vcc_lo, s42, v7
	s_wait_alu 0xfffd
	v_add_co_ci_u32_e64 v14, null, s43, v8, vcc_lo
	global_load_b64 v[11:12], v[11:12], off
	global_load_b64 v[13:14], v[13:14], off
	s_wait_loadcnt 0x0
	v_fma_f64 v[9:10], v[11:12], v[13:14], v[9:10]
	s_or_b32 exec_lo, exec_lo, s5
	s_and_saveexec_b32 s5, s3
	s_cbranch_execnz .LBB87_16
	s_branch .LBB87_17
.LBB87_26:                              ;   in Loop: Header=BB87_4 Depth=1
	ds_load_b64 v[11:12], v17
	s_wait_alu 0xfffe
	s_or_b32 exec_lo, exec_lo, s5
	s_and_saveexec_b32 s5, s3
	s_cbranch_execz .LBB87_21
.LBB87_27:                              ;   in Loop: Header=BB87_4 Depth=1
	s_wait_dscnt 0x0
	ds_bpermute_b32 v9, v20, v11
	ds_bpermute_b32 v10, v20, v12
	s_wait_dscnt 0x0
	v_add_f64_e32 v[9:10], v[11:12], v[9:10]
	ds_bpermute_b32 v11, v2, v9
	ds_bpermute_b32 v12, v2, v10
	s_wait_dscnt 0x0
	v_add_f64_e32 v[9:10], v[9:10], v[11:12]
	ds_bpermute_b32 v11, v13, v9
	ds_bpermute_b32 v12, v13, v10
	s_wait_dscnt 0x0
	v_add_f64_e32 v[9:10], v[9:10], v[11:12]
	ds_bpermute_b32 v11, v14, v9
	ds_bpermute_b32 v12, v14, v10
	s_wait_dscnt 0x0
	v_add_f64_e32 v[9:10], v[9:10], v[11:12]
	ds_bpermute_b32 v11, v21, v9
	ds_bpermute_b32 v12, v21, v10
	s_wait_dscnt 0x0
	v_add_f64_e32 v[11:12], v[9:10], v[11:12]
	s_wait_alu 0xfffe
	s_or_b32 exec_lo, exec_lo, s5
                                        ; implicit-def: $vgpr9_vgpr10
	s_and_saveexec_b32 s5, s0
	s_cbranch_execz .LBB87_31
.LBB87_28:                              ;   in Loop: Header=BB87_4 Depth=1
	s_wait_dscnt 0x0
	s_delay_alu instid0(VALU_DEP_1)
	v_mul_f64_e32 v[9:10], s[34:35], v[11:12]
	s_and_not1_b32 vcc_lo, exec_lo, s40
	s_wait_alu 0xfffe
	s_cbranch_vccnz .LBB87_30
; %bb.29:                               ;   in Loop: Header=BB87_4 Depth=1
	s_add_nc_u64 s[42:43], s[28:29], s[24:25]
	global_load_b64 v[11:12], v1, s[42:43]
	s_wait_loadcnt 0x0
	v_fma_f64 v[9:10], s[36:37], v[11:12], v[9:10]
.LBB87_30:                              ;   in Loop: Header=BB87_4 Depth=1
	s_or_b32 s17, s17, exec_lo
.LBB87_31:                              ;   in Loop: Header=BB87_4 Depth=1
	s_wait_alu 0xfffe
	s_or_b32 exec_lo, exec_lo, s5
.LBB87_32:                              ;   in Loop: Header=BB87_4 Depth=1
	s_wait_alu 0xfffe
	s_and_saveexec_b32 s5, s17
	s_cbranch_execz .LBB87_2
; %bb.33:                               ;   in Loop: Header=BB87_4 Depth=1
	s_add_nc_u64 s[28:29], s[28:29], s[24:25]
	global_store_b64 v1, v[9:10], s[28:29]
	s_branch .LBB87_2
.LBB87_34:
	s_endpgm
	.section	.rodata,"a",@progbits
	.p2align	6, 0x0
	.amdhsa_kernel _ZL32rocblas_gemvt_warp_reduce_kernelILb0ELi1024EldddEviiT3_lPKT2_lT1_lS3_lS4_lS0_lPT4_lS4_li
		.amdhsa_group_segment_fixed_size 256
		.amdhsa_private_segment_fixed_size 0
		.amdhsa_kernarg_size 140
		.amdhsa_user_sgpr_count 2
		.amdhsa_user_sgpr_dispatch_ptr 0
		.amdhsa_user_sgpr_queue_ptr 0
		.amdhsa_user_sgpr_kernarg_segment_ptr 1
		.amdhsa_user_sgpr_dispatch_id 0
		.amdhsa_user_sgpr_private_segment_size 0
		.amdhsa_wavefront_size32 1
		.amdhsa_uses_dynamic_stack 0
		.amdhsa_enable_private_segment 0
		.amdhsa_system_sgpr_workgroup_id_x 1
		.amdhsa_system_sgpr_workgroup_id_y 0
		.amdhsa_system_sgpr_workgroup_id_z 1
		.amdhsa_system_sgpr_workgroup_info 0
		.amdhsa_system_vgpr_workitem_id 0
		.amdhsa_next_free_vgpr 25
		.amdhsa_next_free_sgpr 46
		.amdhsa_reserve_vcc 1
		.amdhsa_float_round_mode_32 0
		.amdhsa_float_round_mode_16_64 0
		.amdhsa_float_denorm_mode_32 3
		.amdhsa_float_denorm_mode_16_64 3
		.amdhsa_fp16_overflow 0
		.amdhsa_workgroup_processor_mode 1
		.amdhsa_memory_ordered 1
		.amdhsa_forward_progress 1
		.amdhsa_inst_pref_size 14
		.amdhsa_round_robin_scheduling 0
		.amdhsa_exception_fp_ieee_invalid_op 0
		.amdhsa_exception_fp_denorm_src 0
		.amdhsa_exception_fp_ieee_div_zero 0
		.amdhsa_exception_fp_ieee_overflow 0
		.amdhsa_exception_fp_ieee_underflow 0
		.amdhsa_exception_fp_ieee_inexact 0
		.amdhsa_exception_int_div_zero 0
	.end_amdhsa_kernel
	.section	.text._ZL32rocblas_gemvt_warp_reduce_kernelILb0ELi1024EldddEviiT3_lPKT2_lT1_lS3_lS4_lS0_lPT4_lS4_li,"axG",@progbits,_ZL32rocblas_gemvt_warp_reduce_kernelILb0ELi1024EldddEviiT3_lPKT2_lT1_lS3_lS4_lS0_lPT4_lS4_li,comdat
.Lfunc_end87:
	.size	_ZL32rocblas_gemvt_warp_reduce_kernelILb0ELi1024EldddEviiT3_lPKT2_lT1_lS3_lS4_lS0_lPT4_lS4_li, .Lfunc_end87-_ZL32rocblas_gemvt_warp_reduce_kernelILb0ELi1024EldddEviiT3_lPKT2_lT1_lS3_lS4_lS0_lPT4_lS4_li
                                        ; -- End function
	.set _ZL32rocblas_gemvt_warp_reduce_kernelILb0ELi1024EldddEviiT3_lPKT2_lT1_lS3_lS4_lS0_lPT4_lS4_li.num_vgpr, 25
	.set _ZL32rocblas_gemvt_warp_reduce_kernelILb0ELi1024EldddEviiT3_lPKT2_lT1_lS3_lS4_lS0_lPT4_lS4_li.num_agpr, 0
	.set _ZL32rocblas_gemvt_warp_reduce_kernelILb0ELi1024EldddEviiT3_lPKT2_lT1_lS3_lS4_lS0_lPT4_lS4_li.numbered_sgpr, 46
	.set _ZL32rocblas_gemvt_warp_reduce_kernelILb0ELi1024EldddEviiT3_lPKT2_lT1_lS3_lS4_lS0_lPT4_lS4_li.num_named_barrier, 0
	.set _ZL32rocblas_gemvt_warp_reduce_kernelILb0ELi1024EldddEviiT3_lPKT2_lT1_lS3_lS4_lS0_lPT4_lS4_li.private_seg_size, 0
	.set _ZL32rocblas_gemvt_warp_reduce_kernelILb0ELi1024EldddEviiT3_lPKT2_lT1_lS3_lS4_lS0_lPT4_lS4_li.uses_vcc, 1
	.set _ZL32rocblas_gemvt_warp_reduce_kernelILb0ELi1024EldddEviiT3_lPKT2_lT1_lS3_lS4_lS0_lPT4_lS4_li.uses_flat_scratch, 0
	.set _ZL32rocblas_gemvt_warp_reduce_kernelILb0ELi1024EldddEviiT3_lPKT2_lT1_lS3_lS4_lS0_lPT4_lS4_li.has_dyn_sized_stack, 0
	.set _ZL32rocblas_gemvt_warp_reduce_kernelILb0ELi1024EldddEviiT3_lPKT2_lT1_lS3_lS4_lS0_lPT4_lS4_li.has_recursion, 0
	.set _ZL32rocblas_gemvt_warp_reduce_kernelILb0ELi1024EldddEviiT3_lPKT2_lT1_lS3_lS4_lS0_lPT4_lS4_li.has_indirect_call, 0
	.section	.AMDGPU.csdata,"",@progbits
; Kernel info:
; codeLenInByte = 1688
; TotalNumSgprs: 48
; NumVgprs: 25
; ScratchSize: 0
; MemoryBound: 0
; FloatMode: 240
; IeeeMode: 1
; LDSByteSize: 256 bytes/workgroup (compile time only)
; SGPRBlocks: 0
; VGPRBlocks: 3
; NumSGPRsForWavesPerEU: 48
; NumVGPRsForWavesPerEU: 25
; Occupancy: 16
; WaveLimiterHint : 0
; COMPUTE_PGM_RSRC2:SCRATCH_EN: 0
; COMPUTE_PGM_RSRC2:USER_SGPR: 2
; COMPUTE_PGM_RSRC2:TRAP_HANDLER: 0
; COMPUTE_PGM_RSRC2:TGID_X_EN: 1
; COMPUTE_PGM_RSRC2:TGID_Y_EN: 0
; COMPUTE_PGM_RSRC2:TGID_Z_EN: 1
; COMPUTE_PGM_RSRC2:TIDIG_COMP_CNT: 0
	.section	.text._ZL22rocblas_gemvtsm_kernelILb1ELi256EdPKddEviiT2_lPKT1_lilS5_lilS2_lPT3_lil,"axG",@progbits,_ZL22rocblas_gemvtsm_kernelILb1ELi256EdPKddEviiT2_lPKT1_lilS5_lilS2_lPT3_lil,comdat
	.globl	_ZL22rocblas_gemvtsm_kernelILb1ELi256EdPKddEviiT2_lPKT1_lilS5_lilS2_lPT3_lil ; -- Begin function _ZL22rocblas_gemvtsm_kernelILb1ELi256EdPKddEviiT2_lPKT1_lilS5_lilS2_lPT3_lil
	.p2align	8
	.type	_ZL22rocblas_gemvtsm_kernelILb1ELi256EdPKddEviiT2_lPKT1_lilS5_lilS2_lPT3_lil,@function
_ZL22rocblas_gemvtsm_kernelILb1ELi256EdPKddEviiT2_lPKT1_lilS5_lilS2_lPT3_lil: ; @_ZL22rocblas_gemvtsm_kernelILb1ELi256EdPKddEviiT2_lPKT1_lilS5_lilS2_lPT3_lil
; %bb.0:
	s_clause 0x1
	s_load_b256 s[4:11], s[0:1], 0x8
	s_load_b256 s[12:19], s[0:1], 0x50
	s_mov_b32 s24, ttmp9
	s_mov_b32 s25, 0
	s_wait_kmcnt 0x0
	s_mul_u64 s[2:3], s[6:7], s[24:25]
	s_mul_u64 s[6:7], s[16:17], s[24:25]
	s_lshl_b64 s[2:3], s[2:3], 3
	s_lshl_b64 s[6:7], s[6:7], 3
	s_add_nc_u64 s[2:3], s[4:5], s[2:3]
	s_add_nc_u64 s[4:5], s[14:15], s[6:7]
	s_load_b64 s[26:27], s[2:3], 0x0
	s_load_b64 s[14:15], s[4:5], 0x0
	s_wait_kmcnt 0x0
	v_cmp_eq_f64_e64 s2, s[26:27], 0
	v_cmp_eq_f64_e64 s3, s[14:15], 1.0
	s_and_b32 s2, s2, s3
	s_delay_alu instid0(SALU_CYCLE_1)
	s_and_b32 vcc_lo, exec_lo, s2
	s_cbranch_vccnz .LBB88_34
; %bb.1:
	v_cmp_neq_f64_e64 s4, s[26:27], 0
	s_clause 0x2
	s_load_b64 s[2:3], s[0:1], 0x80
	s_load_b96 s[20:22], s[0:1], 0x70
	s_load_b64 s[16:17], s[0:1], 0x0
	s_wait_kmcnt 0x0
	s_mul_u64 s[28:29], s[2:3], s[24:25]
	s_and_b32 vcc_lo, exec_lo, s4
	s_cbranch_vccnz .LBB88_9
; %bb.2:
	v_cmp_neq_f64_e64 s2, s[14:15], 0
	s_cmp_gt_i32 s17, 0
	s_cselect_b32 s4, -1, 0
	s_delay_alu instid0(SALU_CYCLE_1) | instskip(SKIP_1) | instid1(VALU_DEP_1)
	v_cndmask_b32_e64 v1, 0, 1, s4
	s_and_b32 vcc_lo, exec_lo, s2
	v_cmp_ne_u32_e64 s2, 1, v1
	s_cbranch_vccnz .LBB88_10
; %bb.3:
	s_and_b32 vcc_lo, exec_lo, s2
	s_cbranch_vccnz .LBB88_8
; %bb.4:
	v_mad_co_i64_i32 v[1:2], null, s22, v0, 0
	s_lshl_b64 s[6:7], s[20:21], 3
	s_lshl_b64 s[30:31], s[28:29], 3
	s_add_nc_u64 s[6:7], s[18:19], s[6:7]
	v_mov_b32_e32 v3, 0
	s_add_nc_u64 s[6:7], s[6:7], s[30:31]
	s_ashr_i32 s3, s22, 31
	v_lshlrev_b64_e32 v[1:2], 3, v[1:2]
	s_mov_b32 s2, s22
	s_mov_b32 s5, 0
	s_lshl_b64 s[2:3], s[2:3], 11
	s_delay_alu instid0(VALU_DEP_1) | instskip(NEXT) | instid1(VALU_DEP_1)
	v_add_co_u32 v1, vcc_lo, s6, v1
	v_add_co_ci_u32_e64 v2, null, s7, v2, vcc_lo
	s_branch .LBB88_6
.LBB88_5:                               ;   in Loop: Header=BB88_6 Depth=1
	s_wait_alu 0xfffe
	s_or_b32 exec_lo, exec_lo, s6
	v_add_co_u32 v1, vcc_lo, v1, s2
	s_wait_alu 0xfffd
	v_add_co_ci_u32_e64 v2, null, s3, v2, vcc_lo
	s_addk_co_i32 s5, 0x100
	s_wait_alu 0xfffe
	s_cmp_ge_i32 s5, s17
	s_cbranch_scc1 .LBB88_8
.LBB88_6:                               ; =>This Inner Loop Header: Depth=1
	s_wait_alu 0xfffe
	v_add_nc_u32_e32 v4, s5, v0
	s_mov_b32 s6, exec_lo
	s_delay_alu instid0(VALU_DEP_1)
	v_cmpx_gt_i32_e64 s17, v4
	s_cbranch_execz .LBB88_5
; %bb.7:                                ;   in Loop: Header=BB88_6 Depth=1
	v_mov_b32_e32 v4, v3
	global_store_b64 v[1:2], v[3:4], off
	s_branch .LBB88_5
.LBB88_8:
	s_cbranch_execz .LBB88_11
	s_branch .LBB88_16
.LBB88_9:
	s_branch .LBB88_17
.LBB88_10:
.LBB88_11:
	s_and_not1_b32 vcc_lo, exec_lo, s4
	s_wait_alu 0xfffe
	s_cbranch_vccnz .LBB88_16
; %bb.12:
	v_mad_co_i64_i32 v[1:2], null, s22, v0, 0
	s_lshl_b64 s[4:5], s[20:21], 3
	s_lshl_b64 s[6:7], s[28:29], 3
	s_wait_alu 0xfffe
	s_add_nc_u64 s[4:5], s[18:19], s[4:5]
	s_ashr_i32 s3, s22, 31
	s_wait_alu 0xfffe
	s_add_nc_u64 s[4:5], s[4:5], s[6:7]
	s_mov_b32 s2, s22
	v_lshlrev_b64_e32 v[1:2], 3, v[1:2]
	s_wait_alu 0xfffe
	s_lshl_b64 s[2:3], s[2:3], 11
	s_delay_alu instid0(VALU_DEP_1) | instskip(SKIP_1) | instid1(VALU_DEP_2)
	v_add_co_u32 v1, vcc_lo, s4, v1
	s_wait_alu 0xfffd
	v_add_co_ci_u32_e64 v2, null, s5, v2, vcc_lo
	s_mov_b32 s4, 0
	s_branch .LBB88_14
.LBB88_13:                              ;   in Loop: Header=BB88_14 Depth=1
	s_wait_alu 0xfffe
	s_or_b32 exec_lo, exec_lo, s5
	v_add_co_u32 v1, vcc_lo, v1, s2
	s_wait_alu 0xfffd
	v_add_co_ci_u32_e64 v2, null, s3, v2, vcc_lo
	s_addk_co_i32 s4, 0x100
	s_wait_alu 0xfffe
	s_cmp_ge_i32 s4, s17
	s_cbranch_scc1 .LBB88_16
.LBB88_14:                              ; =>This Inner Loop Header: Depth=1
	s_wait_alu 0xfffe
	v_add_nc_u32_e32 v3, s4, v0
	s_mov_b32 s5, exec_lo
	s_delay_alu instid0(VALU_DEP_1)
	v_cmpx_gt_i32_e64 s17, v3
	s_cbranch_execz .LBB88_13
; %bb.15:                               ;   in Loop: Header=BB88_14 Depth=1
	global_load_b64 v[3:4], v[1:2], off
	s_wait_loadcnt 0x0
	v_mul_f64_e32 v[3:4], s[14:15], v[3:4]
	global_store_b64 v[1:2], v[3:4], off
	s_branch .LBB88_13
.LBB88_16:
	s_cbranch_execnz .LBB88_34
.LBB88_17:
	s_clause 0x1
	s_load_b128 s[4:7], s[0:1], 0x30
	s_load_b64 s[2:3], s[0:1], 0x40
	s_mov_b32 s23, exec_lo
	v_cmpx_gt_i32_e64 s16, v0
	s_cbranch_execz .LBB88_19
; %bb.18:
	s_load_b32 s30, s[0:1], 0x48
	s_mul_u64 s[12:13], s[12:13], s[24:25]
	s_wait_kmcnt 0x0
	s_lshl_b64 s[2:3], s[2:3], 3
	s_lshl_b64 s[12:13], s[12:13], 3
	v_lshlrev_b32_e32 v3, 3, v0
	s_add_nc_u64 s[6:7], s[6:7], s[12:13]
	s_wait_alu 0xfffe
	s_add_nc_u64 s[2:3], s[6:7], s[2:3]
	v_mad_co_i64_i32 v[1:2], null, s30, v0, 0
	s_delay_alu instid0(VALU_DEP_1) | instskip(SKIP_1) | instid1(VALU_DEP_1)
	v_lshlrev_b64_e32 v[1:2], 3, v[1:2]
	s_wait_alu 0xfffe
	v_add_co_u32 v1, vcc_lo, s2, v1
	s_wait_alu 0xfffd
	s_delay_alu instid0(VALU_DEP_2)
	v_add_co_ci_u32_e64 v2, null, s3, v2, vcc_lo
	global_load_b64 v[1:2], v[1:2], off
	s_wait_loadcnt 0x0
	v_mul_f64_e32 v[1:2], s[26:27], v[1:2]
	ds_store_b64 v3, v[1:2]
.LBB88_19:
	s_wait_alu 0xfffe
	s_or_b32 exec_lo, exec_lo, s23
	s_cmp_lt_i32 s17, 1
	s_wait_storecnt_dscnt 0x0
	s_barrier_signal -1
	s_barrier_wait -1
	global_inv scope:SCOPE_SE
	s_cbranch_scc1 .LBB88_34
; %bb.20:
	s_load_b32 s26, s[0:1], 0x28
	v_cmp_neq_f64_e64 s12, s[14:15], 0
	s_lshl_b64 s[0:1], s[28:29], 3
	s_wait_kmcnt 0x0
	s_lshl_b64 s[2:3], s[20:21], 3
	s_ashr_i32 s6, s22, 31
	s_add_nc_u64 s[0:1], s[18:19], s[0:1]
	s_mul_u64 s[4:5], s[4:5], s[24:25]
	s_wait_alu 0xfffe
	s_add_nc_u64 s[0:1], s[0:1], s[2:3]
	s_mov_b32 s7, s22
	s_ashr_i32 s27, s26, 31
	s_cmp_gt_i32 s16, 0
	v_mad_co_i64_i32 v[1:2], null, s26, v0, 0
	s_cselect_b32 s13, -1, 0
	s_and_b32 s18, s16, 7
	s_cmp_gt_u32 s16, 7
	s_cselect_b32 s19, -1, 0
	s_and_b32 s16, s16, 0x7ffffff8
	s_cmp_lg_u32 s18, 0
	v_lshlrev_b64_e32 v[1:2], 3, v[1:2]
	s_cselect_b32 s20, -1, 0
	s_lshl_b64 s[2:3], s[10:11], 3
	s_lshl_b64 s[4:5], s[4:5], 3
	s_wait_alu 0xfffe
	s_add_nc_u64 s[2:3], s[8:9], s[2:3]
	s_mov_b32 s8, 0
	s_wait_alu 0xfffe
	s_add_nc_u64 s[2:3], s[2:3], s[4:5]
	s_lshl_b64 s[4:5], s[26:27], 11
	s_wait_alu 0xfffe
	v_add_co_u32 v9, vcc_lo, s2, v1
	s_wait_alu 0xfffd
	v_add_co_ci_u32_e64 v10, null, s3, v2, vcc_lo
	s_mov_b32 s3, 0
	v_add_co_u32 v1, vcc_lo, v9, 56
	s_wait_alu 0xfffd
	v_add_co_ci_u32_e64 v2, null, 0, v10, vcc_lo
	s_branch .LBB88_23
.LBB88_21:                              ;   in Loop: Header=BB88_23 Depth=1
	v_add_co_u32 v3, vcc_lo, s0, v3
	s_wait_alu 0xfffd
	v_add_co_ci_u32_e64 v4, null, s1, v4, vcc_lo
	global_store_b64 v[3:4], v[5:6], off
.LBB88_22:                              ;   in Loop: Header=BB88_23 Depth=1
	s_wait_alu 0xfffe
	s_or_b32 exec_lo, exec_lo, s9
	v_add_co_u32 v1, vcc_lo, v1, s4
	s_wait_alu 0xfffd
	v_add_co_ci_u32_e64 v2, null, s5, v2, vcc_lo
	v_add_co_u32 v9, vcc_lo, v9, s4
	s_wait_alu 0xfffd
	v_add_co_ci_u32_e64 v10, null, s5, v10, vcc_lo
	s_addk_co_i32 s8, 0x100
	s_wait_alu 0xfffe
	s_cmp_ge_i32 s8, s17
	s_cbranch_scc1 .LBB88_34
.LBB88_23:                              ; =>This Loop Header: Depth=1
                                        ;     Child Loop BB88_29 Depth 2
                                        ;     Child Loop BB88_33 Depth 2
	v_add_nc_u32_e32 v3, s8, v0
	s_mov_b32 s9, exec_lo
	s_delay_alu instid0(VALU_DEP_1)
	v_cmpx_gt_i32_e64 s17, v3
	s_cbranch_execz .LBB88_22
; %bb.24:                               ;   in Loop: Header=BB88_23 Depth=1
	v_mad_co_u64_u32 v[4:5], null, v3, s7, 0
	s_and_not1_b32 vcc_lo, exec_lo, s12
	v_mad_co_u64_u32 v[5:6], null, v3, s6, v[5:6]
	s_delay_alu instid0(VALU_DEP_1)
	v_lshlrev_b64_e32 v[3:4], 3, v[4:5]
	s_wait_alu 0xfffe
	s_cbranch_vccnz .LBB88_26
; %bb.25:                               ;   in Loop: Header=BB88_23 Depth=1
	s_delay_alu instid0(VALU_DEP_1) | instskip(SKIP_1) | instid1(VALU_DEP_2)
	v_add_co_u32 v5, vcc_lo, s0, v3
	s_wait_alu 0xfffd
	v_add_co_ci_u32_e64 v6, null, s1, v4, vcc_lo
	global_load_b64 v[5:6], v[5:6], off
	s_wait_loadcnt 0x0
	v_mul_f64_e32 v[5:6], s[14:15], v[5:6]
	s_and_not1_b32 vcc_lo, exec_lo, s13
	s_wait_alu 0xfffe
	s_cbranch_vccz .LBB88_27
	s_branch .LBB88_21
.LBB88_26:                              ;   in Loop: Header=BB88_23 Depth=1
	v_mov_b32_e32 v5, 0
	v_mov_b32_e32 v6, 0
	s_and_not1_b32 vcc_lo, exec_lo, s13
	s_wait_alu 0xfffe
	s_cbranch_vccnz .LBB88_21
.LBB88_27:                              ;   in Loop: Header=BB88_23 Depth=1
	s_and_not1_b32 vcc_lo, exec_lo, s19
	s_mov_b32 s2, 0
	s_wait_alu 0xfffe
	s_cbranch_vccnz .LBB88_31
; %bb.28:                               ;   in Loop: Header=BB88_23 Depth=1
	v_dual_mov_b32 v8, v2 :: v_dual_mov_b32 v7, v1
	s_mov_b32 s10, 0
.LBB88_29:                              ;   Parent Loop BB88_23 Depth=1
                                        ; =>  This Inner Loop Header: Depth=2
	s_clause 0x3
	global_load_b128 v[11:14], v[7:8], off offset:-56
	global_load_b128 v[15:18], v[7:8], off offset:-40
	;; [unrolled: 1-line block ×4, first 2 shown]
	s_wait_alu 0xfffe
	v_mov_b32_e32 v35, s2
	v_add_co_u32 v7, vcc_lo, v7, 64
	s_wait_alu 0xfffd
	v_add_co_ci_u32_e64 v8, null, 0, v8, vcc_lo
	ds_load_b128 v[27:30], v35
	ds_load_b128 v[31:34], v35 offset:16
	s_add_co_i32 s10, s10, 8
	s_add_co_i32 s2, s2, 64
	s_wait_alu 0xfffe
	s_cmp_eq_u32 s16, s10
	s_wait_loadcnt_dscnt 0x301
	v_fma_f64 v[5:6], v[27:28], v[11:12], v[5:6]
	s_delay_alu instid0(VALU_DEP_1) | instskip(SKIP_1) | instid1(VALU_DEP_1)
	v_fma_f64 v[5:6], v[29:30], v[13:14], v[5:6]
	s_wait_loadcnt_dscnt 0x200
	v_fma_f64 v[5:6], v[31:32], v[15:16], v[5:6]
	s_delay_alu instid0(VALU_DEP_1) | instskip(SKIP_4) | instid1(VALU_DEP_1)
	v_fma_f64 v[5:6], v[33:34], v[17:18], v[5:6]
	ds_load_b128 v[11:14], v35 offset:32
	ds_load_b128 v[15:18], v35 offset:48
	s_wait_loadcnt_dscnt 0x101
	v_fma_f64 v[5:6], v[11:12], v[19:20], v[5:6]
	v_fma_f64 v[5:6], v[13:14], v[21:22], v[5:6]
	s_wait_loadcnt_dscnt 0x0
	s_delay_alu instid0(VALU_DEP_1) | instskip(NEXT) | instid1(VALU_DEP_1)
	v_fma_f64 v[5:6], v[15:16], v[23:24], v[5:6]
	v_fma_f64 v[5:6], v[17:18], v[25:26], v[5:6]
	s_cbranch_scc0 .LBB88_29
; %bb.30:                               ;   in Loop: Header=BB88_23 Depth=1
	s_mov_b32 s2, s16
.LBB88_31:                              ;   in Loop: Header=BB88_23 Depth=1
	s_and_not1_b32 vcc_lo, exec_lo, s20
	s_wait_alu 0xfffe
	s_cbranch_vccnz .LBB88_21
; %bb.32:                               ;   in Loop: Header=BB88_23 Depth=1
	s_lshl_b64 s[10:11], s[2:3], 3
	s_lshl_b32 s2, s2, 3
	s_wait_alu 0xfffe
	v_add_co_u32 v7, vcc_lo, v9, s10
	s_wait_alu 0xfffd
	v_add_co_ci_u32_e64 v8, null, s11, v10, vcc_lo
	s_mov_b32 s10, s18
.LBB88_33:                              ;   Parent Loop BB88_23 Depth=1
                                        ; =>  This Inner Loop Header: Depth=2
	global_load_b64 v[11:12], v[7:8], off
	s_wait_alu 0xfffe
	v_mov_b32_e32 v13, s2
	v_add_co_u32 v7, vcc_lo, v7, 8
	s_wait_alu 0xfffd
	v_add_co_ci_u32_e64 v8, null, 0, v8, vcc_lo
	ds_load_b64 v[13:14], v13
	s_add_co_i32 s10, s10, -1
	s_add_co_i32 s2, s2, 8
	s_wait_alu 0xfffe
	s_cmp_lg_u32 s10, 0
	s_wait_loadcnt_dscnt 0x0
	v_fma_f64 v[5:6], v[13:14], v[11:12], v[5:6]
	s_cbranch_scc1 .LBB88_33
	s_branch .LBB88_21
.LBB88_34:
	s_endpgm
	.section	.rodata,"a",@progbits
	.p2align	6, 0x0
	.amdhsa_kernel _ZL22rocblas_gemvtsm_kernelILb1ELi256EdPKddEviiT2_lPKT1_lilS5_lilS2_lPT3_lil
		.amdhsa_group_segment_fixed_size 512
		.amdhsa_private_segment_fixed_size 0
		.amdhsa_kernarg_size 136
		.amdhsa_user_sgpr_count 2
		.amdhsa_user_sgpr_dispatch_ptr 0
		.amdhsa_user_sgpr_queue_ptr 0
		.amdhsa_user_sgpr_kernarg_segment_ptr 1
		.amdhsa_user_sgpr_dispatch_id 0
		.amdhsa_user_sgpr_private_segment_size 0
		.amdhsa_wavefront_size32 1
		.amdhsa_uses_dynamic_stack 0
		.amdhsa_enable_private_segment 0
		.amdhsa_system_sgpr_workgroup_id_x 1
		.amdhsa_system_sgpr_workgroup_id_y 0
		.amdhsa_system_sgpr_workgroup_id_z 0
		.amdhsa_system_sgpr_workgroup_info 0
		.amdhsa_system_vgpr_workitem_id 0
		.amdhsa_next_free_vgpr 36
		.amdhsa_next_free_sgpr 32
		.amdhsa_reserve_vcc 1
		.amdhsa_float_round_mode_32 0
		.amdhsa_float_round_mode_16_64 0
		.amdhsa_float_denorm_mode_32 3
		.amdhsa_float_denorm_mode_16_64 3
		.amdhsa_fp16_overflow 0
		.amdhsa_workgroup_processor_mode 1
		.amdhsa_memory_ordered 1
		.amdhsa_forward_progress 1
		.amdhsa_inst_pref_size 13
		.amdhsa_round_robin_scheduling 0
		.amdhsa_exception_fp_ieee_invalid_op 0
		.amdhsa_exception_fp_denorm_src 0
		.amdhsa_exception_fp_ieee_div_zero 0
		.amdhsa_exception_fp_ieee_overflow 0
		.amdhsa_exception_fp_ieee_underflow 0
		.amdhsa_exception_fp_ieee_inexact 0
		.amdhsa_exception_int_div_zero 0
	.end_amdhsa_kernel
	.section	.text._ZL22rocblas_gemvtsm_kernelILb1ELi256EdPKddEviiT2_lPKT1_lilS5_lilS2_lPT3_lil,"axG",@progbits,_ZL22rocblas_gemvtsm_kernelILb1ELi256EdPKddEviiT2_lPKT1_lilS5_lilS2_lPT3_lil,comdat
.Lfunc_end88:
	.size	_ZL22rocblas_gemvtsm_kernelILb1ELi256EdPKddEviiT2_lPKT1_lilS5_lilS2_lPT3_lil, .Lfunc_end88-_ZL22rocblas_gemvtsm_kernelILb1ELi256EdPKddEviiT2_lPKT1_lilS5_lilS2_lPT3_lil
                                        ; -- End function
	.set _ZL22rocblas_gemvtsm_kernelILb1ELi256EdPKddEviiT2_lPKT1_lilS5_lilS2_lPT3_lil.num_vgpr, 36
	.set _ZL22rocblas_gemvtsm_kernelILb1ELi256EdPKddEviiT2_lPKT1_lilS5_lilS2_lPT3_lil.num_agpr, 0
	.set _ZL22rocblas_gemvtsm_kernelILb1ELi256EdPKddEviiT2_lPKT1_lilS5_lilS2_lPT3_lil.numbered_sgpr, 32
	.set _ZL22rocblas_gemvtsm_kernelILb1ELi256EdPKddEviiT2_lPKT1_lilS5_lilS2_lPT3_lil.num_named_barrier, 0
	.set _ZL22rocblas_gemvtsm_kernelILb1ELi256EdPKddEviiT2_lPKT1_lilS5_lilS2_lPT3_lil.private_seg_size, 0
	.set _ZL22rocblas_gemvtsm_kernelILb1ELi256EdPKddEviiT2_lPKT1_lilS5_lilS2_lPT3_lil.uses_vcc, 1
	.set _ZL22rocblas_gemvtsm_kernelILb1ELi256EdPKddEviiT2_lPKT1_lilS5_lilS2_lPT3_lil.uses_flat_scratch, 0
	.set _ZL22rocblas_gemvtsm_kernelILb1ELi256EdPKddEviiT2_lPKT1_lilS5_lilS2_lPT3_lil.has_dyn_sized_stack, 0
	.set _ZL22rocblas_gemvtsm_kernelILb1ELi256EdPKddEviiT2_lPKT1_lilS5_lilS2_lPT3_lil.has_recursion, 0
	.set _ZL22rocblas_gemvtsm_kernelILb1ELi256EdPKddEviiT2_lPKT1_lilS5_lilS2_lPT3_lil.has_indirect_call, 0
	.section	.AMDGPU.csdata,"",@progbits
; Kernel info:
; codeLenInByte = 1600
; TotalNumSgprs: 34
; NumVgprs: 36
; ScratchSize: 0
; MemoryBound: 0
; FloatMode: 240
; IeeeMode: 1
; LDSByteSize: 512 bytes/workgroup (compile time only)
; SGPRBlocks: 0
; VGPRBlocks: 4
; NumSGPRsForWavesPerEU: 34
; NumVGPRsForWavesPerEU: 36
; Occupancy: 16
; WaveLimiterHint : 1
; COMPUTE_PGM_RSRC2:SCRATCH_EN: 0
; COMPUTE_PGM_RSRC2:USER_SGPR: 2
; COMPUTE_PGM_RSRC2:TRAP_HANDLER: 0
; COMPUTE_PGM_RSRC2:TGID_X_EN: 1
; COMPUTE_PGM_RSRC2:TGID_Y_EN: 0
; COMPUTE_PGM_RSRC2:TGID_Z_EN: 0
; COMPUTE_PGM_RSRC2:TIDIG_COMP_CNT: 0
	.section	.text._ZL22rocblas_gemvtsm_kernelILb1ELi256EdddEviiT2_lPKT1_lilS3_lilS0_lPT3_lil,"axG",@progbits,_ZL22rocblas_gemvtsm_kernelILb1ELi256EdddEviiT2_lPKT1_lilS3_lilS0_lPT3_lil,comdat
	.globl	_ZL22rocblas_gemvtsm_kernelILb1ELi256EdddEviiT2_lPKT1_lilS3_lilS0_lPT3_lil ; -- Begin function _ZL22rocblas_gemvtsm_kernelILb1ELi256EdddEviiT2_lPKT1_lilS3_lilS0_lPT3_lil
	.p2align	8
	.type	_ZL22rocblas_gemvtsm_kernelILb1ELi256EdddEviiT2_lPKT1_lilS3_lilS0_lPT3_lil,@function
_ZL22rocblas_gemvtsm_kernelILb1ELi256EdddEviiT2_lPKT1_lilS3_lilS0_lPT3_lil: ; @_ZL22rocblas_gemvtsm_kernelILb1ELi256EdddEviiT2_lPKT1_lilS3_lilS0_lPT3_lil
; %bb.0:
	s_clause 0x1
	s_load_b64 s[22:23], s[0:1], 0x8
	s_load_b128 s[4:7], s[0:1], 0x50
	s_wait_kmcnt 0x0
	v_cmp_eq_f64_e64 s2, s[22:23], 0
	v_cmp_eq_f64_e64 s3, s[6:7], 1.0
	s_and_b32 s2, s2, s3
	s_delay_alu instid0(SALU_CYCLE_1)
	s_and_b32 vcc_lo, exec_lo, s2
	s_cbranch_vccnz .LBB89_34
; %bb.1:
	v_cmp_neq_f64_e64 s12, s[22:23], 0
	s_clause 0x3
	s_load_b64 s[2:3], s[0:1], 0x80
	s_load_b32 s16, s[0:1], 0x78
	s_load_b64 s[18:19], s[0:1], 0x0
	s_load_b128 s[8:11], s[0:1], 0x68
	s_mov_b32 s20, ttmp9
	s_mov_b32 s21, 0
	s_wait_kmcnt 0x0
	s_mul_u64 s[24:25], s[2:3], s[20:21]
	s_and_b32 vcc_lo, exec_lo, s12
	s_cbranch_vccnz .LBB89_9
; %bb.2:
	v_cmp_neq_f64_e64 s2, s[6:7], 0
	s_cmp_gt_i32 s19, 0
	s_cselect_b32 s12, -1, 0
	s_delay_alu instid0(SALU_CYCLE_1) | instskip(SKIP_1) | instid1(VALU_DEP_1)
	v_cndmask_b32_e64 v1, 0, 1, s12
	s_and_b32 vcc_lo, exec_lo, s2
	v_cmp_ne_u32_e64 s2, 1, v1
	s_cbranch_vccnz .LBB89_10
; %bb.3:
	s_and_b32 vcc_lo, exec_lo, s2
	s_cbranch_vccnz .LBB89_8
; %bb.4:
	v_mad_co_i64_i32 v[1:2], null, s16, v0, 0
	s_lshl_b64 s[2:3], s[10:11], 3
	s_lshl_b64 s[14:15], s[24:25], 3
	s_add_nc_u64 s[2:3], s[8:9], s[2:3]
	v_mov_b32_e32 v3, 0
	s_add_nc_u64 s[2:3], s[2:3], s[14:15]
	s_ashr_i32 s17, s16, 31
	v_lshlrev_b64_e32 v[1:2], 3, v[1:2]
	s_mov_b32 s13, 0
	s_delay_alu instid0(VALU_DEP_1) | instskip(NEXT) | instid1(VALU_DEP_1)
	v_add_co_u32 v1, vcc_lo, s2, v1
	v_add_co_ci_u32_e64 v2, null, s3, v2, vcc_lo
	s_wait_alu 0xfffe
	s_lshl_b64 s[2:3], s[16:17], 11
	s_branch .LBB89_6
.LBB89_5:                               ;   in Loop: Header=BB89_6 Depth=1
	s_or_b32 exec_lo, exec_lo, s14
	s_wait_alu 0xfffe
	v_add_co_u32 v1, vcc_lo, v1, s2
	s_wait_alu 0xfffd
	v_add_co_ci_u32_e64 v2, null, s3, v2, vcc_lo
	s_addk_co_i32 s13, 0x100
	s_wait_alu 0xfffe
	s_cmp_ge_i32 s13, s19
	s_cbranch_scc1 .LBB89_8
.LBB89_6:                               ; =>This Inner Loop Header: Depth=1
	v_add_nc_u32_e32 v4, s13, v0
	s_mov_b32 s14, exec_lo
	s_delay_alu instid0(VALU_DEP_1)
	v_cmpx_gt_i32_e64 s19, v4
	s_cbranch_execz .LBB89_5
; %bb.7:                                ;   in Loop: Header=BB89_6 Depth=1
	v_mov_b32_e32 v4, v3
	global_store_b64 v[1:2], v[3:4], off
	s_branch .LBB89_5
.LBB89_8:
	s_cbranch_execz .LBB89_11
	s_branch .LBB89_16
.LBB89_9:
	s_branch .LBB89_17
.LBB89_10:
.LBB89_11:
	s_and_not1_b32 vcc_lo, exec_lo, s12
	s_wait_alu 0xfffe
	s_cbranch_vccnz .LBB89_16
; %bb.12:
	v_mad_co_i64_i32 v[1:2], null, s16, v0, 0
	s_lshl_b64 s[2:3], s[10:11], 3
	s_lshl_b64 s[12:13], s[24:25], 3
	s_wait_alu 0xfffe
	s_add_nc_u64 s[2:3], s[8:9], s[2:3]
	s_ashr_i32 s17, s16, 31
	s_wait_alu 0xfffe
	s_add_nc_u64 s[2:3], s[2:3], s[12:13]
	s_mov_b32 s12, 0
	v_lshlrev_b64_e32 v[1:2], 3, v[1:2]
	s_wait_alu 0xfffe
	s_delay_alu instid0(VALU_DEP_1) | instskip(SKIP_1) | instid1(VALU_DEP_2)
	v_add_co_u32 v1, vcc_lo, s2, v1
	s_wait_alu 0xfffd
	v_add_co_ci_u32_e64 v2, null, s3, v2, vcc_lo
	s_lshl_b64 s[2:3], s[16:17], 11
	s_branch .LBB89_14
.LBB89_13:                              ;   in Loop: Header=BB89_14 Depth=1
	s_wait_alu 0xfffe
	s_or_b32 exec_lo, exec_lo, s13
	v_add_co_u32 v1, vcc_lo, v1, s2
	s_wait_alu 0xfffd
	v_add_co_ci_u32_e64 v2, null, s3, v2, vcc_lo
	s_addk_co_i32 s12, 0x100
	s_wait_alu 0xfffe
	s_cmp_ge_i32 s12, s19
	s_cbranch_scc1 .LBB89_16
.LBB89_14:                              ; =>This Inner Loop Header: Depth=1
	v_add_nc_u32_e32 v3, s12, v0
	s_mov_b32 s13, exec_lo
	s_delay_alu instid0(VALU_DEP_1)
	v_cmpx_gt_i32_e64 s19, v3
	s_cbranch_execz .LBB89_13
; %bb.15:                               ;   in Loop: Header=BB89_14 Depth=1
	global_load_b64 v[3:4], v[1:2], off
	s_wait_loadcnt 0x0
	v_mul_f64_e32 v[3:4], s[6:7], v[3:4]
	global_store_b64 v[1:2], v[3:4], off
	s_branch .LBB89_13
.LBB89_16:
	s_cbranch_execnz .LBB89_34
.LBB89_17:
	s_clause 0x1
	s_load_b128 s[12:15], s[0:1], 0x30
	s_load_b64 s[2:3], s[0:1], 0x40
	s_mov_b32 s17, exec_lo
	v_cmpx_gt_i32_e64 s18, v0
	s_cbranch_execz .LBB89_19
; %bb.18:
	s_load_b32 s26, s[0:1], 0x48
	s_mul_u64 s[4:5], s[4:5], s[20:21]
	s_wait_kmcnt 0x0
	s_lshl_b64 s[2:3], s[2:3], 3
	s_lshl_b64 s[4:5], s[4:5], 3
	v_lshlrev_b32_e32 v3, 3, v0
	s_add_nc_u64 s[4:5], s[14:15], s[4:5]
	s_wait_alu 0xfffe
	s_add_nc_u64 s[2:3], s[4:5], s[2:3]
	v_mad_co_i64_i32 v[1:2], null, s26, v0, 0
	s_delay_alu instid0(VALU_DEP_1) | instskip(SKIP_1) | instid1(VALU_DEP_1)
	v_lshlrev_b64_e32 v[1:2], 3, v[1:2]
	s_wait_alu 0xfffe
	v_add_co_u32 v1, vcc_lo, s2, v1
	s_wait_alu 0xfffd
	s_delay_alu instid0(VALU_DEP_2)
	v_add_co_ci_u32_e64 v2, null, s3, v2, vcc_lo
	global_load_b64 v[1:2], v[1:2], off
	s_wait_loadcnt 0x0
	v_mul_f64_e32 v[1:2], s[22:23], v[1:2]
	ds_store_b64 v3, v[1:2]
.LBB89_19:
	s_wait_alu 0xfffe
	s_or_b32 exec_lo, exec_lo, s17
	s_cmp_lt_i32 s19, 1
	s_wait_storecnt_dscnt 0x0
	s_barrier_signal -1
	s_barrier_wait -1
	global_inv scope:SCOPE_SE
	s_cbranch_scc1 .LBB89_34
; %bb.20:
	s_load_b32 s22, s[0:1], 0x28
	s_wait_kmcnt 0x0
	s_load_b128 s[0:3], s[0:1], 0x18
	s_lshl_b64 s[14:15], s[10:11], 3
	v_cmp_neq_f64_e64 s11, s[6:7], 0
	s_lshl_b64 s[4:5], s[24:25], 3
	s_ashr_i32 s10, s16, 31
	s_add_nc_u64 s[4:5], s[8:9], s[4:5]
	s_mul_u64 s[20:21], s[12:13], s[20:21]
	s_add_nc_u64 s[4:5], s[4:5], s[14:15]
	s_mov_b32 s15, 0
	s_ashr_i32 s23, s22, 31
	s_cmp_gt_i32 s18, 0
	v_mad_co_i64_i32 v[1:2], null, s22, v0, 0
	s_cselect_b32 s8, -1, 0
	s_and_b32 s9, s18, 7
	s_cmp_gt_u32 s18, 7
	s_cselect_b32 s12, -1, 0
	s_and_b32 s13, s18, 0x7ffffff8
	s_cmp_lg_u32 s9, 0
	v_lshlrev_b64_e32 v[1:2], 3, v[1:2]
	s_cselect_b32 s14, -1, 0
	s_wait_kmcnt 0x0
	s_lshl_b64 s[2:3], s[2:3], 3
	s_lshl_b64 s[20:21], s[20:21], 3
	s_wait_alu 0xfffe
	s_add_nc_u64 s[0:1], s[0:1], s[2:3]
	s_lshl_b64 s[2:3], s[22:23], 11
	s_add_nc_u64 s[0:1], s[0:1], s[20:21]
	s_delay_alu instid0(SALU_CYCLE_1)
	v_add_co_u32 v9, vcc_lo, s0, v1
	s_wait_alu 0xfffd
	v_add_co_ci_u32_e64 v10, null, s1, v2, vcc_lo
	s_mov_b32 s1, 0
	v_add_co_u32 v1, vcc_lo, v9, 56
	s_wait_alu 0xfffd
	v_add_co_ci_u32_e64 v2, null, 0, v10, vcc_lo
	s_branch .LBB89_23
.LBB89_21:                              ;   in Loop: Header=BB89_23 Depth=1
	v_add_co_u32 v3, vcc_lo, s4, v3
	s_wait_alu 0xfffd
	v_add_co_ci_u32_e64 v4, null, s5, v4, vcc_lo
	global_store_b64 v[3:4], v[5:6], off
.LBB89_22:                              ;   in Loop: Header=BB89_23 Depth=1
	s_wait_alu 0xfffe
	s_or_b32 exec_lo, exec_lo, s17
	v_add_co_u32 v1, vcc_lo, v1, s2
	s_wait_alu 0xfffd
	v_add_co_ci_u32_e64 v2, null, s3, v2, vcc_lo
	v_add_co_u32 v9, vcc_lo, v9, s2
	s_wait_alu 0xfffd
	v_add_co_ci_u32_e64 v10, null, s3, v10, vcc_lo
	s_addk_co_i32 s15, 0x100
	s_wait_alu 0xfffe
	s_cmp_ge_i32 s15, s19
	s_cbranch_scc1 .LBB89_34
.LBB89_23:                              ; =>This Loop Header: Depth=1
                                        ;     Child Loop BB89_29 Depth 2
                                        ;     Child Loop BB89_33 Depth 2
	v_add_nc_u32_e32 v3, s15, v0
	s_mov_b32 s17, exec_lo
	s_delay_alu instid0(VALU_DEP_1)
	v_cmpx_gt_i32_e64 s19, v3
	s_cbranch_execz .LBB89_22
; %bb.24:                               ;   in Loop: Header=BB89_23 Depth=1
	v_mad_co_u64_u32 v[4:5], null, v3, s16, 0
	s_and_not1_b32 vcc_lo, exec_lo, s11
	v_mad_co_u64_u32 v[5:6], null, v3, s10, v[5:6]
	s_delay_alu instid0(VALU_DEP_1)
	v_lshlrev_b64_e32 v[3:4], 3, v[4:5]
	s_wait_alu 0xfffe
	s_cbranch_vccnz .LBB89_26
; %bb.25:                               ;   in Loop: Header=BB89_23 Depth=1
	s_delay_alu instid0(VALU_DEP_1) | instskip(SKIP_1) | instid1(VALU_DEP_2)
	v_add_co_u32 v5, vcc_lo, s4, v3
	s_wait_alu 0xfffd
	v_add_co_ci_u32_e64 v6, null, s5, v4, vcc_lo
	global_load_b64 v[5:6], v[5:6], off
	s_wait_loadcnt 0x0
	v_mul_f64_e32 v[5:6], s[6:7], v[5:6]
	s_and_not1_b32 vcc_lo, exec_lo, s8
	s_wait_alu 0xfffe
	s_cbranch_vccz .LBB89_27
	s_branch .LBB89_21
.LBB89_26:                              ;   in Loop: Header=BB89_23 Depth=1
	v_mov_b32_e32 v5, 0
	v_mov_b32_e32 v6, 0
	s_and_not1_b32 vcc_lo, exec_lo, s8
	s_wait_alu 0xfffe
	s_cbranch_vccnz .LBB89_21
.LBB89_27:                              ;   in Loop: Header=BB89_23 Depth=1
	s_and_not1_b32 vcc_lo, exec_lo, s12
	s_mov_b32 s0, 0
	s_wait_alu 0xfffe
	s_cbranch_vccnz .LBB89_31
; %bb.28:                               ;   in Loop: Header=BB89_23 Depth=1
	v_dual_mov_b32 v8, v2 :: v_dual_mov_b32 v7, v1
	s_mov_b32 s18, 0
.LBB89_29:                              ;   Parent Loop BB89_23 Depth=1
                                        ; =>  This Inner Loop Header: Depth=2
	s_clause 0x3
	global_load_b128 v[11:14], v[7:8], off offset:-56
	global_load_b128 v[15:18], v[7:8], off offset:-40
	;; [unrolled: 1-line block ×4, first 2 shown]
	v_mov_b32_e32 v35, s0
	v_add_co_u32 v7, vcc_lo, v7, 64
	s_wait_alu 0xfffd
	v_add_co_ci_u32_e64 v8, null, 0, v8, vcc_lo
	ds_load_b128 v[27:30], v35
	ds_load_b128 v[31:34], v35 offset:16
	s_wait_alu 0xfffe
	s_add_co_i32 s18, s18, 8
	s_add_co_i32 s0, s0, 64
	s_wait_alu 0xfffe
	s_cmp_eq_u32 s13, s18
	s_wait_loadcnt_dscnt 0x301
	v_fma_f64 v[5:6], v[27:28], v[11:12], v[5:6]
	s_delay_alu instid0(VALU_DEP_1) | instskip(SKIP_1) | instid1(VALU_DEP_1)
	v_fma_f64 v[5:6], v[29:30], v[13:14], v[5:6]
	s_wait_loadcnt_dscnt 0x200
	v_fma_f64 v[5:6], v[31:32], v[15:16], v[5:6]
	s_delay_alu instid0(VALU_DEP_1) | instskip(SKIP_4) | instid1(VALU_DEP_1)
	v_fma_f64 v[5:6], v[33:34], v[17:18], v[5:6]
	ds_load_b128 v[11:14], v35 offset:32
	ds_load_b128 v[15:18], v35 offset:48
	s_wait_loadcnt_dscnt 0x101
	v_fma_f64 v[5:6], v[11:12], v[19:20], v[5:6]
	v_fma_f64 v[5:6], v[13:14], v[21:22], v[5:6]
	s_wait_loadcnt_dscnt 0x0
	s_delay_alu instid0(VALU_DEP_1) | instskip(NEXT) | instid1(VALU_DEP_1)
	v_fma_f64 v[5:6], v[15:16], v[23:24], v[5:6]
	v_fma_f64 v[5:6], v[17:18], v[25:26], v[5:6]
	s_cbranch_scc0 .LBB89_29
; %bb.30:                               ;   in Loop: Header=BB89_23 Depth=1
	s_mov_b32 s0, s13
.LBB89_31:                              ;   in Loop: Header=BB89_23 Depth=1
	s_and_not1_b32 vcc_lo, exec_lo, s14
	s_wait_alu 0xfffe
	s_cbranch_vccnz .LBB89_21
; %bb.32:                               ;   in Loop: Header=BB89_23 Depth=1
	s_lshl_b64 s[20:21], s[0:1], 3
	s_lshl_b32 s0, s0, 3
	s_wait_alu 0xfffe
	v_add_co_u32 v7, vcc_lo, v9, s20
	s_wait_alu 0xfffd
	v_add_co_ci_u32_e64 v8, null, s21, v10, vcc_lo
	s_mov_b32 s18, s9
.LBB89_33:                              ;   Parent Loop BB89_23 Depth=1
                                        ; =>  This Inner Loop Header: Depth=2
	global_load_b64 v[11:12], v[7:8], off
	s_wait_alu 0xfffe
	v_mov_b32_e32 v13, s0
	v_add_co_u32 v7, vcc_lo, v7, 8
	s_wait_alu 0xfffd
	v_add_co_ci_u32_e64 v8, null, 0, v8, vcc_lo
	ds_load_b64 v[13:14], v13
	s_add_co_i32 s18, s18, -1
	s_add_co_i32 s0, s0, 8
	s_wait_alu 0xfffe
	s_cmp_lg_u32 s18, 0
	s_wait_loadcnt_dscnt 0x0
	v_fma_f64 v[5:6], v[13:14], v[11:12], v[5:6]
	s_cbranch_scc1 .LBB89_33
	s_branch .LBB89_21
.LBB89_34:
	s_endpgm
	.section	.rodata,"a",@progbits
	.p2align	6, 0x0
	.amdhsa_kernel _ZL22rocblas_gemvtsm_kernelILb1ELi256EdddEviiT2_lPKT1_lilS3_lilS0_lPT3_lil
		.amdhsa_group_segment_fixed_size 512
		.amdhsa_private_segment_fixed_size 0
		.amdhsa_kernarg_size 136
		.amdhsa_user_sgpr_count 2
		.amdhsa_user_sgpr_dispatch_ptr 0
		.amdhsa_user_sgpr_queue_ptr 0
		.amdhsa_user_sgpr_kernarg_segment_ptr 1
		.amdhsa_user_sgpr_dispatch_id 0
		.amdhsa_user_sgpr_private_segment_size 0
		.amdhsa_wavefront_size32 1
		.amdhsa_uses_dynamic_stack 0
		.amdhsa_enable_private_segment 0
		.amdhsa_system_sgpr_workgroup_id_x 1
		.amdhsa_system_sgpr_workgroup_id_y 0
		.amdhsa_system_sgpr_workgroup_id_z 0
		.amdhsa_system_sgpr_workgroup_info 0
		.amdhsa_system_vgpr_workitem_id 0
		.amdhsa_next_free_vgpr 36
		.amdhsa_next_free_sgpr 27
		.amdhsa_reserve_vcc 1
		.amdhsa_float_round_mode_32 0
		.amdhsa_float_round_mode_16_64 0
		.amdhsa_float_denorm_mode_32 3
		.amdhsa_float_denorm_mode_16_64 3
		.amdhsa_fp16_overflow 0
		.amdhsa_workgroup_processor_mode 1
		.amdhsa_memory_ordered 1
		.amdhsa_forward_progress 1
		.amdhsa_inst_pref_size 13
		.amdhsa_round_robin_scheduling 0
		.amdhsa_exception_fp_ieee_invalid_op 0
		.amdhsa_exception_fp_denorm_src 0
		.amdhsa_exception_fp_ieee_div_zero 0
		.amdhsa_exception_fp_ieee_overflow 0
		.amdhsa_exception_fp_ieee_underflow 0
		.amdhsa_exception_fp_ieee_inexact 0
		.amdhsa_exception_int_div_zero 0
	.end_amdhsa_kernel
	.section	.text._ZL22rocblas_gemvtsm_kernelILb1ELi256EdddEviiT2_lPKT1_lilS3_lilS0_lPT3_lil,"axG",@progbits,_ZL22rocblas_gemvtsm_kernelILb1ELi256EdddEviiT2_lPKT1_lilS3_lilS0_lPT3_lil,comdat
.Lfunc_end89:
	.size	_ZL22rocblas_gemvtsm_kernelILb1ELi256EdddEviiT2_lPKT1_lilS3_lilS0_lPT3_lil, .Lfunc_end89-_ZL22rocblas_gemvtsm_kernelILb1ELi256EdddEviiT2_lPKT1_lilS3_lilS0_lPT3_lil
                                        ; -- End function
	.set _ZL22rocblas_gemvtsm_kernelILb1ELi256EdddEviiT2_lPKT1_lilS3_lilS0_lPT3_lil.num_vgpr, 36
	.set _ZL22rocblas_gemvtsm_kernelILb1ELi256EdddEviiT2_lPKT1_lilS3_lilS0_lPT3_lil.num_agpr, 0
	.set _ZL22rocblas_gemvtsm_kernelILb1ELi256EdddEviiT2_lPKT1_lilS3_lilS0_lPT3_lil.numbered_sgpr, 27
	.set _ZL22rocblas_gemvtsm_kernelILb1ELi256EdddEviiT2_lPKT1_lilS3_lilS0_lPT3_lil.num_named_barrier, 0
	.set _ZL22rocblas_gemvtsm_kernelILb1ELi256EdddEviiT2_lPKT1_lilS3_lilS0_lPT3_lil.private_seg_size, 0
	.set _ZL22rocblas_gemvtsm_kernelILb1ELi256EdddEviiT2_lPKT1_lilS3_lilS0_lPT3_lil.uses_vcc, 1
	.set _ZL22rocblas_gemvtsm_kernelILb1ELi256EdddEviiT2_lPKT1_lilS3_lilS0_lPT3_lil.uses_flat_scratch, 0
	.set _ZL22rocblas_gemvtsm_kernelILb1ELi256EdddEviiT2_lPKT1_lilS3_lilS0_lPT3_lil.has_dyn_sized_stack, 0
	.set _ZL22rocblas_gemvtsm_kernelILb1ELi256EdddEviiT2_lPKT1_lilS3_lilS0_lPT3_lil.has_recursion, 0
	.set _ZL22rocblas_gemvtsm_kernelILb1ELi256EdddEviiT2_lPKT1_lilS3_lilS0_lPT3_lil.has_indirect_call, 0
	.section	.AMDGPU.csdata,"",@progbits
; Kernel info:
; codeLenInByte = 1552
; TotalNumSgprs: 29
; NumVgprs: 36
; ScratchSize: 0
; MemoryBound: 0
; FloatMode: 240
; IeeeMode: 1
; LDSByteSize: 512 bytes/workgroup (compile time only)
; SGPRBlocks: 0
; VGPRBlocks: 4
; NumSGPRsForWavesPerEU: 29
; NumVGPRsForWavesPerEU: 36
; Occupancy: 16
; WaveLimiterHint : 1
; COMPUTE_PGM_RSRC2:SCRATCH_EN: 0
; COMPUTE_PGM_RSRC2:USER_SGPR: 2
; COMPUTE_PGM_RSRC2:TRAP_HANDLER: 0
; COMPUTE_PGM_RSRC2:TGID_X_EN: 1
; COMPUTE_PGM_RSRC2:TGID_Y_EN: 0
; COMPUTE_PGM_RSRC2:TGID_Z_EN: 0
; COMPUTE_PGM_RSRC2:TIDIG_COMP_CNT: 0
	.section	.text._ZL23rocblas_gemvt_sn_kernelILb1ELi256ELi4EidPKddEviiT4_lPKT3_lilS5_lilPT5_i,"axG",@progbits,_ZL23rocblas_gemvt_sn_kernelILb1ELi256ELi4EidPKddEviiT4_lPKT3_lilS5_lilPT5_i,comdat
	.globl	_ZL23rocblas_gemvt_sn_kernelILb1ELi256ELi4EidPKddEviiT4_lPKT3_lilS5_lilPT5_i ; -- Begin function _ZL23rocblas_gemvt_sn_kernelILb1ELi256ELi4EidPKddEviiT4_lPKT3_lilS5_lilPT5_i
	.p2align	8
	.type	_ZL23rocblas_gemvt_sn_kernelILb1ELi256ELi4EidPKddEviiT4_lPKT3_lilS5_lilPT5_i,@function
_ZL23rocblas_gemvt_sn_kernelILb1ELi256ELi4EidPKddEviiT4_lPKT3_lilS5_lilPT5_i: ; @_ZL23rocblas_gemvt_sn_kernelILb1ELi256ELi4EidPKddEviiT4_lPKT3_lilS5_lilPT5_i
; %bb.0:
	s_load_b32 s11, s[0:1], 0x60
	s_lshr_b32 s28, ttmp7, 16
	s_wait_kmcnt 0x0
	s_cmp_ge_u32 s28, s11
	s_cbranch_scc1 .LBB90_61
; %bb.1:
	s_clause 0x6
	s_load_b96 s[8:10], s[0:1], 0x40
	s_load_b256 s[12:19], s[0:1], 0x8
	s_load_b64 s[34:35], s[0:1], 0x0
	s_load_b128 s[20:23], s[0:1], 0x30
	s_load_b32 s36, s[0:1], 0x68
	s_load_b32 s38, s[0:1], 0x28
	s_load_b128 s[24:27], s[0:1], 0x50
	v_cmp_eq_u32_e64 s0, 0, v0
	v_mbcnt_lo_u32_b32 v47, -1, 0
	s_mov_b32 s41, 0
	s_mov_b32 s30, ttmp9
	s_mov_b32 s37, s41
	s_mov_b32 s31, s41
	v_lshl_or_b32 v48, v47, 2, 64
	s_mov_b32 s39, s41
	s_mov_b32 s49, s41
	s_wait_kmcnt 0x0
	s_lshl_b64 s[2:3], s[8:9], 3
	s_lshl_b64 s[4:5], s[18:19], 3
	s_ashr_i32 s7, s35, 31
	s_cmp_gt_i32 s35, 0
	s_add_nc_u64 s[18:19], s[22:23], s[2:3]
	s_add_nc_u64 s[2:3], s[16:17], s[4:5]
	s_cselect_b32 s1, -1, 0
	s_lshl_b32 s4, ttmp9, 10
	s_lshr_b32 s5, s7, 30
	v_lshl_or_b32 v1, v0, 2, s4
	s_ashr_i32 s4, s34, 31
	s_and_b32 s33, s0, s1
	s_wait_alu 0xfffe
	s_lshr_b32 s4, s4, 30
	s_add_co_i32 s1, s35, s5
	v_ashrrev_i32_e32 v2, 31, v1
	s_wait_alu 0xfffe
	s_add_co_i32 s4, s34, s4
	s_and_b32 s72, s1, -4
	s_wait_alu 0xfffe
	s_and_b32 s1, s4, -4
	v_mul_lo_u32 v24, s10, v1
	v_lshlrev_b64_e32 v[2:3], 3, v[1:2]
	s_sub_co_i32 s73, s34, s1
	v_add_nc_u32_e32 v4, 4, v1
	v_add_nc_u32_e32 v1, s73, v1
	v_cmp_gt_u32_e64 s5, 8, v0
	s_cmp_gt_i32 s72, 0
	v_add_co_u32 v43, vcc_lo, s2, v2
	s_delay_alu instid0(VALU_DEP_1)
	v_add_co_ci_u32_e64 v44, null, s3, v3, vcc_lo
	v_cmp_ge_i32_e64 s1, s34, v4
	v_and_b32_e32 v2, 31, v0
	v_cmp_gt_u32_e64 s3, 32, v0
	v_lshrrev_b32_e32 v4, 2, v0
	v_mov_b32_e32 v0, 0
	v_cmp_ge_i32_e64 s2, s34, v1
	v_add_nc_u32_e32 v1, s10, v24
	v_cmp_eq_u32_e64 s4, 0, v2
	v_lshlrev_b32_e32 v45, 3, v2
	v_and_b32_e32 v46, 56, v4
	v_ashrrev_i32_e32 v25, 31, v24
	v_add_nc_u32_e32 v3, s10, v1
	v_ashrrev_i32_e32 v2, 31, v1
	s_cselect_b32 s74, -1, 0
	s_cmp_gt_i32 s73, 0
	s_mov_b32 s6, s35
	v_add_nc_u32_e32 v5, s10, v3
	v_ashrrev_i32_e32 v4, 31, v3
	s_cselect_b32 s34, -1, 0
	s_lshl_b32 s40, s38, 1
	v_lshlrev_b64_e32 v[25:26], 3, v[24:25]
	v_ashrrev_i32_e32 v6, 31, v5
	v_lshlrev_b64_e32 v[27:28], 3, v[1:2]
	v_lshlrev_b64_e32 v[29:30], 3, v[3:4]
	s_mul_u64 s[16:17], s[6:7], s[36:37]
	s_lshl_b64 s[22:23], s[30:31], 3
	v_lshlrev_b64_e32 v[31:32], 3, v[5:6]
	s_mov_b64 s[50:51], s[40:41]
	s_mul_i32 s40, s38, 3
	s_add_nc_u64 s[42:43], s[26:27], s[22:23]
	s_lshl_b64 s[44:45], s[16:17], 3
	s_lshl_b64 s[46:47], s[36:37], 3
	s_lshl_b32 s48, s38, 2
	s_mov_b64 s[52:53], s[40:41]
	s_lshl_b64 s[54:55], s[20:21], 3
	s_branch .LBB90_3
.LBB90_2:                               ;   in Loop: Header=BB90_3 Depth=1
	s_add_co_i32 s28, s28, 0x10000
	s_delay_alu instid0(SALU_CYCLE_1)
	s_cmp_lt_u32 s28, s11
	s_cbranch_scc0 .LBB90_61
.LBB90_3:                               ; =>This Loop Header: Depth=1
                                        ;     Child Loop BB90_6 Depth 2
                                        ;     Child Loop BB90_12 Depth 2
                                        ;       Child Loop BB90_18 Depth 3
                                        ;       Child Loop BB90_21 Depth 3
	;; [unrolled: 1-line block ×3, first 2 shown]
                                        ;     Child Loop BB90_40 Depth 2
                                        ;       Child Loop BB90_53 Depth 3
                                        ;       Child Loop BB90_56 Depth 3
	s_mov_b32 s29, s41
	s_delay_alu instid0(SALU_CYCLE_1)
	s_mul_u64 s[6:7], s[14:15], s[28:29]
	s_wait_alu 0xfffe
	s_lshl_b64 s[6:7], s[6:7], 3
	s_wait_alu 0xfffe
	s_add_nc_u64 s[6:7], s[12:13], s[6:7]
	global_load_b64 v[33:34], v0, s[6:7]
	s_mov_b32 s6, -1
	s_wait_loadcnt 0x0
	v_cmp_neq_f64_e32 vcc_lo, 0, v[33:34]
	s_cbranch_vccnz .LBB90_8
; %bb.4:                                ;   in Loop: Header=BB90_3 Depth=1
	s_and_saveexec_b32 s8, s33
	s_cbranch_execz .LBB90_7
; %bb.5:                                ;   in Loop: Header=BB90_3 Depth=1
	s_mul_u64 s[6:7], s[44:45], s[28:29]
	s_mov_b32 s9, s35
	s_wait_alu 0xfffe
	s_add_nc_u64 s[6:7], s[42:43], s[6:7]
.LBB90_6:                               ;   Parent Loop BB90_3 Depth=1
                                        ; =>  This Inner Loop Header: Depth=2
	v_mov_b32_e32 v1, v0
	s_add_co_i32 s9, s9, -1
	s_wait_alu 0xfffe
	s_cmp_eq_u32 s9, 0
	global_store_b64 v0, v[0:1], s[6:7]
	s_add_nc_u64 s[6:7], s[6:7], s[46:47]
	s_cbranch_scc0 .LBB90_6
.LBB90_7:                               ;   in Loop: Header=BB90_3 Depth=1
	s_wait_alu 0xfffe
	s_or_b32 exec_lo, exec_lo, s8
	s_mov_b32 s6, 0
.LBB90_8:                               ;   in Loop: Header=BB90_3 Depth=1
	s_wait_alu 0xfffe
	s_and_not1_b32 vcc_lo, exec_lo, s6
	s_wait_alu 0xfffe
	s_cbranch_vccnz .LBB90_2
; %bb.9:                                ;   in Loop: Header=BB90_3 Depth=1
	s_mul_u64 s[6:7], s[24:25], s[28:29]
	s_mul_u64 s[8:9], s[20:21], s[28:29]
	s_wait_alu 0xfffe
	s_lshl_b64 s[6:7], s[6:7], 3
	s_mul_u64 s[60:61], s[16:17], s[28:29]
	s_wait_alu 0xfffe
	s_add_nc_u64 s[56:57], s[18:19], s[6:7]
	s_lshl_b64 s[6:7], s[8:9], 3
	v_cmp_gt_u32_e64 s9, 24, v47
	s_wait_alu 0xfffe
	v_add_co_u32 v49, vcc_lo, v43, s6
	s_wait_alu 0xfffd
	v_add_co_ci_u32_e64 v50, null, s7, v44, vcc_lo
	v_cmp_gt_u32_e64 s8, 28, v47
	v_cmp_gt_u32_e64 s7, 30, v47
	v_cmp_ne_u32_e64 s6, 31, v47
	s_lshl_b64 s[60:61], s[60:61], 3
	s_mul_u64 s[58:59], s[54:55], s[28:29]
	s_and_not1_b32 vcc_lo, exec_lo, s74
	s_add_nc_u64 s[60:61], s[26:27], s[60:61]
	s_wait_alu 0xfffe
	s_cbranch_vccnz .LBB90_36
; %bb.10:                               ;   in Loop: Header=BB90_3 Depth=1
	s_wait_alu 0xf1ff
	v_cndmask_b32_e64 v1, 0, 8, s9
	v_cndmask_b32_e64 v2, 0, 4, s8
	;; [unrolled: 1-line block ×3, first 2 shown]
	v_add_co_ci_u32_e64 v4, null, 0, v47, s6
	v_add_co_u32 v35, vcc_lo, s56, v25
	s_wait_alu 0xfffd
	v_add_co_ci_u32_e64 v36, null, s57, v26, vcc_lo
	v_add_co_u32 v37, vcc_lo, s56, v27
	s_wait_alu 0xfffd
	v_add_co_ci_u32_e64 v38, null, s57, v28, vcc_lo
	v_add_co_u32 v39, vcc_lo, s56, v29
	v_dual_mov_b32 v6, v0 :: v_dual_mov_b32 v7, v0
	v_add_lshl_u32 v51, v1, v47, 2
	v_add_lshl_u32 v52, v2, v47, 2
	;; [unrolled: 1-line block ×3, first 2 shown]
	v_dual_mov_b32 v1, v0 :: v_dual_lshlrev_b32 v54, 2, v4
	v_dual_mov_b32 v2, v0 :: v_dual_mov_b32 v3, v0
	v_dual_mov_b32 v4, v0 :: v_dual_mov_b32 v5, v0
	s_wait_alu 0xfffd
	v_add_co_ci_u32_e64 v40, null, s57, v30, vcc_lo
	v_add_co_u32 v41, vcc_lo, s56, v31
	s_wait_alu 0xfffd
	v_add_co_ci_u32_e64 v42, null, s57, v32, vcc_lo
	v_add_co_u32 v55, vcc_lo, v43, s58
	v_dual_mov_b32 v15, v7 :: v_dual_mov_b32 v14, v6
	s_wait_alu 0xfffd
	v_add_co_ci_u32_e64 v56, null, s59, v44, vcc_lo
	v_dual_mov_b32 v13, v5 :: v_dual_mov_b32 v12, v4
	v_dual_mov_b32 v11, v3 :: v_dual_mov_b32 v10, v2
	;; [unrolled: 1-line block ×3, first 2 shown]
	s_mov_b32 s62, 0
	s_mov_b64 s[64:65], s[52:53]
	s_mov_b64 s[66:67], s[50:51]
	;; [unrolled: 1-line block ×3, first 2 shown]
	s_mov_b32 s9, 0
	s_branch .LBB90_12
.LBB90_11:                              ;   in Loop: Header=BB90_12 Depth=2
	s_wait_alu 0xfffe
	s_or_b32 exec_lo, exec_lo, s6
	s_add_co_i32 s9, s9, 4
	s_add_co_i32 s62, s62, s48
	s_add_nc_u64 s[68:69], s[68:69], s[48:49]
	s_add_nc_u64 s[66:67], s[66:67], s[48:49]
	s_wait_alu 0xfffe
	s_cmp_ge_i32 s9, s72
	s_add_nc_u64 s[64:65], s[64:65], s[48:49]
	s_cbranch_scc1 .LBB90_37
.LBB90_12:                              ;   Parent Loop BB90_3 Depth=1
                                        ; =>  This Loop Header: Depth=2
                                        ;       Child Loop BB90_18 Depth 3
                                        ;       Child Loop BB90_21 Depth 3
	;; [unrolled: 1-line block ×3, first 2 shown]
                                        ; implicit-def: $vgpr16_vgpr17_vgpr18_vgpr19_vgpr20_vgpr21_vgpr22_vgpr23
	s_and_saveexec_b32 s6, s1
	s_wait_alu 0xfffe
	s_xor_b32 s6, exec_lo, s6
	s_cbranch_execz .LBB90_14
; %bb.13:                               ;   in Loop: Header=BB90_12 Depth=2
	s_mul_i32 s70, s9, s38
	s_wait_alu 0xfffe
	s_ashr_i32 s71, s70, 31
	s_add_co_i32 s76, s70, s38
	s_wait_alu 0xfffe
	s_lshl_b64 s[70:71], s[70:71], 3
	s_ashr_i32 s77, s76, 31
	s_wait_alu 0xfffe
	v_add_co_u32 v5, vcc_lo, v49, s70
	s_wait_alu 0xfffd
	v_add_co_ci_u32_e64 v6, null, s71, v50, vcc_lo
	s_lshl_b64 s[70:71], s[76:77], 3
	s_add_co_i32 s76, s76, s38
	s_wait_alu 0xfffe
	v_add_co_u32 v14, vcc_lo, v49, s70
	s_ashr_i32 s77, s76, 31
	s_add_co_i32 s70, s76, s38
	s_wait_alu 0xfffd
	v_add_co_ci_u32_e64 v15, null, s71, v50, vcc_lo
	s_wait_alu 0xfffe
	s_lshl_b64 s[76:77], s[76:77], 3
	s_ashr_i32 s71, s70, 31
	s_wait_alu 0xfffe
	v_add_co_u32 v69, vcc_lo, v49, s76
	s_lshl_b64 s[70:71], s[70:71], 3
	s_wait_alu 0xfffd
	v_add_co_ci_u32_e64 v70, null, s77, v50, vcc_lo
	s_wait_alu 0xfffe
	v_add_co_u32 v73, vcc_lo, v49, s70
	s_wait_alu 0xfffd
	v_add_co_ci_u32_e64 v74, null, s71, v50, vcc_lo
	global_load_b64 v[8:9], v[35:36], off
	global_load_b128 v[1:4], v[5:6], off
	s_wait_dscnt 0x0
	s_clause 0x2
	global_load_b128 v[16:19], v[14:15], off
	global_load_b128 v[20:23], v[69:70], off
	;; [unrolled: 1-line block ×3, first 2 shown]
	global_load_b64 v[10:11], v[37:38], off
	global_load_b128 v[61:64], v[5:6], off offset:16
	global_load_b64 v[12:13], v[39:40], off
	s_clause 0x2
	global_load_b128 v[65:68], v[14:15], off offset:16
	global_load_b128 v[69:72], v[69:70], off offset:16
	global_load_b128 v[73:76], v[73:74], off offset:16
	global_load_b64 v[14:15], v[41:42], off
	s_wait_loadcnt 0xa
	v_fma_f64 v[1:2], v[8:9], v[1:2], 0
	s_wait_loadcnt 0x9
	v_fma_f64 v[5:6], v[8:9], v[16:17], 0
	;; [unrolled: 2-line block ×4, first 2 shown]
	s_wait_loadcnt 0x6
	s_delay_alu instid0(VALU_DEP_4) | instskip(NEXT) | instid1(VALU_DEP_4)
	v_fma_f64 v[1:2], v[10:11], v[3:4], v[1:2]
	v_fma_f64 v[3:4], v[10:11], v[18:19], v[5:6]
	s_delay_alu instid0(VALU_DEP_4) | instskip(NEXT) | instid1(VALU_DEP_4)
	v_fma_f64 v[5:6], v[10:11], v[22:23], v[16:17]
	v_fma_f64 v[16:17], v[10:11], v[59:60], v[20:21]
	s_wait_loadcnt 0x4
	s_delay_alu instid0(VALU_DEP_4) | instskip(SKIP_1) | instid1(VALU_DEP_4)
	v_fma_f64 v[1:2], v[12:13], v[61:62], v[1:2]
	s_wait_loadcnt 0x3
	v_fma_f64 v[3:4], v[12:13], v[65:66], v[3:4]
	s_wait_loadcnt 0x2
	s_delay_alu instid0(VALU_DEP_4) | instskip(SKIP_1) | instid1(VALU_DEP_4)
	v_fma_f64 v[5:6], v[12:13], v[69:70], v[5:6]
	s_wait_loadcnt 0x1
	v_fma_f64 v[22:23], v[12:13], v[73:74], v[16:17]
	s_wait_loadcnt 0x0
	s_delay_alu instid0(VALU_DEP_4) | instskip(NEXT) | instid1(VALU_DEP_4)
	v_fma_f64 v[16:17], v[14:15], v[63:64], v[1:2]
	v_fma_f64 v[18:19], v[14:15], v[67:68], v[3:4]
	s_delay_alu instid0(VALU_DEP_4) | instskip(NEXT) | instid1(VALU_DEP_4)
	v_fma_f64 v[20:21], v[14:15], v[71:72], v[5:6]
	v_fma_f64 v[22:23], v[14:15], v[75:76], v[22:23]
.LBB90_14:                              ;   in Loop: Header=BB90_12 Depth=2
	s_wait_alu 0xfffe
	s_and_not1_saveexec_b32 s29, s6
	s_cbranch_execz .LBB90_24
; %bb.15:                               ;   in Loop: Header=BB90_12 Depth=2
	v_mov_b32_e32 v7, v0
	v_dual_mov_b32 v1, v0 :: v_dual_mov_b32 v2, v0
	v_dual_mov_b32 v3, v0 :: v_dual_mov_b32 v4, v0
	;; [unrolled: 1-line block ×3, first 2 shown]
	s_wait_dscnt 0x0
	v_mov_b32_e32 v23, v7
	s_delay_alu instid0(VALU_DEP_3) | instskip(NEXT) | instid1(VALU_DEP_3)
	v_dual_mov_b32 v19, v3 :: v_dual_mov_b32 v18, v2
	v_dual_mov_b32 v21, v5 :: v_dual_mov_b32 v20, v4
	;; [unrolled: 1-line block ×3, first 2 shown]
	v_mov_b32_e32 v16, v0
	s_and_saveexec_b32 s31, s2
	s_cbranch_execz .LBB90_23
; %bb.16:                               ;   in Loop: Header=BB90_12 Depth=2
	s_and_not1_b32 vcc_lo, exec_lo, s34
	s_wait_alu 0xfffe
	s_cbranch_vccnz .LBB90_19
; %bb.17:                               ;   in Loop: Header=BB90_12 Depth=2
	v_mov_b32_e32 v1, v24
	s_mov_b64 s[70:71], 0
.LBB90_18:                              ;   Parent Loop BB90_3 Depth=1
                                        ;     Parent Loop BB90_12 Depth=2
                                        ; =>    This Inner Loop Header: Depth=3
	s_delay_alu instid0(VALU_DEP_1) | instskip(SKIP_2) | instid1(VALU_DEP_1)
	v_ashrrev_i32_e32 v2, 31, v1
	s_wait_alu 0xfffe
	s_cmp_eq_u32 s70, 3
	v_lshlrev_b64_e32 v[2:3], 3, v[1:2]
	s_delay_alu instid0(VALU_DEP_1) | instskip(SKIP_1) | instid1(VALU_DEP_2)
	v_add_co_u32 v2, vcc_lo, s56, v2
	s_wait_alu 0xfffd
	v_add_co_ci_u32_e64 v3, null, s57, v3, vcc_lo
	s_cselect_b32 vcc_lo, -1, 0
	s_cmp_eq_u32 s70, 2
	s_cselect_b32 s6, -1, 0
	global_load_b64 v[2:3], v[2:3], off
	s_cmp_eq_u32 s70, 1
	v_add_nc_u32_e32 v1, s10, v1
	s_cselect_b32 s7, -1, 0
	s_cmp_eq_u32 s70, 0
	s_add_nc_u64 s[70:71], s[70:71], 1
	s_cselect_b32 s8, -1, 0
	s_wait_alu 0xfffe
	s_cmp_eq_u32 s73, s70
	s_wait_loadcnt 0x0
	v_dual_cndmask_b32 v15, v15, v3 :: v_dual_cndmask_b32 v14, v14, v2
	v_cndmask_b32_e64 v13, v13, v3, s6
	v_cndmask_b32_e64 v12, v12, v2, s6
	;; [unrolled: 1-line block ×6, first 2 shown]
	s_cbranch_scc0 .LBB90_18
.LBB90_19:                              ;   in Loop: Header=BB90_12 Depth=2
	s_and_not1_b32 vcc_lo, exec_lo, s34
	s_wait_alu 0xfffe
	s_cbranch_vccnz .LBB90_22
; %bb.20:                               ;   in Loop: Header=BB90_12 Depth=2
	s_ashr_i32 s63, s62, 31
	v_mov_b32_e32 v16, 0
	s_lshl_b64 s[6:7], s[62:63], 3
	v_mov_b32_e32 v20, 0
	s_wait_alu 0xfffe
	v_add_co_u32 v1, vcc_lo, v55, s6
	v_dual_mov_b32 v17, 0 :: v_dual_mov_b32 v18, 0
	v_dual_mov_b32 v21, 0 :: v_dual_mov_b32 v22, 0
	v_mov_b32_e32 v19, 0
	v_mov_b32_e32 v23, 0
	s_wait_alu 0xfffd
	v_add_co_ci_u32_e64 v2, null, s7, v56, vcc_lo
	s_mov_b64 s[70:71], 0
.LBB90_21:                              ;   Parent Loop BB90_3 Depth=1
                                        ;     Parent Loop BB90_12 Depth=2
                                        ; =>    This Inner Loop Header: Depth=3
	s_wait_alu 0xfffe
	s_cmp_eq_u32 s70, 1
	s_cselect_b32 vcc_lo, -1, 0
	s_cmp_eq_u32 s70, 2
	s_wait_alu 0xfffe
	v_cndmask_b32_e32 v3, v9, v11, vcc_lo
	s_cselect_b32 s6, -1, 0
	s_cmp_eq_u32 s70, 3
	v_cndmask_b32_e32 v61, v8, v10, vcc_lo
	s_cselect_b32 s7, -1, 0
	s_add_co_i32 s76, s68, s70
	s_add_co_i32 s78, s66, s70
	s_wait_alu 0xfffe
	s_ashr_i32 s77, s76, 31
	s_add_co_i32 s80, s64, s70
	s_ashr_i32 s79, s78, 31
	s_wait_alu 0xfffe
	s_lshl_b64 s[76:77], s[76:77], 3
	v_cndmask_b32_e64 v7, v3, v13, s6
	s_ashr_i32 s81, s80, 31
	s_lshl_b64 s[78:79], s[78:79], 3
	s_wait_alu 0xfffe
	v_add_co_u32 v3, s8, v49, s76
	s_lshl_b64 s[80:81], s[80:81], 3
	v_add_co_ci_u32_e64 v4, null, s77, v50, s8
	v_add_co_u32 v5, s8, v49, s78
	s_wait_alu 0xf1ff
	v_add_co_ci_u32_e64 v6, null, s79, v50, s8
	s_wait_alu 0xfffe
	v_add_co_u32 v57, s8, v49, s80
	s_wait_alu 0xf1ff
	v_add_co_ci_u32_e64 v58, null, s81, v50, s8
	global_load_b64 v[59:60], v[1:2], off
	s_clause 0x2
	global_load_b64 v[3:4], v[3:4], off
	global_load_b64 v[5:6], v[5:6], off
	;; [unrolled: 1-line block ×3, first 2 shown]
	v_cndmask_b32_e64 v61, v61, v12, s6
	v_cndmask_b32_e64 v62, v7, v15, s7
	v_add_co_u32 v1, vcc_lo, v1, 8
	s_wait_alu 0xfffd
	v_add_co_ci_u32_e64 v2, null, 0, v2, vcc_lo
	v_cndmask_b32_e64 v61, v61, v14, s7
	s_add_nc_u64 s[70:71], s[70:71], 1
	s_wait_alu 0xfffe
	s_cmp_lg_u32 s73, s70
	s_wait_loadcnt 0x3
	v_fma_f64 v[16:17], v[61:62], v[59:60], v[16:17]
	s_wait_loadcnt 0x2
	v_fma_f64 v[18:19], v[61:62], v[3:4], v[18:19]
	;; [unrolled: 2-line block ×4, first 2 shown]
	s_cbranch_scc1 .LBB90_21
	s_branch .LBB90_23
.LBB90_22:                              ;   in Loop: Header=BB90_12 Depth=2
	v_mov_b32_e32 v7, v0
	v_dual_mov_b32 v1, v0 :: v_dual_mov_b32 v2, v0
	v_dual_mov_b32 v3, v0 :: v_dual_mov_b32 v4, v0
	;; [unrolled: 1-line block ×3, first 2 shown]
	s_delay_alu instid0(VALU_DEP_4) | instskip(NEXT) | instid1(VALU_DEP_3)
	v_mov_b32_e32 v23, v7
	v_dual_mov_b32 v19, v3 :: v_dual_mov_b32 v18, v2
	s_delay_alu instid0(VALU_DEP_3) | instskip(NEXT) | instid1(VALU_DEP_4)
	v_dual_mov_b32 v21, v5 :: v_dual_mov_b32 v20, v4
	v_dual_mov_b32 v22, v6 :: v_dual_mov_b32 v17, v1
	v_mov_b32_e32 v16, v0
.LBB90_23:                              ;   in Loop: Header=BB90_12 Depth=2
	s_or_b32 exec_lo, exec_lo, s31
.LBB90_24:                              ;   in Loop: Header=BB90_12 Depth=2
	s_delay_alu instid0(SALU_CYCLE_1)
	s_or_b32 exec_lo, exec_lo, s29
	s_mov_b64 s[6:7], 0
	s_branch .LBB90_26
.LBB90_25:                              ;   in Loop: Header=BB90_26 Depth=3
	s_wait_alu 0xfffe
	s_or_b32 exec_lo, exec_lo, s8
	s_cmp_eq_u32 s6, 3
	s_cselect_b32 vcc_lo, -1, 0
	s_cmp_eq_u32 s6, 2
	s_wait_dscnt 0x0
	s_wait_alu 0xfffe
	s_delay_alu instid0(VALU_DEP_1)
	v_dual_cndmask_b32 v23, v23, v2 :: v_dual_cndmask_b32 v22, v22, v1
	s_cselect_b32 vcc_lo, -1, 0
	s_cmp_eq_u32 s6, 1
	s_wait_alu 0xfffe
	v_dual_cndmask_b32 v21, v21, v2 :: v_dual_cndmask_b32 v20, v20, v1
	s_cselect_b32 vcc_lo, -1, 0
	s_cmp_eq_u32 s6, 0
	s_wait_alu 0xfffe
	v_dual_cndmask_b32 v19, v19, v2 :: v_dual_cndmask_b32 v18, v18, v1
	s_cselect_b32 vcc_lo, -1, 0
	s_add_nc_u64 s[6:7], s[6:7], 1
	s_wait_alu 0xfffe
	v_dual_cndmask_b32 v17, v17, v2 :: v_dual_cndmask_b32 v16, v16, v1
	s_cmp_eq_u32 s6, 4
	s_cbranch_scc1 .LBB90_34
.LBB90_26:                              ;   Parent Loop BB90_3 Depth=1
                                        ;     Parent Loop BB90_12 Depth=2
                                        ; =>    This Inner Loop Header: Depth=3
	s_and_saveexec_b32 s8, s3
; %bb.27:                               ;   in Loop: Header=BB90_26 Depth=3
	v_mov_b32_e32 v1, v0
	ds_store_b64 v45, v[0:1]
; %bb.28:                               ;   in Loop: Header=BB90_26 Depth=3
	s_wait_alu 0xfffe
	s_or_b32 exec_lo, exec_lo, s8
	s_cmp_eq_u32 s6, 1
	s_wait_storecnt_dscnt 0x0
	s_cselect_b32 vcc_lo, -1, 0
	s_cmp_eq_u32 s6, 2
	s_wait_alu 0xfffe
	v_dual_cndmask_b32 v1, v17, v19 :: v_dual_cndmask_b32 v2, v16, v18
	s_cselect_b32 vcc_lo, -1, 0
	s_cmp_eq_u32 s6, 3
	s_barrier_signal -1
	s_wait_alu 0xfffe
	v_cndmask_b32_e32 v1, v1, v21, vcc_lo
	v_cndmask_b32_e32 v3, v2, v20, vcc_lo
	s_cselect_b32 vcc_lo, -1, 0
	s_barrier_wait -1
	global_inv scope:SCOPE_SE
	s_wait_alu 0xfffe
	v_dual_cndmask_b32 v2, v1, v23 :: v_dual_cndmask_b32 v1, v3, v22
	ds_bpermute_b32 v4, v48, v2
	ds_bpermute_b32 v3, v48, v1
	s_wait_dscnt 0x0
	v_add_f64_e32 v[1:2], v[1:2], v[3:4]
	ds_bpermute_b32 v3, v51, v1
	ds_bpermute_b32 v4, v51, v2
	s_wait_dscnt 0x0
	v_add_f64_e32 v[1:2], v[1:2], v[3:4]
	;; [unrolled: 4-line block ×4, first 2 shown]
	ds_bpermute_b32 v3, v54, v1
	ds_bpermute_b32 v4, v54, v2
	s_and_saveexec_b32 s8, s4
	s_cbranch_execz .LBB90_30
; %bb.29:                               ;   in Loop: Header=BB90_26 Depth=3
	s_wait_dscnt 0x0
	v_add_f64_e32 v[1:2], v[1:2], v[3:4]
	ds_store_b64 v46, v[1:2]
.LBB90_30:                              ;   in Loop: Header=BB90_26 Depth=3
	s_wait_alu 0xfffe
	s_or_b32 exec_lo, exec_lo, s8
	v_mov_b32_e32 v1, 0
	v_mov_b32_e32 v2, 0
	s_wait_loadcnt_dscnt 0x0
	s_barrier_signal -1
	s_barrier_wait -1
	global_inv scope:SCOPE_SE
	s_and_saveexec_b32 s8, s5
; %bb.31:                               ;   in Loop: Header=BB90_26 Depth=3
	ds_load_b64 v[1:2], v45
; %bb.32:                               ;   in Loop: Header=BB90_26 Depth=3
	s_wait_alu 0xfffe
	s_or_b32 exec_lo, exec_lo, s8
	s_and_saveexec_b32 s8, s3
	s_cbranch_execz .LBB90_25
; %bb.33:                               ;   in Loop: Header=BB90_26 Depth=3
	s_wait_dscnt 0x0
	ds_bpermute_b32 v3, v52, v1
	ds_bpermute_b32 v4, v52, v2
	s_wait_dscnt 0x0
	v_add_f64_e32 v[1:2], v[1:2], v[3:4]
	ds_bpermute_b32 v3, v53, v1
	ds_bpermute_b32 v4, v53, v2
	s_wait_dscnt 0x0
	v_add_f64_e32 v[1:2], v[1:2], v[3:4]
	;; [unrolled: 4-line block ×3, first 2 shown]
	s_branch .LBB90_25
.LBB90_34:                              ;   in Loop: Header=BB90_12 Depth=2
	s_and_saveexec_b32 s6, s0
	s_cbranch_execz .LBB90_11
; %bb.35:                               ;   in Loop: Header=BB90_12 Depth=2
	v_mul_f64_e32 v[1:2], v[33:34], v[16:17]
	v_mul_f64_e32 v[3:4], v[33:34], v[18:19]
	;; [unrolled: 1-line block ×4, first 2 shown]
	s_mul_i32 s7, s9, s36
	s_wait_alu 0xfffe
	s_add_co_i32 s40, s7, s30
	s_wait_alu 0xfffe
	s_lshl_b64 s[70:71], s[40:41], 3
	s_add_co_i32 s40, s40, s36
	s_wait_alu 0xfffe
	s_add_nc_u64 s[70:71], s[60:61], s[70:71]
	s_lshl_b64 s[76:77], s[40:41], 3
	s_add_co_i32 s40, s40, s36
	s_wait_alu 0xfffe
	s_add_nc_u64 s[76:77], s[60:61], s[76:77]
	;; [unrolled: 4-line block ×3, first 2 shown]
	s_lshl_b64 s[80:81], s[40:41], 3
	s_wait_alu 0xfffe
	s_add_nc_u64 s[80:81], s[60:61], s[80:81]
	s_clause 0x3
	global_store_b64 v0, v[1:2], s[70:71]
	global_store_b64 v0, v[3:4], s[76:77]
	;; [unrolled: 1-line block ×4, first 2 shown]
	s_branch .LBB90_11
.LBB90_36:                              ;   in Loop: Header=BB90_3 Depth=1
	v_mov_b32_e32 v7, v0
	v_dual_mov_b32 v1, v0 :: v_dual_mov_b32 v2, v0
	v_dual_mov_b32 v3, v0 :: v_dual_mov_b32 v4, v0
	;; [unrolled: 1-line block ×3, first 2 shown]
	s_delay_alu instid0(VALU_DEP_4) | instskip(NEXT) | instid1(VALU_DEP_3)
	v_mov_b32_e32 v15, v7
	v_dual_mov_b32 v11, v3 :: v_dual_mov_b32 v10, v2
	s_delay_alu instid0(VALU_DEP_3) | instskip(NEXT) | instid1(VALU_DEP_4)
	v_dual_mov_b32 v13, v5 :: v_dual_mov_b32 v12, v4
	v_dual_mov_b32 v14, v6 :: v_dual_mov_b32 v9, v1
	v_mov_b32_e32 v8, v0
	s_mov_b32 s9, 0
.LBB90_37:                              ;   in Loop: Header=BB90_3 Depth=1
	s_wait_alu 0xfffe
	s_cmp_ge_i32 s9, s35
	s_cbranch_scc1 .LBB90_2
; %bb.38:                               ;   in Loop: Header=BB90_3 Depth=1
	v_cmp_gt_u32_e32 vcc_lo, 24, v47
	s_mov_b32 s40, s9
	s_wait_alu 0xfffd
	v_cndmask_b32_e64 v1, 0, 8, vcc_lo
	v_cmp_gt_u32_e32 vcc_lo, 28, v47
	s_delay_alu instid0(VALU_DEP_2) | instskip(SKIP_3) | instid1(VALU_DEP_2)
	v_add_lshl_u32 v22, v1, v47, 2
	s_wait_alu 0xfffd
	v_cndmask_b32_e64 v2, 0, 4, vcc_lo
	v_cmp_gt_u32_e32 vcc_lo, 30, v47
	v_add_lshl_u32 v23, v2, v47, 2
	s_wait_alu 0xfffd
	v_cndmask_b32_e64 v3, 0, 2, vcc_lo
	v_cmp_ne_u32_e32 vcc_lo, 31, v47
	s_delay_alu instid0(VALU_DEP_2)
	v_add_lshl_u32 v35, v3, v47, 2
	s_wait_alu 0xfffd
	v_add_co_ci_u32_e64 v4, null, 0, v47, vcc_lo
	v_add_co_u32 v2, vcc_lo, s56, v25
	s_wait_alu 0xfffd
	v_add_co_ci_u32_e64 v3, null, s57, v26, vcc_lo
	s_delay_alu instid0(VALU_DEP_3)
	v_lshlrev_b32_e32 v36, 2, v4
	v_add_co_u32 v4, vcc_lo, s56, v27
	s_wait_alu 0xfffd
	v_add_co_ci_u32_e64 v5, null, s57, v28, vcc_lo
	v_add_co_u32 v6, vcc_lo, s56, v29
	s_wait_alu 0xfffd
	v_add_co_ci_u32_e64 v7, null, s57, v30, vcc_lo
	;; [unrolled: 3-line block ×4, first 2 shown]
	s_add_nc_u64 s[58:59], s[60:61], s[22:23]
	s_mul_i32 s60, s38, s9
	s_branch .LBB90_40
.LBB90_39:                              ;   in Loop: Header=BB90_40 Depth=2
	s_wait_alu 0xfffe
	s_or_b32 exec_lo, exec_lo, s6
	s_add_co_i32 s40, s40, 1
	s_add_co_i32 s60, s60, s38
	s_wait_alu 0xfffe
	s_cmp_ge_i32 s40, s35
	s_cbranch_scc1 .LBB90_2
.LBB90_40:                              ;   Parent Loop BB90_3 Depth=1
                                        ; =>  This Loop Header: Depth=2
                                        ;       Child Loop BB90_53 Depth 3
                                        ;       Child Loop BB90_56 Depth 3
	s_wait_dscnt 0x0
	v_dual_mov_b32 v18, s41 :: v_dual_mov_b32 v19, s41
	s_and_saveexec_b32 s6, s1
	s_wait_alu 0xfffe
	s_xor_b32 s6, exec_lo, s6
	s_cbranch_execnz .LBB90_49
; %bb.41:                               ;   in Loop: Header=BB90_40 Depth=2
	s_wait_alu 0xfffe
	s_and_not1_saveexec_b32 s9, s6
	s_cbranch_execnz .LBB90_50
.LBB90_42:                              ;   in Loop: Header=BB90_40 Depth=2
	s_wait_alu 0xfffe
	s_or_b32 exec_lo, exec_lo, s9
	s_and_saveexec_b32 s6, s3
.LBB90_43:                              ;   in Loop: Header=BB90_40 Depth=2
	v_mov_b32_e32 v1, v0
	ds_store_b64 v45, v[0:1]
.LBB90_44:                              ;   in Loop: Header=BB90_40 Depth=2
	s_wait_alu 0xfffe
	s_or_b32 exec_lo, exec_lo, s6
	ds_bpermute_b32 v20, v48, v18
	ds_bpermute_b32 v21, v48, v19
	s_wait_storecnt 0x0
	s_wait_loadcnt_dscnt 0x0
	s_barrier_signal -1
	s_barrier_wait -1
	global_inv scope:SCOPE_SE
	v_add_f64_e32 v[18:19], v[18:19], v[20:21]
	ds_bpermute_b32 v20, v22, v18
	ds_bpermute_b32 v21, v22, v19
	s_wait_dscnt 0x0
	v_add_f64_e32 v[18:19], v[18:19], v[20:21]
	ds_bpermute_b32 v20, v23, v18
	ds_bpermute_b32 v21, v23, v19
	s_wait_dscnt 0x0
	;; [unrolled: 4-line block ×3, first 2 shown]
	v_add_f64_e32 v[18:19], v[18:19], v[20:21]
	ds_bpermute_b32 v20, v36, v18
	ds_bpermute_b32 v21, v36, v19
	s_and_saveexec_b32 s6, s4
	s_cbranch_execz .LBB90_46
; %bb.45:                               ;   in Loop: Header=BB90_40 Depth=2
	s_wait_dscnt 0x0
	v_add_f64_e32 v[18:19], v[18:19], v[20:21]
	ds_store_b64 v46, v[18:19]
.LBB90_46:                              ;   in Loop: Header=BB90_40 Depth=2
	s_wait_alu 0xfffe
	s_or_b32 exec_lo, exec_lo, s6
	v_mov_b32_e32 v18, 0
	v_mov_b32_e32 v19, 0
	s_wait_loadcnt_dscnt 0x0
	s_barrier_signal -1
	s_barrier_wait -1
	global_inv scope:SCOPE_SE
	s_and_saveexec_b32 s6, s5
	s_cbranch_execnz .LBB90_58
; %bb.47:                               ;   in Loop: Header=BB90_40 Depth=2
	s_wait_alu 0xfffe
	s_or_b32 exec_lo, exec_lo, s6
	s_and_saveexec_b32 s6, s3
	s_cbranch_execnz .LBB90_59
.LBB90_48:                              ;   in Loop: Header=BB90_40 Depth=2
	s_wait_alu 0xfffe
	s_or_b32 exec_lo, exec_lo, s6
	s_and_saveexec_b32 s6, s0
	s_cbranch_execz .LBB90_39
	s_branch .LBB90_60
.LBB90_49:                              ;   in Loop: Header=BB90_40 Depth=2
	s_mul_i32 s8, s40, s38
	s_wait_alu 0xfffe
	s_ashr_i32 s9, s8, 31
	s_wait_alu 0xfffe
	s_lshl_b64 s[8:9], s[8:9], 3
	s_wait_alu 0xfffe
	v_add_co_u32 v12, vcc_lo, v49, s8
	s_wait_alu 0xfffd
	v_add_co_ci_u32_e64 v13, null, s9, v50, vcc_lo
	global_load_b128 v[18:21], v[12:13], off
	s_clause 0x1
	global_load_b64 v[8:9], v[2:3], off
	global_load_b64 v[10:11], v[4:5], off
	global_load_b128 v[39:42], v[12:13], off offset:16
	s_clause 0x1
	global_load_b64 v[12:13], v[6:7], off
	global_load_b64 v[14:15], v[16:17], off
	s_wait_loadcnt 0x4
	v_fma_f64 v[18:19], v[8:9], v[18:19], 0
	s_wait_loadcnt 0x3
	s_delay_alu instid0(VALU_DEP_1) | instskip(SKIP_1) | instid1(VALU_DEP_1)
	v_fma_f64 v[18:19], v[10:11], v[20:21], v[18:19]
	s_wait_loadcnt 0x1
	v_fma_f64 v[18:19], v[12:13], v[39:40], v[18:19]
	s_wait_loadcnt 0x0
	s_delay_alu instid0(VALU_DEP_1)
	v_fma_f64 v[18:19], v[14:15], v[41:42], v[18:19]
	s_and_not1_saveexec_b32 s9, s6
	s_cbranch_execz .LBB90_42
.LBB90_50:                              ;   in Loop: Header=BB90_40 Depth=2
	s_and_saveexec_b32 s29, s2
	s_cbranch_execz .LBB90_57
; %bb.51:                               ;   in Loop: Header=BB90_40 Depth=2
	s_and_not1_b32 vcc_lo, exec_lo, s34
	s_wait_alu 0xfffe
	s_cbranch_vccnz .LBB90_54
; %bb.52:                               ;   in Loop: Header=BB90_40 Depth=2
	v_mov_b32_e32 v20, v24
	s_mov_b64 s[62:63], 0
.LBB90_53:                              ;   Parent Loop BB90_3 Depth=1
                                        ;     Parent Loop BB90_40 Depth=2
                                        ; =>    This Inner Loop Header: Depth=3
	s_delay_alu instid0(VALU_DEP_1) | instskip(SKIP_1) | instid1(VALU_DEP_1)
	v_ashrrev_i32_e32 v21, 31, v20
	s_cmp_eq_u32 s62, 3
	v_lshlrev_b64_e32 v[39:40], 3, v[20:21]
	v_add_nc_u32_e32 v20, s10, v20
	s_delay_alu instid0(VALU_DEP_2) | instskip(SKIP_1) | instid1(VALU_DEP_3)
	v_add_co_u32 v39, vcc_lo, s56, v39
	s_wait_alu 0xfffd
	v_add_co_ci_u32_e64 v40, null, s57, v40, vcc_lo
	s_cselect_b32 vcc_lo, -1, 0
	s_cmp_eq_u32 s62, 2
	s_cselect_b32 s6, -1, 0
	global_load_b64 v[39:40], v[39:40], off
	s_cmp_eq_u32 s62, 1
	s_cselect_b32 s7, -1, 0
	s_cmp_eq_u32 s62, 0
	s_add_nc_u64 s[62:63], s[62:63], 1
	s_cselect_b32 s8, -1, 0
	s_cmp_eq_u32 s73, s62
	s_wait_loadcnt 0x0
	s_wait_alu 0xfffe
	v_dual_cndmask_b32 v15, v15, v40 :: v_dual_cndmask_b32 v14, v14, v39
	v_cndmask_b32_e64 v13, v13, v40, s6
	v_cndmask_b32_e64 v12, v12, v39, s6
	;; [unrolled: 1-line block ×6, first 2 shown]
	s_cbranch_scc0 .LBB90_53
.LBB90_54:                              ;   in Loop: Header=BB90_40 Depth=2
	s_and_not1_b32 vcc_lo, exec_lo, s34
	s_wait_alu 0xfffe
	s_cbranch_vccnz .LBB90_57
; %bb.55:                               ;   in Loop: Header=BB90_40 Depth=2
	s_ashr_i32 s61, s60, 31
	s_delay_alu instid0(SALU_CYCLE_1)
	s_lshl_b64 s[6:7], s[60:61], 3
	s_wait_alu 0xfffe
	v_add_co_u32 v20, vcc_lo, v37, s6
	s_wait_alu 0xfffd
	v_add_co_ci_u32_e64 v21, null, s7, v38, vcc_lo
	s_mov_b64 s[6:7], 0
.LBB90_56:                              ;   Parent Loop BB90_3 Depth=1
                                        ;     Parent Loop BB90_40 Depth=2
                                        ; =>    This Inner Loop Header: Depth=3
	global_load_b64 v[39:40], v[20:21], off
	s_wait_alu 0xfffe
	s_cmp_eq_u32 s6, 1
	s_cselect_b32 vcc_lo, -1, 0
	s_cmp_eq_u32 s6, 2
	s_wait_alu 0xfffe
	v_cndmask_b32_e32 v1, v9, v11, vcc_lo
	v_cndmask_b32_e32 v41, v8, v10, vcc_lo
	s_cselect_b32 vcc_lo, -1, 0
	s_cmp_eq_u32 s6, 3
	s_add_nc_u64 s[6:7], s[6:7], 1
	s_wait_alu 0xfffe
	v_cndmask_b32_e32 v1, v1, v13, vcc_lo
	v_cndmask_b32_e32 v41, v41, v12, vcc_lo
	s_cselect_b32 vcc_lo, -1, 0
	s_cmp_lg_u32 s73, s6
	s_wait_alu 0xfffe
	v_cndmask_b32_e32 v42, v1, v15, vcc_lo
	v_cndmask_b32_e32 v41, v41, v14, vcc_lo
	v_add_co_u32 v20, vcc_lo, v20, 8
	s_wait_alu 0xfffd
	v_add_co_ci_u32_e64 v21, null, 0, v21, vcc_lo
	s_wait_loadcnt 0x0
	v_fma_f64 v[18:19], v[41:42], v[39:40], v[18:19]
	s_cbranch_scc1 .LBB90_56
.LBB90_57:                              ;   in Loop: Header=BB90_40 Depth=2
	s_or_b32 exec_lo, exec_lo, s29
	s_wait_alu 0xfffe
	s_or_b32 exec_lo, exec_lo, s9
	s_and_saveexec_b32 s6, s3
	s_cbranch_execnz .LBB90_43
	s_branch .LBB90_44
.LBB90_58:                              ;   in Loop: Header=BB90_40 Depth=2
	ds_load_b64 v[18:19], v45
	s_wait_alu 0xfffe
	s_or_b32 exec_lo, exec_lo, s6
	s_and_saveexec_b32 s6, s3
	s_cbranch_execz .LBB90_48
.LBB90_59:                              ;   in Loop: Header=BB90_40 Depth=2
	s_wait_dscnt 0x0
	ds_bpermute_b32 v20, v23, v18
	ds_bpermute_b32 v21, v23, v19
	s_wait_dscnt 0x0
	v_add_f64_e32 v[18:19], v[18:19], v[20:21]
	ds_bpermute_b32 v20, v35, v18
	ds_bpermute_b32 v21, v35, v19
	s_wait_dscnt 0x0
	v_add_f64_e32 v[18:19], v[18:19], v[20:21]
	ds_bpermute_b32 v20, v36, v18
	ds_bpermute_b32 v21, v36, v19
	s_wait_dscnt 0x0
	v_add_f64_e32 v[18:19], v[18:19], v[20:21]
	s_wait_alu 0xfffe
	s_or_b32 exec_lo, exec_lo, s6
	s_and_saveexec_b32 s6, s0
	s_cbranch_execz .LBB90_39
.LBB90_60:                              ;   in Loop: Header=BB90_40 Depth=2
	s_wait_dscnt 0x0
	s_delay_alu instid0(VALU_DEP_1)
	v_mul_f64_e32 v[18:19], v[33:34], v[18:19]
	s_mul_u64 s[8:9], s[40:41], s[36:37]
	s_wait_alu 0xfffe
	s_lshl_b64 s[8:9], s[8:9], 3
	s_wait_alu 0xfffe
	s_add_nc_u64 s[8:9], s[58:59], s[8:9]
	global_store_b64 v0, v[18:19], s[8:9]
	s_branch .LBB90_39
.LBB90_61:
	s_endpgm
	.section	.rodata,"a",@progbits
	.p2align	6, 0x0
	.amdhsa_kernel _ZL23rocblas_gemvt_sn_kernelILb1ELi256ELi4EidPKddEviiT4_lPKT3_lilS5_lilPT5_i
		.amdhsa_group_segment_fixed_size 256
		.amdhsa_private_segment_fixed_size 0
		.amdhsa_kernarg_size 360
		.amdhsa_user_sgpr_count 2
		.amdhsa_user_sgpr_dispatch_ptr 0
		.amdhsa_user_sgpr_queue_ptr 0
		.amdhsa_user_sgpr_kernarg_segment_ptr 1
		.amdhsa_user_sgpr_dispatch_id 0
		.amdhsa_user_sgpr_private_segment_size 0
		.amdhsa_wavefront_size32 1
		.amdhsa_uses_dynamic_stack 0
		.amdhsa_enable_private_segment 0
		.amdhsa_system_sgpr_workgroup_id_x 1
		.amdhsa_system_sgpr_workgroup_id_y 0
		.amdhsa_system_sgpr_workgroup_id_z 1
		.amdhsa_system_sgpr_workgroup_info 0
		.amdhsa_system_vgpr_workitem_id 0
		.amdhsa_next_free_vgpr 77
		.amdhsa_next_free_sgpr 82
		.amdhsa_reserve_vcc 1
		.amdhsa_float_round_mode_32 0
		.amdhsa_float_round_mode_16_64 0
		.amdhsa_float_denorm_mode_32 3
		.amdhsa_float_denorm_mode_16_64 3
		.amdhsa_fp16_overflow 0
		.amdhsa_workgroup_processor_mode 1
		.amdhsa_memory_ordered 1
		.amdhsa_forward_progress 1
		.amdhsa_inst_pref_size 34
		.amdhsa_round_robin_scheduling 0
		.amdhsa_exception_fp_ieee_invalid_op 0
		.amdhsa_exception_fp_denorm_src 0
		.amdhsa_exception_fp_ieee_div_zero 0
		.amdhsa_exception_fp_ieee_overflow 0
		.amdhsa_exception_fp_ieee_underflow 0
		.amdhsa_exception_fp_ieee_inexact 0
		.amdhsa_exception_int_div_zero 0
	.end_amdhsa_kernel
	.section	.text._ZL23rocblas_gemvt_sn_kernelILb1ELi256ELi4EidPKddEviiT4_lPKT3_lilS5_lilPT5_i,"axG",@progbits,_ZL23rocblas_gemvt_sn_kernelILb1ELi256ELi4EidPKddEviiT4_lPKT3_lilS5_lilPT5_i,comdat
.Lfunc_end90:
	.size	_ZL23rocblas_gemvt_sn_kernelILb1ELi256ELi4EidPKddEviiT4_lPKT3_lilS5_lilPT5_i, .Lfunc_end90-_ZL23rocblas_gemvt_sn_kernelILb1ELi256ELi4EidPKddEviiT4_lPKT3_lilS5_lilPT5_i
                                        ; -- End function
	.set _ZL23rocblas_gemvt_sn_kernelILb1ELi256ELi4EidPKddEviiT4_lPKT3_lilS5_lilPT5_i.num_vgpr, 77
	.set _ZL23rocblas_gemvt_sn_kernelILb1ELi256ELi4EidPKddEviiT4_lPKT3_lilS5_lilPT5_i.num_agpr, 0
	.set _ZL23rocblas_gemvt_sn_kernelILb1ELi256ELi4EidPKddEviiT4_lPKT3_lilS5_lilPT5_i.numbered_sgpr, 82
	.set _ZL23rocblas_gemvt_sn_kernelILb1ELi256ELi4EidPKddEviiT4_lPKT3_lilS5_lilPT5_i.num_named_barrier, 0
	.set _ZL23rocblas_gemvt_sn_kernelILb1ELi256ELi4EidPKddEviiT4_lPKT3_lilS5_lilPT5_i.private_seg_size, 0
	.set _ZL23rocblas_gemvt_sn_kernelILb1ELi256ELi4EidPKddEviiT4_lPKT3_lilS5_lilPT5_i.uses_vcc, 1
	.set _ZL23rocblas_gemvt_sn_kernelILb1ELi256ELi4EidPKddEviiT4_lPKT3_lilS5_lilPT5_i.uses_flat_scratch, 0
	.set _ZL23rocblas_gemvt_sn_kernelILb1ELi256ELi4EidPKddEviiT4_lPKT3_lilS5_lilPT5_i.has_dyn_sized_stack, 0
	.set _ZL23rocblas_gemvt_sn_kernelILb1ELi256ELi4EidPKddEviiT4_lPKT3_lilS5_lilPT5_i.has_recursion, 0
	.set _ZL23rocblas_gemvt_sn_kernelILb1ELi256ELi4EidPKddEviiT4_lPKT3_lilS5_lilPT5_i.has_indirect_call, 0
	.section	.AMDGPU.csdata,"",@progbits
; Kernel info:
; codeLenInByte = 4328
; TotalNumSgprs: 84
; NumVgprs: 77
; ScratchSize: 0
; MemoryBound: 1
; FloatMode: 240
; IeeeMode: 1
; LDSByteSize: 256 bytes/workgroup (compile time only)
; SGPRBlocks: 0
; VGPRBlocks: 9
; NumSGPRsForWavesPerEU: 84
; NumVGPRsForWavesPerEU: 77
; Occupancy: 16
; WaveLimiterHint : 0
; COMPUTE_PGM_RSRC2:SCRATCH_EN: 0
; COMPUTE_PGM_RSRC2:USER_SGPR: 2
; COMPUTE_PGM_RSRC2:TRAP_HANDLER: 0
; COMPUTE_PGM_RSRC2:TGID_X_EN: 1
; COMPUTE_PGM_RSRC2:TGID_Y_EN: 0
; COMPUTE_PGM_RSRC2:TGID_Z_EN: 1
; COMPUTE_PGM_RSRC2:TIDIG_COMP_CNT: 0
	.section	.text._ZL23rocblas_gemvt_sn_kernelILb1ELi256ELi4EldPKddEviiT4_lPKT3_lilS5_lilPT5_i,"axG",@progbits,_ZL23rocblas_gemvt_sn_kernelILb1ELi256ELi4EldPKddEviiT4_lPKT3_lilS5_lilPT5_i,comdat
	.globl	_ZL23rocblas_gemvt_sn_kernelILb1ELi256ELi4EldPKddEviiT4_lPKT3_lilS5_lilPT5_i ; -- Begin function _ZL23rocblas_gemvt_sn_kernelILb1ELi256ELi4EldPKddEviiT4_lPKT3_lilS5_lilPT5_i
	.p2align	8
	.type	_ZL23rocblas_gemvt_sn_kernelILb1ELi256ELi4EldPKddEviiT4_lPKT3_lilS5_lilPT5_i,@function
_ZL23rocblas_gemvt_sn_kernelILb1ELi256ELi4EldPKddEviiT4_lPKT3_lilS5_lilPT5_i: ; @_ZL23rocblas_gemvt_sn_kernelILb1ELi256ELi4EldPKddEviiT4_lPKT3_lilS5_lilPT5_i
; %bb.0:
	s_load_b32 s33, s[0:1], 0x60
	s_lshr_b32 s10, ttmp7, 16
	s_wait_kmcnt 0x0
	s_cmp_ge_u32 s10, s33
	s_cbranch_scc1 .LBB91_61
; %bb.1:
	s_clause 0x6
	s_load_b32 s30, s[0:1], 0x28
	s_load_b96 s[4:6], s[0:1], 0x40
	s_load_b256 s[12:19], s[0:1], 0x8
	s_load_b64 s[34:35], s[0:1], 0x0
	s_load_b128 s[20:23], s[0:1], 0x30
	s_load_b32 s36, s[0:1], 0x68
	s_load_b128 s[24:27], s[0:1], 0x50
	v_cmp_eq_u32_e64 s0, 0, v0
	v_mbcnt_lo_u32_b32 v52, -1, 0
	s_mov_b32 s29, 0
	s_mov_b32 s28, ttmp9
	s_mov_b32 s37, s29
	s_delay_alu instid0(VALU_DEP_1)
	v_lshl_or_b32 v53, v52, 2, 64
	s_wait_kmcnt 0x0
	s_ashr_i32 s31, s30, 31
	s_ashr_i32 s9, s6, 31
	s_lshl_b64 s[2:3], s[4:5], 3
	s_lshl_b64 s[4:5], s[18:19], 3
	s_ashr_i32 s39, s35, 31
	s_cmp_gt_i32 s35, 0
	s_add_nc_u64 s[18:19], s[22:23], s[2:3]
	s_cselect_b32 s1, -1, 0
	s_lshl_b32 s7, ttmp9, 10
	s_add_nc_u64 s[2:3], s[16:17], s[4:5]
	v_lshl_or_b32 v1, v0, 2, s7
	s_lshr_b32 s4, s39, 30
	s_ashr_i32 s5, s34, 31
	s_and_b32 s66, s0, s1
	s_add_co_i32 s1, s35, s4
	v_ashrrev_i32_e32 v2, 31, v1
	s_lshr_b32 s4, s5, 30
	s_and_b32 s67, s1, -4
	s_add_co_i32 s1, s34, s4
	v_add_nc_u32_e32 v4, 4, v1
	v_lshlrev_b64_e32 v[2:3], 3, v[1:2]
	s_and_b32 s1, s1, -4
	v_cmp_gt_u32_e64 s5, 8, v0
	s_sub_co_i32 s68, s34, s1
	v_cmp_ge_i32_e64 s1, s34, v4
	v_or_b32_e32 v6, 2, v1
	v_add_co_u32 v48, vcc_lo, s2, v2
	v_add_nc_u32_e32 v2, s68, v1
	v_add_co_ci_u32_e64 v49, null, s3, v3, vcc_lo
	v_and_b32_e32 v3, 31, v0
	v_cmp_gt_u32_e64 s3, 32, v0
	s_delay_alu instid0(VALU_DEP_4)
	v_cmp_ge_i32_e64 s2, s34, v2
	v_lshrrev_b32_e32 v2, 2, v0
	v_or_b32_e32 v0, 1, v1
	v_cmp_eq_u32_e64 s4, 0, v3
	v_lshlrev_b32_e32 v50, 3, v3
	v_mad_co_i64_i32 v[6:7], null, s6, v6, 0
	v_and_b32_e32 v51, 56, v2
	v_mad_co_i64_i32 v[2:3], null, s6, v1, 0
	v_mad_co_i64_i32 v[4:5], null, s6, v0, 0
	v_or_b32_e32 v0, 3, v1
	s_cmp_gt_i32 s67, 0
	s_mov_b32 s38, s35
	s_cselect_b32 s69, -1, 0
	s_delay_alu instid0(VALU_DEP_3)
	v_lshlrev_b64_e32 v[24:25], 3, v[2:3]
	v_mad_co_i64_i32 v[1:2], null, s6, v0, 0
	s_cmp_gt_i32 s68, 0
	v_lshlrev_b64_e32 v[28:29], 3, v[4:5]
	v_lshlrev_b64_e32 v[30:31], 3, v[6:7]
	v_add_co_u32 v26, vcc_lo, s18, v24
	s_wait_alu 0xfffd
	v_add_co_ci_u32_e64 v27, null, s19, v25, vcc_lo
	v_lshlrev_b64_e32 v[32:33], 3, v[1:2]
	v_mov_b32_e32 v0, 0
	s_mov_b32 s8, s6
	s_mul_u64 s[16:17], s[38:39], s[36:37]
	s_cselect_b32 s34, -1, 0
	s_lshl_b64 s[22:23], s[28:29], 3
	s_lshl_b64 s[40:41], s[16:17], 3
	s_add_nc_u64 s[38:39], s[26:27], s[22:23]
	s_lshl_b64 s[42:43], s[36:37], 3
	s_lshl_b64 s[44:45], s[24:25], 3
	;; [unrolled: 1-line block ×4, first 2 shown]
	s_mul_u64 s[50:51], s[30:31], 24
	s_lshl_b64 s[52:53], s[30:31], 5
	s_lshl_b64 s[54:55], s[30:31], 3
	;; [unrolled: 1-line block ×3, first 2 shown]
	s_branch .LBB91_3
.LBB91_2:                               ;   in Loop: Header=BB91_3 Depth=1
	s_add_co_i32 s10, s10, 0x10000
	s_wait_alu 0xfffe
	s_cmp_lt_u32 s10, s33
	s_cbranch_scc0 .LBB91_61
.LBB91_3:                               ; =>This Loop Header: Depth=1
                                        ;     Child Loop BB91_6 Depth 2
                                        ;     Child Loop BB91_12 Depth 2
                                        ;       Child Loop BB91_18 Depth 3
                                        ;       Child Loop BB91_21 Depth 3
	;; [unrolled: 1-line block ×3, first 2 shown]
                                        ;     Child Loop BB91_40 Depth 2
                                        ;       Child Loop BB91_53 Depth 3
                                        ;       Child Loop BB91_56 Depth 3
	s_mov_b32 s11, s29
	s_wait_alu 0xfffe
	s_mul_u64 s[6:7], s[14:15], s[10:11]
	s_wait_alu 0xfffe
	s_lshl_b64 s[6:7], s[6:7], 3
	s_wait_alu 0xfffe
	s_add_nc_u64 s[6:7], s[12:13], s[6:7]
	global_load_b64 v[34:35], v0, s[6:7]
	s_mov_b32 s6, -1
	s_wait_loadcnt 0x0
	v_cmp_neq_f64_e32 vcc_lo, 0, v[34:35]
	s_cbranch_vccnz .LBB91_8
; %bb.4:                                ;   in Loop: Header=BB91_3 Depth=1
	s_and_saveexec_b32 s8, s66
	s_cbranch_execz .LBB91_7
; %bb.5:                                ;   in Loop: Header=BB91_3 Depth=1
	s_mul_u64 s[6:7], s[40:41], s[10:11]
	s_mov_b32 s9, s35
	s_wait_alu 0xfffe
	s_add_nc_u64 s[6:7], s[38:39], s[6:7]
.LBB91_6:                               ;   Parent Loop BB91_3 Depth=1
                                        ; =>  This Inner Loop Header: Depth=2
	v_mov_b32_e32 v1, v0
	s_add_co_i32 s9, s9, -1
	s_wait_alu 0xfffe
	s_cmp_eq_u32 s9, 0
	global_store_b64 v0, v[0:1], s[6:7]
	s_add_nc_u64 s[6:7], s[6:7], s[42:43]
	s_cbranch_scc0 .LBB91_6
.LBB91_7:                               ;   in Loop: Header=BB91_3 Depth=1
	s_wait_alu 0xfffe
	s_or_b32 exec_lo, exec_lo, s8
	s_mov_b32 s6, 0
.LBB91_8:                               ;   in Loop: Header=BB91_3 Depth=1
	s_wait_alu 0xfffe
	s_and_not1_b32 vcc_lo, exec_lo, s6
	s_wait_alu 0xfffe
	s_cbranch_vccnz .LBB91_2
; %bb.9:                                ;   in Loop: Header=BB91_3 Depth=1
	v_mad_co_u64_u32 v[36:37], null, s44, s10, v[26:27]
	s_mul_u64 s[64:65], s[20:21], s[10:11]
	s_mul_u64 s[58:59], s[24:25], s[10:11]
	s_wait_alu 0xfffe
	s_lshl_b64 s[64:65], s[64:65], 3
	s_mul_u64 s[62:63], s[16:17], s[10:11]
	s_wait_alu 0xfffe
	v_add_co_u32 v54, vcc_lo, v48, s64
	v_mov_b32_e32 v1, v37
	s_lshl_b64 s[58:59], s[58:59], 3
	s_lshl_b64 s[70:71], s[62:63], 3
	v_cmp_gt_u32_e64 s7, 24, v52
	v_cmp_gt_u32_e64 s8, 28, v52
	v_mad_co_u64_u32 v[1:2], null, s45, s10, v[1:2]
	v_cmp_gt_u32_e64 s6, 30, v52
	s_wait_alu 0xfffd
	v_add_co_ci_u32_e64 v55, null, s65, v49, vcc_lo
	v_cmp_ne_u32_e64 s9, 31, v52
	s_add_nc_u64 s[62:63], s[18:19], s[58:59]
	s_add_nc_u64 s[58:59], s[26:27], s[70:71]
	v_mov_b32_e32 v37, v1
	s_mul_u64 s[60:61], s[48:49], s[10:11]
	s_and_not1_b32 vcc_lo, exec_lo, s69
	s_add_nc_u64 s[58:59], s[58:59], s[22:23]
	s_wait_alu 0xfffe
	s_cbranch_vccnz .LBB91_36
; %bb.10:                               ;   in Loop: Header=BB91_3 Depth=1
	v_cndmask_b32_e64 v1, 0, 8, s7
	v_cndmask_b32_e64 v2, 0, 4, s8
	v_cndmask_b32_e64 v3, 0, 2, s6
	v_add_co_ci_u32_e64 v4, null, 0, v52, s9
	v_add_co_u32 v38, vcc_lo, v48, s60
	s_wait_alu 0xfffd
	v_add_co_ci_u32_e64 v39, null, s61, v49, vcc_lo
	v_add_co_u32 v40, vcc_lo, s62, v24
	s_wait_alu 0xfffd
	v_add_co_ci_u32_e64 v41, null, s63, v25, vcc_lo
	v_add_co_u32 v42, vcc_lo, s62, v28
	v_mov_b32_e32 v7, v0
	v_add_lshl_u32 v56, v1, v52, 2
	v_add_lshl_u32 v57, v2, v52, 2
	;; [unrolled: 1-line block ×3, first 2 shown]
	v_dual_mov_b32 v2, v0 :: v_dual_lshlrev_b32 v59, 2, v4
	v_dual_mov_b32 v1, v0 :: v_dual_mov_b32 v4, v0
	v_dual_mov_b32 v3, v0 :: v_dual_mov_b32 v6, v0
	v_mov_b32_e32 v5, v0
	s_wait_alu 0xfffd
	v_add_co_ci_u32_e64 v43, null, s63, v29, vcc_lo
	v_add_co_u32 v44, vcc_lo, s62, v30
	s_wait_alu 0xfffd
	v_add_co_ci_u32_e64 v45, null, s63, v31, vcc_lo
	v_add_co_u32 v46, vcc_lo, s62, v32
	v_dual_mov_b32 v15, v7 :: v_dual_mov_b32 v14, v6
	s_wait_alu 0xfffd
	v_add_co_ci_u32_e64 v47, null, s63, v33, vcc_lo
	v_dual_mov_b32 v13, v5 :: v_dual_mov_b32 v12, v4
	v_dual_mov_b32 v11, v3 :: v_dual_mov_b32 v10, v2
	;; [unrolled: 1-line block ×3, first 2 shown]
	s_mov_b32 s28, 0
	s_branch .LBB91_12
.LBB91_11:                              ;   in Loop: Header=BB91_12 Depth=2
	s_wait_alu 0xfffe
	s_or_b32 exec_lo, exec_lo, s6
	v_add_co_u32 v38, vcc_lo, v38, s52
	s_wait_alu 0xfffd
	v_add_co_ci_u32_e64 v39, null, s53, v39, vcc_lo
	s_add_co_i32 s28, s28, 4
	s_wait_alu 0xfffe
	s_cmp_ge_i32 s28, s67
	s_cbranch_scc1 .LBB91_37
.LBB91_12:                              ;   Parent Loop BB91_3 Depth=1
                                        ; =>  This Loop Header: Depth=2
                                        ;       Child Loop BB91_18 Depth 3
                                        ;       Child Loop BB91_21 Depth 3
	;; [unrolled: 1-line block ×3, first 2 shown]
                                        ; implicit-def: $vgpr16_vgpr17_vgpr18_vgpr19_vgpr20_vgpr21_vgpr22_vgpr23
	s_and_saveexec_b32 s6, s1
	s_wait_alu 0xfffe
	s_xor_b32 s6, exec_lo, s6
	s_cbranch_execz .LBB91_14
; %bb.13:                               ;   in Loop: Header=BB91_12 Depth=2
	s_mul_u64 s[8:9], s[28:29], s[30:31]
	s_or_b32 s64, s28, 1
	s_mov_b32 s65, s29
	s_wait_alu 0xfffe
	s_lshl_b64 s[8:9], s[8:9], 3
	s_mul_u64 s[64:65], s[64:65], s[30:31]
	s_wait_alu 0xfffe
	v_add_co_u32 v5, vcc_lo, v54, s8
	s_wait_alu 0xfffd
	v_add_co_ci_u32_e64 v6, null, s9, v55, vcc_lo
	s_lshl_b64 s[8:9], s[64:65], 3
	s_or_b32 s64, s28, 2
	s_mov_b32 s65, s29
	s_wait_alu 0xfffe
	v_add_co_u32 v14, vcc_lo, v54, s8
	s_wait_alu 0xfffd
	v_add_co_ci_u32_e64 v15, null, s9, v55, vcc_lo
	s_mul_u64 s[8:9], s[64:65], s[30:31]
	s_or_b32 s64, s28, 3
	s_wait_alu 0xfffe
	s_lshl_b64 s[8:9], s[8:9], 3
	s_mul_u64 s[64:65], s[64:65], s[30:31]
	s_wait_alu 0xfffe
	v_add_co_u32 v72, vcc_lo, v54, s8
	s_wait_alu 0xfffd
	v_add_co_ci_u32_e64 v73, null, s9, v55, vcc_lo
	s_lshl_b64 s[8:9], s[64:65], 3
	s_wait_alu 0xfffe
	v_add_co_u32 v76, vcc_lo, v54, s8
	s_wait_alu 0xfffd
	v_add_co_ci_u32_e64 v77, null, s9, v55, vcc_lo
	global_load_b64 v[8:9], v[40:41], off
	s_clause 0x1
	global_load_b128 v[1:4], v[5:6], off
	global_load_b128 v[16:19], v[14:15], off
	s_wait_dscnt 0x0
	s_clause 0x1
	global_load_b128 v[20:23], v[72:73], off
	global_load_b128 v[60:63], v[76:77], off
	global_load_b64 v[10:11], v[42:43], off
	global_load_b128 v[64:67], v[5:6], off offset:16
	global_load_b64 v[12:13], v[44:45], off
	s_clause 0x2
	global_load_b128 v[68:71], v[14:15], off offset:16
	global_load_b128 v[72:75], v[72:73], off offset:16
	;; [unrolled: 1-line block ×3, first 2 shown]
	global_load_b64 v[14:15], v[46:47], off
	s_wait_loadcnt 0xa
	v_fma_f64 v[1:2], v[8:9], v[1:2], 0
	s_wait_loadcnt 0x9
	v_fma_f64 v[5:6], v[8:9], v[16:17], 0
	;; [unrolled: 2-line block ×4, first 2 shown]
	s_wait_loadcnt 0x6
	s_delay_alu instid0(VALU_DEP_4) | instskip(NEXT) | instid1(VALU_DEP_4)
	v_fma_f64 v[1:2], v[10:11], v[3:4], v[1:2]
	v_fma_f64 v[3:4], v[10:11], v[18:19], v[5:6]
	s_delay_alu instid0(VALU_DEP_4) | instskip(NEXT) | instid1(VALU_DEP_4)
	v_fma_f64 v[5:6], v[10:11], v[22:23], v[16:17]
	v_fma_f64 v[16:17], v[10:11], v[62:63], v[20:21]
	s_wait_loadcnt 0x4
	s_delay_alu instid0(VALU_DEP_4) | instskip(SKIP_1) | instid1(VALU_DEP_4)
	v_fma_f64 v[1:2], v[12:13], v[64:65], v[1:2]
	s_wait_loadcnt 0x3
	v_fma_f64 v[3:4], v[12:13], v[68:69], v[3:4]
	s_wait_loadcnt 0x2
	s_delay_alu instid0(VALU_DEP_4) | instskip(SKIP_1) | instid1(VALU_DEP_4)
	v_fma_f64 v[5:6], v[12:13], v[72:73], v[5:6]
	s_wait_loadcnt 0x1
	v_fma_f64 v[22:23], v[12:13], v[76:77], v[16:17]
	s_wait_loadcnt 0x0
	s_delay_alu instid0(VALU_DEP_4) | instskip(NEXT) | instid1(VALU_DEP_4)
	v_fma_f64 v[16:17], v[14:15], v[66:67], v[1:2]
	v_fma_f64 v[18:19], v[14:15], v[70:71], v[3:4]
	s_delay_alu instid0(VALU_DEP_4) | instskip(NEXT) | instid1(VALU_DEP_4)
	v_fma_f64 v[20:21], v[14:15], v[74:75], v[5:6]
	v_fma_f64 v[22:23], v[14:15], v[78:79], v[22:23]
.LBB91_14:                              ;   in Loop: Header=BB91_12 Depth=2
	s_wait_alu 0xfffe
	s_and_not1_saveexec_b32 s11, s6
	s_cbranch_execz .LBB91_24
; %bb.15:                               ;   in Loop: Header=BB91_12 Depth=2
	v_mov_b32_e32 v7, v0
	v_dual_mov_b32 v1, v0 :: v_dual_mov_b32 v2, v0
	v_dual_mov_b32 v3, v0 :: v_dual_mov_b32 v4, v0
	;; [unrolled: 1-line block ×3, first 2 shown]
	s_wait_dscnt 0x0
	v_mov_b32_e32 v23, v7
	s_delay_alu instid0(VALU_DEP_3) | instskip(NEXT) | instid1(VALU_DEP_3)
	v_dual_mov_b32 v19, v3 :: v_dual_mov_b32 v18, v2
	v_dual_mov_b32 v21, v5 :: v_dual_mov_b32 v20, v4
	;; [unrolled: 1-line block ×3, first 2 shown]
	v_mov_b32_e32 v16, v0
	s_and_saveexec_b32 s70, s2
	s_cbranch_execz .LBB91_23
; %bb.16:                               ;   in Loop: Header=BB91_12 Depth=2
	s_and_not1_b32 vcc_lo, exec_lo, s34
	s_wait_alu 0xfffe
	s_cbranch_vccnz .LBB91_19
; %bb.17:                               ;   in Loop: Header=BB91_12 Depth=2
	v_dual_mov_b32 v1, v36 :: v_dual_mov_b32 v2, v37
	s_mov_b64 s[64:65], 0
.LBB91_18:                              ;   Parent Loop BB91_3 Depth=1
                                        ;     Parent Loop BB91_12 Depth=2
                                        ; =>    This Inner Loop Header: Depth=3
	global_load_b64 v[3:4], v[1:2], off
	s_wait_alu 0xfffe
	s_cmp_eq_u32 s64, 3
	v_add_co_u32 v1, vcc_lo, v1, s46
	s_wait_alu 0xfffd
	v_add_co_ci_u32_e64 v2, null, s47, v2, vcc_lo
	s_cselect_b32 vcc_lo, -1, 0
	s_cmp_eq_u32 s64, 2
	s_cselect_b32 s6, -1, 0
	s_cmp_eq_u32 s64, 1
	s_cselect_b32 s7, -1, 0
	s_cmp_eq_u32 s64, 0
	s_add_nc_u64 s[64:65], s[64:65], 1
	s_cselect_b32 s8, -1, 0
	s_wait_alu 0xfffe
	s_cmp_eq_u32 s68, s64
	s_wait_loadcnt 0x0
	v_dual_cndmask_b32 v15, v15, v4 :: v_dual_cndmask_b32 v14, v14, v3
	v_cndmask_b32_e64 v13, v13, v4, s6
	v_cndmask_b32_e64 v12, v12, v3, s6
	;; [unrolled: 1-line block ×6, first 2 shown]
	s_cbranch_scc0 .LBB91_18
.LBB91_19:                              ;   in Loop: Header=BB91_12 Depth=2
	s_and_not1_b32 vcc_lo, exec_lo, s34
	s_wait_alu 0xfffe
	s_cbranch_vccnz .LBB91_22
; %bb.20:                               ;   in Loop: Header=BB91_12 Depth=2
	v_mov_b32_e32 v16, 0
	v_dual_mov_b32 v20, 0 :: v_dual_mov_b32 v17, 0
	v_dual_mov_b32 v18, 0 :: v_dual_mov_b32 v21, 0
	;; [unrolled: 1-line block ×3, first 2 shown]
	v_mov_b32_e32 v23, 0
	v_dual_mov_b32 v1, v38 :: v_dual_mov_b32 v2, v39
	s_mov_b64 s[8:9], 0
.LBB91_21:                              ;   Parent Loop BB91_3 Depth=1
                                        ;     Parent Loop BB91_12 Depth=2
                                        ; =>    This Inner Loop Header: Depth=3
	s_delay_alu instid0(VALU_DEP_1) | instskip(SKIP_1) | instid1(VALU_DEP_2)
	v_add_co_u32 v3, vcc_lo, v1, s54
	s_wait_alu 0xfffd
	v_add_co_ci_u32_e64 v4, null, s55, v2, vcc_lo
	v_add_co_u32 v5, vcc_lo, v1, s56
	s_wait_alu 0xfffd
	v_add_co_ci_u32_e64 v6, null, s57, v2, vcc_lo
	;; [unrolled: 3-line block ×3, first 2 shown]
	s_clause 0x3
	global_load_b64 v[62:63], v[1:2], off
	global_load_b64 v[3:4], v[3:4], off
	global_load_b64 v[5:6], v[5:6], off
	global_load_b64 v[60:61], v[60:61], off
	s_wait_alu 0xfffe
	s_cmp_eq_u32 s8, 1
	s_cselect_b32 vcc_lo, -1, 0
	s_cmp_eq_u32 s8, 2
	s_wait_alu 0xfffe
	v_dual_cndmask_b32 v7, v9, v11 :: v_dual_cndmask_b32 v64, v8, v10
	s_cselect_b32 vcc_lo, -1, 0
	s_cmp_eq_u32 s8, 3
	s_add_nc_u64 s[8:9], s[8:9], 1
	s_wait_alu 0xfffe
	v_dual_cndmask_b32 v7, v7, v13 :: v_dual_cndmask_b32 v64, v64, v12
	s_cselect_b32 s6, -1, 0
	v_add_co_u32 v1, vcc_lo, v1, 8
	s_wait_alu 0xfffe
	s_delay_alu instid0(VALU_DEP_2)
	v_cndmask_b32_e64 v65, v7, v15, s6
	v_cndmask_b32_e64 v64, v64, v14, s6
	s_wait_alu 0xfffd
	v_add_co_ci_u32_e64 v2, null, 0, v2, vcc_lo
	s_cmp_lg_u32 s68, s8
	s_wait_loadcnt 0x3
	v_fma_f64 v[16:17], v[64:65], v[62:63], v[16:17]
	s_wait_loadcnt 0x2
	v_fma_f64 v[18:19], v[64:65], v[3:4], v[18:19]
	;; [unrolled: 2-line block ×4, first 2 shown]
	s_cbranch_scc1 .LBB91_21
	s_branch .LBB91_23
.LBB91_22:                              ;   in Loop: Header=BB91_12 Depth=2
	v_mov_b32_e32 v7, v0
	v_dual_mov_b32 v1, v0 :: v_dual_mov_b32 v2, v0
	v_dual_mov_b32 v3, v0 :: v_dual_mov_b32 v4, v0
	;; [unrolled: 1-line block ×3, first 2 shown]
	s_delay_alu instid0(VALU_DEP_4) | instskip(NEXT) | instid1(VALU_DEP_3)
	v_mov_b32_e32 v23, v7
	v_dual_mov_b32 v19, v3 :: v_dual_mov_b32 v18, v2
	s_delay_alu instid0(VALU_DEP_3) | instskip(NEXT) | instid1(VALU_DEP_4)
	v_dual_mov_b32 v21, v5 :: v_dual_mov_b32 v20, v4
	v_dual_mov_b32 v22, v6 :: v_dual_mov_b32 v17, v1
	v_mov_b32_e32 v16, v0
.LBB91_23:                              ;   in Loop: Header=BB91_12 Depth=2
	s_or_b32 exec_lo, exec_lo, s70
.LBB91_24:                              ;   in Loop: Header=BB91_12 Depth=2
	s_wait_alu 0xfffe
	s_or_b32 exec_lo, exec_lo, s11
	s_mov_b64 s[6:7], 0
	s_branch .LBB91_26
.LBB91_25:                              ;   in Loop: Header=BB91_26 Depth=3
	s_wait_alu 0xfffe
	s_or_b32 exec_lo, exec_lo, s8
	s_cmp_eq_u32 s6, 3
	s_cselect_b32 vcc_lo, -1, 0
	s_cmp_eq_u32 s6, 2
	s_wait_dscnt 0x0
	s_wait_alu 0xfffe
	s_delay_alu instid0(VALU_DEP_1)
	v_dual_cndmask_b32 v23, v23, v2 :: v_dual_cndmask_b32 v22, v22, v1
	s_cselect_b32 vcc_lo, -1, 0
	s_cmp_eq_u32 s6, 1
	s_wait_alu 0xfffe
	v_dual_cndmask_b32 v21, v21, v2 :: v_dual_cndmask_b32 v20, v20, v1
	s_cselect_b32 vcc_lo, -1, 0
	s_cmp_eq_u32 s6, 0
	s_wait_alu 0xfffe
	v_dual_cndmask_b32 v19, v19, v2 :: v_dual_cndmask_b32 v18, v18, v1
	s_cselect_b32 vcc_lo, -1, 0
	s_add_nc_u64 s[6:7], s[6:7], 1
	s_wait_alu 0xfffe
	v_dual_cndmask_b32 v17, v17, v2 :: v_dual_cndmask_b32 v16, v16, v1
	s_cmp_eq_u32 s6, 4
	s_cbranch_scc1 .LBB91_34
.LBB91_26:                              ;   Parent Loop BB91_3 Depth=1
                                        ;     Parent Loop BB91_12 Depth=2
                                        ; =>    This Inner Loop Header: Depth=3
	s_and_saveexec_b32 s8, s3
; %bb.27:                               ;   in Loop: Header=BB91_26 Depth=3
	v_mov_b32_e32 v1, v0
	ds_store_b64 v50, v[0:1]
; %bb.28:                               ;   in Loop: Header=BB91_26 Depth=3
	s_wait_alu 0xfffe
	s_or_b32 exec_lo, exec_lo, s8
	s_cmp_eq_u32 s6, 1
	s_wait_storecnt_dscnt 0x0
	s_cselect_b32 vcc_lo, -1, 0
	s_cmp_eq_u32 s6, 2
	s_wait_alu 0xfffe
	v_dual_cndmask_b32 v1, v17, v19 :: v_dual_cndmask_b32 v2, v16, v18
	s_cselect_b32 vcc_lo, -1, 0
	s_cmp_eq_u32 s6, 3
	s_barrier_signal -1
	s_wait_alu 0xfffe
	v_cndmask_b32_e32 v1, v1, v21, vcc_lo
	v_cndmask_b32_e32 v3, v2, v20, vcc_lo
	s_cselect_b32 vcc_lo, -1, 0
	s_barrier_wait -1
	global_inv scope:SCOPE_SE
	s_wait_alu 0xfffe
	v_dual_cndmask_b32 v2, v1, v23 :: v_dual_cndmask_b32 v1, v3, v22
	ds_bpermute_b32 v4, v53, v2
	ds_bpermute_b32 v3, v53, v1
	s_wait_dscnt 0x0
	v_add_f64_e32 v[1:2], v[1:2], v[3:4]
	ds_bpermute_b32 v3, v56, v1
	ds_bpermute_b32 v4, v56, v2
	s_wait_dscnt 0x0
	v_add_f64_e32 v[1:2], v[1:2], v[3:4]
	;; [unrolled: 4-line block ×4, first 2 shown]
	ds_bpermute_b32 v3, v59, v1
	ds_bpermute_b32 v4, v59, v2
	s_and_saveexec_b32 s8, s4
	s_cbranch_execz .LBB91_30
; %bb.29:                               ;   in Loop: Header=BB91_26 Depth=3
	s_wait_dscnt 0x0
	v_add_f64_e32 v[1:2], v[1:2], v[3:4]
	ds_store_b64 v51, v[1:2]
.LBB91_30:                              ;   in Loop: Header=BB91_26 Depth=3
	s_wait_alu 0xfffe
	s_or_b32 exec_lo, exec_lo, s8
	v_mov_b32_e32 v1, 0
	v_mov_b32_e32 v2, 0
	s_wait_loadcnt_dscnt 0x0
	s_barrier_signal -1
	s_barrier_wait -1
	global_inv scope:SCOPE_SE
	s_and_saveexec_b32 s8, s5
; %bb.31:                               ;   in Loop: Header=BB91_26 Depth=3
	ds_load_b64 v[1:2], v50
; %bb.32:                               ;   in Loop: Header=BB91_26 Depth=3
	s_wait_alu 0xfffe
	s_or_b32 exec_lo, exec_lo, s8
	s_and_saveexec_b32 s8, s3
	s_cbranch_execz .LBB91_25
; %bb.33:                               ;   in Loop: Header=BB91_26 Depth=3
	s_wait_dscnt 0x0
	ds_bpermute_b32 v3, v57, v1
	ds_bpermute_b32 v4, v57, v2
	s_wait_dscnt 0x0
	v_add_f64_e32 v[1:2], v[1:2], v[3:4]
	ds_bpermute_b32 v3, v58, v1
	ds_bpermute_b32 v4, v58, v2
	s_wait_dscnt 0x0
	v_add_f64_e32 v[1:2], v[1:2], v[3:4]
	;; [unrolled: 4-line block ×3, first 2 shown]
	s_branch .LBB91_25
.LBB91_34:                              ;   in Loop: Header=BB91_12 Depth=2
	s_and_saveexec_b32 s6, s0
	s_cbranch_execz .LBB91_11
; %bb.35:                               ;   in Loop: Header=BB91_12 Depth=2
	v_mul_f64_e32 v[1:2], v[34:35], v[16:17]
	v_mul_f64_e32 v[3:4], v[34:35], v[18:19]
	;; [unrolled: 1-line block ×4, first 2 shown]
	s_or_b32 s64, s28, 1
	s_mov_b32 s65, s29
	s_mul_u64 s[8:9], s[28:29], s[36:37]
	s_or_b32 s70, s28, 2
	s_mov_b32 s71, s29
	s_or_b32 s72, s28, 3
	s_mov_b32 s73, s29
	s_wait_alu 0xfffe
	s_mul_u64 s[64:65], s[64:65], s[36:37]
	s_mul_u64 s[70:71], s[70:71], s[36:37]
	;; [unrolled: 1-line block ×3, first 2 shown]
	s_lshl_b64 s[8:9], s[8:9], 3
	s_wait_alu 0xfffe
	s_lshl_b64 s[64:65], s[64:65], 3
	s_add_nc_u64 s[8:9], s[58:59], s[8:9]
	s_lshl_b64 s[70:71], s[70:71], 3
	s_lshl_b64 s[72:73], s[72:73], 3
	s_wait_alu 0xfffe
	s_add_nc_u64 s[64:65], s[58:59], s[64:65]
	s_add_nc_u64 s[70:71], s[58:59], s[70:71]
	;; [unrolled: 1-line block ×3, first 2 shown]
	s_clause 0x3
	global_store_b64 v0, v[1:2], s[8:9]
	global_store_b64 v0, v[3:4], s[64:65]
	;; [unrolled: 1-line block ×4, first 2 shown]
	s_branch .LBB91_11
.LBB91_36:                              ;   in Loop: Header=BB91_3 Depth=1
	v_mov_b32_e32 v7, v0
	v_dual_mov_b32 v1, v0 :: v_dual_mov_b32 v2, v0
	v_dual_mov_b32 v3, v0 :: v_dual_mov_b32 v4, v0
	;; [unrolled: 1-line block ×3, first 2 shown]
	s_delay_alu instid0(VALU_DEP_4) | instskip(NEXT) | instid1(VALU_DEP_3)
	v_mov_b32_e32 v15, v7
	v_dual_mov_b32 v11, v3 :: v_dual_mov_b32 v10, v2
	s_delay_alu instid0(VALU_DEP_3) | instskip(NEXT) | instid1(VALU_DEP_4)
	v_dual_mov_b32 v13, v5 :: v_dual_mov_b32 v12, v4
	v_dual_mov_b32 v14, v6 :: v_dual_mov_b32 v9, v1
	v_mov_b32_e32 v8, v0
	s_mov_b32 s28, 0
.LBB91_37:                              ;   in Loop: Header=BB91_3 Depth=1
	s_wait_alu 0xfffe
	s_cmp_ge_i32 s28, s35
	s_cbranch_scc1 .LBB91_2
; %bb.38:                               ;   in Loop: Header=BB91_3 Depth=1
	v_cmp_gt_u32_e32 vcc_lo, 24, v52
	s_mul_u64 s[6:7], s[54:55], s[28:29]
	s_wait_alu 0xfffe
	s_add_nc_u64 s[6:7], s[6:7], s[60:61]
	s_wait_alu 0xfffd
	v_cndmask_b32_e64 v1, 0, 8, vcc_lo
	v_cmp_gt_u32_e32 vcc_lo, 28, v52
	s_delay_alu instid0(VALU_DEP_2) | instskip(SKIP_3) | instid1(VALU_DEP_2)
	v_add_lshl_u32 v38, v1, v52, 2
	s_wait_alu 0xfffd
	v_cndmask_b32_e64 v2, 0, 4, vcc_lo
	v_cmp_gt_u32_e32 vcc_lo, 30, v52
	v_add_lshl_u32 v39, v2, v52, 2
	s_wait_alu 0xfffd
	v_cndmask_b32_e64 v3, 0, 2, vcc_lo
	v_cmp_ne_u32_e32 vcc_lo, 31, v52
	s_delay_alu instid0(VALU_DEP_2)
	v_add_lshl_u32 v40, v3, v52, 2
	s_wait_alu 0xfffd
	v_add_co_ci_u32_e64 v4, null, 0, v52, vcc_lo
	v_add_co_u32 v2, vcc_lo, s62, v24
	s_wait_alu 0xfffd
	v_add_co_ci_u32_e64 v3, null, s63, v25, vcc_lo
	s_delay_alu instid0(VALU_DEP_3)
	v_lshlrev_b32_e32 v41, 2, v4
	v_add_co_u32 v4, vcc_lo, s62, v28
	s_wait_alu 0xfffd
	v_add_co_ci_u32_e64 v5, null, s63, v29, vcc_lo
	v_add_co_u32 v6, vcc_lo, s62, v30
	s_wait_alu 0xfffd
	v_add_co_ci_u32_e64 v7, null, s63, v31, vcc_lo
	;; [unrolled: 3-line block ×3, first 2 shown]
	s_wait_alu 0xfffe
	v_add_co_u32 v18, vcc_lo, v48, s6
	s_wait_alu 0xfffd
	v_add_co_ci_u32_e64 v19, null, s7, v49, vcc_lo
	s_branch .LBB91_40
.LBB91_39:                              ;   in Loop: Header=BB91_40 Depth=2
	s_wait_alu 0xfffe
	s_or_b32 exec_lo, exec_lo, s6
	v_add_co_u32 v18, vcc_lo, v18, s54
	s_wait_alu 0xfffd
	v_add_co_ci_u32_e64 v19, null, s55, v19, vcc_lo
	s_add_co_i32 s28, s28, 1
	s_wait_alu 0xfffe
	s_cmp_ge_i32 s28, s35
	s_cbranch_scc1 .LBB91_2
.LBB91_40:                              ;   Parent Loop BB91_3 Depth=1
                                        ; =>  This Loop Header: Depth=2
                                        ;       Child Loop BB91_53 Depth 3
                                        ;       Child Loop BB91_56 Depth 3
	s_wait_dscnt 0x0
	v_dual_mov_b32 v20, s29 :: v_dual_mov_b32 v21, s29
	s_and_saveexec_b32 s6, s1
	s_wait_alu 0xfffe
	s_xor_b32 s6, exec_lo, s6
	s_cbranch_execnz .LBB91_49
; %bb.41:                               ;   in Loop: Header=BB91_40 Depth=2
	s_wait_alu 0xfffe
	s_and_not1_saveexec_b32 s9, s6
	s_cbranch_execnz .LBB91_50
.LBB91_42:                              ;   in Loop: Header=BB91_40 Depth=2
	s_wait_alu 0xfffe
	s_or_b32 exec_lo, exec_lo, s9
	s_and_saveexec_b32 s6, s3
.LBB91_43:                              ;   in Loop: Header=BB91_40 Depth=2
	v_mov_b32_e32 v1, v0
	ds_store_b64 v50, v[0:1]
.LBB91_44:                              ;   in Loop: Header=BB91_40 Depth=2
	s_wait_alu 0xfffe
	s_or_b32 exec_lo, exec_lo, s6
	ds_bpermute_b32 v22, v53, v20
	ds_bpermute_b32 v23, v53, v21
	s_wait_storecnt 0x0
	s_wait_loadcnt_dscnt 0x0
	s_barrier_signal -1
	s_barrier_wait -1
	global_inv scope:SCOPE_SE
	v_add_f64_e32 v[20:21], v[20:21], v[22:23]
	ds_bpermute_b32 v22, v38, v20
	ds_bpermute_b32 v23, v38, v21
	s_wait_dscnt 0x0
	v_add_f64_e32 v[20:21], v[20:21], v[22:23]
	ds_bpermute_b32 v22, v39, v20
	ds_bpermute_b32 v23, v39, v21
	s_wait_dscnt 0x0
	;; [unrolled: 4-line block ×3, first 2 shown]
	v_add_f64_e32 v[20:21], v[20:21], v[22:23]
	ds_bpermute_b32 v22, v41, v20
	ds_bpermute_b32 v23, v41, v21
	s_and_saveexec_b32 s6, s4
	s_cbranch_execz .LBB91_46
; %bb.45:                               ;   in Loop: Header=BB91_40 Depth=2
	s_wait_dscnt 0x0
	v_add_f64_e32 v[20:21], v[20:21], v[22:23]
	ds_store_b64 v51, v[20:21]
.LBB91_46:                              ;   in Loop: Header=BB91_40 Depth=2
	s_wait_alu 0xfffe
	s_or_b32 exec_lo, exec_lo, s6
	v_mov_b32_e32 v20, 0
	v_mov_b32_e32 v21, 0
	s_wait_loadcnt_dscnt 0x0
	s_barrier_signal -1
	s_barrier_wait -1
	global_inv scope:SCOPE_SE
	s_and_saveexec_b32 s6, s5
	s_cbranch_execnz .LBB91_58
; %bb.47:                               ;   in Loop: Header=BB91_40 Depth=2
	s_wait_alu 0xfffe
	s_or_b32 exec_lo, exec_lo, s6
	s_and_saveexec_b32 s6, s3
	s_cbranch_execnz .LBB91_59
.LBB91_48:                              ;   in Loop: Header=BB91_40 Depth=2
	s_wait_alu 0xfffe
	s_or_b32 exec_lo, exec_lo, s6
	s_and_saveexec_b32 s6, s0
	s_cbranch_execz .LBB91_39
	s_branch .LBB91_60
.LBB91_49:                              ;   in Loop: Header=BB91_40 Depth=2
	s_mul_u64 s[8:9], s[28:29], s[30:31]
	s_wait_alu 0xfffe
	s_lshl_b64 s[8:9], s[8:9], 3
	s_wait_alu 0xfffe
	v_add_co_u32 v12, vcc_lo, v54, s8
	s_wait_alu 0xfffd
	v_add_co_ci_u32_e64 v13, null, s9, v55, vcc_lo
	global_load_b128 v[20:23], v[12:13], off
	s_clause 0x1
	global_load_b64 v[8:9], v[2:3], off
	global_load_b64 v[10:11], v[4:5], off
	global_load_b128 v[42:45], v[12:13], off offset:16
	s_clause 0x1
	global_load_b64 v[12:13], v[6:7], off
	global_load_b64 v[14:15], v[16:17], off
	s_wait_loadcnt 0x4
	v_fma_f64 v[20:21], v[8:9], v[20:21], 0
	s_wait_loadcnt 0x3
	s_delay_alu instid0(VALU_DEP_1) | instskip(SKIP_1) | instid1(VALU_DEP_1)
	v_fma_f64 v[20:21], v[10:11], v[22:23], v[20:21]
	s_wait_loadcnt 0x1
	v_fma_f64 v[20:21], v[12:13], v[42:43], v[20:21]
	s_wait_loadcnt 0x0
	s_delay_alu instid0(VALU_DEP_1)
	v_fma_f64 v[20:21], v[14:15], v[44:45], v[20:21]
	s_and_not1_saveexec_b32 s9, s6
	s_cbranch_execz .LBB91_42
.LBB91_50:                              ;   in Loop: Header=BB91_40 Depth=2
	s_and_saveexec_b32 s11, s2
	s_cbranch_execz .LBB91_57
; %bb.51:                               ;   in Loop: Header=BB91_40 Depth=2
	s_and_not1_b32 vcc_lo, exec_lo, s34
	s_wait_alu 0xfffe
	s_cbranch_vccnz .LBB91_54
; %bb.52:                               ;   in Loop: Header=BB91_40 Depth=2
	v_dual_mov_b32 v22, v36 :: v_dual_mov_b32 v23, v37
	s_mov_b64 s[60:61], 0
.LBB91_53:                              ;   Parent Loop BB91_3 Depth=1
                                        ;     Parent Loop BB91_40 Depth=2
                                        ; =>    This Inner Loop Header: Depth=3
	global_load_b64 v[42:43], v[22:23], off
	s_wait_alu 0xfffe
	s_cmp_eq_u32 s60, 3
	v_add_co_u32 v22, vcc_lo, v22, s46
	s_wait_alu 0xfffd
	v_add_co_ci_u32_e64 v23, null, s47, v23, vcc_lo
	s_cselect_b32 vcc_lo, -1, 0
	s_cmp_eq_u32 s60, 2
	s_cselect_b32 s6, -1, 0
	s_cmp_eq_u32 s60, 1
	s_cselect_b32 s7, -1, 0
	s_cmp_eq_u32 s60, 0
	s_add_nc_u64 s[60:61], s[60:61], 1
	s_cselect_b32 s8, -1, 0
	s_wait_alu 0xfffe
	s_cmp_eq_u32 s68, s60
	s_wait_loadcnt 0x0
	v_dual_cndmask_b32 v15, v15, v43 :: v_dual_cndmask_b32 v14, v14, v42
	v_cndmask_b32_e64 v13, v13, v43, s6
	v_cndmask_b32_e64 v12, v12, v42, s6
	;; [unrolled: 1-line block ×6, first 2 shown]
	s_cbranch_scc0 .LBB91_53
.LBB91_54:                              ;   in Loop: Header=BB91_40 Depth=2
	s_and_not1_b32 vcc_lo, exec_lo, s34
	s_wait_alu 0xfffe
	s_cbranch_vccnz .LBB91_57
; %bb.55:                               ;   in Loop: Header=BB91_40 Depth=2
	v_dual_mov_b32 v23, v19 :: v_dual_mov_b32 v22, v18
	s_mov_b64 s[6:7], 0
.LBB91_56:                              ;   Parent Loop BB91_3 Depth=1
                                        ;     Parent Loop BB91_40 Depth=2
                                        ; =>    This Inner Loop Header: Depth=3
	global_load_b64 v[42:43], v[22:23], off
	s_wait_alu 0xfffe
	s_cmp_eq_u32 s6, 1
	s_cselect_b32 vcc_lo, -1, 0
	s_cmp_eq_u32 s6, 2
	s_wait_alu 0xfffe
	v_dual_cndmask_b32 v1, v9, v11 :: v_dual_cndmask_b32 v44, v8, v10
	s_cselect_b32 vcc_lo, -1, 0
	s_cmp_eq_u32 s6, 3
	s_add_nc_u64 s[6:7], s[6:7], 1
	s_wait_alu 0xfffe
	v_dual_cndmask_b32 v1, v1, v13 :: v_dual_cndmask_b32 v44, v44, v12
	s_cselect_b32 vcc_lo, -1, 0
	s_cmp_lg_u32 s68, s6
	s_wait_alu 0xfffe
	s_delay_alu instid0(VALU_DEP_1)
	v_dual_cndmask_b32 v45, v1, v15 :: v_dual_cndmask_b32 v44, v44, v14
	v_add_co_u32 v22, vcc_lo, v22, 8
	s_wait_alu 0xfffd
	v_add_co_ci_u32_e64 v23, null, 0, v23, vcc_lo
	s_wait_loadcnt 0x0
	v_fma_f64 v[20:21], v[44:45], v[42:43], v[20:21]
	s_cbranch_scc1 .LBB91_56
.LBB91_57:                              ;   in Loop: Header=BB91_40 Depth=2
	s_wait_alu 0xfffe
	s_or_b32 exec_lo, exec_lo, s11
	s_delay_alu instid0(SALU_CYCLE_1)
	s_or_b32 exec_lo, exec_lo, s9
	s_and_saveexec_b32 s6, s3
	s_cbranch_execnz .LBB91_43
	s_branch .LBB91_44
.LBB91_58:                              ;   in Loop: Header=BB91_40 Depth=2
	ds_load_b64 v[20:21], v50
	s_wait_alu 0xfffe
	s_or_b32 exec_lo, exec_lo, s6
	s_and_saveexec_b32 s6, s3
	s_cbranch_execz .LBB91_48
.LBB91_59:                              ;   in Loop: Header=BB91_40 Depth=2
	s_wait_dscnt 0x0
	ds_bpermute_b32 v22, v39, v20
	ds_bpermute_b32 v23, v39, v21
	s_wait_dscnt 0x0
	v_add_f64_e32 v[20:21], v[20:21], v[22:23]
	ds_bpermute_b32 v22, v40, v20
	ds_bpermute_b32 v23, v40, v21
	s_wait_dscnt 0x0
	v_add_f64_e32 v[20:21], v[20:21], v[22:23]
	;; [unrolled: 4-line block ×3, first 2 shown]
	s_wait_alu 0xfffe
	s_or_b32 exec_lo, exec_lo, s6
	s_and_saveexec_b32 s6, s0
	s_cbranch_execz .LBB91_39
.LBB91_60:                              ;   in Loop: Header=BB91_40 Depth=2
	s_wait_dscnt 0x0
	s_delay_alu instid0(VALU_DEP_1)
	v_mul_f64_e32 v[20:21], v[34:35], v[20:21]
	s_mul_u64 s[8:9], s[28:29], s[36:37]
	s_wait_alu 0xfffe
	s_lshl_b64 s[8:9], s[8:9], 3
	s_wait_alu 0xfffe
	s_add_nc_u64 s[8:9], s[58:59], s[8:9]
	global_store_b64 v0, v[20:21], s[8:9]
	s_branch .LBB91_39
.LBB91_61:
	s_endpgm
	.section	.rodata,"a",@progbits
	.p2align	6, 0x0
	.amdhsa_kernel _ZL23rocblas_gemvt_sn_kernelILb1ELi256ELi4EldPKddEviiT4_lPKT3_lilS5_lilPT5_i
		.amdhsa_group_segment_fixed_size 256
		.amdhsa_private_segment_fixed_size 0
		.amdhsa_kernarg_size 360
		.amdhsa_user_sgpr_count 2
		.amdhsa_user_sgpr_dispatch_ptr 0
		.amdhsa_user_sgpr_queue_ptr 0
		.amdhsa_user_sgpr_kernarg_segment_ptr 1
		.amdhsa_user_sgpr_dispatch_id 0
		.amdhsa_user_sgpr_private_segment_size 0
		.amdhsa_wavefront_size32 1
		.amdhsa_uses_dynamic_stack 0
		.amdhsa_enable_private_segment 0
		.amdhsa_system_sgpr_workgroup_id_x 1
		.amdhsa_system_sgpr_workgroup_id_y 0
		.amdhsa_system_sgpr_workgroup_id_z 1
		.amdhsa_system_sgpr_workgroup_info 0
		.amdhsa_system_vgpr_workitem_id 0
		.amdhsa_next_free_vgpr 80
		.amdhsa_next_free_sgpr 74
		.amdhsa_reserve_vcc 1
		.amdhsa_float_round_mode_32 0
		.amdhsa_float_round_mode_16_64 0
		.amdhsa_float_denorm_mode_32 3
		.amdhsa_float_denorm_mode_16_64 3
		.amdhsa_fp16_overflow 0
		.amdhsa_workgroup_processor_mode 1
		.amdhsa_memory_ordered 1
		.amdhsa_forward_progress 1
		.amdhsa_inst_pref_size 34
		.amdhsa_round_robin_scheduling 0
		.amdhsa_exception_fp_ieee_invalid_op 0
		.amdhsa_exception_fp_denorm_src 0
		.amdhsa_exception_fp_ieee_div_zero 0
		.amdhsa_exception_fp_ieee_overflow 0
		.amdhsa_exception_fp_ieee_underflow 0
		.amdhsa_exception_fp_ieee_inexact 0
		.amdhsa_exception_int_div_zero 0
	.end_amdhsa_kernel
	.section	.text._ZL23rocblas_gemvt_sn_kernelILb1ELi256ELi4EldPKddEviiT4_lPKT3_lilS5_lilPT5_i,"axG",@progbits,_ZL23rocblas_gemvt_sn_kernelILb1ELi256ELi4EldPKddEviiT4_lPKT3_lilS5_lilPT5_i,comdat
.Lfunc_end91:
	.size	_ZL23rocblas_gemvt_sn_kernelILb1ELi256ELi4EldPKddEviiT4_lPKT3_lilS5_lilPT5_i, .Lfunc_end91-_ZL23rocblas_gemvt_sn_kernelILb1ELi256ELi4EldPKddEviiT4_lPKT3_lilS5_lilPT5_i
                                        ; -- End function
	.set _ZL23rocblas_gemvt_sn_kernelILb1ELi256ELi4EldPKddEviiT4_lPKT3_lilS5_lilPT5_i.num_vgpr, 80
	.set _ZL23rocblas_gemvt_sn_kernelILb1ELi256ELi4EldPKddEviiT4_lPKT3_lilS5_lilPT5_i.num_agpr, 0
	.set _ZL23rocblas_gemvt_sn_kernelILb1ELi256ELi4EldPKddEviiT4_lPKT3_lilS5_lilPT5_i.numbered_sgpr, 74
	.set _ZL23rocblas_gemvt_sn_kernelILb1ELi256ELi4EldPKddEviiT4_lPKT3_lilS5_lilPT5_i.num_named_barrier, 0
	.set _ZL23rocblas_gemvt_sn_kernelILb1ELi256ELi4EldPKddEviiT4_lPKT3_lilS5_lilPT5_i.private_seg_size, 0
	.set _ZL23rocblas_gemvt_sn_kernelILb1ELi256ELi4EldPKddEviiT4_lPKT3_lilS5_lilPT5_i.uses_vcc, 1
	.set _ZL23rocblas_gemvt_sn_kernelILb1ELi256ELi4EldPKddEviiT4_lPKT3_lilS5_lilPT5_i.uses_flat_scratch, 0
	.set _ZL23rocblas_gemvt_sn_kernelILb1ELi256ELi4EldPKddEviiT4_lPKT3_lilS5_lilPT5_i.has_dyn_sized_stack, 0
	.set _ZL23rocblas_gemvt_sn_kernelILb1ELi256ELi4EldPKddEviiT4_lPKT3_lilS5_lilPT5_i.has_recursion, 0
	.set _ZL23rocblas_gemvt_sn_kernelILb1ELi256ELi4EldPKddEviiT4_lPKT3_lilS5_lilPT5_i.has_indirect_call, 0
	.section	.AMDGPU.csdata,"",@progbits
; Kernel info:
; codeLenInByte = 4272
; TotalNumSgprs: 76
; NumVgprs: 80
; ScratchSize: 0
; MemoryBound: 1
; FloatMode: 240
; IeeeMode: 1
; LDSByteSize: 256 bytes/workgroup (compile time only)
; SGPRBlocks: 0
; VGPRBlocks: 9
; NumSGPRsForWavesPerEU: 76
; NumVGPRsForWavesPerEU: 80
; Occupancy: 16
; WaveLimiterHint : 0
; COMPUTE_PGM_RSRC2:SCRATCH_EN: 0
; COMPUTE_PGM_RSRC2:USER_SGPR: 2
; COMPUTE_PGM_RSRC2:TRAP_HANDLER: 0
; COMPUTE_PGM_RSRC2:TGID_X_EN: 1
; COMPUTE_PGM_RSRC2:TGID_Y_EN: 0
; COMPUTE_PGM_RSRC2:TGID_Z_EN: 1
; COMPUTE_PGM_RSRC2:TIDIG_COMP_CNT: 0
	.section	.text._ZL23rocblas_gemvt_sn_kernelILb1ELi256ELi4EidddEviiT4_lPKT3_lilS3_lilPT5_i,"axG",@progbits,_ZL23rocblas_gemvt_sn_kernelILb1ELi256ELi4EidddEviiT4_lPKT3_lilS3_lilPT5_i,comdat
	.globl	_ZL23rocblas_gemvt_sn_kernelILb1ELi256ELi4EidddEviiT4_lPKT3_lilS3_lilPT5_i ; -- Begin function _ZL23rocblas_gemvt_sn_kernelILb1ELi256ELi4EidddEviiT4_lPKT3_lilS3_lilPT5_i
	.p2align	8
	.type	_ZL23rocblas_gemvt_sn_kernelILb1ELi256ELi4EidddEviiT4_lPKT3_lilS3_lilPT5_i,@function
_ZL23rocblas_gemvt_sn_kernelILb1ELi256ELi4EidddEviiT4_lPKT3_lilS3_lilPT5_i: ; @_ZL23rocblas_gemvt_sn_kernelILb1ELi256ELi4EidddEviiT4_lPKT3_lilS3_lilPT5_i
; %bb.0:
	s_load_b32 s11, s[0:1], 0x60
	s_lshr_b32 s24, ttmp7, 16
	s_wait_kmcnt 0x0
	s_cmp_ge_u32 s24, s11
	s_cbranch_scc1 .LBB92_61
; %bb.1:
	s_clause 0x6
	s_load_b96 s[8:10], s[0:1], 0x40
	s_load_b128 s[4:7], s[0:1], 0x18
	s_load_b128 s[12:15], s[0:1], 0x0
	s_load_b128 s[16:19], s[0:1], 0x30
	s_load_b32 s28, s[0:1], 0x68
	s_load_b32 s30, s[0:1], 0x28
	s_load_b128 s[20:23], s[0:1], 0x50
	v_cmp_eq_u32_e64 s0, 0, v0
	s_mov_b32 s35, 0
	s_mov_b32 s26, ttmp9
	s_mov_b32 s27, s35
	v_mbcnt_lo_u32_b32 v45, -1, 0
	s_mov_b32 s29, s35
	s_mov_b32 s31, s35
	;; [unrolled: 1-line block ×3, first 2 shown]
	s_delay_alu instid0(VALU_DEP_1)
	v_lshl_or_b32 v46, v45, 2, 64
	s_wait_kmcnt 0x0
	s_lshl_b64 s[2:3], s[8:9], 3
	s_lshl_b64 s[6:7], s[6:7], 3
	s_ashr_i32 s9, s13, 31
	s_cmp_gt_i32 s13, 0
	s_add_nc_u64 s[18:19], s[18:19], s[2:3]
	s_add_nc_u64 s[2:3], s[4:5], s[6:7]
	s_cselect_b32 s1, -1, 0
	s_lshl_b32 s4, ttmp9, 10
	s_lshr_b32 s5, s9, 30
	v_lshl_or_b32 v1, v0, 2, s4
	s_ashr_i32 s4, s12, 31
	s_and_b32 s33, s0, s1
	s_wait_alu 0xfffe
	s_lshr_b32 s4, s4, 30
	s_add_co_i32 s1, s13, s5
	v_ashrrev_i32_e32 v2, 31, v1
	s_wait_alu 0xfffe
	s_add_co_i32 s4, s12, s4
	s_and_b32 s70, s1, -4
	s_wait_alu 0xfffe
	s_and_b32 s1, s4, -4
	v_add_nc_u32_e32 v4, 4, v1
	v_lshlrev_b64_e32 v[2:3], 3, v[1:2]
	s_sub_co_i32 s71, s12, s1
	v_mul_lo_u32 v24, s10, v1
	v_add_nc_u32_e32 v1, s71, v1
	s_cmp_gt_i32 s70, 0
	v_cmp_ge_i32_e64 s1, s12, v4
	v_add_co_u32 v41, vcc_lo, s2, v2
	s_cselect_b32 s72, -1, 0
	s_cmp_gt_i32 s71, 0
	v_add_co_ci_u32_e64 v42, null, s3, v3, vcc_lo
	v_and_b32_e32 v2, 31, v0
	v_cmp_gt_u32_e64 s3, 32, v0
	v_lshrrev_b32_e32 v4, 2, v0
	v_cmp_gt_u32_e64 s5, 8, v0
	v_mov_b32_e32 v0, 0
	v_cmp_ge_i32_e64 s2, s12, v1
	s_cselect_b32 s12, -1, 0
	s_lshl_b64 s[38:39], s[26:27], 3
	v_cmp_eq_f64_e64 s27, s[14:15], 0
	v_add_nc_u32_e32 v1, s10, v24
	v_cmp_eq_u32_e64 s4, 0, v2
	v_lshlrev_b32_e32 v43, 3, v2
	v_and_b32_e32 v44, 56, v4
	v_ashrrev_i32_e32 v25, 31, v24
	v_add_nc_u32_e32 v3, s10, v1
	v_ashrrev_i32_e32 v2, 31, v1
	s_mov_b32 s8, s13
	s_lshl_b32 s34, s30, 1
	v_lshlrev_b64_e32 v[25:26], 3, v[24:25]
	v_add_nc_u32_e32 v5, s10, v3
	v_ashrrev_i32_e32 v4, 31, v3
	v_lshlrev_b64_e32 v[27:28], 3, v[1:2]
	s_mul_u64 s[36:37], s[8:9], s[28:29]
	s_mov_b64 s[48:49], s[34:35]
	v_ashrrev_i32_e32 v6, 31, v5
	v_lshlrev_b64_e32 v[29:30], 3, v[3:4]
	s_mul_i32 s34, s30, 3
	s_add_nc_u64 s[40:41], s[22:23], s[38:39]
	s_lshl_b64 s[42:43], s[36:37], 3
	v_lshlrev_b64_e32 v[31:32], 3, v[5:6]
	s_lshl_b64 s[44:45], s[28:29], 3
	s_lshl_b32 s46, s30, 2
	s_mov_b64 s[50:51], s[34:35]
	s_lshl_b64 s[52:53], s[16:17], 3
	s_branch .LBB92_3
.LBB92_2:                               ;   in Loop: Header=BB92_3 Depth=1
	s_add_co_i32 s24, s24, 0x10000
	s_delay_alu instid0(SALU_CYCLE_1)
	s_cmp_lt_u32 s24, s11
	s_cbranch_scc0 .LBB92_61
.LBB92_3:                               ; =>This Loop Header: Depth=1
                                        ;     Child Loop BB92_6 Depth 2
                                        ;     Child Loop BB92_12 Depth 2
                                        ;       Child Loop BB92_18 Depth 3
                                        ;       Child Loop BB92_21 Depth 3
	;; [unrolled: 1-line block ×3, first 2 shown]
                                        ;     Child Loop BB92_40 Depth 2
                                        ;       Child Loop BB92_53 Depth 3
                                        ;       Child Loop BB92_56 Depth 3
	s_mov_b32 s25, s35
	s_and_not1_b32 vcc_lo, exec_lo, s27
	s_mov_b32 s6, -1
	s_wait_alu 0xfffe
	s_cbranch_vccnz .LBB92_8
; %bb.4:                                ;   in Loop: Header=BB92_3 Depth=1
	s_and_saveexec_b32 s8, s33
	s_cbranch_execz .LBB92_7
; %bb.5:                                ;   in Loop: Header=BB92_3 Depth=1
	s_mul_u64 s[6:7], s[42:43], s[24:25]
	s_mov_b32 s9, s13
	s_wait_alu 0xfffe
	s_add_nc_u64 s[6:7], s[40:41], s[6:7]
.LBB92_6:                               ;   Parent Loop BB92_3 Depth=1
                                        ; =>  This Inner Loop Header: Depth=2
	v_mov_b32_e32 v1, v0
	s_add_co_i32 s9, s9, -1
	s_wait_alu 0xfffe
	s_cmp_eq_u32 s9, 0
	global_store_b64 v0, v[0:1], s[6:7]
	s_add_nc_u64 s[6:7], s[6:7], s[44:45]
	s_cbranch_scc0 .LBB92_6
.LBB92_7:                               ;   in Loop: Header=BB92_3 Depth=1
	s_wait_alu 0xfffe
	s_or_b32 exec_lo, exec_lo, s8
	s_mov_b32 s6, 0
.LBB92_8:                               ;   in Loop: Header=BB92_3 Depth=1
	s_wait_alu 0xfffe
	s_and_not1_b32 vcc_lo, exec_lo, s6
	s_wait_alu 0xfffe
	s_cbranch_vccnz .LBB92_2
; %bb.9:                                ;   in Loop: Header=BB92_3 Depth=1
	s_mul_u64 s[6:7], s[20:21], s[24:25]
	s_mul_u64 s[8:9], s[16:17], s[24:25]
	s_wait_alu 0xfffe
	s_lshl_b64 s[6:7], s[6:7], 3
	s_mul_u64 s[58:59], s[36:37], s[24:25]
	s_wait_alu 0xfffe
	s_add_nc_u64 s[54:55], s[18:19], s[6:7]
	s_lshl_b64 s[6:7], s[8:9], 3
	v_cmp_gt_u32_e64 s9, 24, v45
	s_wait_alu 0xfffe
	v_add_co_u32 v47, vcc_lo, v41, s6
	s_wait_alu 0xfffd
	v_add_co_ci_u32_e64 v48, null, s7, v42, vcc_lo
	v_cmp_gt_u32_e64 s8, 28, v45
	v_cmp_gt_u32_e64 s7, 30, v45
	v_cmp_ne_u32_e64 s6, 31, v45
	s_lshl_b64 s[58:59], s[58:59], 3
	s_mul_u64 s[56:57], s[52:53], s[24:25]
	s_and_not1_b32 vcc_lo, exec_lo, s72
	s_add_nc_u64 s[58:59], s[22:23], s[58:59]
	s_wait_alu 0xfffe
	s_cbranch_vccnz .LBB92_36
; %bb.10:                               ;   in Loop: Header=BB92_3 Depth=1
	s_wait_alu 0xf1ff
	v_cndmask_b32_e64 v1, 0, 8, s9
	v_cndmask_b32_e64 v2, 0, 4, s8
	;; [unrolled: 1-line block ×3, first 2 shown]
	v_add_co_ci_u32_e64 v4, null, 0, v45, s6
	v_add_co_u32 v33, vcc_lo, s54, v25
	s_wait_alu 0xfffd
	v_add_co_ci_u32_e64 v34, null, s55, v26, vcc_lo
	v_add_co_u32 v35, vcc_lo, s54, v27
	s_wait_alu 0xfffd
	v_add_co_ci_u32_e64 v36, null, s55, v28, vcc_lo
	v_add_co_u32 v37, vcc_lo, s54, v29
	v_dual_mov_b32 v6, v0 :: v_dual_mov_b32 v7, v0
	v_add_lshl_u32 v49, v1, v45, 2
	v_add_lshl_u32 v50, v2, v45, 2
	;; [unrolled: 1-line block ×3, first 2 shown]
	v_dual_mov_b32 v1, v0 :: v_dual_lshlrev_b32 v52, 2, v4
	v_dual_mov_b32 v2, v0 :: v_dual_mov_b32 v3, v0
	v_dual_mov_b32 v4, v0 :: v_dual_mov_b32 v5, v0
	s_wait_alu 0xfffd
	v_add_co_ci_u32_e64 v38, null, s55, v30, vcc_lo
	v_add_co_u32 v39, vcc_lo, s54, v31
	s_wait_alu 0xfffd
	v_add_co_ci_u32_e64 v40, null, s55, v32, vcc_lo
	v_add_co_u32 v53, vcc_lo, v41, s56
	v_dual_mov_b32 v15, v7 :: v_dual_mov_b32 v14, v6
	s_wait_alu 0xfffd
	v_add_co_ci_u32_e64 v54, null, s57, v42, vcc_lo
	v_dual_mov_b32 v13, v5 :: v_dual_mov_b32 v12, v4
	v_dual_mov_b32 v11, v3 :: v_dual_mov_b32 v10, v2
	;; [unrolled: 1-line block ×3, first 2 shown]
	s_mov_b32 s60, 0
	s_mov_b64 s[62:63], s[50:51]
	s_mov_b64 s[64:65], s[48:49]
	;; [unrolled: 1-line block ×3, first 2 shown]
	s_mov_b32 s9, 0
	s_branch .LBB92_12
.LBB92_11:                              ;   in Loop: Header=BB92_12 Depth=2
	s_wait_alu 0xfffe
	s_or_b32 exec_lo, exec_lo, s6
	s_add_co_i32 s9, s9, 4
	s_add_co_i32 s60, s60, s46
	s_add_nc_u64 s[66:67], s[66:67], s[46:47]
	s_add_nc_u64 s[64:65], s[64:65], s[46:47]
	s_wait_alu 0xfffe
	s_cmp_ge_i32 s9, s70
	s_add_nc_u64 s[62:63], s[62:63], s[46:47]
	s_cbranch_scc1 .LBB92_37
.LBB92_12:                              ;   Parent Loop BB92_3 Depth=1
                                        ; =>  This Loop Header: Depth=2
                                        ;       Child Loop BB92_18 Depth 3
                                        ;       Child Loop BB92_21 Depth 3
	;; [unrolled: 1-line block ×3, first 2 shown]
                                        ; implicit-def: $vgpr16_vgpr17_vgpr18_vgpr19_vgpr20_vgpr21_vgpr22_vgpr23
	s_and_saveexec_b32 s6, s1
	s_wait_alu 0xfffe
	s_xor_b32 s6, exec_lo, s6
	s_cbranch_execz .LBB92_14
; %bb.13:                               ;   in Loop: Header=BB92_12 Depth=2
	s_mul_i32 s68, s9, s30
	s_wait_alu 0xfffe
	s_ashr_i32 s69, s68, 31
	s_add_co_i32 s74, s68, s30
	s_wait_alu 0xfffe
	s_lshl_b64 s[68:69], s[68:69], 3
	s_ashr_i32 s75, s74, 31
	s_wait_alu 0xfffe
	v_add_co_u32 v5, vcc_lo, v47, s68
	s_wait_alu 0xfffd
	v_add_co_ci_u32_e64 v6, null, s69, v48, vcc_lo
	s_lshl_b64 s[68:69], s[74:75], 3
	s_add_co_i32 s74, s74, s30
	s_wait_alu 0xfffe
	v_add_co_u32 v14, vcc_lo, v47, s68
	s_ashr_i32 s75, s74, 31
	s_add_co_i32 s68, s74, s30
	s_wait_alu 0xfffd
	v_add_co_ci_u32_e64 v15, null, s69, v48, vcc_lo
	s_wait_alu 0xfffe
	s_lshl_b64 s[74:75], s[74:75], 3
	s_ashr_i32 s69, s68, 31
	s_wait_alu 0xfffe
	v_add_co_u32 v67, vcc_lo, v47, s74
	s_lshl_b64 s[68:69], s[68:69], 3
	s_wait_alu 0xfffd
	v_add_co_ci_u32_e64 v68, null, s75, v48, vcc_lo
	s_wait_alu 0xfffe
	v_add_co_u32 v71, vcc_lo, v47, s68
	s_wait_alu 0xfffd
	v_add_co_ci_u32_e64 v72, null, s69, v48, vcc_lo
	global_load_b64 v[8:9], v[33:34], off
	global_load_b128 v[1:4], v[5:6], off
	s_wait_dscnt 0x0
	s_clause 0x2
	global_load_b128 v[16:19], v[14:15], off
	global_load_b128 v[20:23], v[67:68], off
	;; [unrolled: 1-line block ×3, first 2 shown]
	global_load_b64 v[10:11], v[35:36], off
	global_load_b128 v[59:62], v[5:6], off offset:16
	global_load_b64 v[12:13], v[37:38], off
	s_clause 0x2
	global_load_b128 v[63:66], v[14:15], off offset:16
	global_load_b128 v[67:70], v[67:68], off offset:16
	;; [unrolled: 1-line block ×3, first 2 shown]
	global_load_b64 v[14:15], v[39:40], off
	s_wait_loadcnt 0xa
	v_fma_f64 v[1:2], v[8:9], v[1:2], 0
	s_wait_loadcnt 0x9
	v_fma_f64 v[5:6], v[8:9], v[16:17], 0
	s_wait_loadcnt 0x8
	v_fma_f64 v[16:17], v[8:9], v[20:21], 0
	s_wait_loadcnt 0x7
	v_fma_f64 v[20:21], v[8:9], v[55:56], 0
	s_wait_loadcnt 0x6
	s_delay_alu instid0(VALU_DEP_4) | instskip(NEXT) | instid1(VALU_DEP_4)
	v_fma_f64 v[1:2], v[10:11], v[3:4], v[1:2]
	v_fma_f64 v[3:4], v[10:11], v[18:19], v[5:6]
	s_delay_alu instid0(VALU_DEP_4) | instskip(NEXT) | instid1(VALU_DEP_4)
	v_fma_f64 v[5:6], v[10:11], v[22:23], v[16:17]
	v_fma_f64 v[16:17], v[10:11], v[57:58], v[20:21]
	s_wait_loadcnt 0x4
	s_delay_alu instid0(VALU_DEP_4) | instskip(SKIP_1) | instid1(VALU_DEP_4)
	v_fma_f64 v[1:2], v[12:13], v[59:60], v[1:2]
	s_wait_loadcnt 0x3
	v_fma_f64 v[3:4], v[12:13], v[63:64], v[3:4]
	s_wait_loadcnt 0x2
	s_delay_alu instid0(VALU_DEP_4) | instskip(SKIP_1) | instid1(VALU_DEP_4)
	v_fma_f64 v[5:6], v[12:13], v[67:68], v[5:6]
	s_wait_loadcnt 0x1
	v_fma_f64 v[22:23], v[12:13], v[71:72], v[16:17]
	s_wait_loadcnt 0x0
	s_delay_alu instid0(VALU_DEP_4) | instskip(NEXT) | instid1(VALU_DEP_4)
	v_fma_f64 v[16:17], v[14:15], v[61:62], v[1:2]
	v_fma_f64 v[18:19], v[14:15], v[65:66], v[3:4]
	s_delay_alu instid0(VALU_DEP_4) | instskip(NEXT) | instid1(VALU_DEP_4)
	v_fma_f64 v[20:21], v[14:15], v[69:70], v[5:6]
	v_fma_f64 v[22:23], v[14:15], v[73:74], v[22:23]
.LBB92_14:                              ;   in Loop: Header=BB92_12 Depth=2
	s_wait_alu 0xfffe
	s_and_not1_saveexec_b32 s25, s6
	s_cbranch_execz .LBB92_24
; %bb.15:                               ;   in Loop: Header=BB92_12 Depth=2
	v_mov_b32_e32 v7, v0
	v_dual_mov_b32 v1, v0 :: v_dual_mov_b32 v2, v0
	v_dual_mov_b32 v3, v0 :: v_dual_mov_b32 v4, v0
	;; [unrolled: 1-line block ×3, first 2 shown]
	s_wait_dscnt 0x0
	v_mov_b32_e32 v23, v7
	s_delay_alu instid0(VALU_DEP_3) | instskip(NEXT) | instid1(VALU_DEP_3)
	v_dual_mov_b32 v19, v3 :: v_dual_mov_b32 v18, v2
	v_dual_mov_b32 v21, v5 :: v_dual_mov_b32 v20, v4
	;; [unrolled: 1-line block ×3, first 2 shown]
	v_mov_b32_e32 v16, v0
	s_and_saveexec_b32 s34, s2
	s_cbranch_execz .LBB92_23
; %bb.16:                               ;   in Loop: Header=BB92_12 Depth=2
	s_and_not1_b32 vcc_lo, exec_lo, s12
	s_wait_alu 0xfffe
	s_cbranch_vccnz .LBB92_19
; %bb.17:                               ;   in Loop: Header=BB92_12 Depth=2
	v_mov_b32_e32 v1, v24
	s_mov_b64 s[68:69], 0
.LBB92_18:                              ;   Parent Loop BB92_3 Depth=1
                                        ;     Parent Loop BB92_12 Depth=2
                                        ; =>    This Inner Loop Header: Depth=3
	s_delay_alu instid0(VALU_DEP_1) | instskip(SKIP_2) | instid1(VALU_DEP_1)
	v_ashrrev_i32_e32 v2, 31, v1
	s_wait_alu 0xfffe
	s_cmp_eq_u32 s68, 3
	v_lshlrev_b64_e32 v[2:3], 3, v[1:2]
	s_delay_alu instid0(VALU_DEP_1) | instskip(SKIP_1) | instid1(VALU_DEP_2)
	v_add_co_u32 v2, vcc_lo, s54, v2
	s_wait_alu 0xfffd
	v_add_co_ci_u32_e64 v3, null, s55, v3, vcc_lo
	s_cselect_b32 vcc_lo, -1, 0
	s_cmp_eq_u32 s68, 2
	s_cselect_b32 s6, -1, 0
	global_load_b64 v[2:3], v[2:3], off
	s_cmp_eq_u32 s68, 1
	v_add_nc_u32_e32 v1, s10, v1
	s_cselect_b32 s7, -1, 0
	s_cmp_eq_u32 s68, 0
	s_add_nc_u64 s[68:69], s[68:69], 1
	s_cselect_b32 s8, -1, 0
	s_wait_alu 0xfffe
	s_cmp_eq_u32 s71, s68
	s_wait_loadcnt 0x0
	v_dual_cndmask_b32 v15, v15, v3 :: v_dual_cndmask_b32 v14, v14, v2
	v_cndmask_b32_e64 v13, v13, v3, s6
	v_cndmask_b32_e64 v12, v12, v2, s6
	;; [unrolled: 1-line block ×6, first 2 shown]
	s_cbranch_scc0 .LBB92_18
.LBB92_19:                              ;   in Loop: Header=BB92_12 Depth=2
	s_and_not1_b32 vcc_lo, exec_lo, s12
	s_wait_alu 0xfffe
	s_cbranch_vccnz .LBB92_22
; %bb.20:                               ;   in Loop: Header=BB92_12 Depth=2
	s_ashr_i32 s61, s60, 31
	v_mov_b32_e32 v16, 0
	s_lshl_b64 s[6:7], s[60:61], 3
	v_mov_b32_e32 v20, 0
	s_wait_alu 0xfffe
	v_add_co_u32 v1, vcc_lo, v53, s6
	v_dual_mov_b32 v17, 0 :: v_dual_mov_b32 v18, 0
	v_dual_mov_b32 v21, 0 :: v_dual_mov_b32 v22, 0
	v_mov_b32_e32 v19, 0
	v_mov_b32_e32 v23, 0
	s_wait_alu 0xfffd
	v_add_co_ci_u32_e64 v2, null, s7, v54, vcc_lo
	s_mov_b64 s[68:69], 0
.LBB92_21:                              ;   Parent Loop BB92_3 Depth=1
                                        ;     Parent Loop BB92_12 Depth=2
                                        ; =>    This Inner Loop Header: Depth=3
	s_wait_alu 0xfffe
	s_cmp_eq_u32 s68, 1
	s_cselect_b32 vcc_lo, -1, 0
	s_cmp_eq_u32 s68, 2
	s_wait_alu 0xfffe
	v_cndmask_b32_e32 v3, v9, v11, vcc_lo
	s_cselect_b32 s6, -1, 0
	s_cmp_eq_u32 s68, 3
	v_cndmask_b32_e32 v59, v8, v10, vcc_lo
	s_cselect_b32 s7, -1, 0
	s_add_co_i32 s74, s66, s68
	s_add_co_i32 s76, s64, s68
	s_wait_alu 0xfffe
	s_ashr_i32 s75, s74, 31
	s_add_co_i32 s78, s62, s68
	s_ashr_i32 s77, s76, 31
	s_wait_alu 0xfffe
	s_lshl_b64 s[74:75], s[74:75], 3
	v_cndmask_b32_e64 v7, v3, v13, s6
	s_ashr_i32 s79, s78, 31
	s_lshl_b64 s[76:77], s[76:77], 3
	s_wait_alu 0xfffe
	v_add_co_u32 v3, s8, v47, s74
	s_lshl_b64 s[78:79], s[78:79], 3
	v_add_co_ci_u32_e64 v4, null, s75, v48, s8
	v_add_co_u32 v5, s8, v47, s76
	s_wait_alu 0xf1ff
	v_add_co_ci_u32_e64 v6, null, s77, v48, s8
	s_wait_alu 0xfffe
	v_add_co_u32 v55, s8, v47, s78
	s_wait_alu 0xf1ff
	v_add_co_ci_u32_e64 v56, null, s79, v48, s8
	global_load_b64 v[57:58], v[1:2], off
	s_clause 0x2
	global_load_b64 v[3:4], v[3:4], off
	global_load_b64 v[5:6], v[5:6], off
	;; [unrolled: 1-line block ×3, first 2 shown]
	v_cndmask_b32_e64 v59, v59, v12, s6
	v_cndmask_b32_e64 v60, v7, v15, s7
	v_add_co_u32 v1, vcc_lo, v1, 8
	s_wait_alu 0xfffd
	v_add_co_ci_u32_e64 v2, null, 0, v2, vcc_lo
	v_cndmask_b32_e64 v59, v59, v14, s7
	s_add_nc_u64 s[68:69], s[68:69], 1
	s_wait_alu 0xfffe
	s_cmp_lg_u32 s71, s68
	s_wait_loadcnt 0x3
	v_fma_f64 v[16:17], v[59:60], v[57:58], v[16:17]
	s_wait_loadcnt 0x2
	v_fma_f64 v[18:19], v[59:60], v[3:4], v[18:19]
	;; [unrolled: 2-line block ×4, first 2 shown]
	s_cbranch_scc1 .LBB92_21
	s_branch .LBB92_23
.LBB92_22:                              ;   in Loop: Header=BB92_12 Depth=2
	v_mov_b32_e32 v7, v0
	v_dual_mov_b32 v1, v0 :: v_dual_mov_b32 v2, v0
	v_dual_mov_b32 v3, v0 :: v_dual_mov_b32 v4, v0
	;; [unrolled: 1-line block ×3, first 2 shown]
	s_delay_alu instid0(VALU_DEP_4) | instskip(NEXT) | instid1(VALU_DEP_3)
	v_mov_b32_e32 v23, v7
	v_dual_mov_b32 v19, v3 :: v_dual_mov_b32 v18, v2
	s_delay_alu instid0(VALU_DEP_3) | instskip(NEXT) | instid1(VALU_DEP_4)
	v_dual_mov_b32 v21, v5 :: v_dual_mov_b32 v20, v4
	v_dual_mov_b32 v22, v6 :: v_dual_mov_b32 v17, v1
	v_mov_b32_e32 v16, v0
.LBB92_23:                              ;   in Loop: Header=BB92_12 Depth=2
	s_wait_alu 0xfffe
	s_or_b32 exec_lo, exec_lo, s34
.LBB92_24:                              ;   in Loop: Header=BB92_12 Depth=2
	s_delay_alu instid0(SALU_CYCLE_1)
	s_or_b32 exec_lo, exec_lo, s25
	s_mov_b64 s[6:7], 0
	s_branch .LBB92_26
.LBB92_25:                              ;   in Loop: Header=BB92_26 Depth=3
	s_wait_alu 0xfffe
	s_or_b32 exec_lo, exec_lo, s8
	s_cmp_eq_u32 s6, 3
	s_cselect_b32 vcc_lo, -1, 0
	s_cmp_eq_u32 s6, 2
	s_wait_dscnt 0x0
	s_wait_alu 0xfffe
	s_delay_alu instid0(VALU_DEP_1)
	v_dual_cndmask_b32 v23, v23, v2 :: v_dual_cndmask_b32 v22, v22, v1
	s_cselect_b32 vcc_lo, -1, 0
	s_cmp_eq_u32 s6, 1
	s_wait_alu 0xfffe
	v_dual_cndmask_b32 v21, v21, v2 :: v_dual_cndmask_b32 v20, v20, v1
	s_cselect_b32 vcc_lo, -1, 0
	s_cmp_eq_u32 s6, 0
	s_wait_alu 0xfffe
	v_dual_cndmask_b32 v19, v19, v2 :: v_dual_cndmask_b32 v18, v18, v1
	s_cselect_b32 vcc_lo, -1, 0
	s_add_nc_u64 s[6:7], s[6:7], 1
	s_wait_alu 0xfffe
	v_dual_cndmask_b32 v17, v17, v2 :: v_dual_cndmask_b32 v16, v16, v1
	s_cmp_eq_u32 s6, 4
	s_cbranch_scc1 .LBB92_34
.LBB92_26:                              ;   Parent Loop BB92_3 Depth=1
                                        ;     Parent Loop BB92_12 Depth=2
                                        ; =>    This Inner Loop Header: Depth=3
	s_and_saveexec_b32 s8, s3
; %bb.27:                               ;   in Loop: Header=BB92_26 Depth=3
	v_mov_b32_e32 v1, v0
	ds_store_b64 v43, v[0:1]
; %bb.28:                               ;   in Loop: Header=BB92_26 Depth=3
	s_wait_alu 0xfffe
	s_or_b32 exec_lo, exec_lo, s8
	s_cmp_eq_u32 s6, 1
	s_wait_storecnt_dscnt 0x0
	s_cselect_b32 vcc_lo, -1, 0
	s_cmp_eq_u32 s6, 2
	s_wait_alu 0xfffe
	v_dual_cndmask_b32 v1, v17, v19 :: v_dual_cndmask_b32 v2, v16, v18
	s_cselect_b32 vcc_lo, -1, 0
	s_cmp_eq_u32 s6, 3
	s_barrier_signal -1
	s_wait_alu 0xfffe
	v_cndmask_b32_e32 v1, v1, v21, vcc_lo
	v_cndmask_b32_e32 v3, v2, v20, vcc_lo
	s_cselect_b32 vcc_lo, -1, 0
	s_barrier_wait -1
	global_inv scope:SCOPE_SE
	s_wait_alu 0xfffe
	v_dual_cndmask_b32 v2, v1, v23 :: v_dual_cndmask_b32 v1, v3, v22
	ds_bpermute_b32 v4, v46, v2
	ds_bpermute_b32 v3, v46, v1
	s_wait_dscnt 0x0
	v_add_f64_e32 v[1:2], v[1:2], v[3:4]
	ds_bpermute_b32 v3, v49, v1
	ds_bpermute_b32 v4, v49, v2
	s_wait_dscnt 0x0
	v_add_f64_e32 v[1:2], v[1:2], v[3:4]
	;; [unrolled: 4-line block ×4, first 2 shown]
	ds_bpermute_b32 v3, v52, v1
	ds_bpermute_b32 v4, v52, v2
	s_and_saveexec_b32 s8, s4
	s_cbranch_execz .LBB92_30
; %bb.29:                               ;   in Loop: Header=BB92_26 Depth=3
	s_wait_dscnt 0x0
	v_add_f64_e32 v[1:2], v[1:2], v[3:4]
	ds_store_b64 v44, v[1:2]
.LBB92_30:                              ;   in Loop: Header=BB92_26 Depth=3
	s_wait_alu 0xfffe
	s_or_b32 exec_lo, exec_lo, s8
	v_mov_b32_e32 v1, 0
	v_mov_b32_e32 v2, 0
	s_wait_loadcnt_dscnt 0x0
	s_barrier_signal -1
	s_barrier_wait -1
	global_inv scope:SCOPE_SE
	s_and_saveexec_b32 s8, s5
; %bb.31:                               ;   in Loop: Header=BB92_26 Depth=3
	ds_load_b64 v[1:2], v43
; %bb.32:                               ;   in Loop: Header=BB92_26 Depth=3
	s_wait_alu 0xfffe
	s_or_b32 exec_lo, exec_lo, s8
	s_and_saveexec_b32 s8, s3
	s_cbranch_execz .LBB92_25
; %bb.33:                               ;   in Loop: Header=BB92_26 Depth=3
	s_wait_dscnt 0x0
	ds_bpermute_b32 v3, v50, v1
	ds_bpermute_b32 v4, v50, v2
	s_wait_dscnt 0x0
	v_add_f64_e32 v[1:2], v[1:2], v[3:4]
	ds_bpermute_b32 v3, v51, v1
	ds_bpermute_b32 v4, v51, v2
	s_wait_dscnt 0x0
	v_add_f64_e32 v[1:2], v[1:2], v[3:4]
	;; [unrolled: 4-line block ×3, first 2 shown]
	s_branch .LBB92_25
.LBB92_34:                              ;   in Loop: Header=BB92_12 Depth=2
	s_and_saveexec_b32 s6, s0
	s_cbranch_execz .LBB92_11
; %bb.35:                               ;   in Loop: Header=BB92_12 Depth=2
	v_mul_f64_e32 v[1:2], s[14:15], v[16:17]
	v_mul_f64_e32 v[3:4], s[14:15], v[18:19]
	;; [unrolled: 1-line block ×4, first 2 shown]
	s_mul_i32 s7, s9, s28
	s_wait_alu 0xfffe
	s_add_co_i32 s34, s7, s26
	s_wait_alu 0xfffe
	s_lshl_b64 s[68:69], s[34:35], 3
	s_add_co_i32 s34, s34, s28
	s_wait_alu 0xfffe
	s_add_nc_u64 s[68:69], s[58:59], s[68:69]
	s_lshl_b64 s[74:75], s[34:35], 3
	s_add_co_i32 s34, s34, s28
	s_wait_alu 0xfffe
	s_add_nc_u64 s[74:75], s[58:59], s[74:75]
	;; [unrolled: 4-line block ×3, first 2 shown]
	s_lshl_b64 s[78:79], s[34:35], 3
	s_wait_alu 0xfffe
	s_add_nc_u64 s[78:79], s[58:59], s[78:79]
	s_clause 0x3
	global_store_b64 v0, v[1:2], s[68:69]
	global_store_b64 v0, v[3:4], s[74:75]
	;; [unrolled: 1-line block ×4, first 2 shown]
	s_branch .LBB92_11
.LBB92_36:                              ;   in Loop: Header=BB92_3 Depth=1
	v_mov_b32_e32 v7, v0
	v_dual_mov_b32 v1, v0 :: v_dual_mov_b32 v2, v0
	v_dual_mov_b32 v3, v0 :: v_dual_mov_b32 v4, v0
	;; [unrolled: 1-line block ×3, first 2 shown]
	s_delay_alu instid0(VALU_DEP_4) | instskip(NEXT) | instid1(VALU_DEP_3)
	v_mov_b32_e32 v15, v7
	v_dual_mov_b32 v11, v3 :: v_dual_mov_b32 v10, v2
	s_delay_alu instid0(VALU_DEP_3) | instskip(NEXT) | instid1(VALU_DEP_4)
	v_dual_mov_b32 v13, v5 :: v_dual_mov_b32 v12, v4
	v_dual_mov_b32 v14, v6 :: v_dual_mov_b32 v9, v1
	v_mov_b32_e32 v8, v0
	s_mov_b32 s9, 0
.LBB92_37:                              ;   in Loop: Header=BB92_3 Depth=1
	s_wait_alu 0xfffe
	s_cmp_ge_i32 s9, s13
	s_cbranch_scc1 .LBB92_2
; %bb.38:                               ;   in Loop: Header=BB92_3 Depth=1
	v_cmp_gt_u32_e32 vcc_lo, 24, v45
	s_mov_b32 s34, s9
	s_wait_alu 0xfffd
	v_cndmask_b32_e64 v1, 0, 8, vcc_lo
	v_cmp_gt_u32_e32 vcc_lo, 28, v45
	s_delay_alu instid0(VALU_DEP_2) | instskip(SKIP_3) | instid1(VALU_DEP_2)
	v_add_lshl_u32 v22, v1, v45, 2
	s_wait_alu 0xfffd
	v_cndmask_b32_e64 v2, 0, 4, vcc_lo
	v_cmp_gt_u32_e32 vcc_lo, 30, v45
	v_add_lshl_u32 v23, v2, v45, 2
	s_wait_alu 0xfffd
	v_cndmask_b32_e64 v3, 0, 2, vcc_lo
	v_cmp_ne_u32_e32 vcc_lo, 31, v45
	s_delay_alu instid0(VALU_DEP_2)
	v_add_lshl_u32 v33, v3, v45, 2
	s_wait_alu 0xfffd
	v_add_co_ci_u32_e64 v4, null, 0, v45, vcc_lo
	v_add_co_u32 v2, vcc_lo, s54, v25
	s_wait_alu 0xfffd
	v_add_co_ci_u32_e64 v3, null, s55, v26, vcc_lo
	s_delay_alu instid0(VALU_DEP_3)
	v_lshlrev_b32_e32 v34, 2, v4
	v_add_co_u32 v4, vcc_lo, s54, v27
	s_wait_alu 0xfffd
	v_add_co_ci_u32_e64 v5, null, s55, v28, vcc_lo
	v_add_co_u32 v6, vcc_lo, s54, v29
	s_wait_alu 0xfffd
	v_add_co_ci_u32_e64 v7, null, s55, v30, vcc_lo
	;; [unrolled: 3-line block ×4, first 2 shown]
	s_add_nc_u64 s[56:57], s[58:59], s[38:39]
	s_mul_i32 s58, s30, s9
	s_branch .LBB92_40
.LBB92_39:                              ;   in Loop: Header=BB92_40 Depth=2
	s_wait_alu 0xfffe
	s_or_b32 exec_lo, exec_lo, s6
	s_add_co_i32 s34, s34, 1
	s_add_co_i32 s58, s58, s30
	s_wait_alu 0xfffe
	s_cmp_ge_i32 s34, s13
	s_cbranch_scc1 .LBB92_2
.LBB92_40:                              ;   Parent Loop BB92_3 Depth=1
                                        ; =>  This Loop Header: Depth=2
                                        ;       Child Loop BB92_53 Depth 3
                                        ;       Child Loop BB92_56 Depth 3
	s_wait_dscnt 0x0
	v_dual_mov_b32 v18, s35 :: v_dual_mov_b32 v19, s35
	s_and_saveexec_b32 s6, s1
	s_wait_alu 0xfffe
	s_xor_b32 s6, exec_lo, s6
	s_cbranch_execnz .LBB92_49
; %bb.41:                               ;   in Loop: Header=BB92_40 Depth=2
	s_wait_alu 0xfffe
	s_and_not1_saveexec_b32 s9, s6
	s_cbranch_execnz .LBB92_50
.LBB92_42:                              ;   in Loop: Header=BB92_40 Depth=2
	s_wait_alu 0xfffe
	s_or_b32 exec_lo, exec_lo, s9
	s_and_saveexec_b32 s6, s3
.LBB92_43:                              ;   in Loop: Header=BB92_40 Depth=2
	v_mov_b32_e32 v1, v0
	ds_store_b64 v43, v[0:1]
.LBB92_44:                              ;   in Loop: Header=BB92_40 Depth=2
	s_wait_alu 0xfffe
	s_or_b32 exec_lo, exec_lo, s6
	ds_bpermute_b32 v20, v46, v18
	ds_bpermute_b32 v21, v46, v19
	s_wait_storecnt 0x0
	s_wait_loadcnt_dscnt 0x0
	s_barrier_signal -1
	s_barrier_wait -1
	global_inv scope:SCOPE_SE
	v_add_f64_e32 v[18:19], v[18:19], v[20:21]
	ds_bpermute_b32 v20, v22, v18
	ds_bpermute_b32 v21, v22, v19
	s_wait_dscnt 0x0
	v_add_f64_e32 v[18:19], v[18:19], v[20:21]
	ds_bpermute_b32 v20, v23, v18
	ds_bpermute_b32 v21, v23, v19
	s_wait_dscnt 0x0
	;; [unrolled: 4-line block ×3, first 2 shown]
	v_add_f64_e32 v[18:19], v[18:19], v[20:21]
	ds_bpermute_b32 v20, v34, v18
	ds_bpermute_b32 v21, v34, v19
	s_and_saveexec_b32 s6, s4
	s_cbranch_execz .LBB92_46
; %bb.45:                               ;   in Loop: Header=BB92_40 Depth=2
	s_wait_dscnt 0x0
	v_add_f64_e32 v[18:19], v[18:19], v[20:21]
	ds_store_b64 v44, v[18:19]
.LBB92_46:                              ;   in Loop: Header=BB92_40 Depth=2
	s_wait_alu 0xfffe
	s_or_b32 exec_lo, exec_lo, s6
	v_mov_b32_e32 v18, 0
	v_mov_b32_e32 v19, 0
	s_wait_loadcnt_dscnt 0x0
	s_barrier_signal -1
	s_barrier_wait -1
	global_inv scope:SCOPE_SE
	s_and_saveexec_b32 s6, s5
	s_cbranch_execnz .LBB92_58
; %bb.47:                               ;   in Loop: Header=BB92_40 Depth=2
	s_wait_alu 0xfffe
	s_or_b32 exec_lo, exec_lo, s6
	s_and_saveexec_b32 s6, s3
	s_cbranch_execnz .LBB92_59
.LBB92_48:                              ;   in Loop: Header=BB92_40 Depth=2
	s_wait_alu 0xfffe
	s_or_b32 exec_lo, exec_lo, s6
	s_and_saveexec_b32 s6, s0
	s_cbranch_execz .LBB92_39
	s_branch .LBB92_60
.LBB92_49:                              ;   in Loop: Header=BB92_40 Depth=2
	s_mul_i32 s8, s34, s30
	s_wait_alu 0xfffe
	s_ashr_i32 s9, s8, 31
	s_wait_alu 0xfffe
	s_lshl_b64 s[8:9], s[8:9], 3
	s_wait_alu 0xfffe
	v_add_co_u32 v12, vcc_lo, v47, s8
	s_wait_alu 0xfffd
	v_add_co_ci_u32_e64 v13, null, s9, v48, vcc_lo
	global_load_b128 v[18:21], v[12:13], off
	s_clause 0x1
	global_load_b64 v[8:9], v[2:3], off
	global_load_b64 v[10:11], v[4:5], off
	global_load_b128 v[37:40], v[12:13], off offset:16
	s_clause 0x1
	global_load_b64 v[12:13], v[6:7], off
	global_load_b64 v[14:15], v[16:17], off
	s_wait_loadcnt 0x4
	v_fma_f64 v[18:19], v[8:9], v[18:19], 0
	s_wait_loadcnt 0x3
	s_delay_alu instid0(VALU_DEP_1) | instskip(SKIP_1) | instid1(VALU_DEP_1)
	v_fma_f64 v[18:19], v[10:11], v[20:21], v[18:19]
	s_wait_loadcnt 0x1
	v_fma_f64 v[18:19], v[12:13], v[37:38], v[18:19]
	s_wait_loadcnt 0x0
	s_delay_alu instid0(VALU_DEP_1)
	v_fma_f64 v[18:19], v[14:15], v[39:40], v[18:19]
	s_and_not1_saveexec_b32 s9, s6
	s_cbranch_execz .LBB92_42
.LBB92_50:                              ;   in Loop: Header=BB92_40 Depth=2
	s_and_saveexec_b32 s25, s2
	s_cbranch_execz .LBB92_57
; %bb.51:                               ;   in Loop: Header=BB92_40 Depth=2
	s_and_not1_b32 vcc_lo, exec_lo, s12
	s_wait_alu 0xfffe
	s_cbranch_vccnz .LBB92_54
; %bb.52:                               ;   in Loop: Header=BB92_40 Depth=2
	v_mov_b32_e32 v20, v24
	s_mov_b64 s[60:61], 0
.LBB92_53:                              ;   Parent Loop BB92_3 Depth=1
                                        ;     Parent Loop BB92_40 Depth=2
                                        ; =>    This Inner Loop Header: Depth=3
	s_delay_alu instid0(VALU_DEP_1) | instskip(SKIP_1) | instid1(VALU_DEP_1)
	v_ashrrev_i32_e32 v21, 31, v20
	s_cmp_eq_u32 s60, 3
	v_lshlrev_b64_e32 v[37:38], 3, v[20:21]
	s_delay_alu instid0(VALU_DEP_1) | instskip(SKIP_1) | instid1(VALU_DEP_2)
	v_add_co_u32 v37, vcc_lo, s54, v37
	s_wait_alu 0xfffd
	v_add_co_ci_u32_e64 v38, null, s55, v38, vcc_lo
	s_cselect_b32 vcc_lo, -1, 0
	s_cmp_eq_u32 s60, 2
	s_cselect_b32 s6, -1, 0
	global_load_b64 v[37:38], v[37:38], off
	s_cmp_eq_u32 s60, 1
	v_add_nc_u32_e32 v20, s10, v20
	s_cselect_b32 s7, -1, 0
	s_cmp_eq_u32 s60, 0
	s_add_nc_u64 s[60:61], s[60:61], 1
	s_cselect_b32 s8, -1, 0
	s_cmp_eq_u32 s71, s60
	s_wait_loadcnt 0x0
	s_wait_alu 0xfffe
	v_dual_cndmask_b32 v15, v15, v38 :: v_dual_cndmask_b32 v14, v14, v37
	v_cndmask_b32_e64 v13, v13, v38, s6
	v_cndmask_b32_e64 v12, v12, v37, s6
	;; [unrolled: 1-line block ×6, first 2 shown]
	s_cbranch_scc0 .LBB92_53
.LBB92_54:                              ;   in Loop: Header=BB92_40 Depth=2
	s_and_not1_b32 vcc_lo, exec_lo, s12
	s_wait_alu 0xfffe
	s_cbranch_vccnz .LBB92_57
; %bb.55:                               ;   in Loop: Header=BB92_40 Depth=2
	s_ashr_i32 s59, s58, 31
	s_delay_alu instid0(SALU_CYCLE_1)
	s_lshl_b64 s[6:7], s[58:59], 3
	s_wait_alu 0xfffe
	v_add_co_u32 v20, vcc_lo, v35, s6
	s_wait_alu 0xfffd
	v_add_co_ci_u32_e64 v21, null, s7, v36, vcc_lo
	s_mov_b64 s[6:7], 0
.LBB92_56:                              ;   Parent Loop BB92_3 Depth=1
                                        ;     Parent Loop BB92_40 Depth=2
                                        ; =>    This Inner Loop Header: Depth=3
	global_load_b64 v[37:38], v[20:21], off
	s_wait_alu 0xfffe
	s_cmp_eq_u32 s6, 1
	s_cselect_b32 vcc_lo, -1, 0
	s_cmp_eq_u32 s6, 2
	s_wait_alu 0xfffe
	v_cndmask_b32_e32 v1, v9, v11, vcc_lo
	v_cndmask_b32_e32 v39, v8, v10, vcc_lo
	s_cselect_b32 vcc_lo, -1, 0
	s_cmp_eq_u32 s6, 3
	s_add_nc_u64 s[6:7], s[6:7], 1
	s_wait_alu 0xfffe
	v_cndmask_b32_e32 v1, v1, v13, vcc_lo
	v_cndmask_b32_e32 v39, v39, v12, vcc_lo
	s_cselect_b32 vcc_lo, -1, 0
	s_cmp_lg_u32 s71, s6
	s_wait_alu 0xfffe
	s_delay_alu instid0(VALU_DEP_1)
	v_dual_cndmask_b32 v40, v1, v15 :: v_dual_cndmask_b32 v39, v39, v14
	v_add_co_u32 v20, vcc_lo, v20, 8
	s_wait_alu 0xfffd
	v_add_co_ci_u32_e64 v21, null, 0, v21, vcc_lo
	s_wait_loadcnt 0x0
	v_fma_f64 v[18:19], v[39:40], v[37:38], v[18:19]
	s_cbranch_scc1 .LBB92_56
.LBB92_57:                              ;   in Loop: Header=BB92_40 Depth=2
	s_or_b32 exec_lo, exec_lo, s25
	s_wait_alu 0xfffe
	s_or_b32 exec_lo, exec_lo, s9
	s_and_saveexec_b32 s6, s3
	s_cbranch_execnz .LBB92_43
	s_branch .LBB92_44
.LBB92_58:                              ;   in Loop: Header=BB92_40 Depth=2
	ds_load_b64 v[18:19], v43
	s_wait_alu 0xfffe
	s_or_b32 exec_lo, exec_lo, s6
	s_and_saveexec_b32 s6, s3
	s_cbranch_execz .LBB92_48
.LBB92_59:                              ;   in Loop: Header=BB92_40 Depth=2
	s_wait_dscnt 0x0
	ds_bpermute_b32 v20, v23, v18
	ds_bpermute_b32 v21, v23, v19
	s_wait_dscnt 0x0
	v_add_f64_e32 v[18:19], v[18:19], v[20:21]
	ds_bpermute_b32 v20, v33, v18
	ds_bpermute_b32 v21, v33, v19
	s_wait_dscnt 0x0
	v_add_f64_e32 v[18:19], v[18:19], v[20:21]
	;; [unrolled: 4-line block ×3, first 2 shown]
	s_wait_alu 0xfffe
	s_or_b32 exec_lo, exec_lo, s6
	s_and_saveexec_b32 s6, s0
	s_cbranch_execz .LBB92_39
.LBB92_60:                              ;   in Loop: Header=BB92_40 Depth=2
	s_wait_dscnt 0x0
	s_delay_alu instid0(VALU_DEP_1)
	v_mul_f64_e32 v[18:19], s[14:15], v[18:19]
	s_mul_u64 s[8:9], s[34:35], s[28:29]
	s_wait_alu 0xfffe
	s_lshl_b64 s[8:9], s[8:9], 3
	s_wait_alu 0xfffe
	s_add_nc_u64 s[8:9], s[56:57], s[8:9]
	global_store_b64 v0, v[18:19], s[8:9]
	s_branch .LBB92_39
.LBB92_61:
	s_endpgm
	.section	.rodata,"a",@progbits
	.p2align	6, 0x0
	.amdhsa_kernel _ZL23rocblas_gemvt_sn_kernelILb1ELi256ELi4EidddEviiT4_lPKT3_lilS3_lilPT5_i
		.amdhsa_group_segment_fixed_size 256
		.amdhsa_private_segment_fixed_size 0
		.amdhsa_kernarg_size 360
		.amdhsa_user_sgpr_count 2
		.amdhsa_user_sgpr_dispatch_ptr 0
		.amdhsa_user_sgpr_queue_ptr 0
		.amdhsa_user_sgpr_kernarg_segment_ptr 1
		.amdhsa_user_sgpr_dispatch_id 0
		.amdhsa_user_sgpr_private_segment_size 0
		.amdhsa_wavefront_size32 1
		.amdhsa_uses_dynamic_stack 0
		.amdhsa_enable_private_segment 0
		.amdhsa_system_sgpr_workgroup_id_x 1
		.amdhsa_system_sgpr_workgroup_id_y 0
		.amdhsa_system_sgpr_workgroup_id_z 1
		.amdhsa_system_sgpr_workgroup_info 0
		.amdhsa_system_vgpr_workitem_id 0
		.amdhsa_next_free_vgpr 75
		.amdhsa_next_free_sgpr 80
		.amdhsa_reserve_vcc 1
		.amdhsa_float_round_mode_32 0
		.amdhsa_float_round_mode_16_64 0
		.amdhsa_float_denorm_mode_32 3
		.amdhsa_float_denorm_mode_16_64 3
		.amdhsa_fp16_overflow 0
		.amdhsa_workgroup_processor_mode 1
		.amdhsa_memory_ordered 1
		.amdhsa_forward_progress 1
		.amdhsa_inst_pref_size 34
		.amdhsa_round_robin_scheduling 0
		.amdhsa_exception_fp_ieee_invalid_op 0
		.amdhsa_exception_fp_denorm_src 0
		.amdhsa_exception_fp_ieee_div_zero 0
		.amdhsa_exception_fp_ieee_overflow 0
		.amdhsa_exception_fp_ieee_underflow 0
		.amdhsa_exception_fp_ieee_inexact 0
		.amdhsa_exception_int_div_zero 0
	.end_amdhsa_kernel
	.section	.text._ZL23rocblas_gemvt_sn_kernelILb1ELi256ELi4EidddEviiT4_lPKT3_lilS3_lilPT5_i,"axG",@progbits,_ZL23rocblas_gemvt_sn_kernelILb1ELi256ELi4EidddEviiT4_lPKT3_lilS3_lilPT5_i,comdat
.Lfunc_end92:
	.size	_ZL23rocblas_gemvt_sn_kernelILb1ELi256ELi4EidddEviiT4_lPKT3_lilS3_lilPT5_i, .Lfunc_end92-_ZL23rocblas_gemvt_sn_kernelILb1ELi256ELi4EidddEviiT4_lPKT3_lilS3_lilPT5_i
                                        ; -- End function
	.set _ZL23rocblas_gemvt_sn_kernelILb1ELi256ELi4EidddEviiT4_lPKT3_lilS3_lilPT5_i.num_vgpr, 75
	.set _ZL23rocblas_gemvt_sn_kernelILb1ELi256ELi4EidddEviiT4_lPKT3_lilS3_lilPT5_i.num_agpr, 0
	.set _ZL23rocblas_gemvt_sn_kernelILb1ELi256ELi4EidddEviiT4_lPKT3_lilS3_lilPT5_i.numbered_sgpr, 80
	.set _ZL23rocblas_gemvt_sn_kernelILb1ELi256ELi4EidddEviiT4_lPKT3_lilS3_lilPT5_i.num_named_barrier, 0
	.set _ZL23rocblas_gemvt_sn_kernelILb1ELi256ELi4EidddEviiT4_lPKT3_lilS3_lilPT5_i.private_seg_size, 0
	.set _ZL23rocblas_gemvt_sn_kernelILb1ELi256ELi4EidddEviiT4_lPKT3_lilS3_lilPT5_i.uses_vcc, 1
	.set _ZL23rocblas_gemvt_sn_kernelILb1ELi256ELi4EidddEviiT4_lPKT3_lilS3_lilPT5_i.uses_flat_scratch, 0
	.set _ZL23rocblas_gemvt_sn_kernelILb1ELi256ELi4EidddEviiT4_lPKT3_lilS3_lilPT5_i.has_dyn_sized_stack, 0
	.set _ZL23rocblas_gemvt_sn_kernelILb1ELi256ELi4EidddEviiT4_lPKT3_lilS3_lilPT5_i.has_recursion, 0
	.set _ZL23rocblas_gemvt_sn_kernelILb1ELi256ELi4EidddEviiT4_lPKT3_lilS3_lilPT5_i.has_indirect_call, 0
	.section	.AMDGPU.csdata,"",@progbits
; Kernel info:
; codeLenInByte = 4308
; TotalNumSgprs: 82
; NumVgprs: 75
; ScratchSize: 0
; MemoryBound: 1
; FloatMode: 240
; IeeeMode: 1
; LDSByteSize: 256 bytes/workgroup (compile time only)
; SGPRBlocks: 0
; VGPRBlocks: 9
; NumSGPRsForWavesPerEU: 82
; NumVGPRsForWavesPerEU: 75
; Occupancy: 16
; WaveLimiterHint : 0
; COMPUTE_PGM_RSRC2:SCRATCH_EN: 0
; COMPUTE_PGM_RSRC2:USER_SGPR: 2
; COMPUTE_PGM_RSRC2:TRAP_HANDLER: 0
; COMPUTE_PGM_RSRC2:TGID_X_EN: 1
; COMPUTE_PGM_RSRC2:TGID_Y_EN: 0
; COMPUTE_PGM_RSRC2:TGID_Z_EN: 1
; COMPUTE_PGM_RSRC2:TIDIG_COMP_CNT: 0
	.section	.text._ZL23rocblas_gemvt_sn_kernelILb1ELi256ELi4EldddEviiT4_lPKT3_lilS3_lilPT5_i,"axG",@progbits,_ZL23rocblas_gemvt_sn_kernelILb1ELi256ELi4EldddEviiT4_lPKT3_lilS3_lilPT5_i,comdat
	.globl	_ZL23rocblas_gemvt_sn_kernelILb1ELi256ELi4EldddEviiT4_lPKT3_lilS3_lilPT5_i ; -- Begin function _ZL23rocblas_gemvt_sn_kernelILb1ELi256ELi4EldddEviiT4_lPKT3_lilS3_lilPT5_i
	.p2align	8
	.type	_ZL23rocblas_gemvt_sn_kernelILb1ELi256ELi4EldddEviiT4_lPKT3_lilS3_lilPT5_i,@function
_ZL23rocblas_gemvt_sn_kernelILb1ELi256ELi4EldddEviiT4_lPKT3_lilS3_lilPT5_i: ; @_ZL23rocblas_gemvt_sn_kernelILb1ELi256ELi4EldddEviiT4_lPKT3_lilS3_lilPT5_i
; %bb.0:
	s_load_b32 s33, s[0:1], 0x60
	s_lshr_b32 s10, ttmp7, 16
	s_wait_kmcnt 0x0
	s_cmp_ge_u32 s10, s33
	s_cbranch_scc1 .LBB93_61
; %bb.1:
	s_clause 0x6
	s_load_b32 s26, s[0:1], 0x28
	s_load_b96 s[4:6], s[0:1], 0x40
	s_load_b128 s[36:39], s[0:1], 0x18
	s_load_b128 s[12:15], s[0:1], 0x0
	;; [unrolled: 1-line block ×3, first 2 shown]
	s_load_b32 s28, s[0:1], 0x68
	s_load_b128 s[20:23], s[0:1], 0x50
	v_cmp_eq_u32_e64 s0, 0, v0
	v_mbcnt_lo_u32_b32 v50, -1, 0
	s_mov_b32 s25, 0
	s_mov_b32 s24, ttmp9
	s_mov_b32 s29, s25
	s_delay_alu instid0(VALU_DEP_1)
	v_lshl_or_b32 v51, v50, 2, 64
	s_wait_kmcnt 0x0
	s_ashr_i32 s27, s26, 31
	s_ashr_i32 s9, s6, 31
	s_lshl_b64 s[2:3], s[4:5], 3
	s_lshl_b64 s[4:5], s[38:39], 3
	s_ashr_i32 s35, s13, 31
	s_cmp_gt_i32 s13, 0
	s_add_nc_u64 s[18:19], s[18:19], s[2:3]
	s_cselect_b32 s1, -1, 0
	s_lshl_b32 s7, ttmp9, 10
	s_add_nc_u64 s[2:3], s[36:37], s[4:5]
	v_lshl_or_b32 v1, v0, 2, s7
	s_lshr_b32 s4, s35, 30
	s_ashr_i32 s5, s12, 31
	s_and_b32 s64, s0, s1
	s_add_co_i32 s1, s13, s4
	v_ashrrev_i32_e32 v2, 31, v1
	s_lshr_b32 s4, s5, 30
	s_and_b32 s65, s1, -4
	s_add_co_i32 s1, s12, s4
	v_cmp_eq_f64_e64 s68, s[14:15], 0
	v_lshlrev_b64_e32 v[2:3], 3, v[1:2]
	s_and_b32 s1, s1, -4
	v_add_nc_u32_e32 v4, 4, v1
	s_sub_co_i32 s66, s12, s1
	v_cmp_gt_u32_e64 s5, 8, v0
	v_or_b32_e32 v6, 2, v1
	v_add_co_u32 v46, vcc_lo, s2, v2
	v_add_nc_u32_e32 v2, s66, v1
	v_add_co_ci_u32_e64 v47, null, s3, v3, vcc_lo
	v_and_b32_e32 v3, 31, v0
	v_cmp_gt_u32_e64 s3, 32, v0
	s_delay_alu instid0(VALU_DEP_4)
	v_cmp_ge_i32_e64 s2, s12, v2
	v_lshrrev_b32_e32 v2, 2, v0
	v_or_b32_e32 v0, 1, v1
	v_cmp_eq_u32_e64 s4, 0, v3
	v_lshlrev_b32_e32 v48, 3, v3
	v_cmp_ge_i32_e64 s1, s12, v4
	v_and_b32_e32 v49, 56, v2
	v_mad_co_i64_i32 v[2:3], null, s6, v1, 0
	v_mad_co_i64_i32 v[4:5], null, s6, v0, 0
	v_or_b32_e32 v0, 3, v1
	v_mad_co_i64_i32 v[6:7], null, s6, v6, 0
	s_cmp_gt_i32 s65, 0
	v_lshlrev_b64_e32 v[24:25], 3, v[2:3]
	v_mad_co_i64_i32 v[1:2], null, s6, v0, 0
	s_mov_b32 s34, s13
	s_cselect_b32 s67, -1, 0
	s_cmp_gt_i32 s66, 0
	v_add_co_u32 v26, vcc_lo, s18, v24
	v_lshlrev_b64_e32 v[28:29], 3, v[4:5]
	v_lshlrev_b64_e32 v[30:31], 3, v[6:7]
	;; [unrolled: 1-line block ×3, first 2 shown]
	s_wait_alu 0xfffd
	v_add_co_ci_u32_e64 v27, null, s19, v25, vcc_lo
	v_mov_b32_e32 v0, 0
	s_mov_b32 s8, s6
	s_mul_u64 s[30:31], s[34:35], s[28:29]
	s_cselect_b32 s12, -1, 0
	s_lshl_b64 s[34:35], s[24:25], 3
	s_lshl_b64 s[38:39], s[30:31], 3
	s_add_nc_u64 s[36:37], s[22:23], s[34:35]
	s_lshl_b64 s[40:41], s[28:29], 3
	s_lshl_b64 s[42:43], s[20:21], 3
	;; [unrolled: 1-line block ×4, first 2 shown]
	s_mul_u64 s[48:49], s[26:27], 24
	s_lshl_b64 s[50:51], s[26:27], 5
	s_lshl_b64 s[52:53], s[26:27], 3
	s_lshl_b64 s[54:55], s[26:27], 4
	s_branch .LBB93_3
.LBB93_2:                               ;   in Loop: Header=BB93_3 Depth=1
	s_add_co_i32 s10, s10, 0x10000
	s_wait_alu 0xfffe
	s_cmp_lt_u32 s10, s33
	s_cbranch_scc0 .LBB93_61
.LBB93_3:                               ; =>This Loop Header: Depth=1
                                        ;     Child Loop BB93_6 Depth 2
                                        ;     Child Loop BB93_12 Depth 2
                                        ;       Child Loop BB93_18 Depth 3
                                        ;       Child Loop BB93_21 Depth 3
	;; [unrolled: 1-line block ×3, first 2 shown]
                                        ;     Child Loop BB93_40 Depth 2
                                        ;       Child Loop BB93_53 Depth 3
                                        ;       Child Loop BB93_56 Depth 3
	s_mov_b32 s11, s25
	s_and_not1_b32 vcc_lo, exec_lo, s68
	s_mov_b32 s6, -1
	s_wait_alu 0xfffe
	s_cbranch_vccnz .LBB93_8
; %bb.4:                                ;   in Loop: Header=BB93_3 Depth=1
	s_and_saveexec_b32 s8, s64
	s_cbranch_execz .LBB93_7
; %bb.5:                                ;   in Loop: Header=BB93_3 Depth=1
	s_mul_u64 s[6:7], s[38:39], s[10:11]
	s_mov_b32 s9, s13
	s_wait_alu 0xfffe
	s_add_nc_u64 s[6:7], s[36:37], s[6:7]
.LBB93_6:                               ;   Parent Loop BB93_3 Depth=1
                                        ; =>  This Inner Loop Header: Depth=2
	v_mov_b32_e32 v1, v0
	s_add_co_i32 s9, s9, -1
	s_wait_alu 0xfffe
	s_cmp_eq_u32 s9, 0
	global_store_b64 v0, v[0:1], s[6:7]
	s_add_nc_u64 s[6:7], s[6:7], s[40:41]
	s_cbranch_scc0 .LBB93_6
.LBB93_7:                               ;   in Loop: Header=BB93_3 Depth=1
	s_wait_alu 0xfffe
	s_or_b32 exec_lo, exec_lo, s8
	s_mov_b32 s6, 0
.LBB93_8:                               ;   in Loop: Header=BB93_3 Depth=1
	s_wait_alu 0xfffe
	s_and_not1_b32 vcc_lo, exec_lo, s6
	s_wait_alu 0xfffe
	s_cbranch_vccnz .LBB93_2
; %bb.9:                                ;   in Loop: Header=BB93_3 Depth=1
	v_mad_co_u64_u32 v[34:35], null, s42, s10, v[26:27]
	s_mul_u64 s[62:63], s[16:17], s[10:11]
	s_mul_u64 s[56:57], s[20:21], s[10:11]
	s_wait_alu 0xfffe
	s_lshl_b64 s[62:63], s[62:63], 3
	s_mul_u64 s[60:61], s[30:31], s[10:11]
	s_wait_alu 0xfffe
	v_add_co_u32 v52, vcc_lo, v46, s62
	v_mov_b32_e32 v1, v35
	s_lshl_b64 s[56:57], s[56:57], 3
	s_lshl_b64 s[70:71], s[60:61], 3
	v_cmp_gt_u32_e64 s7, 24, v50
	v_cmp_gt_u32_e64 s8, 28, v50
	v_mad_co_u64_u32 v[1:2], null, s43, s10, v[1:2]
	v_cmp_gt_u32_e64 s6, 30, v50
	s_wait_alu 0xfffd
	v_add_co_ci_u32_e64 v53, null, s63, v47, vcc_lo
	v_cmp_ne_u32_e64 s9, 31, v50
	s_add_nc_u64 s[60:61], s[18:19], s[56:57]
	s_add_nc_u64 s[56:57], s[22:23], s[70:71]
	v_mov_b32_e32 v35, v1
	s_mul_u64 s[58:59], s[46:47], s[10:11]
	s_and_not1_b32 vcc_lo, exec_lo, s67
	s_add_nc_u64 s[56:57], s[56:57], s[34:35]
	s_wait_alu 0xfffe
	s_cbranch_vccnz .LBB93_36
; %bb.10:                               ;   in Loop: Header=BB93_3 Depth=1
	v_cndmask_b32_e64 v1, 0, 8, s7
	v_cndmask_b32_e64 v2, 0, 4, s8
	;; [unrolled: 1-line block ×3, first 2 shown]
	v_add_co_ci_u32_e64 v4, null, 0, v50, s9
	v_add_co_u32 v36, vcc_lo, v46, s58
	s_wait_alu 0xfffd
	v_add_co_ci_u32_e64 v37, null, s59, v47, vcc_lo
	v_add_co_u32 v38, vcc_lo, s60, v24
	s_wait_alu 0xfffd
	v_add_co_ci_u32_e64 v39, null, s61, v25, vcc_lo
	v_add_co_u32 v40, vcc_lo, s60, v28
	v_mov_b32_e32 v7, v0
	v_add_lshl_u32 v54, v1, v50, 2
	v_add_lshl_u32 v55, v2, v50, 2
	;; [unrolled: 1-line block ×3, first 2 shown]
	v_dual_mov_b32 v2, v0 :: v_dual_lshlrev_b32 v57, 2, v4
	v_dual_mov_b32 v1, v0 :: v_dual_mov_b32 v4, v0
	v_dual_mov_b32 v3, v0 :: v_dual_mov_b32 v6, v0
	v_mov_b32_e32 v5, v0
	s_wait_alu 0xfffd
	v_add_co_ci_u32_e64 v41, null, s61, v29, vcc_lo
	v_add_co_u32 v42, vcc_lo, s60, v30
	s_wait_alu 0xfffd
	v_add_co_ci_u32_e64 v43, null, s61, v31, vcc_lo
	v_add_co_u32 v44, vcc_lo, s60, v32
	v_dual_mov_b32 v15, v7 :: v_dual_mov_b32 v14, v6
	s_wait_alu 0xfffd
	v_add_co_ci_u32_e64 v45, null, s61, v33, vcc_lo
	v_dual_mov_b32 v13, v5 :: v_dual_mov_b32 v12, v4
	v_dual_mov_b32 v11, v3 :: v_dual_mov_b32 v10, v2
	;; [unrolled: 1-line block ×3, first 2 shown]
	s_mov_b32 s24, 0
	s_branch .LBB93_12
.LBB93_11:                              ;   in Loop: Header=BB93_12 Depth=2
	s_wait_alu 0xfffe
	s_or_b32 exec_lo, exec_lo, s6
	v_add_co_u32 v36, vcc_lo, v36, s50
	s_wait_alu 0xfffd
	v_add_co_ci_u32_e64 v37, null, s51, v37, vcc_lo
	s_add_co_i32 s24, s24, 4
	s_wait_alu 0xfffe
	s_cmp_ge_i32 s24, s65
	s_cbranch_scc1 .LBB93_37
.LBB93_12:                              ;   Parent Loop BB93_3 Depth=1
                                        ; =>  This Loop Header: Depth=2
                                        ;       Child Loop BB93_18 Depth 3
                                        ;       Child Loop BB93_21 Depth 3
	;; [unrolled: 1-line block ×3, first 2 shown]
                                        ; implicit-def: $vgpr16_vgpr17_vgpr18_vgpr19_vgpr20_vgpr21_vgpr22_vgpr23
	s_and_saveexec_b32 s6, s1
	s_wait_alu 0xfffe
	s_xor_b32 s6, exec_lo, s6
	s_cbranch_execz .LBB93_14
; %bb.13:                               ;   in Loop: Header=BB93_12 Depth=2
	s_mul_u64 s[8:9], s[24:25], s[26:27]
	s_or_b32 s62, s24, 1
	s_mov_b32 s63, s25
	s_wait_alu 0xfffe
	s_lshl_b64 s[8:9], s[8:9], 3
	s_mul_u64 s[62:63], s[62:63], s[26:27]
	s_wait_alu 0xfffe
	v_add_co_u32 v5, vcc_lo, v52, s8
	s_wait_alu 0xfffd
	v_add_co_ci_u32_e64 v6, null, s9, v53, vcc_lo
	s_lshl_b64 s[8:9], s[62:63], 3
	s_or_b32 s62, s24, 2
	s_mov_b32 s63, s25
	s_wait_alu 0xfffe
	v_add_co_u32 v14, vcc_lo, v52, s8
	s_wait_alu 0xfffd
	v_add_co_ci_u32_e64 v15, null, s9, v53, vcc_lo
	s_mul_u64 s[8:9], s[62:63], s[26:27]
	s_or_b32 s62, s24, 3
	s_wait_alu 0xfffe
	s_lshl_b64 s[8:9], s[8:9], 3
	s_mul_u64 s[62:63], s[62:63], s[26:27]
	s_wait_alu 0xfffe
	v_add_co_u32 v70, vcc_lo, v52, s8
	s_wait_alu 0xfffd
	v_add_co_ci_u32_e64 v71, null, s9, v53, vcc_lo
	s_lshl_b64 s[8:9], s[62:63], 3
	s_wait_alu 0xfffe
	v_add_co_u32 v74, vcc_lo, v52, s8
	s_wait_alu 0xfffd
	v_add_co_ci_u32_e64 v75, null, s9, v53, vcc_lo
	global_load_b64 v[8:9], v[38:39], off
	s_clause 0x1
	global_load_b128 v[1:4], v[5:6], off
	global_load_b128 v[16:19], v[14:15], off
	s_wait_dscnt 0x0
	s_clause 0x1
	global_load_b128 v[20:23], v[70:71], off
	global_load_b128 v[58:61], v[74:75], off
	global_load_b64 v[10:11], v[40:41], off
	global_load_b128 v[62:65], v[5:6], off offset:16
	global_load_b64 v[12:13], v[42:43], off
	s_clause 0x2
	global_load_b128 v[66:69], v[14:15], off offset:16
	global_load_b128 v[70:73], v[70:71], off offset:16
	;; [unrolled: 1-line block ×3, first 2 shown]
	global_load_b64 v[14:15], v[44:45], off
	s_wait_loadcnt 0xa
	v_fma_f64 v[1:2], v[8:9], v[1:2], 0
	s_wait_loadcnt 0x9
	v_fma_f64 v[5:6], v[8:9], v[16:17], 0
	;; [unrolled: 2-line block ×4, first 2 shown]
	s_wait_loadcnt 0x6
	s_delay_alu instid0(VALU_DEP_4) | instskip(NEXT) | instid1(VALU_DEP_4)
	v_fma_f64 v[1:2], v[10:11], v[3:4], v[1:2]
	v_fma_f64 v[3:4], v[10:11], v[18:19], v[5:6]
	s_delay_alu instid0(VALU_DEP_4) | instskip(NEXT) | instid1(VALU_DEP_4)
	v_fma_f64 v[5:6], v[10:11], v[22:23], v[16:17]
	v_fma_f64 v[16:17], v[10:11], v[60:61], v[20:21]
	s_wait_loadcnt 0x4
	s_delay_alu instid0(VALU_DEP_4) | instskip(SKIP_1) | instid1(VALU_DEP_4)
	v_fma_f64 v[1:2], v[12:13], v[62:63], v[1:2]
	s_wait_loadcnt 0x3
	v_fma_f64 v[3:4], v[12:13], v[66:67], v[3:4]
	s_wait_loadcnt 0x2
	s_delay_alu instid0(VALU_DEP_4) | instskip(SKIP_1) | instid1(VALU_DEP_4)
	v_fma_f64 v[5:6], v[12:13], v[70:71], v[5:6]
	s_wait_loadcnt 0x1
	v_fma_f64 v[22:23], v[12:13], v[74:75], v[16:17]
	s_wait_loadcnt 0x0
	s_delay_alu instid0(VALU_DEP_4) | instskip(NEXT) | instid1(VALU_DEP_4)
	v_fma_f64 v[16:17], v[14:15], v[64:65], v[1:2]
	v_fma_f64 v[18:19], v[14:15], v[68:69], v[3:4]
	s_delay_alu instid0(VALU_DEP_4) | instskip(NEXT) | instid1(VALU_DEP_4)
	v_fma_f64 v[20:21], v[14:15], v[72:73], v[5:6]
	v_fma_f64 v[22:23], v[14:15], v[76:77], v[22:23]
.LBB93_14:                              ;   in Loop: Header=BB93_12 Depth=2
	s_wait_alu 0xfffe
	s_and_not1_saveexec_b32 s11, s6
	s_cbranch_execz .LBB93_24
; %bb.15:                               ;   in Loop: Header=BB93_12 Depth=2
	v_mov_b32_e32 v7, v0
	v_dual_mov_b32 v1, v0 :: v_dual_mov_b32 v2, v0
	v_dual_mov_b32 v3, v0 :: v_dual_mov_b32 v4, v0
	;; [unrolled: 1-line block ×3, first 2 shown]
	s_wait_dscnt 0x0
	v_mov_b32_e32 v23, v7
	s_delay_alu instid0(VALU_DEP_3) | instskip(NEXT) | instid1(VALU_DEP_3)
	v_dual_mov_b32 v19, v3 :: v_dual_mov_b32 v18, v2
	v_dual_mov_b32 v21, v5 :: v_dual_mov_b32 v20, v4
	;; [unrolled: 1-line block ×3, first 2 shown]
	v_mov_b32_e32 v16, v0
	s_and_saveexec_b32 s69, s2
	s_cbranch_execz .LBB93_23
; %bb.16:                               ;   in Loop: Header=BB93_12 Depth=2
	s_and_not1_b32 vcc_lo, exec_lo, s12
	s_wait_alu 0xfffe
	s_cbranch_vccnz .LBB93_19
; %bb.17:                               ;   in Loop: Header=BB93_12 Depth=2
	v_dual_mov_b32 v1, v34 :: v_dual_mov_b32 v2, v35
	s_mov_b64 s[62:63], 0
.LBB93_18:                              ;   Parent Loop BB93_3 Depth=1
                                        ;     Parent Loop BB93_12 Depth=2
                                        ; =>    This Inner Loop Header: Depth=3
	global_load_b64 v[3:4], v[1:2], off
	s_wait_alu 0xfffe
	s_cmp_eq_u32 s62, 3
	v_add_co_u32 v1, vcc_lo, v1, s44
	s_wait_alu 0xfffd
	v_add_co_ci_u32_e64 v2, null, s45, v2, vcc_lo
	s_cselect_b32 vcc_lo, -1, 0
	s_cmp_eq_u32 s62, 2
	s_cselect_b32 s6, -1, 0
	s_cmp_eq_u32 s62, 1
	s_cselect_b32 s7, -1, 0
	s_cmp_eq_u32 s62, 0
	s_add_nc_u64 s[62:63], s[62:63], 1
	s_cselect_b32 s8, -1, 0
	s_wait_alu 0xfffe
	s_cmp_eq_u32 s66, s62
	s_wait_loadcnt 0x0
	v_dual_cndmask_b32 v15, v15, v4 :: v_dual_cndmask_b32 v14, v14, v3
	v_cndmask_b32_e64 v13, v13, v4, s6
	v_cndmask_b32_e64 v12, v12, v3, s6
	;; [unrolled: 1-line block ×6, first 2 shown]
	s_cbranch_scc0 .LBB93_18
.LBB93_19:                              ;   in Loop: Header=BB93_12 Depth=2
	s_and_not1_b32 vcc_lo, exec_lo, s12
	s_wait_alu 0xfffe
	s_cbranch_vccnz .LBB93_22
; %bb.20:                               ;   in Loop: Header=BB93_12 Depth=2
	v_mov_b32_e32 v16, 0
	v_dual_mov_b32 v20, 0 :: v_dual_mov_b32 v17, 0
	v_dual_mov_b32 v18, 0 :: v_dual_mov_b32 v21, 0
	;; [unrolled: 1-line block ×3, first 2 shown]
	v_mov_b32_e32 v23, 0
	v_dual_mov_b32 v1, v36 :: v_dual_mov_b32 v2, v37
	s_mov_b64 s[8:9], 0
.LBB93_21:                              ;   Parent Loop BB93_3 Depth=1
                                        ;     Parent Loop BB93_12 Depth=2
                                        ; =>    This Inner Loop Header: Depth=3
	s_delay_alu instid0(VALU_DEP_1) | instskip(SKIP_1) | instid1(VALU_DEP_2)
	v_add_co_u32 v3, vcc_lo, v1, s52
	s_wait_alu 0xfffd
	v_add_co_ci_u32_e64 v4, null, s53, v2, vcc_lo
	v_add_co_u32 v5, vcc_lo, v1, s54
	s_wait_alu 0xfffd
	v_add_co_ci_u32_e64 v6, null, s55, v2, vcc_lo
	;; [unrolled: 3-line block ×3, first 2 shown]
	s_clause 0x3
	global_load_b64 v[60:61], v[1:2], off
	global_load_b64 v[3:4], v[3:4], off
	;; [unrolled: 1-line block ×4, first 2 shown]
	s_wait_alu 0xfffe
	s_cmp_eq_u32 s8, 1
	s_cselect_b32 vcc_lo, -1, 0
	s_cmp_eq_u32 s8, 2
	s_wait_alu 0xfffe
	v_dual_cndmask_b32 v7, v9, v11 :: v_dual_cndmask_b32 v62, v8, v10
	s_cselect_b32 vcc_lo, -1, 0
	s_cmp_eq_u32 s8, 3
	s_add_nc_u64 s[8:9], s[8:9], 1
	s_wait_alu 0xfffe
	v_dual_cndmask_b32 v7, v7, v13 :: v_dual_cndmask_b32 v62, v62, v12
	s_cselect_b32 s6, -1, 0
	v_add_co_u32 v1, vcc_lo, v1, 8
	s_wait_alu 0xfffe
	s_delay_alu instid0(VALU_DEP_2)
	v_cndmask_b32_e64 v63, v7, v15, s6
	v_cndmask_b32_e64 v62, v62, v14, s6
	s_wait_alu 0xfffd
	v_add_co_ci_u32_e64 v2, null, 0, v2, vcc_lo
	s_cmp_lg_u32 s66, s8
	s_wait_loadcnt 0x3
	v_fma_f64 v[16:17], v[62:63], v[60:61], v[16:17]
	s_wait_loadcnt 0x2
	v_fma_f64 v[18:19], v[62:63], v[3:4], v[18:19]
	;; [unrolled: 2-line block ×4, first 2 shown]
	s_cbranch_scc1 .LBB93_21
	s_branch .LBB93_23
.LBB93_22:                              ;   in Loop: Header=BB93_12 Depth=2
	v_mov_b32_e32 v7, v0
	v_dual_mov_b32 v1, v0 :: v_dual_mov_b32 v2, v0
	v_dual_mov_b32 v3, v0 :: v_dual_mov_b32 v4, v0
	;; [unrolled: 1-line block ×3, first 2 shown]
	s_delay_alu instid0(VALU_DEP_4) | instskip(NEXT) | instid1(VALU_DEP_3)
	v_mov_b32_e32 v23, v7
	v_dual_mov_b32 v19, v3 :: v_dual_mov_b32 v18, v2
	s_delay_alu instid0(VALU_DEP_3) | instskip(NEXT) | instid1(VALU_DEP_4)
	v_dual_mov_b32 v21, v5 :: v_dual_mov_b32 v20, v4
	v_dual_mov_b32 v22, v6 :: v_dual_mov_b32 v17, v1
	v_mov_b32_e32 v16, v0
.LBB93_23:                              ;   in Loop: Header=BB93_12 Depth=2
	s_or_b32 exec_lo, exec_lo, s69
.LBB93_24:                              ;   in Loop: Header=BB93_12 Depth=2
	s_wait_alu 0xfffe
	s_or_b32 exec_lo, exec_lo, s11
	s_mov_b64 s[6:7], 0
	s_branch .LBB93_26
.LBB93_25:                              ;   in Loop: Header=BB93_26 Depth=3
	s_wait_alu 0xfffe
	s_or_b32 exec_lo, exec_lo, s8
	s_cmp_eq_u32 s6, 3
	s_cselect_b32 vcc_lo, -1, 0
	s_cmp_eq_u32 s6, 2
	s_wait_dscnt 0x0
	s_wait_alu 0xfffe
	s_delay_alu instid0(VALU_DEP_1)
	v_dual_cndmask_b32 v23, v23, v2 :: v_dual_cndmask_b32 v22, v22, v1
	s_cselect_b32 vcc_lo, -1, 0
	s_cmp_eq_u32 s6, 1
	s_wait_alu 0xfffe
	v_dual_cndmask_b32 v21, v21, v2 :: v_dual_cndmask_b32 v20, v20, v1
	s_cselect_b32 vcc_lo, -1, 0
	s_cmp_eq_u32 s6, 0
	s_wait_alu 0xfffe
	v_dual_cndmask_b32 v19, v19, v2 :: v_dual_cndmask_b32 v18, v18, v1
	s_cselect_b32 vcc_lo, -1, 0
	s_add_nc_u64 s[6:7], s[6:7], 1
	s_wait_alu 0xfffe
	v_dual_cndmask_b32 v17, v17, v2 :: v_dual_cndmask_b32 v16, v16, v1
	s_cmp_eq_u32 s6, 4
	s_cbranch_scc1 .LBB93_34
.LBB93_26:                              ;   Parent Loop BB93_3 Depth=1
                                        ;     Parent Loop BB93_12 Depth=2
                                        ; =>    This Inner Loop Header: Depth=3
	s_and_saveexec_b32 s8, s3
; %bb.27:                               ;   in Loop: Header=BB93_26 Depth=3
	v_mov_b32_e32 v1, v0
	ds_store_b64 v48, v[0:1]
; %bb.28:                               ;   in Loop: Header=BB93_26 Depth=3
	s_wait_alu 0xfffe
	s_or_b32 exec_lo, exec_lo, s8
	s_cmp_eq_u32 s6, 1
	s_wait_storecnt_dscnt 0x0
	s_cselect_b32 vcc_lo, -1, 0
	s_cmp_eq_u32 s6, 2
	s_wait_alu 0xfffe
	v_dual_cndmask_b32 v1, v17, v19 :: v_dual_cndmask_b32 v2, v16, v18
	s_cselect_b32 vcc_lo, -1, 0
	s_cmp_eq_u32 s6, 3
	s_barrier_signal -1
	s_wait_alu 0xfffe
	v_cndmask_b32_e32 v1, v1, v21, vcc_lo
	v_cndmask_b32_e32 v3, v2, v20, vcc_lo
	s_cselect_b32 vcc_lo, -1, 0
	s_barrier_wait -1
	global_inv scope:SCOPE_SE
	s_wait_alu 0xfffe
	v_dual_cndmask_b32 v2, v1, v23 :: v_dual_cndmask_b32 v1, v3, v22
	ds_bpermute_b32 v4, v51, v2
	ds_bpermute_b32 v3, v51, v1
	s_wait_dscnt 0x0
	v_add_f64_e32 v[1:2], v[1:2], v[3:4]
	ds_bpermute_b32 v3, v54, v1
	ds_bpermute_b32 v4, v54, v2
	s_wait_dscnt 0x0
	v_add_f64_e32 v[1:2], v[1:2], v[3:4]
	;; [unrolled: 4-line block ×4, first 2 shown]
	ds_bpermute_b32 v3, v57, v1
	ds_bpermute_b32 v4, v57, v2
	s_and_saveexec_b32 s8, s4
	s_cbranch_execz .LBB93_30
; %bb.29:                               ;   in Loop: Header=BB93_26 Depth=3
	s_wait_dscnt 0x0
	v_add_f64_e32 v[1:2], v[1:2], v[3:4]
	ds_store_b64 v49, v[1:2]
.LBB93_30:                              ;   in Loop: Header=BB93_26 Depth=3
	s_wait_alu 0xfffe
	s_or_b32 exec_lo, exec_lo, s8
	v_mov_b32_e32 v1, 0
	v_mov_b32_e32 v2, 0
	s_wait_loadcnt_dscnt 0x0
	s_barrier_signal -1
	s_barrier_wait -1
	global_inv scope:SCOPE_SE
	s_and_saveexec_b32 s8, s5
; %bb.31:                               ;   in Loop: Header=BB93_26 Depth=3
	ds_load_b64 v[1:2], v48
; %bb.32:                               ;   in Loop: Header=BB93_26 Depth=3
	s_wait_alu 0xfffe
	s_or_b32 exec_lo, exec_lo, s8
	s_and_saveexec_b32 s8, s3
	s_cbranch_execz .LBB93_25
; %bb.33:                               ;   in Loop: Header=BB93_26 Depth=3
	s_wait_dscnt 0x0
	ds_bpermute_b32 v3, v55, v1
	ds_bpermute_b32 v4, v55, v2
	s_wait_dscnt 0x0
	v_add_f64_e32 v[1:2], v[1:2], v[3:4]
	ds_bpermute_b32 v3, v56, v1
	ds_bpermute_b32 v4, v56, v2
	s_wait_dscnt 0x0
	v_add_f64_e32 v[1:2], v[1:2], v[3:4]
	;; [unrolled: 4-line block ×3, first 2 shown]
	s_branch .LBB93_25
.LBB93_34:                              ;   in Loop: Header=BB93_12 Depth=2
	s_and_saveexec_b32 s6, s0
	s_cbranch_execz .LBB93_11
; %bb.35:                               ;   in Loop: Header=BB93_12 Depth=2
	v_mul_f64_e32 v[1:2], s[14:15], v[16:17]
	v_mul_f64_e32 v[3:4], s[14:15], v[18:19]
	v_mul_f64_e32 v[5:6], s[14:15], v[20:21]
	v_mul_f64_e32 v[16:17], s[14:15], v[22:23]
	s_or_b32 s62, s24, 1
	s_mov_b32 s63, s25
	s_mul_u64 s[8:9], s[24:25], s[28:29]
	s_or_b32 s70, s24, 2
	s_mov_b32 s71, s25
	s_or_b32 s72, s24, 3
	s_mov_b32 s73, s25
	s_wait_alu 0xfffe
	s_mul_u64 s[62:63], s[62:63], s[28:29]
	s_mul_u64 s[70:71], s[70:71], s[28:29]
	;; [unrolled: 1-line block ×3, first 2 shown]
	s_lshl_b64 s[8:9], s[8:9], 3
	s_wait_alu 0xfffe
	s_lshl_b64 s[62:63], s[62:63], 3
	s_add_nc_u64 s[8:9], s[56:57], s[8:9]
	s_lshl_b64 s[70:71], s[70:71], 3
	s_lshl_b64 s[72:73], s[72:73], 3
	s_wait_alu 0xfffe
	s_add_nc_u64 s[62:63], s[56:57], s[62:63]
	s_add_nc_u64 s[70:71], s[56:57], s[70:71]
	;; [unrolled: 1-line block ×3, first 2 shown]
	s_clause 0x3
	global_store_b64 v0, v[1:2], s[8:9]
	global_store_b64 v0, v[3:4], s[62:63]
	;; [unrolled: 1-line block ×4, first 2 shown]
	s_branch .LBB93_11
.LBB93_36:                              ;   in Loop: Header=BB93_3 Depth=1
	v_mov_b32_e32 v7, v0
	v_dual_mov_b32 v1, v0 :: v_dual_mov_b32 v2, v0
	v_dual_mov_b32 v3, v0 :: v_dual_mov_b32 v4, v0
	;; [unrolled: 1-line block ×3, first 2 shown]
	s_delay_alu instid0(VALU_DEP_4) | instskip(NEXT) | instid1(VALU_DEP_3)
	v_mov_b32_e32 v15, v7
	v_dual_mov_b32 v11, v3 :: v_dual_mov_b32 v10, v2
	s_delay_alu instid0(VALU_DEP_3) | instskip(NEXT) | instid1(VALU_DEP_4)
	v_dual_mov_b32 v13, v5 :: v_dual_mov_b32 v12, v4
	v_dual_mov_b32 v14, v6 :: v_dual_mov_b32 v9, v1
	v_mov_b32_e32 v8, v0
	s_mov_b32 s24, 0
.LBB93_37:                              ;   in Loop: Header=BB93_3 Depth=1
	s_wait_alu 0xfffe
	s_cmp_ge_i32 s24, s13
	s_cbranch_scc1 .LBB93_2
; %bb.38:                               ;   in Loop: Header=BB93_3 Depth=1
	v_cmp_gt_u32_e32 vcc_lo, 24, v50
	s_mul_u64 s[6:7], s[52:53], s[24:25]
	s_wait_alu 0xfffe
	s_add_nc_u64 s[6:7], s[6:7], s[58:59]
	s_wait_alu 0xfffd
	v_cndmask_b32_e64 v1, 0, 8, vcc_lo
	v_cmp_gt_u32_e32 vcc_lo, 28, v50
	s_delay_alu instid0(VALU_DEP_2) | instskip(SKIP_3) | instid1(VALU_DEP_2)
	v_add_lshl_u32 v36, v1, v50, 2
	s_wait_alu 0xfffd
	v_cndmask_b32_e64 v2, 0, 4, vcc_lo
	v_cmp_gt_u32_e32 vcc_lo, 30, v50
	v_add_lshl_u32 v37, v2, v50, 2
	s_wait_alu 0xfffd
	v_cndmask_b32_e64 v3, 0, 2, vcc_lo
	v_cmp_ne_u32_e32 vcc_lo, 31, v50
	s_delay_alu instid0(VALU_DEP_2)
	v_add_lshl_u32 v38, v3, v50, 2
	s_wait_alu 0xfffd
	v_add_co_ci_u32_e64 v4, null, 0, v50, vcc_lo
	v_add_co_u32 v2, vcc_lo, s60, v24
	s_wait_alu 0xfffd
	v_add_co_ci_u32_e64 v3, null, s61, v25, vcc_lo
	s_delay_alu instid0(VALU_DEP_3)
	v_lshlrev_b32_e32 v39, 2, v4
	v_add_co_u32 v4, vcc_lo, s60, v28
	s_wait_alu 0xfffd
	v_add_co_ci_u32_e64 v5, null, s61, v29, vcc_lo
	v_add_co_u32 v6, vcc_lo, s60, v30
	s_wait_alu 0xfffd
	v_add_co_ci_u32_e64 v7, null, s61, v31, vcc_lo
	;; [unrolled: 3-line block ×3, first 2 shown]
	s_wait_alu 0xfffe
	v_add_co_u32 v18, vcc_lo, v46, s6
	s_wait_alu 0xfffd
	v_add_co_ci_u32_e64 v19, null, s7, v47, vcc_lo
	s_branch .LBB93_40
.LBB93_39:                              ;   in Loop: Header=BB93_40 Depth=2
	s_wait_alu 0xfffe
	s_or_b32 exec_lo, exec_lo, s6
	v_add_co_u32 v18, vcc_lo, v18, s52
	s_wait_alu 0xfffd
	v_add_co_ci_u32_e64 v19, null, s53, v19, vcc_lo
	s_add_co_i32 s24, s24, 1
	s_wait_alu 0xfffe
	s_cmp_ge_i32 s24, s13
	s_cbranch_scc1 .LBB93_2
.LBB93_40:                              ;   Parent Loop BB93_3 Depth=1
                                        ; =>  This Loop Header: Depth=2
                                        ;       Child Loop BB93_53 Depth 3
                                        ;       Child Loop BB93_56 Depth 3
	s_wait_dscnt 0x0
	v_dual_mov_b32 v20, s25 :: v_dual_mov_b32 v21, s25
	s_and_saveexec_b32 s6, s1
	s_wait_alu 0xfffe
	s_xor_b32 s6, exec_lo, s6
	s_cbranch_execnz .LBB93_49
; %bb.41:                               ;   in Loop: Header=BB93_40 Depth=2
	s_wait_alu 0xfffe
	s_and_not1_saveexec_b32 s9, s6
	s_cbranch_execnz .LBB93_50
.LBB93_42:                              ;   in Loop: Header=BB93_40 Depth=2
	s_wait_alu 0xfffe
	s_or_b32 exec_lo, exec_lo, s9
	s_and_saveexec_b32 s6, s3
.LBB93_43:                              ;   in Loop: Header=BB93_40 Depth=2
	v_mov_b32_e32 v1, v0
	ds_store_b64 v48, v[0:1]
.LBB93_44:                              ;   in Loop: Header=BB93_40 Depth=2
	s_wait_alu 0xfffe
	s_or_b32 exec_lo, exec_lo, s6
	ds_bpermute_b32 v22, v51, v20
	ds_bpermute_b32 v23, v51, v21
	s_wait_storecnt 0x0
	s_wait_loadcnt_dscnt 0x0
	s_barrier_signal -1
	s_barrier_wait -1
	global_inv scope:SCOPE_SE
	v_add_f64_e32 v[20:21], v[20:21], v[22:23]
	ds_bpermute_b32 v22, v36, v20
	ds_bpermute_b32 v23, v36, v21
	s_wait_dscnt 0x0
	v_add_f64_e32 v[20:21], v[20:21], v[22:23]
	ds_bpermute_b32 v22, v37, v20
	ds_bpermute_b32 v23, v37, v21
	s_wait_dscnt 0x0
	;; [unrolled: 4-line block ×3, first 2 shown]
	v_add_f64_e32 v[20:21], v[20:21], v[22:23]
	ds_bpermute_b32 v22, v39, v20
	ds_bpermute_b32 v23, v39, v21
	s_and_saveexec_b32 s6, s4
	s_cbranch_execz .LBB93_46
; %bb.45:                               ;   in Loop: Header=BB93_40 Depth=2
	s_wait_dscnt 0x0
	v_add_f64_e32 v[20:21], v[20:21], v[22:23]
	ds_store_b64 v49, v[20:21]
.LBB93_46:                              ;   in Loop: Header=BB93_40 Depth=2
	s_wait_alu 0xfffe
	s_or_b32 exec_lo, exec_lo, s6
	v_mov_b32_e32 v20, 0
	v_mov_b32_e32 v21, 0
	s_wait_loadcnt_dscnt 0x0
	s_barrier_signal -1
	s_barrier_wait -1
	global_inv scope:SCOPE_SE
	s_and_saveexec_b32 s6, s5
	s_cbranch_execnz .LBB93_58
; %bb.47:                               ;   in Loop: Header=BB93_40 Depth=2
	s_wait_alu 0xfffe
	s_or_b32 exec_lo, exec_lo, s6
	s_and_saveexec_b32 s6, s3
	s_cbranch_execnz .LBB93_59
.LBB93_48:                              ;   in Loop: Header=BB93_40 Depth=2
	s_wait_alu 0xfffe
	s_or_b32 exec_lo, exec_lo, s6
	s_and_saveexec_b32 s6, s0
	s_cbranch_execz .LBB93_39
	s_branch .LBB93_60
.LBB93_49:                              ;   in Loop: Header=BB93_40 Depth=2
	s_mul_u64 s[8:9], s[24:25], s[26:27]
	s_wait_alu 0xfffe
	s_lshl_b64 s[8:9], s[8:9], 3
	s_wait_alu 0xfffe
	v_add_co_u32 v12, vcc_lo, v52, s8
	s_wait_alu 0xfffd
	v_add_co_ci_u32_e64 v13, null, s9, v53, vcc_lo
	global_load_b128 v[20:23], v[12:13], off
	s_clause 0x1
	global_load_b64 v[8:9], v[2:3], off
	global_load_b64 v[10:11], v[4:5], off
	global_load_b128 v[40:43], v[12:13], off offset:16
	s_clause 0x1
	global_load_b64 v[12:13], v[6:7], off
	global_load_b64 v[14:15], v[16:17], off
	s_wait_loadcnt 0x4
	v_fma_f64 v[20:21], v[8:9], v[20:21], 0
	s_wait_loadcnt 0x3
	s_delay_alu instid0(VALU_DEP_1) | instskip(SKIP_1) | instid1(VALU_DEP_1)
	v_fma_f64 v[20:21], v[10:11], v[22:23], v[20:21]
	s_wait_loadcnt 0x1
	v_fma_f64 v[20:21], v[12:13], v[40:41], v[20:21]
	s_wait_loadcnt 0x0
	s_delay_alu instid0(VALU_DEP_1)
	v_fma_f64 v[20:21], v[14:15], v[42:43], v[20:21]
	s_and_not1_saveexec_b32 s9, s6
	s_cbranch_execz .LBB93_42
.LBB93_50:                              ;   in Loop: Header=BB93_40 Depth=2
	s_and_saveexec_b32 s11, s2
	s_cbranch_execz .LBB93_57
; %bb.51:                               ;   in Loop: Header=BB93_40 Depth=2
	s_and_not1_b32 vcc_lo, exec_lo, s12
	s_wait_alu 0xfffe
	s_cbranch_vccnz .LBB93_54
; %bb.52:                               ;   in Loop: Header=BB93_40 Depth=2
	v_dual_mov_b32 v22, v34 :: v_dual_mov_b32 v23, v35
	s_mov_b64 s[58:59], 0
.LBB93_53:                              ;   Parent Loop BB93_3 Depth=1
                                        ;     Parent Loop BB93_40 Depth=2
                                        ; =>    This Inner Loop Header: Depth=3
	global_load_b64 v[40:41], v[22:23], off
	s_wait_alu 0xfffe
	s_cmp_eq_u32 s58, 3
	v_add_co_u32 v22, vcc_lo, v22, s44
	s_wait_alu 0xfffd
	v_add_co_ci_u32_e64 v23, null, s45, v23, vcc_lo
	s_cselect_b32 vcc_lo, -1, 0
	s_cmp_eq_u32 s58, 2
	s_cselect_b32 s6, -1, 0
	s_cmp_eq_u32 s58, 1
	s_cselect_b32 s7, -1, 0
	s_cmp_eq_u32 s58, 0
	s_add_nc_u64 s[58:59], s[58:59], 1
	s_cselect_b32 s8, -1, 0
	s_wait_alu 0xfffe
	s_cmp_eq_u32 s66, s58
	s_wait_loadcnt 0x0
	v_dual_cndmask_b32 v15, v15, v41 :: v_dual_cndmask_b32 v14, v14, v40
	v_cndmask_b32_e64 v13, v13, v41, s6
	v_cndmask_b32_e64 v12, v12, v40, s6
	;; [unrolled: 1-line block ×6, first 2 shown]
	s_cbranch_scc0 .LBB93_53
.LBB93_54:                              ;   in Loop: Header=BB93_40 Depth=2
	s_and_not1_b32 vcc_lo, exec_lo, s12
	s_wait_alu 0xfffe
	s_cbranch_vccnz .LBB93_57
; %bb.55:                               ;   in Loop: Header=BB93_40 Depth=2
	v_dual_mov_b32 v23, v19 :: v_dual_mov_b32 v22, v18
	s_mov_b64 s[6:7], 0
.LBB93_56:                              ;   Parent Loop BB93_3 Depth=1
                                        ;     Parent Loop BB93_40 Depth=2
                                        ; =>    This Inner Loop Header: Depth=3
	global_load_b64 v[40:41], v[22:23], off
	s_wait_alu 0xfffe
	s_cmp_eq_u32 s6, 1
	s_cselect_b32 vcc_lo, -1, 0
	s_cmp_eq_u32 s6, 2
	s_wait_alu 0xfffe
	v_dual_cndmask_b32 v1, v9, v11 :: v_dual_cndmask_b32 v42, v8, v10
	s_cselect_b32 vcc_lo, -1, 0
	s_cmp_eq_u32 s6, 3
	s_add_nc_u64 s[6:7], s[6:7], 1
	s_wait_alu 0xfffe
	v_dual_cndmask_b32 v1, v1, v13 :: v_dual_cndmask_b32 v42, v42, v12
	s_cselect_b32 vcc_lo, -1, 0
	s_cmp_lg_u32 s66, s6
	s_wait_alu 0xfffe
	s_delay_alu instid0(VALU_DEP_1)
	v_dual_cndmask_b32 v43, v1, v15 :: v_dual_cndmask_b32 v42, v42, v14
	v_add_co_u32 v22, vcc_lo, v22, 8
	s_wait_alu 0xfffd
	v_add_co_ci_u32_e64 v23, null, 0, v23, vcc_lo
	s_wait_loadcnt 0x0
	v_fma_f64 v[20:21], v[42:43], v[40:41], v[20:21]
	s_cbranch_scc1 .LBB93_56
.LBB93_57:                              ;   in Loop: Header=BB93_40 Depth=2
	s_wait_alu 0xfffe
	s_or_b32 exec_lo, exec_lo, s11
	s_delay_alu instid0(SALU_CYCLE_1)
	s_or_b32 exec_lo, exec_lo, s9
	s_and_saveexec_b32 s6, s3
	s_cbranch_execnz .LBB93_43
	s_branch .LBB93_44
.LBB93_58:                              ;   in Loop: Header=BB93_40 Depth=2
	ds_load_b64 v[20:21], v48
	s_wait_alu 0xfffe
	s_or_b32 exec_lo, exec_lo, s6
	s_and_saveexec_b32 s6, s3
	s_cbranch_execz .LBB93_48
.LBB93_59:                              ;   in Loop: Header=BB93_40 Depth=2
	s_wait_dscnt 0x0
	ds_bpermute_b32 v22, v37, v20
	ds_bpermute_b32 v23, v37, v21
	s_wait_dscnt 0x0
	v_add_f64_e32 v[20:21], v[20:21], v[22:23]
	ds_bpermute_b32 v22, v38, v20
	ds_bpermute_b32 v23, v38, v21
	s_wait_dscnt 0x0
	v_add_f64_e32 v[20:21], v[20:21], v[22:23]
	;; [unrolled: 4-line block ×3, first 2 shown]
	s_wait_alu 0xfffe
	s_or_b32 exec_lo, exec_lo, s6
	s_and_saveexec_b32 s6, s0
	s_cbranch_execz .LBB93_39
.LBB93_60:                              ;   in Loop: Header=BB93_40 Depth=2
	s_wait_dscnt 0x0
	s_delay_alu instid0(VALU_DEP_1)
	v_mul_f64_e32 v[20:21], s[14:15], v[20:21]
	s_mul_u64 s[8:9], s[24:25], s[28:29]
	s_wait_alu 0xfffe
	s_lshl_b64 s[8:9], s[8:9], 3
	s_wait_alu 0xfffe
	s_add_nc_u64 s[8:9], s[56:57], s[8:9]
	global_store_b64 v0, v[20:21], s[8:9]
	s_branch .LBB93_39
.LBB93_61:
	s_endpgm
	.section	.rodata,"a",@progbits
	.p2align	6, 0x0
	.amdhsa_kernel _ZL23rocblas_gemvt_sn_kernelILb1ELi256ELi4EldddEviiT4_lPKT3_lilS3_lilPT5_i
		.amdhsa_group_segment_fixed_size 256
		.amdhsa_private_segment_fixed_size 0
		.amdhsa_kernarg_size 360
		.amdhsa_user_sgpr_count 2
		.amdhsa_user_sgpr_dispatch_ptr 0
		.amdhsa_user_sgpr_queue_ptr 0
		.amdhsa_user_sgpr_kernarg_segment_ptr 1
		.amdhsa_user_sgpr_dispatch_id 0
		.amdhsa_user_sgpr_private_segment_size 0
		.amdhsa_wavefront_size32 1
		.amdhsa_uses_dynamic_stack 0
		.amdhsa_enable_private_segment 0
		.amdhsa_system_sgpr_workgroup_id_x 1
		.amdhsa_system_sgpr_workgroup_id_y 0
		.amdhsa_system_sgpr_workgroup_id_z 1
		.amdhsa_system_sgpr_workgroup_info 0
		.amdhsa_system_vgpr_workitem_id 0
		.amdhsa_next_free_vgpr 78
		.amdhsa_next_free_sgpr 74
		.amdhsa_reserve_vcc 1
		.amdhsa_float_round_mode_32 0
		.amdhsa_float_round_mode_16_64 0
		.amdhsa_float_denorm_mode_32 3
		.amdhsa_float_denorm_mode_16_64 3
		.amdhsa_fp16_overflow 0
		.amdhsa_workgroup_processor_mode 1
		.amdhsa_memory_ordered 1
		.amdhsa_forward_progress 1
		.amdhsa_inst_pref_size 34
		.amdhsa_round_robin_scheduling 0
		.amdhsa_exception_fp_ieee_invalid_op 0
		.amdhsa_exception_fp_denorm_src 0
		.amdhsa_exception_fp_ieee_div_zero 0
		.amdhsa_exception_fp_ieee_overflow 0
		.amdhsa_exception_fp_ieee_underflow 0
		.amdhsa_exception_fp_ieee_inexact 0
		.amdhsa_exception_int_div_zero 0
	.end_amdhsa_kernel
	.section	.text._ZL23rocblas_gemvt_sn_kernelILb1ELi256ELi4EldddEviiT4_lPKT3_lilS3_lilPT5_i,"axG",@progbits,_ZL23rocblas_gemvt_sn_kernelILb1ELi256ELi4EldddEviiT4_lPKT3_lilS3_lilPT5_i,comdat
.Lfunc_end93:
	.size	_ZL23rocblas_gemvt_sn_kernelILb1ELi256ELi4EldddEviiT4_lPKT3_lilS3_lilPT5_i, .Lfunc_end93-_ZL23rocblas_gemvt_sn_kernelILb1ELi256ELi4EldddEviiT4_lPKT3_lilS3_lilPT5_i
                                        ; -- End function
	.set _ZL23rocblas_gemvt_sn_kernelILb1ELi256ELi4EldddEviiT4_lPKT3_lilS3_lilPT5_i.num_vgpr, 78
	.set _ZL23rocblas_gemvt_sn_kernelILb1ELi256ELi4EldddEviiT4_lPKT3_lilS3_lilPT5_i.num_agpr, 0
	.set _ZL23rocblas_gemvt_sn_kernelILb1ELi256ELi4EldddEviiT4_lPKT3_lilS3_lilPT5_i.numbered_sgpr, 74
	.set _ZL23rocblas_gemvt_sn_kernelILb1ELi256ELi4EldddEviiT4_lPKT3_lilS3_lilPT5_i.num_named_barrier, 0
	.set _ZL23rocblas_gemvt_sn_kernelILb1ELi256ELi4EldddEviiT4_lPKT3_lilS3_lilPT5_i.private_seg_size, 0
	.set _ZL23rocblas_gemvt_sn_kernelILb1ELi256ELi4EldddEviiT4_lPKT3_lilS3_lilPT5_i.uses_vcc, 1
	.set _ZL23rocblas_gemvt_sn_kernelILb1ELi256ELi4EldddEviiT4_lPKT3_lilS3_lilPT5_i.uses_flat_scratch, 0
	.set _ZL23rocblas_gemvt_sn_kernelILb1ELi256ELi4EldddEviiT4_lPKT3_lilS3_lilPT5_i.has_dyn_sized_stack, 0
	.set _ZL23rocblas_gemvt_sn_kernelILb1ELi256ELi4EldddEviiT4_lPKT3_lilS3_lilPT5_i.has_recursion, 0
	.set _ZL23rocblas_gemvt_sn_kernelILb1ELi256ELi4EldddEviiT4_lPKT3_lilS3_lilPT5_i.has_indirect_call, 0
	.section	.AMDGPU.csdata,"",@progbits
; Kernel info:
; codeLenInByte = 4240
; TotalNumSgprs: 76
; NumVgprs: 78
; ScratchSize: 0
; MemoryBound: 1
; FloatMode: 240
; IeeeMode: 1
; LDSByteSize: 256 bytes/workgroup (compile time only)
; SGPRBlocks: 0
; VGPRBlocks: 9
; NumSGPRsForWavesPerEU: 76
; NumVGPRsForWavesPerEU: 78
; Occupancy: 16
; WaveLimiterHint : 0
; COMPUTE_PGM_RSRC2:SCRATCH_EN: 0
; COMPUTE_PGM_RSRC2:USER_SGPR: 2
; COMPUTE_PGM_RSRC2:TRAP_HANDLER: 0
; COMPUTE_PGM_RSRC2:TGID_X_EN: 1
; COMPUTE_PGM_RSRC2:TGID_Y_EN: 0
; COMPUTE_PGM_RSRC2:TGID_Z_EN: 1
; COMPUTE_PGM_RSRC2:TIDIG_COMP_CNT: 0
	.section	.text._ZL36rocblas_gemvt_double_buffered_kernelILb1ELi128ELi4ELi16EdPKddEviiT4_lPKT3_lilS5_lilPT5_lili,"axG",@progbits,_ZL36rocblas_gemvt_double_buffered_kernelILb1ELi128ELi4ELi16EdPKddEviiT4_lPKT3_lilS5_lilPT5_lili,comdat
	.globl	_ZL36rocblas_gemvt_double_buffered_kernelILb1ELi128ELi4ELi16EdPKddEviiT4_lPKT3_lilS5_lilPT5_lili ; -- Begin function _ZL36rocblas_gemvt_double_buffered_kernelILb1ELi128ELi4ELi16EdPKddEviiT4_lPKT3_lilS5_lilPT5_lili
	.p2align	8
	.type	_ZL36rocblas_gemvt_double_buffered_kernelILb1ELi128ELi4ELi16EdPKddEviiT4_lPKT3_lilS5_lilPT5_lili,@function
_ZL36rocblas_gemvt_double_buffered_kernelILb1ELi128ELi4ELi16EdPKddEviiT4_lPKT3_lilS5_lilPT5_lili: ; @_ZL36rocblas_gemvt_double_buffered_kernelILb1ELi128ELi4ELi16EdPKddEviiT4_lPKT3_lilS5_lilPT5_lili
; %bb.0:
	s_load_b32 s33, s[0:1], 0x78
	s_lshr_b32 s2, ttmp7, 16
	s_wait_kmcnt 0x0
	s_cmp_ge_u32 s2, s33
	s_cbranch_scc1 .LBB94_16
; %bb.1:
	s_clause 0x7
	s_load_b32 s36, s[0:1], 0x28
	s_load_b96 s[20:22], s[0:1], 0x40
	s_load_b96 s[24:26], s[0:1], 0x60
	s_load_b256 s[4:11], s[0:1], 0x8
	s_load_b32 s3, s[0:1], 0x0
	s_load_b128 s[16:19], s[0:1], 0x50
	s_load_b128 s[12:15], s[0:1], 0x30
	s_load_b64 s[28:29], s[0:1], 0x70
	v_dual_mov_b32 v4, 0 :: v_dual_and_b32 v3, 63, v0
	v_and_b32_e32 v2, 0x3ff, v0
	s_lshl_b32 s30, ttmp9, 7
	v_bfe_u32 v5, v0, 10, 10
	s_ashr_i32 s31, s30, 31
	v_lshlrev_b32_e32 v145, 3, v3
	v_add_nc_u32_e32 v11, 1, v2
	v_lshlrev_b32_e32 v12, 9, v2
	v_lshl_add_u32 v6, v5, 7, v2
	v_add_nc_u32_e32 v13, 6, v2
	s_and_b32 s42, ttmp7, 0xffff
	s_wait_kmcnt 0x0
	s_ashr_i32 s37, s36, 31
	v_and_b32_e32 v11, 63, v11
	s_lshl_b64 s[24:25], s[24:25], 3
	s_lshl_b64 s[10:11], s[10:11], 3
	s_ashr_i32 s27, s3, 31
	s_add_nc_u64 s[24:25], s[18:19], s[24:25]
	s_lshr_b32 s18, s27, 25
	s_add_nc_u64 s[38:39], s[8:9], s[10:11]
	s_add_co_i32 s3, s3, s18
	s_mul_u64 s[18:19], s[36:37], s[30:31]
	s_add_nc_u64 s[10:11], s[0:1], 0x80
	s_lshl_b64 s[0:1], s[18:19], 3
	v_lshrrev_b32_e32 v7, 2, v6
	s_add_nc_u64 s[18:19], s[38:39], s[0:1]
	v_cmp_eq_u32_e64 s0, 0, v5
	v_or_b32_e32 v5, v12, v145
	v_and_b32_e32 v13, 63, v13
	v_and_b32_e32 v8, 0x7ff0, v7
	v_lshl_or_b32 v16, v7, 9, 0x1e00
	v_add_nc_u32_e32 v7, 3, v2
	scratch_store_b32 off, v5, off          ; 4-byte Folded Spill
	v_lshl_or_b32 v5, v11, 3, v12
	v_mad_co_i64_i32 v[9:10], null, s36, v8, v[3:4]
	v_lshlrev_b32_e32 v15, 9, v8
	v_add_nc_u32_e32 v8, 4, v2
	scratch_store_b32 off, v5, off offset:4 ; 4-byte Folded Spill
	v_add_nc_u32_e32 v5, 2, v2
	v_and_b32_e32 v7, 63, v7
	v_add_nc_u32_e32 v11, 5, v2
	v_and_b32_e32 v8, 63, v8
	v_xor_b32_e32 v3, 32, v3
	v_and_b32_e32 v5, 63, v5
	s_ashr_i32 s35, s26, 31
	v_and_b32_e32 v11, 63, v11
	s_mov_b32 s34, s26
	v_lshl_or_b32 v178, v3, 3, v12
	v_lshl_or_b32 v5, v5, 3, v12
	s_mul_u64 s[34:35], s[34:35], s[30:31]
	v_cvt_f64_i32_e32 v[0:1], s42
	s_lshl_b64 s[34:35], s[34:35], 3
	v_lshlrev_b64_e32 v[9:10], 3, v[9:10]
	scratch_store_b32 off, v5, off offset:8 ; 4-byte Folded Spill
	v_lshl_or_b32 v5, v7, 3, v12
	v_add_nc_u32_e32 v7, 8, v2
	s_add_nc_u64 s[34:35], s[24:25], s[34:35]
	v_add_nc_u32_e32 v242, v145, v15
	v_add_nc_u32_e32 v243, v145, v16
	scratch_store_b32 off, v5, off offset:12 ; 4-byte Folded Spill
	v_lshl_or_b32 v5, v8, 3, v12
	v_add_nc_u32_e32 v8, 9, v2
	v_and_b32_e32 v7, 63, v7
	s_ashr_i32 s23, s22, 31
	s_ashr_i32 s8, s3, 7
	scratch_store_b32 off, v5, off offset:16 ; 4-byte Folded Spill
	v_lshl_or_b32 v5, v11, 3, v12
	v_add_nc_u32_e32 v11, 10, v2
	v_and_b32_e32 v8, 63, v8
	s_mov_b32 s3, 0
	s_mul_u64 s[40:41], s[36:37], 15
	scratch_store_b32 off, v5, off offset:20 ; 4-byte Folded Spill
	v_lshl_or_b32 v5, v13, 3, v12
	v_add_nc_u32_e32 v13, 11, v2
	v_and_b32_e32 v11, 63, v11
	s_lshl_b64 s[20:21], s[20:21], 3
	s_lshl_b64 s[24:25], s[22:23], 10
	scratch_store_b32 off, v5, off offset:24 ; 4-byte Folded Spill
	v_add_nc_u32_e32 v5, 7, v2
	v_and_b32_e32 v13, 63, v13
	s_mov_b32 s9, s3
	s_add_nc_u64 s[14:15], s[14:15], s[20:21]
	s_lshl_b64 s[16:17], s[16:17], 3
	v_and_b32_e32 v5, 63, v5
	s_lshl_b64 s[20:21], s[40:41], 3
	s_delay_alu instid0(VALU_DEP_1)
	v_lshl_or_b32 v5, v5, 3, v12
	scratch_store_b32 off, v5, off offset:28 ; 4-byte Folded Spill
	v_lshl_or_b32 v5, v7, 3, v12
	v_add_nc_u32_e32 v7, 13, v2
	scratch_store_b32 off, v5, off offset:32 ; 4-byte Folded Spill
	v_lshl_or_b32 v5, v8, 3, v12
	v_add_nc_u32_e32 v8, 14, v2
	v_and_b32_e32 v7, 63, v7
	scratch_store_b32 off, v5, off offset:36 ; 4-byte Folded Spill
	v_lshl_or_b32 v5, v11, 3, v12
	v_add_nc_u32_e32 v11, 15, v2
	v_and_b32_e32 v8, 63, v8
	;; [unrolled: 4-line block ×3, first 2 shown]
	scratch_store_b32 off, v5, off offset:44 ; 4-byte Folded Spill
	v_add_nc_u32_e32 v5, 12, v2
	v_and_b32_e32 v13, 63, v13
	s_delay_alu instid0(VALU_DEP_2) | instskip(NEXT) | instid1(VALU_DEP_1)
	v_and_b32_e32 v5, 63, v5
	v_lshl_or_b32 v5, v5, 3, v12
	scratch_store_b32 off, v5, off offset:48 ; 4-byte Folded Spill
	v_lshl_or_b32 v5, v7, 3, v12
	v_add_nc_u32_e32 v7, 18, v2
	scratch_store_b32 off, v5, off offset:52 ; 4-byte Folded Spill
	v_lshl_or_b32 v5, v8, 3, v12
	v_add_nc_u32_e32 v8, 19, v2
	v_and_b32_e32 v7, 63, v7
	scratch_store_b32 off, v5, off offset:56 ; 4-byte Folded Spill
	v_lshl_or_b32 v5, v11, 3, v12
	v_and_b32_e32 v8, 63, v8
	v_add_nc_u32_e32 v11, 20, v2
	scratch_store_b32 off, v5, off offset:60 ; 4-byte Folded Spill
	v_lshl_or_b32 v5, v13, 3, v12
	v_and_b32_e32 v11, 63, v11
	v_add_nc_u32_e32 v13, 21, v2
	scratch_store_b32 off, v5, off offset:64 ; 4-byte Folded Spill
	v_add_nc_u32_e32 v5, 17, v2
	v_lshl_or_b32 v166, v11, 3, v12
	v_add_nc_u32_e32 v11, 25, v2
	v_and_b32_e32 v13, 63, v13
	s_delay_alu instid0(VALU_DEP_4) | instskip(NEXT) | instid1(VALU_DEP_3)
	v_and_b32_e32 v5, 63, v5
	v_and_b32_e32 v11, 63, v11
	s_delay_alu instid0(VALU_DEP_3) | instskip(SKIP_1) | instid1(VALU_DEP_4)
	v_lshl_or_b32 v167, v13, 3, v12
	v_add_nc_u32_e32 v13, 26, v2
	v_lshl_or_b32 v5, v5, 3, v12
	s_delay_alu instid0(VALU_DEP_4) | instskip(SKIP_1) | instid1(VALU_DEP_4)
	v_lshl_or_b32 v171, v11, 3, v12
	v_add_nc_u32_e32 v11, 30, v2
	v_and_b32_e32 v13, 63, v13
	scratch_store_b32 off, v5, off offset:68 ; 4-byte Folded Spill
	v_lshl_or_b32 v5, v7, 3, v12
	v_add_nc_u32_e32 v7, 23, v2
	v_and_b32_e32 v11, 63, v11
	v_lshl_or_b32 v172, v13, 3, v12
	v_add_nc_u32_e32 v13, 31, v2
	scratch_store_b32 off, v5, off offset:72 ; 4-byte Folded Spill
	v_lshl_or_b32 v5, v8, 3, v12
	v_add_nc_u32_e32 v8, 24, v2
	v_lshl_or_b32 v176, v11, 3, v12
	v_add_nc_u32_e32 v11, 36, v2
	v_and_b32_e32 v7, 63, v7
	scratch_store_b32 off, v5, off offset:76 ; 4-byte Folded Spill
	v_add_nc_u32_e32 v5, 22, v2
	v_and_b32_e32 v8, 63, v8
	v_and_b32_e32 v13, 63, v13
	v_lshl_or_b32 v169, v7, 3, v12
	v_add_nc_u32_e32 v7, 28, v2
	v_and_b32_e32 v5, 63, v5
	v_lshl_or_b32 v170, v8, 3, v12
	v_add_nc_u32_e32 v8, 29, v2
	v_lshl_or_b32 v177, v13, 3, v12
	v_and_b32_e32 v7, 63, v7
	v_lshl_or_b32 v168, v5, 3, v12
	v_add_nc_u32_e32 v5, 27, v2
	v_and_b32_e32 v8, 63, v8
	s_delay_alu instid0(VALU_DEP_4) | instskip(SKIP_1) | instid1(VALU_DEP_4)
	v_lshl_or_b32 v174, v7, 3, v12
	v_add_nc_u32_e32 v7, 34, v2
	v_and_b32_e32 v5, 63, v5
	s_delay_alu instid0(VALU_DEP_4) | instskip(SKIP_1) | instid1(VALU_DEP_4)
	;; [unrolled: 4-line block ×3, first 2 shown]
	v_lshl_or_b32 v173, v5, 3, v12
	v_add_nc_u32_e32 v5, 33, v2
	v_and_b32_e32 v3, 63, v8
	v_and_b32_e32 v8, 63, v11
	v_add_nc_u32_e32 v11, 41, v2
	v_lshl_or_b32 v180, v7, 3, v12
	v_and_b32_e32 v5, 63, v5
	v_lshl_or_b32 v181, v3, 3, v12
	v_lshl_or_b32 v182, v8, 3, v12
	v_add_nc_u32_e32 v3, 38, v2
	v_add_nc_u32_e32 v8, 40, v2
	v_lshl_or_b32 v179, v5, 3, v12
	v_add_nc_u32_e32 v5, 37, v2
	v_add_nc_u32_e32 v7, 39, v2
	v_and_b32_e32 v3, 63, v3
	s_delay_alu instid0(VALU_DEP_3) | instskip(NEXT) | instid1(VALU_DEP_3)
	v_and_b32_e32 v5, 63, v5
	v_and_b32_e32 v7, 63, v7
	s_delay_alu instid0(VALU_DEP_3) | instskip(SKIP_1) | instid1(VALU_DEP_4)
	v_lshl_or_b32 v184, v3, 3, v12
	v_add_nc_u32_e32 v3, 42, v2
	v_lshl_or_b32 v183, v5, 3, v12
	v_and_b32_e32 v5, 63, v8
	v_and_b32_e32 v8, 63, v11
	s_delay_alu instid0(VALU_DEP_4)
	v_and_b32_e32 v3, 63, v3
	v_add_nc_u32_e32 v11, 46, v2
	v_lshl_or_b32 v185, v7, 3, v12
	v_lshl_or_b32 v186, v5, 3, v12
	v_add_nc_u32_e32 v5, 43, v2
	v_lshl_or_b32 v187, v8, 3, v12
	v_add_nc_u32_e32 v8, 45, v2
	;; [unrolled: 2-line block ×3, first 2 shown]
	v_and_b32_e32 v5, 63, v5
	s_delay_alu instid0(VALU_DEP_4) | instskip(SKIP_2) | instid1(VALU_DEP_4)
	v_and_b32_e32 v3, 63, v8
	v_and_b32_e32 v8, 63, v11
	v_add_nc_u32_e32 v11, 51, v2
	v_lshl_or_b32 v189, v5, 3, v12
	v_add_nc_u32_e32 v5, 47, v2
	v_lshl_or_b32 v191, v3, 3, v12
	v_lshl_or_b32 v192, v8, 3, v12
	v_add_nc_u32_e32 v3, 48, v2
	v_add_nc_u32_e32 v8, 50, v2
	v_and_b32_e32 v5, 63, v5
	v_and_b32_e32 v7, 63, v7
	s_delay_alu instid0(VALU_DEP_4) | instskip(NEXT) | instid1(VALU_DEP_3)
	v_and_b32_e32 v3, 63, v3
	v_lshl_or_b32 v193, v5, 3, v12
	v_and_b32_e32 v5, 63, v8
	v_and_b32_e32 v8, 63, v11
	s_delay_alu instid0(VALU_DEP_4)
	v_lshl_or_b32 v194, v3, 3, v12
	v_add_nc_u32_e32 v3, 52, v2
	v_lshl_or_b32 v190, v7, 3, v12
	v_lshl_or_b32 v196, v5, 3, v12
	v_add_nc_u32_e32 v5, 53, v2
	v_add_nc_u32_e32 v7, 49, v2
	v_lshl_or_b32 v197, v8, 3, v12
	v_and_b32_e32 v3, 63, v3
	v_add_nc_u32_e32 v8, 55, v2
	v_add_nc_u32_e32 v11, 56, v2
	v_and_b32_e32 v5, 63, v5
	v_and_b32_e32 v7, 63, v7
	v_lshl_or_b32 v198, v3, 3, v12
	v_and_b32_e32 v3, 63, v8
	v_and_b32_e32 v8, 63, v11
	v_lshl_or_b32 v199, v5, 3, v12
	v_add_nc_u32_e32 v5, 57, v2
	v_lshl_or_b32 v195, v7, 3, v12
	v_add_nc_u32_e32 v7, 54, v2
	;; [unrolled: 2-line block ×3, first 2 shown]
	v_and_b32_e32 v5, 63, v5
	v_lshl_or_b32 v201, v3, 3, v12
	v_and_b32_e32 v7, 63, v7
	v_add_nc_u32_e32 v3, 58, v2
	v_add_nc_u32_e32 v11, 61, v2
	v_lshl_or_b32 v203, v5, 3, v12
	v_and_b32_e32 v5, 63, v8
	v_lshl_or_b32 v200, v7, 3, v12
	v_add_nc_u32_e32 v7, 59, v2
	v_and_b32_e32 v3, 63, v3
	v_and_b32_e32 v8, 63, v11
	v_lshl_or_b32 v206, v5, 3, v12
	v_lshlrev_b32_e32 v5, 1, v6
	v_and_b32_e32 v7, 63, v7
	v_lshl_or_b32 v204, v3, 3, v12
	v_add_nc_u32_e32 v3, 62, v2
	v_add_nc_u32_e32 v6, -1, v2
	v_and_b32_e32 v5, 0x3ff80, v5
	v_lshl_or_b32 v205, v7, 3, v12
	v_lshl_or_b32 v207, v8, 3, v12
	v_and_b32_e32 v7, 63, v3
	v_mad_co_i64_i32 v[2:3], null, s26, v2, 0
	s_lshl_b64 s[26:27], s[30:31], 3
	v_and_b32_e32 v6, 63, v6
	s_wait_alu 0xfffe
	v_add_co_u32 v14, s1, v5, s26
	v_lshl_or_b32 v208, v7, 3, v12
	v_add_co_ci_u32_e64 v7, null, 0, s27, s1
	v_lshl_or_b32 v209, v6, 3, v12
	s_delay_alu instid0(VALU_DEP_4) | instskip(SKIP_1) | instid1(VALU_DEP_4)
	v_mad_co_u64_u32 v[5:6], null, v14, s36, s[38:39]
	v_mul_lo_u32 v12, v14, s37
	v_mul_lo_u32 v17, v7, s36
	v_lshlrev_b64_e32 v[2:3], 3, v[2:3]
	v_or_b32_e32 v11, 8, v14
	v_or_b32_e32 v13, 24, v14
	s_lshl_b64 s[26:27], s[36:37], 3
	s_wait_alu 0xfffe
	s_sub_nc_u64 s[30:31], 0, s[26:27]
	v_mad_co_u64_u32 v[7:8], null, v11, s36, s[38:39]
	v_add3_u32 v6, v17, v6, v12
	v_or_b32_e32 v12, 16, v14
	v_mul_lo_u32 v11, v11, s37
	v_add_co_u32 v210, vcc_lo, s34, v2
	s_delay_alu instid0(VALU_DEP_1) | instskip(NEXT) | instid1(VALU_DEP_4)
	v_add_co_ci_u32_e64 v211, null, s35, v3, vcc_lo
	v_mad_co_u64_u32 v[2:3], null, v12, s36, s[38:39]
	v_mul_lo_u32 v18, v12, s37
	v_add3_u32 v8, v17, v8, v11
	v_mad_co_u64_u32 v[11:12], null, v13, s36, s[38:39]
	v_mul_lo_u32 v13, v13, s37
	v_add_co_u32 v212, vcc_lo, 0x400, v7
	v_or_b32_e32 v7, 32, v14
	v_add3_u32 v3, v17, v3, v18
	s_wait_alu 0xfffd
	v_add_co_ci_u32_e64 v213, null, 0, v8, vcc_lo
	v_add_co_u32 v214, vcc_lo, 0x400, v2
	s_wait_alu 0xfffd
	v_add_co_ci_u32_e64 v215, null, 0, v3, vcc_lo
	v_add3_u32 v12, v17, v12, v13
	v_or_b32_e32 v13, 40, v14
	v_mad_co_u64_u32 v[2:3], null, v7, s36, s[38:39]
	v_mul_lo_u32 v18, v7, s37
	v_add_co_u32 v216, vcc_lo, 0x400, v11
	s_delay_alu instid0(VALU_DEP_4)
	v_mad_co_u64_u32 v[7:8], null, v13, s36, s[38:39]
	v_mul_lo_u32 v13, v13, s37
	v_or_b32_e32 v11, 48, v14
	s_wait_alu 0xfffd
	v_add_co_ci_u32_e64 v217, null, 0, v12, vcc_lo
	v_add3_u32 v3, v17, v3, v18
	v_add_co_u32 v218, vcc_lo, 0x400, v2
	v_mul_lo_u32 v18, v11, s37
	v_add3_u32 v8, v17, v8, v13
	s_wait_alu 0xfffd
	v_add_co_ci_u32_e64 v219, null, 0, v3, vcc_lo
	v_or_b32_e32 v13, 56, v14
	v_mad_co_u64_u32 v[2:3], null, v11, s36, s[38:39]
	v_add_co_u32 v220, vcc_lo, 0x400, v7
	s_delay_alu instid0(VALU_DEP_3)
	v_mad_co_u64_u32 v[11:12], null, v13, s36, s[38:39]
	v_mul_lo_u32 v13, v13, s37
	v_or_b32_e32 v7, 64, v14
	v_add3_u32 v3, v17, v3, v18
	s_wait_alu 0xfffd
	v_add_co_ci_u32_e64 v221, null, 0, v8, vcc_lo
	v_add_co_u32 v222, vcc_lo, 0x400, v2
	s_wait_alu 0xfffd
	v_add_co_ci_u32_e64 v223, null, 0, v3, vcc_lo
	v_add3_u32 v12, v17, v12, v13
	v_or_b32_e32 v13, 0x48, v14
	v_mad_co_u64_u32 v[2:3], null, v7, s36, s[38:39]
	v_mul_lo_u32 v18, v7, s37
	v_add_co_u32 v224, vcc_lo, 0x400, v11
	s_delay_alu instid0(VALU_DEP_4)
	v_mad_co_u64_u32 v[7:8], null, v13, s36, s[38:39]
	v_mul_lo_u32 v13, v13, s37
	v_or_b32_e32 v11, 0x50, v14
	s_wait_alu 0xfffd
	v_add_co_ci_u32_e64 v225, null, 0, v12, vcc_lo
	v_add3_u32 v3, v17, v3, v18
	v_add_co_u32 v226, vcc_lo, 0x400, v2
	v_mul_lo_u32 v18, v11, s37
	v_add3_u32 v8, v17, v8, v13
	s_wait_alu 0xfffd
	v_add_co_ci_u32_e64 v227, null, 0, v3, vcc_lo
	v_or_b32_e32 v13, 0x58, v14
	v_mad_co_u64_u32 v[2:3], null, v11, s36, s[38:39]
	v_add_co_u32 v228, vcc_lo, 0x400, v7
	s_delay_alu instid0(VALU_DEP_3)
	v_mad_co_u64_u32 v[11:12], null, v13, s36, s[38:39]
	v_mul_lo_u32 v13, v13, s37
	s_wait_alu 0xfffd
	v_add_co_ci_u32_e64 v229, null, 0, v8, vcc_lo
	v_add3_u32 v3, v17, v3, v18
	v_or_b32_e32 v7, 0x60, v14
	v_or_b32_e32 v8, 0x68, v14
	v_add_co_u32 v230, vcc_lo, 0x400, v2
	s_wait_alu 0xfffd
	v_add_co_ci_u32_e64 v231, null, 0, v3, vcc_lo
	v_add3_u32 v18, v17, v12, v13
	v_mad_co_u64_u32 v[2:3], null, v7, s36, s[38:39]
	v_mul_lo_u32 v19, v7, s37
	v_mad_co_u64_u32 v[12:13], null, v8, s36, s[38:39]
	v_mul_lo_u32 v20, v8, s37
	v_max_num_f64_e32 v[7:8], v[0:1], v[0:1]
	v_add_co_u32 v232, vcc_lo, 0x400, v11
	v_or_b32_e32 v11, 0x70, v14
	v_add3_u32 v3, v17, v3, v19
	v_or_b32_e32 v19, 0x78, v14
	s_wait_alu 0xfffd
	v_add_co_ci_u32_e64 v233, null, 0, v18, vcc_lo
	v_mad_co_u64_u32 v[0:1], null, v11, s36, s[38:39]
	v_mul_lo_u32 v11, v11, s37
	v_add3_u32 v18, v17, v13, v20
	v_mad_co_u64_u32 v[13:14], null, v19, s36, s[38:39]
	v_mul_lo_u32 v19, v19, s37
	v_add_co_u32 v234, vcc_lo, 0x400, v2
	s_wait_alu 0xfffd
	v_add_co_ci_u32_e64 v235, null, 0, v3, vcc_lo
	v_add3_u32 v1, v17, v1, v11
	v_add_co_u32 v236, vcc_lo, 0x400, v12
	v_add3_u32 v2, v17, v14, v19
	s_wait_alu 0xfffd
	v_add_co_ci_u32_e64 v237, null, 0, v18, vcc_lo
	v_add_co_u32 v238, vcc_lo, 0x400, v0
	s_wait_alu 0xfffd
	v_add_co_ci_u32_e64 v239, null, 0, v1, vcc_lo
	v_add_co_u32 v240, vcc_lo, 0x400, v13
	s_wait_alu 0xfffd
	v_add_co_ci_u32_e64 v241, null, 0, v2, vcc_lo
	s_lshl_b64 s[34:35], s[12:13], 3
	s_branch .LBB94_4
.LBB94_2:                               ;   in Loop: Header=BB94_4 Depth=1
	s_wait_alu 0xfffe
	s_or_b32 exec_lo, exec_lo, s1
.LBB94_3:                               ;   in Loop: Header=BB94_4 Depth=1
	s_add_co_i32 s2, s2, 0x10000
	s_delay_alu instid0(SALU_CYCLE_1)
	s_cmp_lt_u32 s2, s33
	s_cbranch_scc0 .LBB94_16
.LBB94_4:                               ; =>This Loop Header: Depth=1
                                        ;     Child Loop BB94_8 Depth 2
                                        ;     Child Loop BB94_15 Depth 2
	s_mul_u64 s[36:37], s[6:7], s[2:3]
	s_wait_alu 0xfffe
	s_lshl_b64 s[36:37], s[36:37], 3
	s_wait_alu 0xfffe
	s_add_nc_u64 s[36:37], s[4:5], s[36:37]
	global_load_b64 v[0:1], v4, s[36:37]
	s_wait_loadcnt 0x0
	v_cmp_eq_f64_e32 vcc_lo, 0, v[0:1]
	s_cbranch_vccnz .LBB94_3
; %bb.5:                                ;   in Loop: Header=BB94_4 Depth=1
	s_load_b32 s1, s[10:11], 0x4
	s_wait_kmcnt 0x0
	s_cvt_f32_u32 s36, s1
	s_sub_co_i32 s37, 0, s1
	s_wait_alu 0xfffe
	s_delay_alu instid0(SALU_CYCLE_1) | instskip(NEXT) | instid1(TRANS32_DEP_1)
	v_rcp_iflag_f32_e32 v2, s36
	v_readfirstlane_b32 s36, v2
	s_mul_f32 s36, s36, 0x4f7ffffe
	s_wait_alu 0xfffe
	s_delay_alu instid0(SALU_CYCLE_2) | instskip(SKIP_1) | instid1(SALU_CYCLE_2)
	s_cvt_u32_f32 s36, s36
	s_wait_alu 0xfffe
	s_mul_i32 s37, s37, s36
	s_wait_alu 0xfffe
	s_mul_hi_u32 s37, s36, s37
	s_wait_alu 0xfffe
	s_add_co_i32 s36, s36, s37
	s_mov_b32 s37, s3
	s_wait_alu 0xfffe
	s_mul_u64 s[36:37], s[8:9], s[36:37]
	s_wait_alu 0xfffe
	s_mul_i32 s36, s37, s1
	s_add_co_i32 s38, s37, 1
	s_wait_alu 0xfffe
	s_sub_co_i32 s36, s8, s36
	s_wait_alu 0xfffe
	s_sub_co_i32 s39, s36, s1
	s_cmp_ge_u32 s36, s1
	s_cselect_b32 s37, s38, s37
	s_wait_alu 0xfffe
	s_cselect_b32 s36, s39, s36
	s_add_co_i32 s38, s37, 1
	s_wait_alu 0xfffe
	s_cmp_ge_u32 s36, s1
	s_cselect_b32 s36, s38, s37
	s_wait_alu 0xfffe
	s_mul_i32 s1, s36, s1
	s_wait_alu 0xfffe
	s_sub_co_i32 s37, s8, s1
	s_wait_alu 0xfffe
	s_cmp_lt_u32 s42, s37
	s_cselect_b32 s1, -1, 0
	s_wait_alu 0xfffe
	s_cmp_lg_u32 s1, 0
	s_add_co_ci_u32 s1, s36, 0
	s_wait_alu 0xfffe
	s_cmp_eq_u32 s1, 0
	s_cbranch_scc1 .LBB94_3
; %bb.6:                                ;   in Loop: Header=BB94_4 Depth=1
	s_cmp_lt_i32 s1, 1
	s_cbranch_scc1 .LBB94_12
; %bb.7:                                ;   in Loop: Header=BB94_4 Depth=1
	v_cvt_f64_u32_e32 v[2:3], s37
	s_mul_i32 s36, s36, s42
	v_or_b32_e32 v73, 0x200, v145
	s_wait_alu 0xfffe
	v_cvt_f64_u32_e32 v[11:12], s36
	s_mul_u64 s[36:37], s[12:13], s[2:3]
	v_mov_b32_e32 v47, 0
	s_wait_alu 0xfffe
	s_lshl_b64 s[36:37], s[36:37], 3
	v_mov_b32_e32 v41, 0
	s_wait_alu 0xfffe
	s_add_nc_u64 s[40:41], s[18:19], s[36:37]
	v_dual_mov_b32 v37, 0 :: v_dual_mov_b32 v48, 0
	v_dual_mov_b32 v49, 0 :: v_dual_mov_b32 v42, 0
	;; [unrolled: 1-line block ×4, first 2 shown]
	v_mov_b32_e32 v44, 0
	v_dual_mov_b32 v40, 0 :: v_dual_mov_b32 v33, 0
	v_dual_mov_b32 v34, 0 :: v_dual_mov_b32 v51, 0
	;; [unrolled: 1-line block ×3, first 2 shown]
	v_mov_b32_e32 v36, 0
	v_min_num_f64_e32 v[2:3], v[7:8], v[2:3]
	s_delay_alu instid0(VALU_DEP_1) | instskip(NEXT) | instid1(VALU_DEP_1)
	v_add_f64_e32 v[2:3], v[2:3], v[11:12]
	v_cvt_i32_f64_e32 v2, v[2:3]
	s_delay_alu instid0(VALU_DEP_1)
	v_readfirstlane_b32 s38, v2
	s_lshl_b32 s38, s38, 7
	s_wait_alu 0xfffe
	s_ashr_i32 s39, s38, 31
	s_wait_alu 0xfffe
	s_lshl_b64 s[36:37], s[38:39], 3
	s_wait_alu 0xfffe
	s_add_nc_u64 s[38:39], s[40:41], s[36:37]
	s_mul_u64 s[40:41], s[34:35], s[2:3]
	s_wait_alu 0xfffe
	v_add_co_u32 v2, vcc_lo, s38, v9
	s_wait_alu 0xfffd
	v_add_co_ci_u32_e64 v3, null, s39, v10, vcc_lo
	s_add_nc_u64 s[40:41], s[40:41], s[36:37]
	v_add_co_u32 v17, vcc_lo, v2, s20
	s_wait_alu 0xfffd
	v_add_co_ci_u32_e64 v18, null, s21, v3, vcc_lo
	v_or_b32_e32 v74, s36, v145
	s_delay_alu instid0(VALU_DEP_3) | instskip(SKIP_1) | instid1(VALU_DEP_3)
	v_add_co_u32 v13, vcc_lo, v17, s30
	s_wait_alu 0xfffd
	v_add_co_ci_u32_e64 v14, null, s31, v18, vcc_lo
	v_or_b32_e32 v75, s36, v73
	s_delay_alu instid0(VALU_DEP_3) | instskip(SKIP_1) | instid1(VALU_DEP_3)
	v_add_co_u32 v15, vcc_lo, v13, s30
	s_wait_alu 0xfffd
	v_add_co_ci_u32_e64 v16, null, s31, v14, vcc_lo
	v_mul_lo_u32 v77, s23, v74
	s_delay_alu instid0(VALU_DEP_3) | instskip(SKIP_1) | instid1(VALU_DEP_3)
	v_add_co_u32 v19, vcc_lo, v15, s30
	s_wait_alu 0xfffd
	v_add_co_ci_u32_e64 v20, null, s31, v16, vcc_lo
	s_clause 0x2
	global_load_b64 v[11:12], v[2:3], off
	global_load_b64 v[13:14], v[13:14], off
	;; [unrolled: 1-line block ×3, first 2 shown]
	v_add_co_u32 v21, vcc_lo, v19, s30
	s_wait_alu 0xfffd
	v_add_co_ci_u32_e64 v22, null, s31, v20, vcc_lo
	s_clause 0x1
	global_load_b64 v[23:24], v[19:20], off
	global_load_b64 v[29:30], v[21:22], off
	v_add_co_u32 v25, vcc_lo, v21, s30
	s_wait_alu 0xfffd
	v_add_co_ci_u32_e64 v26, null, s31, v22, vcc_lo
	v_mad_co_u64_u32 v[73:74], null, s22, v74, 0
	s_delay_alu instid0(VALU_DEP_3) | instskip(SKIP_1) | instid1(VALU_DEP_3)
	v_add_co_u32 v27, vcc_lo, v25, s30
	s_wait_alu 0xfffd
	v_add_co_ci_u32_e64 v28, null, s31, v26, vcc_lo
	global_load_b64 v[45:46], v[25:26], off
	v_add_co_u32 v31, vcc_lo, v27, s30
	s_wait_alu 0xfffd
	v_add_co_ci_u32_e64 v32, null, s31, v28, vcc_lo
	global_load_b64 v[53:54], v[27:28], off
	v_add_co_u32 v2, vcc_lo, v31, s30
	s_wait_alu 0xfffd
	v_add_co_ci_u32_e64 v3, null, s31, v32, vcc_lo
	global_load_b64 v[55:56], v[31:32], off
	v_add_co_u32 v19, vcc_lo, v2, s30
	s_wait_alu 0xfffd
	v_add_co_ci_u32_e64 v20, null, s31, v3, vcc_lo
	global_load_b64 v[57:58], v[2:3], off
	v_add_co_u32 v21, vcc_lo, v19, s30
	s_wait_alu 0xfffd
	v_add_co_ci_u32_e64 v22, null, s31, v20, vcc_lo
	global_load_b64 v[59:60], v[19:20], off
	v_add_co_u32 v25, vcc_lo, v21, s30
	s_wait_alu 0xfffd
	v_add_co_ci_u32_e64 v26, null, s31, v22, vcc_lo
	v_mul_lo_u32 v78, s23, v75
	s_delay_alu instid0(VALU_DEP_3) | instskip(SKIP_1) | instid1(VALU_DEP_3)
	v_add_co_u32 v27, vcc_lo, v25, s30
	s_wait_alu 0xfffd
	v_add_co_ci_u32_e64 v28, null, s31, v26, vcc_lo
	v_mad_co_u64_u32 v[75:76], null, s22, v75, 0
	s_delay_alu instid0(VALU_DEP_3) | instskip(SKIP_1) | instid1(VALU_DEP_3)
	v_add_co_u32 v2, vcc_lo, v27, s30
	s_wait_alu 0xfffd
	v_add_co_ci_u32_e64 v3, null, s31, v28, vcc_lo
	v_mov_b32_e32 v31, 0
	s_delay_alu instid0(VALU_DEP_3) | instskip(SKIP_1) | instid1(VALU_DEP_3)
	v_add_co_u32 v19, vcc_lo, v2, s30
	s_wait_alu 0xfffd
	v_add_co_ci_u32_e64 v20, null, s31, v3, vcc_lo
	global_load_b64 v[61:62], v[21:22], off
	global_load_b64 v[63:64], v[25:26], off
	;; [unrolled: 1-line block ×6, first 2 shown]
	s_wait_alu 0xfffe
	v_add_co_u32 v244, vcc_lo, v5, s40
	s_wait_alu 0xfffd
	v_add_co_ci_u32_e64 v245, null, s41, v6, vcc_lo
	v_add_co_u32 v246, vcc_lo, v212, s40
	s_wait_alu 0xfffd
	v_add_co_ci_u32_e64 v247, null, s41, v213, vcc_lo
	;; [unrolled: 3-line block ×14, first 2 shown]
	v_add_co_u32 v162, vcc_lo, v238, s40
	v_mov_b32_e32 v25, 0
	v_mov_b32_e32 v19, 0
	;; [unrolled: 1-line block ×3, first 2 shown]
	s_mul_i32 s37, s22, s37
	s_wait_alu 0xfffd
	v_add_co_ci_u32_e64 v163, null, s41, v239, vcc_lo
	v_add_co_u32 v164, vcc_lo, v240, s40
	v_mov_b32_e32 v2, 0
	v_mov_b32_e32 v32, 0
	v_dual_mov_b32 v26, 0 :: v_dual_mov_b32 v27, 0
	v_dual_mov_b32 v20, 0 :: v_dual_mov_b32 v21, 0
	;; [unrolled: 1-line block ×3, first 2 shown]
	v_mov_b32_e32 v28, 0
	v_mov_b32_e32 v22, 0
	s_wait_alu 0xfffd
	v_add_co_ci_u32_e64 v165, null, s41, v241, vcc_lo
	s_wait_alu 0xfffe
	v_add3_u32 v74, v74, s37, v77
	v_add3_u32 v76, v76, s37, v78
	s_mul_u64 s[38:39], s[16:17], s[2:3]
	s_wait_alu 0xfffe
	s_add_nc_u64 s[36:37], s[14:15], s[38:39]
	s_add_co_i32 s38, s1, -1
	s_mov_b32 s39, 0
	s_wait_loadcnt 0xf
	v_dual_mov_b32 v78, v12 :: v_dual_mov_b32 v77, v11
	s_wait_loadcnt 0xe
	v_dual_mov_b32 v106, v14 :: v_dual_mov_b32 v105, v13
	;; [unrolled: 2-line block ×16, first 2 shown]
.LBB94_8:                               ;   Parent Loop BB94_4 Depth=1
                                        ; =>  This Inner Loop Header: Depth=2
	v_add_co_u32 v141, vcc_lo, v244, v145
	s_wait_alu 0xfffd
	v_add_co_ci_u32_e64 v142, null, 0, v245, vcc_lo
	s_wait_alu 0xfffe
	s_cmp_lg_u32 s38, s39
	v_add_co_u32 v109, vcc_lo, 0x200, v141
	s_wait_alu 0xfffd
	v_add_co_ci_u32_e64 v110, null, 0, v142, vcc_lo
	s_delay_alu instid0(VALU_DEP_2) | instskip(SKIP_1) | instid1(VALU_DEP_2)
	v_add_co_u32 v133, vcc_lo, v109, s26
	s_wait_alu 0xfffd
	v_add_co_ci_u32_e64 v134, null, s27, v110, vcc_lo
	s_delay_alu instid0(VALU_DEP_2) | instskip(SKIP_1) | instid1(VALU_DEP_2)
	;; [unrolled: 4-line block ×8, first 2 shown]
	v_add_co_u32 v117, vcc_lo, v115, s26
	s_wait_alu 0xfffd
	v_add_co_ci_u32_e64 v118, null, s27, v116, vcc_lo
	v_add_co_u32 v119, vcc_lo, s36, v73
	s_wait_alu 0xfffd
	v_add_co_ci_u32_e64 v120, null, s37, v74, vcc_lo
	v_add_co_u32 v121, vcc_lo, v117, s26
	s_wait_alu 0xfffd
	v_add_co_ci_u32_e64 v122, null, s27, v118, vcc_lo
	global_load_b64 v[143:144], v[119:120], off
	v_add_co_u32 v123, vcc_lo, v121, s26
	s_wait_alu 0xfffd
	v_add_co_ci_u32_e64 v124, null, s27, v122, vcc_lo
	s_clause 0x3
	global_load_b64 v[109:110], v[109:110], off
	global_load_b64 v[111:112], v[111:112], off
	;; [unrolled: 1-line block ×4, first 2 shown]
	v_add_co_u32 v125, vcc_lo, v123, s26
	s_wait_alu 0xfffd
	v_add_co_ci_u32_e64 v126, null, s27, v124, vcc_lo
	global_load_b64 v[117:118], v[117:118], off
	v_add_co_u32 v127, vcc_lo, v125, s26
	s_wait_alu 0xfffd
	v_add_co_ci_u32_e64 v128, null, s27, v126, vcc_lo
	global_load_b64 v[119:120], v[121:122], off
	;; [unrolled: 4-line block ×3, first 2 shown]
	v_add_co_u32 v131, vcc_lo, v129, s26
	s_wait_alu 0xfffd
	v_add_co_ci_u32_e64 v132, null, s27, v130, vcc_lo
	s_delay_alu instid0(VALU_DEP_2) | instskip(SKIP_1) | instid1(VALU_DEP_2)
	v_add_co_u32 v139, vcc_lo, v131, s26
	s_wait_alu 0xfffd
	v_add_co_ci_u32_e64 v140, null, s27, v132, vcc_lo
	global_load_b64 v[123:124], v[125:126], off
	global_load_b64 v[125:126], v[127:128], off
	;; [unrolled: 1-line block ×5, first 2 shown]
	s_clause 0x3
	global_load_b64 v[133:134], v[133:134], off
	global_load_b64 v[135:136], v[135:136], off
	;; [unrolled: 1-line block ×3, first 2 shown]
	global_load_b64 v[139:140], v[141:142], off offset:512
	s_cbranch_scc0 .LBB94_10
; %bb.9:                                ;   in Loop: Header=BB94_8 Depth=2
	v_add_co_u32 v79, vcc_lo, v246, v145
	s_wait_alu 0xfffd
	v_add_co_ci_u32_e64 v80, null, 0, v247, vcc_lo
	v_add_co_u32 v81, vcc_lo, v248, v145
	s_wait_alu 0xfffd
	v_add_co_ci_u32_e64 v82, null, 0, v249, vcc_lo
	;; [unrolled: 3-line block ×15, first 2 shown]
	global_load_b64 v[77:78], v[141:142], off offset:1024
	global_load_b64 v[79:80], v[79:80], off
	global_load_b64 v[81:82], v[81:82], off
	;; [unrolled: 1-line block ×15, first 2 shown]
.LBB94_10:                              ;   in Loop: Header=BB94_8 Depth=2
	s_wait_loadcnt 0x10
	v_fma_f64 v[13:14], v[13:14], v[143:144], v[17:18]
	v_add_co_u32 v17, vcc_lo, s36, v75
	s_wait_alu 0xfffd
	v_add_co_ci_u32_e64 v18, null, s37, v76, vcc_lo
	v_fma_f64 v[27:28], v[29:30], v[143:144], v[27:28]
	v_fma_f64 v[2:3], v[11:12], v[143:144], v[2:3]
	;; [unrolled: 1-line block ×3, first 2 shown]
	global_load_b64 v[29:30], v[17:18], off
	v_fma_f64 v[47:48], v[67:68], v[143:144], v[47:48]
	v_fma_f64 v[49:50], v[65:66], v[143:144], v[49:50]
	;; [unrolled: 1-line block ×12, first 2 shown]
	v_add_co_u32 v244, vcc_lo, 0x400, v244
	s_wait_alu 0xfffd
	v_add_co_ci_u32_e64 v245, null, 0, v245, vcc_lo
	v_add_co_u32 v246, vcc_lo, 0x400, v246
	s_wait_alu 0xfffd
	v_add_co_ci_u32_e64 v247, null, 0, v247, vcc_lo
	;; [unrolled: 3-line block ×16, first 2 shown]
	s_add_co_i32 s39, s39, 1
	s_add_nc_u64 s[36:37], s[36:37], s[24:25]
	s_wait_alu 0xfffe
	s_cmp_ge_i32 s39, s1
	s_wait_loadcnt 0x0
	v_fma_f64 v[2:3], v[139:140], v[29:30], v[2:3]
	v_fma_f64 v[51:52], v[133:134], v[29:30], v[11:12]
	;; [unrolled: 1-line block ×16, first 2 shown]
	s_cbranch_scc1 .LBB94_13
; %bb.11:                               ;   in Loop: Header=BB94_8 Depth=2
	v_dual_mov_b32 v11, v77 :: v_dual_mov_b32 v12, v78
	v_dual_mov_b32 v69, v79 :: v_dual_mov_b32 v70, v80
	v_dual_mov_b32 v67, v81 :: v_dual_mov_b32 v68, v82
	v_dual_mov_b32 v65, v83 :: v_dual_mov_b32 v66, v84
	v_dual_mov_b32 v63, v85 :: v_dual_mov_b32 v64, v86
	v_dual_mov_b32 v61, v87 :: v_dual_mov_b32 v62, v88
	v_dual_mov_b32 v59, v89 :: v_dual_mov_b32 v60, v90
	v_dual_mov_b32 v57, v91 :: v_dual_mov_b32 v58, v92
	v_dual_mov_b32 v55, v93 :: v_dual_mov_b32 v56, v94
	v_dual_mov_b32 v53, v95 :: v_dual_mov_b32 v54, v96
	v_dual_mov_b32 v45, v97 :: v_dual_mov_b32 v46, v98
	v_dual_mov_b32 v29, v99 :: v_dual_mov_b32 v30, v100
	v_dual_mov_b32 v23, v101 :: v_dual_mov_b32 v24, v102
	v_dual_mov_b32 v15, v103 :: v_dual_mov_b32 v16, v104
	v_dual_mov_b32 v13, v105 :: v_dual_mov_b32 v14, v106
	v_dual_mov_b32 v71, v107 :: v_dual_mov_b32 v72, v108
	s_branch .LBB94_8
.LBB94_12:                              ;   in Loop: Header=BB94_4 Depth=1
	v_mov_b32_e32 v35, 0
	v_mov_b32_e32 v21, 0
	;; [unrolled: 1-line block ×6, first 2 shown]
	v_dual_mov_b32 v49, 0 :: v_dual_mov_b32 v36, 0
	v_dual_mov_b32 v17, 0 :: v_dual_mov_b32 v22, 0
	;; [unrolled: 1-line block ×7, first 2 shown]
	v_mov_b32_e32 v47, 0
	v_dual_mov_b32 v51, 0 :: v_dual_mov_b32 v2, 0
	v_mov_b32_e32 v18, 0
	v_mov_b32_e32 v20, 0
	;; [unrolled: 1-line block ×7, first 2 shown]
	v_dual_mov_b32 v52, 0 :: v_dual_mov_b32 v3, 0
.LBB94_13:                              ;   in Loop: Header=BB94_4 Depth=1
	ds_store_2addr_stride64_b64 v242, v[2:3], v[51:52] offset1:1
	ds_store_2addr_stride64_b64 v242, v[47:48], v[49:50] offset0:2 offset1:3
	ds_store_2addr_stride64_b64 v242, v[41:42], v[43:44] offset0:4 offset1:5
	;; [unrolled: 1-line block ×6, first 2 shown]
	ds_store_b64 v242, v[17:18] offset:7168
	ds_store_b64 v243, v[35:36]
	s_wait_storecnt_dscnt 0x0
	s_barrier_signal -1
	s_barrier_wait -1
	global_inv scope:SCOPE_SE
	s_and_saveexec_b32 s1, s0
	s_cbranch_execz .LBB94_2
; %bb.14:                               ;   in Loop: Header=BB94_4 Depth=1
	s_clause 0x4
	scratch_load_b32 v2, off, off
	scratch_load_b32 v11, off, off offset:4
	scratch_load_b32 v13, off, off offset:8
	;; [unrolled: 1-line block ×4, first 2 shown]
	s_mul_u64 s[36:37], s[28:29], s[2:3]
	s_wait_alu 0xfffe
	s_lshl_b64 s[36:37], s[36:37], 3
	s_wait_loadcnt 0x4
	ds_load_b64 v[2:3], v2
	s_wait_loadcnt 0x3
	ds_load_b64 v[11:12], v11
	;; [unrolled: 2-line block ×5, first 2 shown]
	s_wait_dscnt 0x4
	v_add_f64_e32 v[2:3], 0, v[2:3]
	s_wait_dscnt 0x3
	s_delay_alu instid0(VALU_DEP_1)
	v_add_f64_e32 v[2:3], v[2:3], v[11:12]
	scratch_load_b32 v11, off, off offset:16 ; 4-byte Folded Reload
	s_wait_dscnt 0x2
	v_add_f64_e32 v[2:3], v[2:3], v[13:14]
	scratch_load_b32 v13, off, off offset:20 ; 4-byte Folded Reload
	s_wait_dscnt 0x1
	v_add_f64_e32 v[2:3], v[2:3], v[15:16]
	scratch_load_b32 v15, off, off offset:24 ; 4-byte Folded Reload
	s_wait_loadcnt 0x2
	ds_load_b64 v[11:12], v11
	s_wait_loadcnt 0x1
	ds_load_b64 v[13:14], v13
	;; [unrolled: 2-line block ×3, first 2 shown]
	s_wait_dscnt 0x2
	v_add_f64_e32 v[2:3], v[2:3], v[11:12]
	scratch_load_b32 v11, off, off offset:32 ; 4-byte Folded Reload
	s_wait_dscnt 0x1
	v_add_f64_e32 v[2:3], v[2:3], v[13:14]
	scratch_load_b32 v13, off, off offset:36 ; 4-byte Folded Reload
	;; [unrolled: 3-line block ×3, first 2 shown]
	v_add_f64_e32 v[2:3], v[2:3], v[17:18]
	scratch_load_b32 v17, off, off offset:44 ; 4-byte Folded Reload
	s_wait_loadcnt 0x3
	ds_load_b64 v[11:12], v11
	s_wait_loadcnt 0x2
	ds_load_b64 v[13:14], v13
	;; [unrolled: 2-line block ×4, first 2 shown]
	s_wait_dscnt 0x3
	v_add_f64_e32 v[2:3], v[2:3], v[11:12]
	scratch_load_b32 v11, off, off offset:48 ; 4-byte Folded Reload
	s_wait_dscnt 0x2
	v_add_f64_e32 v[2:3], v[2:3], v[13:14]
	scratch_load_b32 v13, off, off offset:52 ; 4-byte Folded Reload
	;; [unrolled: 3-line block ×4, first 2 shown]
	s_wait_loadcnt 0x3
	ds_load_b64 v[11:12], v11
	s_wait_loadcnt 0x2
	ds_load_b64 v[13:14], v13
	;; [unrolled: 2-line block ×4, first 2 shown]
	s_wait_dscnt 0x3
	v_add_f64_e32 v[2:3], v[2:3], v[11:12]
	scratch_load_b32 v11, off, off offset:64 ; 4-byte Folded Reload
	s_wait_dscnt 0x2
	v_add_f64_e32 v[2:3], v[2:3], v[13:14]
	scratch_load_b32 v13, off, off offset:68 ; 4-byte Folded Reload
	;; [unrolled: 3-line block ×4, first 2 shown]
	s_wait_loadcnt 0x3
	ds_load_b64 v[11:12], v11
	s_wait_loadcnt 0x2
	ds_load_b64 v[13:14], v13
	;; [unrolled: 2-line block ×4, first 2 shown]
	s_wait_dscnt 0x3
	v_add_f64_e32 v[2:3], v[2:3], v[11:12]
	s_wait_dscnt 0x2
	s_delay_alu instid0(VALU_DEP_1) | instskip(SKIP_1) | instid1(VALU_DEP_1)
	v_add_f64_e32 v[2:3], v[2:3], v[13:14]
	s_wait_dscnt 0x1
	v_add_f64_e32 v[2:3], v[2:3], v[15:16]
	s_wait_dscnt 0x0
	s_delay_alu instid0(VALU_DEP_1)
	v_add_f64_e32 v[2:3], v[2:3], v[17:18]
	ds_load_b64 v[11:12], v166
	ds_load_b64 v[13:14], v167
	ds_load_b64 v[15:16], v168
	ds_load_b64 v[17:18], v169
	s_wait_dscnt 0x3
	v_add_f64_e32 v[2:3], v[2:3], v[11:12]
	s_wait_dscnt 0x2
	s_delay_alu instid0(VALU_DEP_1) | instskip(SKIP_1) | instid1(VALU_DEP_1)
	v_add_f64_e32 v[2:3], v[2:3], v[13:14]
	s_wait_dscnt 0x1
	v_add_f64_e32 v[2:3], v[2:3], v[15:16]
	s_wait_dscnt 0x0
	s_delay_alu instid0(VALU_DEP_1)
	v_add_f64_e32 v[2:3], v[2:3], v[17:18]
	ds_load_b64 v[11:12], v170
	ds_load_b64 v[13:14], v171
	ds_load_b64 v[15:16], v172
	ds_load_b64 v[17:18], v173
	;; [unrolled: 14-line block ×10, first 2 shown]
	s_wait_dscnt 0x3
	v_add_f64_e32 v[19:20], v[2:3], v[11:12]
	s_wait_alu 0xfffe
	v_add_co_u32 v11, vcc_lo, v210, s36
	s_wait_alu 0xfffd
	v_add_co_ci_u32_e64 v12, null, s37, v211, vcc_lo
	s_mov_b32 s36, 0
	global_load_b64 v[2:3], v[11:12], off
	s_wait_dscnt 0x2
	v_add_f64_e32 v[13:14], v[19:20], v[13:14]
	s_wait_dscnt 0x1
	s_delay_alu instid0(VALU_DEP_1) | instskip(SKIP_1) | instid1(VALU_DEP_1)
	v_add_f64_e32 v[13:14], v[13:14], v[15:16]
	s_wait_dscnt 0x0
	v_add_f64_e32 v[13:14], v[13:14], v[17:18]
	ds_load_b64 v[15:16], v206
	ds_load_b64 v[17:18], v207
	;; [unrolled: 1-line block ×4, first 2 shown]
	s_wait_dscnt 0x3
	v_add_f64_e32 v[13:14], v[13:14], v[15:16]
	s_wait_dscnt 0x2
	s_delay_alu instid0(VALU_DEP_1) | instskip(SKIP_1) | instid1(VALU_DEP_1)
	v_add_f64_e32 v[13:14], v[13:14], v[17:18]
	s_wait_dscnt 0x1
	v_add_f64_e32 v[13:14], v[13:14], v[19:20]
	s_wait_dscnt 0x0
	s_delay_alu instid0(VALU_DEP_1) | instskip(NEXT) | instid1(VALU_DEP_1)
	v_add_f64_e32 v[13:14], v[13:14], v[21:22]
	v_mul_f64_e32 v[13:14], v[0:1], v[13:14]
.LBB94_15:                              ;   Parent Loop BB94_4 Depth=1
                                        ; =>  This Inner Loop Header: Depth=2
	s_wait_loadcnt 0x0
	s_delay_alu instid0(VALU_DEP_1)
	v_add_f64_e32 v[0:1], v[2:3], v[13:14]
	global_atomic_cmpswap_b64 v[0:1], v[11:12], v[0:3], off th:TH_ATOMIC_RETURN scope:SCOPE_DEV
	s_wait_loadcnt 0x0
	v_cmp_eq_u64_e32 vcc_lo, v[0:1], v[2:3]
	v_dual_mov_b32 v3, v1 :: v_dual_mov_b32 v2, v0
	s_wait_alu 0xfffe
	s_or_b32 s36, vcc_lo, s36
	s_wait_alu 0xfffe
	s_and_not1_b32 exec_lo, exec_lo, s36
	s_cbranch_execnz .LBB94_15
	s_branch .LBB94_2
.LBB94_16:
	s_nop 0
	s_sendmsg sendmsg(MSG_DEALLOC_VGPRS)
	s_endpgm
	.section	.rodata,"a",@progbits
	.p2align	6, 0x0
	.amdhsa_kernel _ZL36rocblas_gemvt_double_buffered_kernelILb1ELi128ELi4ELi16EdPKddEviiT4_lPKT3_lilS5_lilPT5_lili
		.amdhsa_group_segment_fixed_size 65536
		.amdhsa_private_segment_fixed_size 84
		.amdhsa_kernarg_size 384
		.amdhsa_user_sgpr_count 2
		.amdhsa_user_sgpr_dispatch_ptr 0
		.amdhsa_user_sgpr_queue_ptr 0
		.amdhsa_user_sgpr_kernarg_segment_ptr 1
		.amdhsa_user_sgpr_dispatch_id 0
		.amdhsa_user_sgpr_private_segment_size 0
		.amdhsa_wavefront_size32 1
		.amdhsa_uses_dynamic_stack 0
		.amdhsa_enable_private_segment 1
		.amdhsa_system_sgpr_workgroup_id_x 1
		.amdhsa_system_sgpr_workgroup_id_y 1
		.amdhsa_system_sgpr_workgroup_id_z 1
		.amdhsa_system_sgpr_workgroup_info 0
		.amdhsa_system_vgpr_workitem_id 1
		.amdhsa_next_free_vgpr 256
		.amdhsa_next_free_sgpr 43
		.amdhsa_reserve_vcc 1
		.amdhsa_float_round_mode_32 0
		.amdhsa_float_round_mode_16_64 0
		.amdhsa_float_denorm_mode_32 3
		.amdhsa_float_denorm_mode_16_64 3
		.amdhsa_fp16_overflow 0
		.amdhsa_workgroup_processor_mode 1
		.amdhsa_memory_ordered 1
		.amdhsa_forward_progress 1
		.amdhsa_inst_pref_size 63
		.amdhsa_round_robin_scheduling 0
		.amdhsa_exception_fp_ieee_invalid_op 0
		.amdhsa_exception_fp_denorm_src 0
		.amdhsa_exception_fp_ieee_div_zero 0
		.amdhsa_exception_fp_ieee_overflow 0
		.amdhsa_exception_fp_ieee_underflow 0
		.amdhsa_exception_fp_ieee_inexact 0
		.amdhsa_exception_int_div_zero 0
	.end_amdhsa_kernel
	.section	.text._ZL36rocblas_gemvt_double_buffered_kernelILb1ELi128ELi4ELi16EdPKddEviiT4_lPKT3_lilS5_lilPT5_lili,"axG",@progbits,_ZL36rocblas_gemvt_double_buffered_kernelILb1ELi128ELi4ELi16EdPKddEviiT4_lPKT3_lilS5_lilPT5_lili,comdat
.Lfunc_end94:
	.size	_ZL36rocblas_gemvt_double_buffered_kernelILb1ELi128ELi4ELi16EdPKddEviiT4_lPKT3_lilS5_lilPT5_lili, .Lfunc_end94-_ZL36rocblas_gemvt_double_buffered_kernelILb1ELi128ELi4ELi16EdPKddEviiT4_lPKT3_lilS5_lilPT5_lili
                                        ; -- End function
	.set _ZL36rocblas_gemvt_double_buffered_kernelILb1ELi128ELi4ELi16EdPKddEviiT4_lPKT3_lilS5_lilPT5_lili.num_vgpr, 256
	.set _ZL36rocblas_gemvt_double_buffered_kernelILb1ELi128ELi4ELi16EdPKddEviiT4_lPKT3_lilS5_lilPT5_lili.num_agpr, 0
	.set _ZL36rocblas_gemvt_double_buffered_kernelILb1ELi128ELi4ELi16EdPKddEviiT4_lPKT3_lilS5_lilPT5_lili.numbered_sgpr, 43
	.set _ZL36rocblas_gemvt_double_buffered_kernelILb1ELi128ELi4ELi16EdPKddEviiT4_lPKT3_lilS5_lilPT5_lili.num_named_barrier, 0
	.set _ZL36rocblas_gemvt_double_buffered_kernelILb1ELi128ELi4ELi16EdPKddEviiT4_lPKT3_lilS5_lilPT5_lili.private_seg_size, 84
	.set _ZL36rocblas_gemvt_double_buffered_kernelILb1ELi128ELi4ELi16EdPKddEviiT4_lPKT3_lilS5_lilPT5_lili.uses_vcc, 1
	.set _ZL36rocblas_gemvt_double_buffered_kernelILb1ELi128ELi4ELi16EdPKddEviiT4_lPKT3_lilS5_lilPT5_lili.uses_flat_scratch, 1
	.set _ZL36rocblas_gemvt_double_buffered_kernelILb1ELi128ELi4ELi16EdPKddEviiT4_lPKT3_lilS5_lilPT5_lili.has_dyn_sized_stack, 0
	.set _ZL36rocblas_gemvt_double_buffered_kernelILb1ELi128ELi4ELi16EdPKddEviiT4_lPKT3_lilS5_lilPT5_lili.has_recursion, 0
	.set _ZL36rocblas_gemvt_double_buffered_kernelILb1ELi128ELi4ELi16EdPKddEviiT4_lPKT3_lilS5_lilPT5_lili.has_indirect_call, 0
	.section	.AMDGPU.csdata,"",@progbits
; Kernel info:
; codeLenInByte = 8000
; TotalNumSgprs: 45
; NumVgprs: 256
; ScratchSize: 84
; MemoryBound: 0
; FloatMode: 240
; IeeeMode: 1
; LDSByteSize: 65536 bytes/workgroup (compile time only)
; SGPRBlocks: 0
; VGPRBlocks: 31
; NumSGPRsForWavesPerEU: 45
; NumVGPRsForWavesPerEU: 256
; Occupancy: 5
; WaveLimiterHint : 0
; COMPUTE_PGM_RSRC2:SCRATCH_EN: 1
; COMPUTE_PGM_RSRC2:USER_SGPR: 2
; COMPUTE_PGM_RSRC2:TRAP_HANDLER: 0
; COMPUTE_PGM_RSRC2:TGID_X_EN: 1
; COMPUTE_PGM_RSRC2:TGID_Y_EN: 1
; COMPUTE_PGM_RSRC2:TGID_Z_EN: 1
; COMPUTE_PGM_RSRC2:TIDIG_COMP_CNT: 1
	.section	.text._ZL36rocblas_gemvt_double_buffered_kernelILb1ELi128ELi4ELi16EdddEviiT4_lPKT3_lilS3_lilPT5_lili,"axG",@progbits,_ZL36rocblas_gemvt_double_buffered_kernelILb1ELi128ELi4ELi16EdddEviiT4_lPKT3_lilS3_lilPT5_lili,comdat
	.globl	_ZL36rocblas_gemvt_double_buffered_kernelILb1ELi128ELi4ELi16EdddEviiT4_lPKT3_lilS3_lilPT5_lili ; -- Begin function _ZL36rocblas_gemvt_double_buffered_kernelILb1ELi128ELi4ELi16EdddEviiT4_lPKT3_lilS3_lilPT5_lili
	.p2align	8
	.type	_ZL36rocblas_gemvt_double_buffered_kernelILb1ELi128ELi4ELi16EdddEviiT4_lPKT3_lilS3_lilPT5_lili,@function
_ZL36rocblas_gemvt_double_buffered_kernelILb1ELi128ELi4ELi16EdddEviiT4_lPKT3_lilS3_lilPT5_lili: ; @_ZL36rocblas_gemvt_double_buffered_kernelILb1ELi128ELi4ELi16EdddEviiT4_lPKT3_lilS3_lilPT5_lili
; %bb.0:
	s_load_b32 s33, s[0:1], 0x78
	s_lshr_b32 s2, ttmp7, 16
	s_wait_kmcnt 0x0
	s_cmp_ge_u32 s2, s33
	s_cbranch_scc1 .LBB95_16
; %bb.1:
	v_and_b32_e32 v4, 0x3ff, v0
	v_bfe_u32 v5, v0, 10, 10
	s_clause 0x8
	s_load_b32 s34, s[0:1], 0x28
	s_load_b96 s[16:18], s[0:1], 0x40
	s_load_b96 s[20:22], s[0:1], 0x60
	s_load_b128 s[12:15], s[0:1], 0x18
	s_load_b32 s3, s[0:1], 0x0
	s_load_b128 s[8:11], s[0:1], 0x50
	s_load_b128 s[4:7], s[0:1], 0x30
	s_load_b64 s[24:25], s[0:1], 0x8
	s_load_b64 s[26:27], s[0:1], 0x70
	v_dual_mov_b32 v3, 0 :: v_dual_and_b32 v2, 63, v0
	s_lshl_b32 s30, ttmp9, 7
	v_lshl_add_u32 v8, v5, 7, v4
	s_ashr_i32 s31, s30, 31
	s_delay_alu instid0(VALU_DEP_2)
	v_lshlrev_b32_e32 v142, 3, v2
	v_lshlrev_b32_e32 v11, 9, v4
	v_add_nc_u32_e32 v12, 6, v4
	v_lshrrev_b32_e32 v9, 2, v8
	s_and_b32 s40, ttmp7, 0xffff
	s_wait_kmcnt 0x0
	s_ashr_i32 s35, s34, 31
	v_and_b32_e32 v12, 63, v12
	v_and_b32_e32 v10, 0x7ff0, v9
	s_lshl_b64 s[14:15], s[14:15], 3
	v_lshl_or_b32 v14, v9, 9, 0x1e00
	s_add_nc_u64 s[36:37], s[12:13], s[14:15]
	s_mul_u64 s[14:15], s[34:35], s[30:31]
	v_mad_co_i64_i32 v[0:1], null, s34, v10, v[2:3]
	v_add_nc_u32_e32 v3, 1, v4
	s_add_nc_u64 s[12:13], s[0:1], 0x80
	s_lshl_b64 s[0:1], s[14:15], 3
	v_add_nc_u32_e32 v9, 4, v4
	s_add_nc_u64 s[14:15], s[36:37], s[0:1]
	v_and_b32_e32 v3, 63, v3
	v_cmp_eq_u32_e64 s0, 0, v5
	v_or_b32_e32 v5, v11, v142
	v_lshlrev_b32_e32 v13, 9, v10
	v_add_nc_u32_e32 v10, 5, v4
	v_lshl_or_b32 v3, v3, 3, v11
	v_and_b32_e32 v9, 63, v9
	scratch_store_b32 off, v5, off          ; 4-byte Folded Spill
	v_add_nc_u32_e32 v5, 3, v4
	v_and_b32_e32 v10, 63, v10
	scratch_store_b32 off, v3, off offset:4 ; 4-byte Folded Spill
	v_add_nc_u32_e32 v3, 2, v4
	v_xor_b32_e32 v2, 32, v2
	v_and_b32_e32 v5, 63, v5
	s_lshl_b64 s[20:21], s[20:21], 3
	s_ashr_i32 s23, s3, 31
	v_and_b32_e32 v3, 63, v3
	v_lshl_or_b32 v175, v2, 3, v11
	s_ashr_i32 s29, s22, 31
	s_mov_b32 s28, s22
	s_add_nc_u64 s[20:21], s[10:11], s[20:21]
	v_lshl_or_b32 v3, v3, 3, v11
	s_lshr_b32 s10, s23, 25
	s_mul_u64 s[28:29], s[28:29], s[30:31]
	v_cvt_f64_i32_e32 v[6:7], s40
	s_lshl_b64 s[28:29], s[28:29], 3
	scratch_store_b32 off, v3, off offset:8 ; 4-byte Folded Spill
	v_lshl_or_b32 v3, v5, 3, v11
	v_add_nc_u32_e32 v5, 8, v4
	s_add_nc_u64 s[28:29], s[20:21], s[28:29]
	s_add_co_i32 s3, s3, s10
	v_add_nc_u32_e32 v239, v142, v13
	scratch_store_b32 off, v3, off offset:12 ; 4-byte Folded Spill
	v_lshl_or_b32 v3, v9, 3, v11
	v_add_nc_u32_e32 v9, 9, v4
	v_and_b32_e32 v5, 63, v5
	v_add_nc_u32_e32 v240, v142, v14
	s_ashr_i32 s19, s18, 31
	scratch_store_b32 off, v3, off offset:16 ; 4-byte Folded Spill
	v_lshl_or_b32 v3, v10, 3, v11
	v_add_nc_u32_e32 v10, 10, v4
	v_and_b32_e32 v9, 63, v9
	s_ashr_i32 s10, s3, 7
	s_mov_b32 s3, 0
	scratch_store_b32 off, v3, off offset:20 ; 4-byte Folded Spill
	v_lshl_or_b32 v3, v12, 3, v11
	v_add_nc_u32_e32 v12, 11, v4
	v_and_b32_e32 v10, 63, v10
	s_mul_u64 s[38:39], s[34:35], 15
	s_lshl_b64 s[16:17], s[16:17], 3
	scratch_store_b32 off, v3, off offset:24 ; 4-byte Folded Spill
	v_add_nc_u32_e32 v3, 7, v4
	v_and_b32_e32 v12, 63, v12
	s_lshl_b64 s[20:21], s[18:19], 10
	s_mov_b32 s11, s3
	s_add_nc_u64 s[6:7], s[6:7], s[16:17]
	v_and_b32_e32 v3, 63, v3
	s_lshl_b64 s[8:9], s[8:9], 3
	s_lshl_b64 s[16:17], s[38:39], 3
	s_delay_alu instid0(VALU_DEP_1)
	v_lshl_or_b32 v3, v3, 3, v11
	v_max_num_f64_e32 v[6:7], v[6:7], v[6:7]
	scratch_store_b32 off, v3, off offset:28 ; 4-byte Folded Spill
	v_lshl_or_b32 v3, v5, 3, v11
	v_add_nc_u32_e32 v5, 13, v4
	scratch_store_b32 off, v3, off offset:32 ; 4-byte Folded Spill
	v_lshl_or_b32 v3, v9, 3, v11
	v_add_nc_u32_e32 v9, 14, v4
	v_and_b32_e32 v5, 63, v5
	scratch_store_b32 off, v3, off offset:36 ; 4-byte Folded Spill
	v_lshl_or_b32 v3, v10, 3, v11
	v_add_nc_u32_e32 v10, 15, v4
	v_and_b32_e32 v9, 63, v9
	;; [unrolled: 4-line block ×3, first 2 shown]
	scratch_store_b32 off, v3, off offset:44 ; 4-byte Folded Spill
	v_add_nc_u32_e32 v3, 12, v4
	v_and_b32_e32 v12, 63, v12
	s_delay_alu instid0(VALU_DEP_2) | instskip(NEXT) | instid1(VALU_DEP_1)
	v_and_b32_e32 v3, 63, v3
	v_lshl_or_b32 v3, v3, 3, v11
	scratch_store_b32 off, v3, off offset:48 ; 4-byte Folded Spill
	v_lshl_or_b32 v3, v5, 3, v11
	v_add_nc_u32_e32 v5, 18, v4
	scratch_store_b32 off, v3, off offset:52 ; 4-byte Folded Spill
	v_lshl_or_b32 v3, v9, 3, v11
	v_add_nc_u32_e32 v9, 19, v4
	v_and_b32_e32 v5, 63, v5
	scratch_store_b32 off, v3, off offset:56 ; 4-byte Folded Spill
	v_lshl_or_b32 v3, v10, 3, v11
	v_add_nc_u32_e32 v10, 20, v4
	v_and_b32_e32 v9, 63, v9
	v_lshl_or_b32 v161, v5, 3, v11
	v_add_nc_u32_e32 v5, 23, v4
	scratch_store_b32 off, v3, off offset:60 ; 4-byte Folded Spill
	v_lshl_or_b32 v3, v12, 3, v11
	v_and_b32_e32 v10, 63, v10
	v_lshl_or_b32 v162, v9, 3, v11
	v_add_nc_u32_e32 v9, 24, v4
	v_and_b32_e32 v5, 63, v5
	scratch_store_b32 off, v3, off offset:64 ; 4-byte Folded Spill
	v_add_nc_u32_e32 v3, 17, v4
	v_lshl_or_b32 v163, v10, 3, v11
	v_add_nc_u32_e32 v10, 25, v4
	v_and_b32_e32 v9, 63, v9
	v_lshl_or_b32 v166, v5, 3, v11
	v_and_b32_e32 v3, 63, v3
	v_add_nc_u32_e32 v5, 28, v4
	v_and_b32_e32 v10, 63, v10
	v_lshl_or_b32 v167, v9, 3, v11
	v_add_nc_u32_e32 v9, 29, v4
	v_lshl_or_b32 v160, v3, 3, v11
	v_add_nc_u32_e32 v3, 22, v4
	;; [unrolled: 2-line block ×3, first 2 shown]
	v_and_b32_e32 v9, 63, v9
	v_and_b32_e32 v5, 63, v5
	;; [unrolled: 1-line block ×3, first 2 shown]
	v_add_nc_u32_e32 v12, 21, v4
	v_and_b32_e32 v10, 63, v10
	v_lshl_or_b32 v172, v9, 3, v11
	v_add_nc_u32_e32 v9, 35, v4
	v_lshl_or_b32 v165, v3, 3, v11
	v_add_nc_u32_e32 v3, 27, v4
	v_lshl_or_b32 v173, v10, 3, v11
	v_add_nc_u32_e32 v10, 36, v4
	v_and_b32_e32 v2, 63, v9
	v_lshl_or_b32 v171, v5, 3, v11
	v_and_b32_e32 v3, 63, v3
	v_add_nc_u32_e32 v5, 34, v4
	v_and_b32_e32 v9, 63, v10
	v_lshl_or_b32 v178, v2, 3, v11
	v_add_nc_u32_e32 v2, 38, v4
	v_lshl_or_b32 v170, v3, 3, v11
	v_add_nc_u32_e32 v3, 33, v4
	v_and_b32_e32 v5, 63, v5
	v_lshl_or_b32 v179, v9, 3, v11
	v_add_nc_u32_e32 v9, 40, v4
	v_add_nc_u32_e32 v10, 41, v4
	v_and_b32_e32 v3, 63, v3
	v_and_b32_e32 v2, 63, v2
	v_lshl_or_b32 v177, v5, 3, v11
	v_add_nc_u32_e32 v5, 39, v4
	v_and_b32_e32 v12, 63, v12
	v_lshl_or_b32 v176, v3, 3, v11
	v_add_nc_u32_e32 v3, 37, v4
	v_lshl_or_b32 v181, v2, 3, v11
	v_add_nc_u32_e32 v2, 42, v4
	v_and_b32_e32 v5, 63, v5
	v_lshl_or_b32 v164, v12, 3, v11
	v_and_b32_e32 v3, 63, v3
	v_add_nc_u32_e32 v12, 26, v4
	v_and_b32_e32 v2, 63, v2
	v_lshl_or_b32 v182, v5, 3, v11
	v_add_nc_u32_e32 v5, 44, v4
	v_lshl_or_b32 v180, v3, 3, v11
	v_and_b32_e32 v3, 63, v9
	v_and_b32_e32 v9, 63, v10
	v_add_nc_u32_e32 v10, 46, v4
	v_lshl_or_b32 v185, v2, 3, v11
	v_and_b32_e32 v5, 63, v5
	v_lshl_or_b32 v183, v3, 3, v11
	v_lshl_or_b32 v184, v9, 3, v11
	v_add_nc_u32_e32 v3, 43, v4
	v_add_nc_u32_e32 v9, 45, v4
	v_lshl_or_b32 v187, v5, 3, v11
	v_add_nc_u32_e32 v5, 49, v4
	v_and_b32_e32 v12, 63, v12
	v_and_b32_e32 v3, 63, v3
	;; [unrolled: 1-line block ×4, first 2 shown]
	v_add_nc_u32_e32 v10, 51, v4
	v_and_b32_e32 v5, 63, v5
	v_lshl_or_b32 v186, v3, 3, v11
	v_add_nc_u32_e32 v3, 47, v4
	v_lshl_or_b32 v188, v2, 3, v11
	v_add_nc_u32_e32 v2, 48, v4
	;; [unrolled: 2-line block ×3, first 2 shown]
	v_and_b32_e32 v3, 63, v3
	v_lshl_or_b32 v192, v5, 3, v11
	v_and_b32_e32 v2, 63, v2
	v_add_nc_u32_e32 v5, 54, v4
	v_lshl_or_b32 v169, v12, 3, v11
	v_lshl_or_b32 v190, v3, 3, v11
	v_and_b32_e32 v3, 63, v9
	v_and_b32_e32 v9, 63, v10
	v_lshl_or_b32 v191, v2, 3, v11
	v_add_nc_u32_e32 v2, 52, v4
	v_add_nc_u32_e32 v10, 56, v4
	v_lshl_or_b32 v193, v3, 3, v11
	v_lshl_or_b32 v194, v9, 3, v11
	v_add_nc_u32_e32 v3, 53, v4
	v_and_b32_e32 v2, 63, v2
	v_add_nc_u32_e32 v9, 55, v4
	v_and_b32_e32 v5, 63, v5
	;; [unrolled: 2-line block ×3, first 2 shown]
	v_lshl_or_b32 v195, v2, 3, v11
	v_and_b32_e32 v2, 63, v9
	v_and_b32_e32 v9, 63, v10
	v_lshl_or_b32 v197, v5, 3, v11
	v_lshl_or_b32 v196, v3, 3, v11
	v_add_nc_u32_e32 v3, 57, v4
	v_lshl_or_b32 v198, v2, 3, v11
	v_add_nc_u32_e32 v2, 58, v4
	v_add_nc_u32_e32 v5, 59, v4
	v_lshl_or_b32 v199, v9, 3, v11
	v_and_b32_e32 v3, 63, v3
	v_add_nc_u32_e32 v9, 60, v4
	v_add_nc_u32_e32 v10, 61, v4
	v_and_b32_e32 v2, 63, v2
	v_and_b32_e32 v5, 63, v5
	v_lshl_or_b32 v200, v3, 3, v11
	v_and_b32_e32 v3, 63, v9
	v_and_b32_e32 v9, 63, v10
	v_lshl_or_b32 v201, v2, 3, v11
	v_lshl_or_b32 v202, v5, 3, v11
	v_add_nc_u32_e32 v2, 62, v4
	v_lshlrev_b32_e32 v5, 1, v8
	v_and_b32_e32 v12, 63, v12
	v_lshl_or_b32 v203, v3, 3, v11
	v_lshl_or_b32 v204, v9, 3, v11
	v_add_nc_u32_e32 v8, -1, v4
	v_and_b32_e32 v9, 63, v2
	v_mad_co_i64_i32 v[2:3], null, s22, v4, 0
	v_and_b32_e32 v4, 0x3ff80, v5
	s_lshl_b64 s[22:23], s[30:31], 3
	v_lshl_or_b32 v174, v12, 3, v11
	v_and_b32_e32 v5, 63, v8
	v_lshl_or_b32 v205, v9, 3, v11
	s_wait_alu 0xfffe
	v_add_co_u32 v12, s1, v4, s22
	s_delay_alu instid0(VALU_DEP_1) | instskip(SKIP_1) | instid1(VALU_DEP_3)
	v_add_co_ci_u32_e64 v8, null, 0, s23, s1
	v_lshl_or_b32 v206, v5, 3, v11
	v_mad_co_u64_u32 v[4:5], null, v12, s34, s[36:37]
	v_mul_lo_u32 v11, v12, s35
	s_delay_alu instid0(VALU_DEP_4)
	v_mul_lo_u32 v15, v8, s34
	v_lshlrev_b64_e32 v[2:3], 3, v[2:3]
	v_or_b32_e32 v10, 8, v12
	v_or_b32_e32 v17, 24, v12
	v_cmp_neq_f64_e64 s1, s[24:25], 0
	s_lshl_b64 s[22:23], s[34:35], 3
	s_lshl_b64 s[30:31], s[4:5], 3
	v_mad_co_u64_u32 v[8:9], null, v10, s34, s[36:37]
	v_add3_u32 v5, v15, v5, v11
	v_or_b32_e32 v11, 16, v12
	v_mul_lo_u32 v10, v10, s35
	v_add_co_u32 v207, vcc_lo, s28, v2
	s_delay_alu instid0(VALU_DEP_1) | instskip(NEXT) | instid1(VALU_DEP_4)
	v_add_co_ci_u32_e64 v208, null, s29, v3, vcc_lo
	v_mad_co_u64_u32 v[2:3], null, v11, s34, s[36:37]
	v_mul_lo_u32 v11, v11, s35
	v_add3_u32 v16, v15, v9, v10
	v_mad_co_u64_u32 v[9:10], null, v17, s34, s[36:37]
	v_mul_lo_u32 v17, v17, s35
	v_add_co_u32 v209, vcc_lo, 0x400, v8
	v_or_b32_e32 v8, 32, v12
	v_add3_u32 v3, v15, v3, v11
	s_wait_alu 0xfffd
	v_add_co_ci_u32_e64 v210, null, 0, v16, vcc_lo
	v_add_co_u32 v211, vcc_lo, 0x400, v2
	s_wait_alu 0xfffd
	v_add_co_ci_u32_e64 v212, null, 0, v3, vcc_lo
	v_add3_u32 v16, v15, v10, v17
	v_or_b32_e32 v17, 40, v12
	v_mad_co_u64_u32 v[2:3], null, v8, s34, s[36:37]
	v_mul_lo_u32 v8, v8, s35
	v_add_co_u32 v213, vcc_lo, 0x400, v9
	s_delay_alu instid0(VALU_DEP_4)
	v_mad_co_u64_u32 v[10:11], null, v17, s34, s[36:37]
	v_mul_lo_u32 v17, v17, s35
	s_wait_alu 0xfffd
	v_add_co_ci_u32_e64 v214, null, 0, v16, vcc_lo
	v_add3_u32 v3, v15, v3, v8
	v_or_b32_e32 v8, 48, v12
	v_add_co_u32 v215, vcc_lo, 0x400, v2
	v_or_b32_e32 v16, 56, v12
	s_wait_alu 0xfffd
	v_add_co_ci_u32_e64 v216, null, 0, v3, vcc_lo
	v_add3_u32 v11, v15, v11, v17
	v_mad_co_u64_u32 v[2:3], null, v8, s34, s[36:37]
	v_mul_lo_u32 v17, v8, s35
	v_add_co_u32 v217, vcc_lo, 0x400, v10
	v_or_b32_e32 v10, 64, v12
	v_mad_co_u64_u32 v[8:9], null, v16, s34, s[36:37]
	v_mul_lo_u32 v16, v16, s35
	s_wait_alu 0xfffd
	v_add_co_ci_u32_e64 v218, null, 0, v11, vcc_lo
	v_add3_u32 v3, v15, v3, v17
	v_add_co_u32 v219, vcc_lo, 0x400, v2
	v_mul_lo_u32 v17, v10, s35
	s_wait_alu 0xfffe
	s_sub_nc_u64 s[28:29], 0, s[22:23]
	s_wait_alu 0xfffd
	v_add_co_ci_u32_e64 v220, null, 0, v3, vcc_lo
	v_mad_co_u64_u32 v[2:3], null, v10, s34, s[36:37]
	v_add3_u32 v11, v15, v9, v16
	v_or_b32_e32 v16, 0x48, v12
	v_add_co_u32 v221, vcc_lo, 0x400, v8
	v_or_b32_e32 v8, 0x50, v12
	s_wait_alu 0xfffd
	v_add_co_ci_u32_e64 v222, null, 0, v11, vcc_lo
	v_add3_u32 v3, v15, v3, v17
	v_mad_co_u64_u32 v[9:10], null, v16, s34, s[36:37]
	v_mul_lo_u32 v16, v16, s35
	v_add_co_u32 v223, vcc_lo, 0x400, v2
	s_wait_alu 0xfffd
	v_add_co_ci_u32_e64 v224, null, 0, v3, vcc_lo
	v_or_b32_e32 v17, 0x58, v12
	v_mad_co_u64_u32 v[2:3], null, v8, s34, s[36:37]
	v_mul_lo_u32 v8, v8, s35
	v_add3_u32 v16, v15, v10, v16
	s_delay_alu instid0(VALU_DEP_4)
	v_mad_co_u64_u32 v[10:11], null, v17, s34, s[36:37]
	v_mul_lo_u32 v17, v17, s35
	v_add_co_u32 v225, vcc_lo, 0x400, v9
	s_wait_alu 0xfffd
	v_add_co_ci_u32_e64 v226, null, 0, v16, vcc_lo
	v_add3_u32 v3, v15, v3, v8
	v_or_b32_e32 v8, 0x60, v12
	v_add_co_u32 v227, vcc_lo, 0x400, v2
	v_or_b32_e32 v16, 0x68, v12
	s_wait_alu 0xfffd
	v_add_co_ci_u32_e64 v228, null, 0, v3, vcc_lo
	v_add3_u32 v11, v15, v11, v17
	v_mad_co_u64_u32 v[2:3], null, v8, s34, s[36:37]
	v_mul_lo_u32 v17, v8, s35
	v_mad_co_u64_u32 v[8:9], null, v16, s34, s[36:37]
	v_mul_lo_u32 v16, v16, s35
	v_add_co_u32 v229, vcc_lo, 0x400, v10
	s_wait_alu 0xfffd
	v_add_co_ci_u32_e64 v230, null, 0, v11, vcc_lo
	v_or_b32_e32 v11, 0x70, v12
	v_add3_u32 v3, v15, v3, v17
	v_or_b32_e32 v17, 0x78, v12
	v_add3_u32 v16, v15, v9, v16
	v_add_co_u32 v231, vcc_lo, 0x400, v2
	v_mad_co_u64_u32 v[9:10], null, v11, s34, s[36:37]
	v_mul_lo_u32 v18, v11, s35
	v_mad_co_u64_u32 v[11:12], null, v17, s34, s[36:37]
	v_mul_lo_u32 v17, v17, s35
	s_wait_alu 0xfffd
	v_add_co_ci_u32_e64 v232, null, 0, v3, vcc_lo
	v_add_co_u32 v233, vcc_lo, 0x400, v8
	v_add3_u32 v2, v15, v10, v18
	s_wait_alu 0xfffd
	v_add_co_ci_u32_e64 v234, null, 0, v16, vcc_lo
	v_add3_u32 v3, v15, v12, v17
	v_add_co_u32 v235, vcc_lo, 0x400, v9
	s_wait_alu 0xfffd
	v_add_co_ci_u32_e64 v236, null, 0, v2, vcc_lo
	v_add_co_u32 v237, vcc_lo, 0x400, v11
	v_lshlrev_b64_e32 v[8:9], 3, v[0:1]
	s_wait_alu 0xfffd
	v_add_co_ci_u32_e64 v238, null, 0, v3, vcc_lo
	s_branch .LBB95_4
.LBB95_2:                               ;   in Loop: Header=BB95_4 Depth=1
	s_wait_alu 0xfffe
	s_or_b32 exec_lo, exec_lo, s34
.LBB95_3:                               ;   in Loop: Header=BB95_4 Depth=1
	s_add_co_i32 s2, s2, 0x10000
	s_delay_alu instid0(SALU_CYCLE_1)
	s_cmp_lt_u32 s2, s33
	s_cbranch_scc0 .LBB95_16
.LBB95_4:                               ; =>This Loop Header: Depth=1
                                        ;     Child Loop BB95_8 Depth 2
                                        ;     Child Loop BB95_15 Depth 2
	s_and_not1_b32 vcc_lo, exec_lo, s1
	s_wait_alu 0xfffe
	s_cbranch_vccnz .LBB95_3
; %bb.5:                                ;   in Loop: Header=BB95_4 Depth=1
	s_load_b32 s36, s[12:13], 0x4
	s_wait_kmcnt 0x0
	s_cvt_f32_u32 s34, s36
	s_sub_co_i32 s35, 0, s36
	s_wait_alu 0xfffe
	s_delay_alu instid0(SALU_CYCLE_1) | instskip(NEXT) | instid1(TRANS32_DEP_1)
	v_rcp_iflag_f32_e32 v0, s34
	v_readfirstlane_b32 s34, v0
	s_mul_f32 s34, s34, 0x4f7ffffe
	s_wait_alu 0xfffe
	s_delay_alu instid0(SALU_CYCLE_2) | instskip(SKIP_1) | instid1(SALU_CYCLE_2)
	s_cvt_u32_f32 s34, s34
	s_wait_alu 0xfffe
	s_mul_i32 s35, s35, s34
	s_wait_alu 0xfffe
	s_mul_hi_u32 s35, s34, s35
	s_wait_alu 0xfffe
	s_add_co_i32 s34, s34, s35
	s_mov_b32 s35, s3
	s_wait_alu 0xfffe
	s_mul_u64 s[34:35], s[10:11], s[34:35]
	s_wait_alu 0xfffe
	s_mul_i32 s34, s35, s36
	s_add_co_i32 s37, s35, 1
	s_wait_alu 0xfffe
	s_sub_co_i32 s34, s10, s34
	s_wait_alu 0xfffe
	s_sub_co_i32 s38, s34, s36
	s_cmp_ge_u32 s34, s36
	s_cselect_b32 s35, s37, s35
	s_wait_alu 0xfffe
	s_cselect_b32 s34, s38, s34
	s_add_co_i32 s37, s35, 1
	s_wait_alu 0xfffe
	s_cmp_ge_u32 s34, s36
	s_cselect_b32 s34, s37, s35
	s_wait_alu 0xfffe
	s_mul_i32 s35, s34, s36
	s_wait_alu 0xfffe
	s_sub_co_i32 s35, s10, s35
	s_wait_alu 0xfffe
	s_cmp_lt_u32 s40, s35
	s_cselect_b32 s36, -1, 0
	s_wait_alu 0xfffe
	s_cmp_lg_u32 s36, 0
	s_add_co_ci_u32 s41, s34, 0
	s_wait_alu 0xfffe
	s_cmp_eq_u32 s41, 0
	s_cbranch_scc1 .LBB95_3
; %bb.6:                                ;   in Loop: Header=BB95_4 Depth=1
	s_cmp_lt_i32 s41, 1
	s_cbranch_scc1 .LBB95_12
; %bb.7:                                ;   in Loop: Header=BB95_4 Depth=1
	v_cvt_f64_u32_e32 v[0:1], s35
	s_mul_i32 s34, s34, s40
	v_or_b32_e32 v70, 0x200, v142
	s_wait_alu 0xfffe
	v_cvt_f64_u32_e32 v[2:3], s34
	s_mul_u64 s[34:35], s[4:5], s[2:3]
	v_mov_b32_e32 v44, 0
	s_wait_alu 0xfffe
	s_lshl_b64 s[34:35], s[34:35], 3
	v_mov_b32_e32 v38, 0
	s_wait_alu 0xfffe
	s_add_nc_u64 s[38:39], s[14:15], s[34:35]
	v_dual_mov_b32 v34, 0 :: v_dual_mov_b32 v45, 0
	v_dual_mov_b32 v46, 0 :: v_dual_mov_b32 v39, 0
	;; [unrolled: 1-line block ×4, first 2 shown]
	v_mov_b32_e32 v41, 0
	v_dual_mov_b32 v37, 0 :: v_dual_mov_b32 v30, 0
	v_dual_mov_b32 v31, 0 :: v_dual_mov_b32 v48, 0
	;; [unrolled: 1-line block ×3, first 2 shown]
	v_mov_b32_e32 v33, 0
	v_min_num_f64_e32 v[0:1], v[6:7], v[0:1]
	s_delay_alu instid0(VALU_DEP_1) | instskip(NEXT) | instid1(VALU_DEP_1)
	v_add_f64_e32 v[0:1], v[0:1], v[2:3]
	v_cvt_i32_f64_e32 v0, v[0:1]
	s_delay_alu instid0(VALU_DEP_1)
	v_readfirstlane_b32 s36, v0
	s_lshl_b32 s36, s36, 7
	s_wait_alu 0xfffe
	s_ashr_i32 s37, s36, 31
	s_wait_alu 0xfffe
	s_lshl_b64 s[34:35], s[36:37], 3
	s_wait_alu 0xfffe
	s_add_nc_u64 s[36:37], s[38:39], s[34:35]
	s_mul_u64 s[38:39], s[30:31], s[2:3]
	s_wait_alu 0xfffe
	v_add_co_u32 v0, vcc_lo, s36, v8
	s_wait_alu 0xfffd
	v_add_co_ci_u32_e64 v1, null, s37, v9, vcc_lo
	s_add_nc_u64 s[38:39], s[38:39], s[34:35]
	v_add_co_u32 v14, vcc_lo, v0, s16
	s_wait_alu 0xfffd
	v_add_co_ci_u32_e64 v15, null, s17, v1, vcc_lo
	v_or_b32_e32 v71, s34, v142
	s_delay_alu instid0(VALU_DEP_3) | instskip(SKIP_1) | instid1(VALU_DEP_3)
	v_add_co_u32 v10, vcc_lo, v14, s28
	s_wait_alu 0xfffd
	v_add_co_ci_u32_e64 v11, null, s29, v15, vcc_lo
	v_or_b32_e32 v72, s34, v70
	s_delay_alu instid0(VALU_DEP_3) | instskip(SKIP_1) | instid1(VALU_DEP_3)
	v_add_co_u32 v12, vcc_lo, v10, s28
	s_wait_alu 0xfffd
	v_add_co_ci_u32_e64 v13, null, s29, v11, vcc_lo
	v_mul_lo_u32 v74, s19, v71
	s_delay_alu instid0(VALU_DEP_3) | instskip(SKIP_1) | instid1(VALU_DEP_3)
	v_add_co_u32 v16, vcc_lo, v12, s28
	s_wait_alu 0xfffd
	v_add_co_ci_u32_e64 v17, null, s29, v13, vcc_lo
	s_clause 0x2
	global_load_b64 v[2:3], v[0:1], off
	global_load_b64 v[10:11], v[10:11], off
	;; [unrolled: 1-line block ×3, first 2 shown]
	v_add_co_u32 v18, vcc_lo, v16, s28
	s_wait_alu 0xfffd
	v_add_co_ci_u32_e64 v19, null, s29, v17, vcc_lo
	s_clause 0x1
	global_load_b64 v[20:21], v[16:17], off
	global_load_b64 v[26:27], v[18:19], off
	v_add_co_u32 v22, vcc_lo, v18, s28
	s_wait_alu 0xfffd
	v_add_co_ci_u32_e64 v23, null, s29, v19, vcc_lo
	v_mad_co_u64_u32 v[70:71], null, s18, v71, 0
	s_delay_alu instid0(VALU_DEP_3) | instskip(SKIP_1) | instid1(VALU_DEP_3)
	v_add_co_u32 v24, vcc_lo, v22, s28
	s_wait_alu 0xfffd
	v_add_co_ci_u32_e64 v25, null, s29, v23, vcc_lo
	global_load_b64 v[42:43], v[22:23], off
	v_add_co_u32 v28, vcc_lo, v24, s28
	s_wait_alu 0xfffd
	v_add_co_ci_u32_e64 v29, null, s29, v25, vcc_lo
	global_load_b64 v[50:51], v[24:25], off
	;; [unrolled: 4-line block ×5, first 2 shown]
	v_add_co_u32 v22, vcc_lo, v18, s28
	s_wait_alu 0xfffd
	v_add_co_ci_u32_e64 v23, null, s29, v19, vcc_lo
	v_mul_lo_u32 v75, s19, v72
	s_delay_alu instid0(VALU_DEP_3) | instskip(SKIP_1) | instid1(VALU_DEP_3)
	v_add_co_u32 v24, vcc_lo, v22, s28
	s_wait_alu 0xfffd
	v_add_co_ci_u32_e64 v25, null, s29, v23, vcc_lo
	v_mad_co_u64_u32 v[72:73], null, s18, v72, 0
	s_delay_alu instid0(VALU_DEP_3) | instskip(SKIP_1) | instid1(VALU_DEP_3)
	v_add_co_u32 v0, vcc_lo, v24, s28
	s_wait_alu 0xfffd
	v_add_co_ci_u32_e64 v1, null, s29, v25, vcc_lo
	v_mov_b32_e32 v28, 0
	s_delay_alu instid0(VALU_DEP_3) | instskip(SKIP_1) | instid1(VALU_DEP_3)
	v_add_co_u32 v16, vcc_lo, v0, s28
	s_wait_alu 0xfffd
	v_add_co_ci_u32_e64 v17, null, s29, v1, vcc_lo
	global_load_b64 v[58:59], v[18:19], off
	global_load_b64 v[60:61], v[22:23], off
	;; [unrolled: 1-line block ×6, first 2 shown]
	s_wait_alu 0xfffe
	v_add_co_u32 v241, vcc_lo, v4, s38
	s_wait_alu 0xfffd
	v_add_co_ci_u32_e64 v242, null, s39, v5, vcc_lo
	v_add_co_u32 v243, vcc_lo, v209, s38
	s_wait_alu 0xfffd
	v_add_co_ci_u32_e64 v244, null, s39, v210, vcc_lo
	v_add_co_u32 v245, vcc_lo, v211, s38
	s_wait_alu 0xfffd
	v_add_co_ci_u32_e64 v246, null, s39, v212, vcc_lo
	v_add_co_u32 v247, vcc_lo, v213, s38
	s_wait_alu 0xfffd
	v_add_co_ci_u32_e64 v248, null, s39, v214, vcc_lo
	v_add_co_u32 v249, vcc_lo, v215, s38
	s_wait_alu 0xfffd
	v_add_co_ci_u32_e64 v250, null, s39, v216, vcc_lo
	v_add_co_u32 v251, vcc_lo, v217, s38
	s_wait_alu 0xfffd
	v_add_co_ci_u32_e64 v252, null, s39, v218, vcc_lo
	v_add_co_u32 v253, vcc_lo, v219, s38
	s_wait_alu 0xfffd
	v_add_co_ci_u32_e64 v254, null, s39, v220, vcc_lo
	v_add_co_u32 v255, vcc_lo, v221, s38
	s_wait_alu 0xfffd
	v_add_co_ci_u32_e64 v143, null, s39, v222, vcc_lo
	v_add_co_u32 v144, vcc_lo, v223, s38
	s_wait_alu 0xfffd
	v_add_co_ci_u32_e64 v145, null, s39, v224, vcc_lo
	v_add_co_u32 v146, vcc_lo, v225, s38
	s_wait_alu 0xfffd
	v_add_co_ci_u32_e64 v147, null, s39, v226, vcc_lo
	v_add_co_u32 v148, vcc_lo, v227, s38
	s_wait_alu 0xfffd
	v_add_co_ci_u32_e64 v149, null, s39, v228, vcc_lo
	v_add_co_u32 v150, vcc_lo, v229, s38
	s_wait_alu 0xfffd
	v_add_co_ci_u32_e64 v151, null, s39, v230, vcc_lo
	v_add_co_u32 v152, vcc_lo, v231, s38
	s_wait_alu 0xfffd
	v_add_co_ci_u32_e64 v153, null, s39, v232, vcc_lo
	v_add_co_u32 v154, vcc_lo, v233, s38
	s_wait_alu 0xfffd
	v_add_co_ci_u32_e64 v155, null, s39, v234, vcc_lo
	v_add_co_u32 v156, vcc_lo, v235, s38
	v_mov_b32_e32 v0, 0
	v_mov_b32_e32 v22, 0
	;; [unrolled: 1-line block ×4, first 2 shown]
	s_mul_i32 s35, s18, s35
	s_wait_alu 0xfffd
	v_add_co_ci_u32_e64 v157, null, s39, v236, vcc_lo
	v_add_co_u32 v158, vcc_lo, v237, s38
	v_mov_b32_e32 v1, 0
	v_mov_b32_e32 v29, 0
	v_dual_mov_b32 v23, 0 :: v_dual_mov_b32 v24, 0
	v_dual_mov_b32 v17, 0 :: v_dual_mov_b32 v18, 0
	v_mov_b32_e32 v15, 0
	v_mov_b32_e32 v25, 0
	;; [unrolled: 1-line block ×3, first 2 shown]
	s_wait_alu 0xfffd
	v_add_co_ci_u32_e64 v159, null, s39, v238, vcc_lo
	s_wait_alu 0xfffe
	v_add3_u32 v71, v71, s35, v74
	v_add3_u32 v73, v73, s35, v75
	s_mul_u64 s[36:37], s[8:9], s[2:3]
	s_wait_alu 0xfffe
	s_add_nc_u64 s[34:35], s[6:7], s[36:37]
	s_add_co_i32 s36, s41, -1
	s_mov_b32 s37, 0
	s_wait_loadcnt 0xf
	v_dual_mov_b32 v75, v3 :: v_dual_mov_b32 v74, v2
	s_wait_loadcnt 0xe
	v_dual_mov_b32 v103, v11 :: v_dual_mov_b32 v102, v10
	;; [unrolled: 2-line block ×16, first 2 shown]
.LBB95_8:                               ;   Parent Loop BB95_4 Depth=1
                                        ; =>  This Inner Loop Header: Depth=2
	v_add_co_u32 v138, vcc_lo, v241, v142
	s_wait_alu 0xfffd
	v_add_co_ci_u32_e64 v139, null, 0, v242, vcc_lo
	s_wait_alu 0xfffe
	s_cmp_lg_u32 s36, s37
	v_add_co_u32 v106, vcc_lo, 0x200, v138
	s_wait_alu 0xfffd
	v_add_co_ci_u32_e64 v107, null, 0, v139, vcc_lo
	s_delay_alu instid0(VALU_DEP_2) | instskip(SKIP_1) | instid1(VALU_DEP_2)
	v_add_co_u32 v130, vcc_lo, v106, s22
	s_wait_alu 0xfffd
	v_add_co_ci_u32_e64 v131, null, s23, v107, vcc_lo
	s_delay_alu instid0(VALU_DEP_2) | instskip(SKIP_1) | instid1(VALU_DEP_2)
	;; [unrolled: 4-line block ×8, first 2 shown]
	v_add_co_u32 v114, vcc_lo, v112, s22
	s_wait_alu 0xfffd
	v_add_co_ci_u32_e64 v115, null, s23, v113, vcc_lo
	v_add_co_u32 v116, vcc_lo, s34, v70
	s_wait_alu 0xfffd
	v_add_co_ci_u32_e64 v117, null, s35, v71, vcc_lo
	;; [unrolled: 3-line block ×3, first 2 shown]
	global_load_b64 v[140:141], v[116:117], off
	v_add_co_u32 v120, vcc_lo, v118, s22
	s_wait_alu 0xfffd
	v_add_co_ci_u32_e64 v121, null, s23, v119, vcc_lo
	s_clause 0x3
	global_load_b64 v[106:107], v[106:107], off
	global_load_b64 v[108:109], v[108:109], off
	;; [unrolled: 1-line block ×4, first 2 shown]
	v_add_co_u32 v122, vcc_lo, v120, s22
	s_wait_alu 0xfffd
	v_add_co_ci_u32_e64 v123, null, s23, v121, vcc_lo
	global_load_b64 v[114:115], v[114:115], off
	v_add_co_u32 v124, vcc_lo, v122, s22
	s_wait_alu 0xfffd
	v_add_co_ci_u32_e64 v125, null, s23, v123, vcc_lo
	global_load_b64 v[116:117], v[118:119], off
	;; [unrolled: 4-line block ×3, first 2 shown]
	v_add_co_u32 v128, vcc_lo, v126, s22
	s_wait_alu 0xfffd
	v_add_co_ci_u32_e64 v129, null, s23, v127, vcc_lo
	s_delay_alu instid0(VALU_DEP_2) | instskip(SKIP_1) | instid1(VALU_DEP_2)
	v_add_co_u32 v136, vcc_lo, v128, s22
	s_wait_alu 0xfffd
	v_add_co_ci_u32_e64 v137, null, s23, v129, vcc_lo
	global_load_b64 v[120:121], v[122:123], off
	global_load_b64 v[122:123], v[124:125], off
	;; [unrolled: 1-line block ×5, first 2 shown]
	s_clause 0x3
	global_load_b64 v[130:131], v[130:131], off
	global_load_b64 v[132:133], v[132:133], off
	;; [unrolled: 1-line block ×3, first 2 shown]
	global_load_b64 v[136:137], v[138:139], off offset:512
	s_cbranch_scc0 .LBB95_10
; %bb.9:                                ;   in Loop: Header=BB95_8 Depth=2
	v_add_co_u32 v76, vcc_lo, v243, v142
	s_wait_alu 0xfffd
	v_add_co_ci_u32_e64 v77, null, 0, v244, vcc_lo
	v_add_co_u32 v78, vcc_lo, v245, v142
	s_wait_alu 0xfffd
	v_add_co_ci_u32_e64 v79, null, 0, v246, vcc_lo
	;; [unrolled: 3-line block ×15, first 2 shown]
	global_load_b64 v[74:75], v[138:139], off offset:1024
	global_load_b64 v[76:77], v[76:77], off
	global_load_b64 v[78:79], v[78:79], off
	;; [unrolled: 1-line block ×15, first 2 shown]
.LBB95_10:                              ;   in Loop: Header=BB95_8 Depth=2
	s_wait_loadcnt 0x10
	v_fma_f64 v[10:11], v[10:11], v[140:141], v[14:15]
	v_add_co_u32 v14, vcc_lo, s34, v72
	s_wait_alu 0xfffd
	v_add_co_ci_u32_e64 v15, null, s35, v73, vcc_lo
	v_fma_f64 v[24:25], v[26:27], v[140:141], v[24:25]
	v_fma_f64 v[0:1], v[2:3], v[140:141], v[0:1]
	;; [unrolled: 1-line block ×3, first 2 shown]
	global_load_b64 v[26:27], v[14:15], off
	v_fma_f64 v[44:45], v[64:65], v[140:141], v[44:45]
	v_fma_f64 v[46:47], v[62:63], v[140:141], v[46:47]
	;; [unrolled: 1-line block ×12, first 2 shown]
	v_add_co_u32 v241, vcc_lo, 0x400, v241
	s_wait_alu 0xfffd
	v_add_co_ci_u32_e64 v242, null, 0, v242, vcc_lo
	v_add_co_u32 v243, vcc_lo, 0x400, v243
	s_wait_alu 0xfffd
	v_add_co_ci_u32_e64 v244, null, 0, v244, vcc_lo
	;; [unrolled: 3-line block ×16, first 2 shown]
	s_add_co_i32 s37, s37, 1
	s_add_nc_u64 s[34:35], s[34:35], s[20:21]
	s_wait_alu 0xfffe
	s_cmp_ge_i32 s37, s41
	s_wait_loadcnt 0x0
	v_fma_f64 v[0:1], v[136:137], v[26:27], v[0:1]
	v_fma_f64 v[48:49], v[130:131], v[26:27], v[2:3]
	;; [unrolled: 1-line block ×16, first 2 shown]
	s_cbranch_scc1 .LBB95_13
; %bb.11:                               ;   in Loop: Header=BB95_8 Depth=2
	v_dual_mov_b32 v2, v74 :: v_dual_mov_b32 v3, v75
	v_dual_mov_b32 v66, v76 :: v_dual_mov_b32 v67, v77
	;; [unrolled: 1-line block ×16, first 2 shown]
	s_branch .LBB95_8
.LBB95_12:                              ;   in Loop: Header=BB95_4 Depth=1
	v_mov_b32_e32 v32, 0
	v_mov_b32_e32 v18, 0
	;; [unrolled: 1-line block ×7, first 2 shown]
	v_dual_mov_b32 v48, 0 :: v_dual_mov_b32 v33, 0
	v_dual_mov_b32 v14, 0 :: v_dual_mov_b32 v19, 0
	;; [unrolled: 1-line block ×9, first 2 shown]
	v_mov_b32_e32 v17, 0
	v_mov_b32_e32 v23, 0
	;; [unrolled: 1-line block ×7, first 2 shown]
.LBB95_13:                              ;   in Loop: Header=BB95_4 Depth=1
	ds_store_2addr_stride64_b64 v239, v[0:1], v[48:49] offset1:1
	ds_store_2addr_stride64_b64 v239, v[44:45], v[46:47] offset0:2 offset1:3
	ds_store_2addr_stride64_b64 v239, v[38:39], v[40:41] offset0:4 offset1:5
	;; [unrolled: 1-line block ×6, first 2 shown]
	ds_store_b64 v239, v[14:15] offset:7168
	ds_store_b64 v240, v[32:33]
	s_wait_storecnt_dscnt 0x0
	s_barrier_signal -1
	s_barrier_wait -1
	global_inv scope:SCOPE_SE
	s_and_saveexec_b32 s34, s0
	s_cbranch_execz .LBB95_2
; %bb.14:                               ;   in Loop: Header=BB95_4 Depth=1
	s_clause 0x4
	scratch_load_b32 v0, off, off
	scratch_load_b32 v2, off, off offset:4
	scratch_load_b32 v10, off, off offset:8
	scratch_load_b32 v12, off, off offset:12
	scratch_load_b32 v14, off, off offset:28
	s_mul_u64 s[36:37], s[26:27], s[2:3]
	s_mov_b32 s35, 0
	s_wait_alu 0xfffe
	s_lshl_b64 s[36:37], s[36:37], 3
	s_wait_loadcnt 0x4
	ds_load_b64 v[0:1], v0
	s_wait_loadcnt 0x3
	ds_load_b64 v[2:3], v2
	;; [unrolled: 2-line block ×5, first 2 shown]
	s_wait_dscnt 0x4
	v_add_f64_e32 v[0:1], 0, v[0:1]
	s_wait_dscnt 0x3
	s_delay_alu instid0(VALU_DEP_1)
	v_add_f64_e32 v[0:1], v[0:1], v[2:3]
	scratch_load_b32 v2, off, off offset:16 ; 4-byte Folded Reload
	s_wait_dscnt 0x2
	v_add_f64_e32 v[0:1], v[0:1], v[10:11]
	scratch_load_b32 v10, off, off offset:20 ; 4-byte Folded Reload
	s_wait_dscnt 0x1
	v_add_f64_e32 v[0:1], v[0:1], v[12:13]
	scratch_load_b32 v12, off, off offset:24 ; 4-byte Folded Reload
	s_wait_loadcnt 0x2
	ds_load_b64 v[2:3], v2
	s_wait_loadcnt 0x1
	ds_load_b64 v[10:11], v10
	;; [unrolled: 2-line block ×3, first 2 shown]
	s_wait_dscnt 0x2
	v_add_f64_e32 v[0:1], v[0:1], v[2:3]
	scratch_load_b32 v2, off, off offset:32 ; 4-byte Folded Reload
	s_wait_dscnt 0x1
	v_add_f64_e32 v[0:1], v[0:1], v[10:11]
	scratch_load_b32 v10, off, off offset:36 ; 4-byte Folded Reload
	;; [unrolled: 3-line block ×3, first 2 shown]
	v_add_f64_e32 v[0:1], v[0:1], v[14:15]
	scratch_load_b32 v14, off, off offset:44 ; 4-byte Folded Reload
	s_wait_loadcnt 0x3
	ds_load_b64 v[2:3], v2
	s_wait_loadcnt 0x2
	ds_load_b64 v[10:11], v10
	;; [unrolled: 2-line block ×4, first 2 shown]
	s_wait_dscnt 0x3
	v_add_f64_e32 v[0:1], v[0:1], v[2:3]
	scratch_load_b32 v2, off, off offset:48 ; 4-byte Folded Reload
	s_wait_dscnt 0x2
	v_add_f64_e32 v[0:1], v[0:1], v[10:11]
	scratch_load_b32 v10, off, off offset:52 ; 4-byte Folded Reload
	;; [unrolled: 3-line block ×4, first 2 shown]
	s_wait_loadcnt 0x3
	ds_load_b64 v[2:3], v2
	s_wait_loadcnt 0x2
	ds_load_b64 v[10:11], v10
	;; [unrolled: 2-line block ×4, first 2 shown]
	s_wait_dscnt 0x3
	v_add_f64_e32 v[0:1], v[0:1], v[2:3]
	scratch_load_b32 v2, off, off offset:64 ; 4-byte Folded Reload
	s_wait_dscnt 0x2
	v_add_f64_e32 v[0:1], v[0:1], v[10:11]
	s_wait_dscnt 0x1
	s_delay_alu instid0(VALU_DEP_1) | instskip(SKIP_1) | instid1(VALU_DEP_1)
	v_add_f64_e32 v[0:1], v[0:1], v[12:13]
	s_wait_dscnt 0x0
	v_add_f64_e32 v[0:1], v[0:1], v[14:15]
	s_wait_loadcnt 0x0
	ds_load_b64 v[2:3], v2
	ds_load_b64 v[10:11], v160
	ds_load_b64 v[12:13], v161
	ds_load_b64 v[14:15], v162
	s_wait_dscnt 0x3
	v_add_f64_e32 v[0:1], v[0:1], v[2:3]
	s_wait_dscnt 0x2
	s_delay_alu instid0(VALU_DEP_1) | instskip(SKIP_1) | instid1(VALU_DEP_1)
	v_add_f64_e32 v[0:1], v[0:1], v[10:11]
	s_wait_dscnt 0x1
	v_add_f64_e32 v[0:1], v[0:1], v[12:13]
	s_wait_dscnt 0x0
	s_delay_alu instid0(VALU_DEP_1)
	v_add_f64_e32 v[0:1], v[0:1], v[14:15]
	ds_load_b64 v[2:3], v163
	ds_load_b64 v[10:11], v164
	ds_load_b64 v[12:13], v165
	ds_load_b64 v[14:15], v166
	s_wait_dscnt 0x3
	v_add_f64_e32 v[0:1], v[0:1], v[2:3]
	s_wait_dscnt 0x2
	s_delay_alu instid0(VALU_DEP_1) | instskip(SKIP_1) | instid1(VALU_DEP_1)
	v_add_f64_e32 v[0:1], v[0:1], v[10:11]
	s_wait_dscnt 0x1
	v_add_f64_e32 v[0:1], v[0:1], v[12:13]
	s_wait_dscnt 0x0
	s_delay_alu instid0(VALU_DEP_1)
	v_add_f64_e32 v[0:1], v[0:1], v[14:15]
	;; [unrolled: 14-line block ×9, first 2 shown]
	ds_load_b64 v[2:3], v195
	ds_load_b64 v[10:11], v196
	;; [unrolled: 1-line block ×4, first 2 shown]
	s_wait_dscnt 0x3
	v_add_f64_e32 v[0:1], v[0:1], v[2:3]
	s_wait_dscnt 0x2
	s_delay_alu instid0(VALU_DEP_1)
	v_add_f64_e32 v[0:1], v[0:1], v[10:11]
	s_wait_alu 0xfffe
	v_add_co_u32 v10, vcc_lo, v207, s36
	s_wait_alu 0xfffd
	v_add_co_ci_u32_e64 v11, null, s37, v208, vcc_lo
	s_wait_dscnt 0x1
	s_delay_alu instid0(VALU_DEP_3) | instskip(SKIP_1) | instid1(VALU_DEP_1)
	v_add_f64_e32 v[0:1], v[0:1], v[12:13]
	s_wait_dscnt 0x0
	v_add_f64_e32 v[0:1], v[0:1], v[14:15]
	ds_load_b64 v[2:3], v199
	ds_load_b64 v[12:13], v200
	;; [unrolled: 1-line block ×4, first 2 shown]
	s_wait_dscnt 0x3
	v_add_f64_e32 v[0:1], v[0:1], v[2:3]
	global_load_b64 v[2:3], v[10:11], off
	s_wait_dscnt 0x2
	v_add_f64_e32 v[0:1], v[0:1], v[12:13]
	s_wait_dscnt 0x1
	s_delay_alu instid0(VALU_DEP_1) | instskip(SKIP_1) | instid1(VALU_DEP_1)
	v_add_f64_e32 v[0:1], v[0:1], v[14:15]
	s_wait_dscnt 0x0
	v_add_f64_e32 v[0:1], v[0:1], v[16:17]
	ds_load_b64 v[12:13], v203
	ds_load_b64 v[14:15], v204
	;; [unrolled: 1-line block ×4, first 2 shown]
	s_wait_dscnt 0x3
	v_add_f64_e32 v[0:1], v[0:1], v[12:13]
	s_wait_dscnt 0x2
	s_delay_alu instid0(VALU_DEP_1) | instskip(SKIP_1) | instid1(VALU_DEP_1)
	v_add_f64_e32 v[0:1], v[0:1], v[14:15]
	s_wait_dscnt 0x1
	v_add_f64_e32 v[0:1], v[0:1], v[16:17]
	s_wait_dscnt 0x0
	s_delay_alu instid0(VALU_DEP_1) | instskip(NEXT) | instid1(VALU_DEP_1)
	v_add_f64_e32 v[0:1], v[0:1], v[18:19]
	v_mul_f64_e32 v[12:13], s[24:25], v[0:1]
.LBB95_15:                              ;   Parent Loop BB95_4 Depth=1
                                        ; =>  This Inner Loop Header: Depth=2
	s_wait_loadcnt 0x0
	s_delay_alu instid0(VALU_DEP_1)
	v_add_f64_e32 v[0:1], v[2:3], v[12:13]
	global_atomic_cmpswap_b64 v[0:1], v[10:11], v[0:3], off th:TH_ATOMIC_RETURN scope:SCOPE_DEV
	s_wait_loadcnt 0x0
	v_cmp_eq_u64_e32 vcc_lo, v[0:1], v[2:3]
	v_dual_mov_b32 v3, v1 :: v_dual_mov_b32 v2, v0
	s_or_b32 s35, vcc_lo, s35
	s_wait_alu 0xfffe
	s_and_not1_b32 exec_lo, exec_lo, s35
	s_cbranch_execnz .LBB95_15
	s_branch .LBB95_2
.LBB95_16:
	s_nop 0
	s_sendmsg sendmsg(MSG_DEALLOC_VGPRS)
	s_endpgm
	.section	.rodata,"a",@progbits
	.p2align	6, 0x0
	.amdhsa_kernel _ZL36rocblas_gemvt_double_buffered_kernelILb1ELi128ELi4ELi16EdddEviiT4_lPKT3_lilS3_lilPT5_lili
		.amdhsa_group_segment_fixed_size 65536
		.amdhsa_private_segment_fixed_size 72
		.amdhsa_kernarg_size 384
		.amdhsa_user_sgpr_count 2
		.amdhsa_user_sgpr_dispatch_ptr 0
		.amdhsa_user_sgpr_queue_ptr 0
		.amdhsa_user_sgpr_kernarg_segment_ptr 1
		.amdhsa_user_sgpr_dispatch_id 0
		.amdhsa_user_sgpr_private_segment_size 0
		.amdhsa_wavefront_size32 1
		.amdhsa_uses_dynamic_stack 0
		.amdhsa_enable_private_segment 1
		.amdhsa_system_sgpr_workgroup_id_x 1
		.amdhsa_system_sgpr_workgroup_id_y 1
		.amdhsa_system_sgpr_workgroup_id_z 1
		.amdhsa_system_sgpr_workgroup_info 0
		.amdhsa_system_vgpr_workitem_id 1
		.amdhsa_next_free_vgpr 256
		.amdhsa_next_free_sgpr 42
		.amdhsa_reserve_vcc 1
		.amdhsa_float_round_mode_32 0
		.amdhsa_float_round_mode_16_64 0
		.amdhsa_float_denorm_mode_32 3
		.amdhsa_float_denorm_mode_16_64 3
		.amdhsa_fp16_overflow 0
		.amdhsa_workgroup_processor_mode 1
		.amdhsa_memory_ordered 1
		.amdhsa_forward_progress 1
		.amdhsa_inst_pref_size 62
		.amdhsa_round_robin_scheduling 0
		.amdhsa_exception_fp_ieee_invalid_op 0
		.amdhsa_exception_fp_denorm_src 0
		.amdhsa_exception_fp_ieee_div_zero 0
		.amdhsa_exception_fp_ieee_overflow 0
		.amdhsa_exception_fp_ieee_underflow 0
		.amdhsa_exception_fp_ieee_inexact 0
		.amdhsa_exception_int_div_zero 0
	.end_amdhsa_kernel
	.section	.text._ZL36rocblas_gemvt_double_buffered_kernelILb1ELi128ELi4ELi16EdddEviiT4_lPKT3_lilS3_lilPT5_lili,"axG",@progbits,_ZL36rocblas_gemvt_double_buffered_kernelILb1ELi128ELi4ELi16EdddEviiT4_lPKT3_lilS3_lilPT5_lili,comdat
.Lfunc_end95:
	.size	_ZL36rocblas_gemvt_double_buffered_kernelILb1ELi128ELi4ELi16EdddEviiT4_lPKT3_lilS3_lilPT5_lili, .Lfunc_end95-_ZL36rocblas_gemvt_double_buffered_kernelILb1ELi128ELi4ELi16EdddEviiT4_lPKT3_lilS3_lilPT5_lili
                                        ; -- End function
	.set _ZL36rocblas_gemvt_double_buffered_kernelILb1ELi128ELi4ELi16EdddEviiT4_lPKT3_lilS3_lilPT5_lili.num_vgpr, 256
	.set _ZL36rocblas_gemvt_double_buffered_kernelILb1ELi128ELi4ELi16EdddEviiT4_lPKT3_lilS3_lilPT5_lili.num_agpr, 0
	.set _ZL36rocblas_gemvt_double_buffered_kernelILb1ELi128ELi4ELi16EdddEviiT4_lPKT3_lilS3_lilPT5_lili.numbered_sgpr, 42
	.set _ZL36rocblas_gemvt_double_buffered_kernelILb1ELi128ELi4ELi16EdddEviiT4_lPKT3_lilS3_lilPT5_lili.num_named_barrier, 0
	.set _ZL36rocblas_gemvt_double_buffered_kernelILb1ELi128ELi4ELi16EdddEviiT4_lPKT3_lilS3_lilPT5_lili.private_seg_size, 72
	.set _ZL36rocblas_gemvt_double_buffered_kernelILb1ELi128ELi4ELi16EdddEviiT4_lPKT3_lilS3_lilPT5_lili.uses_vcc, 1
	.set _ZL36rocblas_gemvt_double_buffered_kernelILb1ELi128ELi4ELi16EdddEviiT4_lPKT3_lilS3_lilPT5_lili.uses_flat_scratch, 1
	.set _ZL36rocblas_gemvt_double_buffered_kernelILb1ELi128ELi4ELi16EdddEviiT4_lPKT3_lilS3_lilPT5_lili.has_dyn_sized_stack, 0
	.set _ZL36rocblas_gemvt_double_buffered_kernelILb1ELi128ELi4ELi16EdddEviiT4_lPKT3_lilS3_lilPT5_lili.has_recursion, 0
	.set _ZL36rocblas_gemvt_double_buffered_kernelILb1ELi128ELi4ELi16EdddEviiT4_lPKT3_lilS3_lilPT5_lili.has_indirect_call, 0
	.section	.AMDGPU.csdata,"",@progbits
; Kernel info:
; codeLenInByte = 7852
; TotalNumSgprs: 44
; NumVgprs: 256
; ScratchSize: 72
; MemoryBound: 0
; FloatMode: 240
; IeeeMode: 1
; LDSByteSize: 65536 bytes/workgroup (compile time only)
; SGPRBlocks: 0
; VGPRBlocks: 31
; NumSGPRsForWavesPerEU: 44
; NumVGPRsForWavesPerEU: 256
; Occupancy: 5
; WaveLimiterHint : 0
; COMPUTE_PGM_RSRC2:SCRATCH_EN: 1
; COMPUTE_PGM_RSRC2:USER_SGPR: 2
; COMPUTE_PGM_RSRC2:TRAP_HANDLER: 0
; COMPUTE_PGM_RSRC2:TGID_X_EN: 1
; COMPUTE_PGM_RSRC2:TGID_Y_EN: 1
; COMPUTE_PGM_RSRC2:TGID_Z_EN: 1
; COMPUTE_PGM_RSRC2:TIDIG_COMP_CNT: 1
	.section	.text._ZL20rocblas_gemvt_kernelILb1ELi256EdPKddEviiT2_lPKT1_lilS5_lilS2_lPT3_lili,"axG",@progbits,_ZL20rocblas_gemvt_kernelILb1ELi256EdPKddEviiT2_lPKT1_lilS5_lilS2_lPT3_lili,comdat
	.globl	_ZL20rocblas_gemvt_kernelILb1ELi256EdPKddEviiT2_lPKT1_lilS5_lilS2_lPT3_lili ; -- Begin function _ZL20rocblas_gemvt_kernelILb1ELi256EdPKddEviiT2_lPKT1_lilS5_lilS2_lPT3_lili
	.p2align	8
	.type	_ZL20rocblas_gemvt_kernelILb1ELi256EdPKddEviiT2_lPKT1_lilS5_lilS2_lPT3_lili,@function
_ZL20rocblas_gemvt_kernelILb1ELi256EdPKddEviiT2_lPKT1_lilS5_lilS2_lPT3_lili: ; @_ZL20rocblas_gemvt_kernelILb1ELi256EdPKddEviiT2_lPKT1_lilS5_lilS2_lPT3_lili
; %bb.0:
	s_load_b32 s33, s[0:1], 0x88
	s_lshr_b32 s10, ttmp7, 16
	s_wait_kmcnt 0x0
	s_cmp_ge_u32 s10, s33
	s_cbranch_scc1 .LBB96_41
; %bb.1:
	s_clause 0x7
	s_load_b32 s8, s[0:1], 0x28
	s_load_b96 s[4:6], s[0:1], 0x40
	s_load_b96 s[36:38], s[0:1], 0x70
	s_load_b256 s[12:19], s[0:1], 0x8
	s_load_b32 s7, s[0:1], 0x0
	s_load_b128 s[28:31], s[0:1], 0x30
	s_load_b256 s[20:27], s[0:1], 0x50
	s_load_b64 s[34:35], s[0:1], 0x80
	s_mov_b32 s2, ttmp9
	s_ashr_i32 s3, ttmp9, 31
	v_lshlrev_b32_e32 v19, 3, v0
	s_mov_b32 s11, 0
	v_mov_b32_e32 v16, 0
	s_wait_kmcnt 0x0
	s_ashr_i32 s9, s8, 31
	s_lshl_b64 s[0:1], s[4:5], 3
	s_lshl_b64 s[4:5], s[36:37], 3
	;; [unrolled: 1-line block ×3, first 2 shown]
	v_cmp_gt_i32_e32 vcc_lo, s7, v0
	s_ashr_i32 s39, s38, 31
	s_add_nc_u64 s[26:27], s[26:27], s[4:5]
	s_add_nc_u64 s[4:5], s[16:17], s[42:43]
	s_mul_u64 s[44:45], s[38:39], s[2:3]
	v_cndmask_b32_e32 v1, 0, v0, vcc_lo
	s_mul_u64 s[2:3], s[8:9], s[2:3]
	s_add_nc_u64 s[18:19], s[30:31], s[0:1]
	s_ashr_i32 s1, s7, 31
	s_lshl_b64 s[38:39], s[2:3], 3
	v_lshlrev_b32_e32 v3, 3, v1
	s_lshr_b32 s1, s1, 24
	s_add_nc_u64 s[42:43], s[38:39], s[42:43]
	s_add_co_i32 s1, s7, s1
	s_ashr_i32 s41, s6, 31
	v_add_co_u32 v1, s4, s4, v3
	s_wait_alu 0xf1ff
	v_add_co_ci_u32_e64 v2, null, s5, 0, s4
	s_and_b32 s30, s1, 0xffffff00
	v_add_co_u32 v17, vcc_lo, v1, s38
	s_wait_alu 0xfffd
	v_add_co_ci_u32_e64 v18, null, s39, v2, vcc_lo
	v_mad_co_i64_i32 v[1:2], null, s6, v0, 0
	v_or_b32_e32 v4, s30, v0
	s_mov_b32 s40, s6
	v_cmp_eq_u32_e64 s0, 0, v0
	s_cmp_gt_i32 s7, 0xff
	v_cmp_gt_u32_e64 s2, 0x80, v0
	v_cmp_gt_i32_e64 s1, s7, v4
	v_lshlrev_b64_e32 v[1:2], 3, v[1:2]
	v_mad_co_i64_i32 v[4:5], null, s6, v4, 0
	v_cmp_gt_u32_e64 s3, 64, v0
	v_cmp_gt_u32_e64 s4, 32, v0
	v_cmp_gt_u32_e64 s5, 16, v0
	v_cmp_gt_u32_e64 s6, 8, v0
	v_cmp_gt_u32_e64 s7, 4, v0
	v_cmp_gt_u32_e64 s8, 2, v0
	v_add_co_u32 v0, vcc_lo, s18, v1
	s_add_nc_u64 s[16:17], s[16:17], s[42:43]
	s_wait_alu 0xfffd
	v_add_co_ci_u32_e64 v1, null, s19, v2, vcc_lo
	v_add_co_u32 v2, s9, s16, v3
	v_lshlrev_b64_e32 v[4:5], 3, v[4:5]
	v_add_co_ci_u32_e64 v3, null, s17, 0, s9
	s_cselect_b32 s46, -1, 0
	s_ashr_i32 s31, s30, 31
	s_lshl_b64 s[36:37], s[20:21], 3
	s_lshl_b64 s[38:39], s[40:41], 11
	;; [unrolled: 1-line block ×4, first 2 shown]
	s_wait_alu 0xfffe
	s_lshl_b64 s[42:43], s[30:31], 3
	s_branch .LBB96_4
.LBB96_2:                               ;   in Loop: Header=BB96_4 Depth=1
	s_wait_alu 0xfffe
	s_or_b32 exec_lo, exec_lo, s31
.LBB96_3:                               ;   in Loop: Header=BB96_4 Depth=1
	s_add_co_i32 s10, s10, 0x10000
	s_wait_alu 0xfffe
	s_cmp_lt_u32 s10, s33
	s_cbranch_scc0 .LBB96_41
.LBB96_4:                               ; =>This Loop Header: Depth=1
                                        ;     Child Loop BB96_15 Depth 2
	s_mul_u64 s[44:45], s[14:15], s[10:11]
	s_mul_u64 s[48:49], s[24:25], s[10:11]
	s_lshl_b64 s[44:45], s[44:45], 3
	s_wait_alu 0xfffe
	s_lshl_b64 s[48:49], s[48:49], 3
	s_add_nc_u64 s[44:45], s[12:13], s[44:45]
	s_wait_alu 0xfffe
	s_add_nc_u64 s[48:49], s[22:23], s[48:49]
	s_clause 0x1
	global_load_b64 v[8:9], v16, s[44:45]
	global_load_b64 v[6:7], v16, s[48:49]
	s_wait_loadcnt 0x1
	v_cmp_eq_f64_e32 vcc_lo, 0, v[8:9]
	s_wait_loadcnt 0x0
	v_cmp_eq_f64_e64 s9, 1.0, v[6:7]
	s_and_b32 s9, vcc_lo, s9
	s_wait_alu 0xfffe
	s_and_b32 vcc_lo, exec_lo, s9
	s_wait_alu 0xfffe
	s_cbranch_vccnz .LBB96_3
; %bb.5:                                ;   in Loop: Header=BB96_4 Depth=1
	v_cmp_neq_f64_e32 vcc_lo, 0, v[8:9]
	s_mul_u64 s[44:45], s[34:35], s[10:11]
	s_delay_alu instid0(SALU_CYCLE_1) | instskip(NEXT) | instid1(SALU_CYCLE_1)
	s_lshl_b64 s[44:45], s[44:45], 3
	s_add_nc_u64 s[44:45], s[26:27], s[44:45]
	s_cbranch_vccnz .LBB96_9
; %bb.6:                                ;   in Loop: Header=BB96_4 Depth=1
	s_mov_b32 s31, 0
	s_mov_b32 s9, 0
                                        ; implicit-def: $vgpr10_vgpr11
	s_and_saveexec_b32 s47, s0
	s_cbranch_execz .LBB96_10
; %bb.7:                                ;   in Loop: Header=BB96_4 Depth=1
	v_cmp_eq_f64_e32 vcc_lo, 0, v[6:7]
	s_cbranch_vccnz .LBB96_11
; %bb.8:                                ;   in Loop: Header=BB96_4 Depth=1
	s_add_nc_u64 s[48:49], s[44:45], s[40:41]
	global_load_b64 v[10:11], v16, s[48:49]
	s_wait_loadcnt 0x0
	v_mul_f64_e32 v[10:11], v[6:7], v[10:11]
	s_branch .LBB96_12
.LBB96_9:                               ;   in Loop: Header=BB96_4 Depth=1
	s_mov_b32 s9, 0
                                        ; implicit-def: $vgpr10_vgpr11
	s_cbranch_execnz .LBB96_13
	s_branch .LBB96_39
.LBB96_10:                              ;   in Loop: Header=BB96_4 Depth=1
	s_or_b32 exec_lo, exec_lo, s47
	s_wait_alu 0xfffe
	s_and_b32 vcc_lo, exec_lo, s31
	s_wait_alu 0xfffe
	s_cbranch_vccnz .LBB96_13
	s_branch .LBB96_39
.LBB96_11:                              ;   in Loop: Header=BB96_4 Depth=1
	v_mov_b32_e32 v10, 0
	v_mov_b32_e32 v11, 0
.LBB96_12:                              ;   in Loop: Header=BB96_4 Depth=1
	s_mov_b32 s9, exec_lo
	s_or_b32 exec_lo, exec_lo, s47
	s_wait_alu 0xfffe
	s_and_b32 vcc_lo, exec_lo, s31
	s_wait_alu 0xfffe
	s_cbranch_vccz .LBB96_39
.LBB96_13:                              ;   in Loop: Header=BB96_4 Depth=1
	v_mov_b32_e32 v10, 0
	v_mov_b32_e32 v11, 0
	s_and_not1_b32 vcc_lo, exec_lo, s46
	s_wait_alu 0xfffe
	s_cbranch_vccnz .LBB96_16
; %bb.14:                               ;   in Loop: Header=BB96_4 Depth=1
	v_mad_co_u64_u32 v[12:13], null, s36, s10, v[0:1]
	v_mad_co_u64_u32 v[14:15], null, s16, s10, v[2:3]
	s_mov_b32 s31, 0
	v_dual_mov_b32 v10, v13 :: v_dual_mov_b32 v11, v15
	s_delay_alu instid0(VALU_DEP_1) | instskip(SKIP_3) | instid1(VALU_DEP_4)
	v_mad_co_u64_u32 v[20:21], null, s37, s10, v[10:11]
	v_mad_co_u64_u32 v[21:22], null, s17, s10, v[11:12]
	v_mov_b32_e32 v10, 0
	v_mov_b32_e32 v11, 0
	;; [unrolled: 1-line block ×3, first 2 shown]
	s_delay_alu instid0(VALU_DEP_4)
	v_mov_b32_e32 v15, v21
.LBB96_15:                              ;   Parent Loop BB96_4 Depth=1
                                        ; =>  This Inner Loop Header: Depth=2
	global_load_b64 v[20:21], v[14:15], off
	global_load_b64 v[22:23], v[12:13], off
	v_add_co_u32 v12, vcc_lo, v12, s38
	s_wait_alu 0xfffd
	v_add_co_ci_u32_e64 v13, null, s39, v13, vcc_lo
	v_add_co_u32 v14, vcc_lo, 0x800, v14
	s_wait_alu 0xfffd
	v_add_co_ci_u32_e64 v15, null, 0, v15, vcc_lo
	s_wait_alu 0xfffe
	s_addk_co_i32 s31, 0x100
	s_wait_alu 0xfffe
	s_cmp_ge_i32 s31, s30
	s_wait_loadcnt 0x0
	v_fma_f64 v[10:11], v[20:21], v[22:23], v[10:11]
	s_cbranch_scc0 .LBB96_15
.LBB96_16:                              ;   in Loop: Header=BB96_4 Depth=1
	s_and_saveexec_b32 s31, s1
	s_cbranch_execz .LBB96_18
; %bb.17:                               ;   in Loop: Header=BB96_4 Depth=1
	s_mul_u64 s[48:49], s[28:29], s[10:11]
	s_mul_u64 s[50:51], s[20:21], s[10:11]
	s_wait_alu 0xfffe
	s_lshl_b64 s[48:49], s[48:49], 3
	s_lshl_b64 s[50:51], s[50:51], 3
	s_wait_alu 0xfffe
	v_add_co_u32 v12, vcc_lo, v17, s48
	s_wait_alu 0xfffd
	v_add_co_ci_u32_e64 v13, null, s49, v18, vcc_lo
	s_add_nc_u64 s[48:49], s[18:19], s[50:51]
	v_add_co_u32 v12, vcc_lo, v12, s42
	s_wait_alu 0xfffd
	v_add_co_ci_u32_e64 v13, null, s43, v13, vcc_lo
	s_wait_alu 0xfffe
	v_add_co_u32 v14, vcc_lo, s48, v4
	s_wait_alu 0xfffd
	v_add_co_ci_u32_e64 v15, null, s49, v5, vcc_lo
	global_load_b64 v[12:13], v[12:13], off
	global_load_b64 v[14:15], v[14:15], off
	s_wait_loadcnt 0x0
	v_fma_f64 v[10:11], v[12:13], v[14:15], v[10:11]
.LBB96_18:                              ;   in Loop: Header=BB96_4 Depth=1
	s_wait_alu 0xfffe
	s_or_b32 exec_lo, exec_lo, s31
	ds_store_b64 v19, v[10:11]
	s_wait_dscnt 0x0
	s_barrier_signal -1
	s_barrier_wait -1
	global_inv scope:SCOPE_SE
	s_and_saveexec_b32 s31, s2
	s_cbranch_execz .LBB96_20
; %bb.19:                               ;   in Loop: Header=BB96_4 Depth=1
	ds_load_2addr_stride64_b64 v[10:13], v19 offset1:2
	s_wait_dscnt 0x0
	v_add_f64_e32 v[10:11], v[12:13], v[10:11]
	ds_store_b64 v19, v[10:11]
.LBB96_20:                              ;   in Loop: Header=BB96_4 Depth=1
	s_wait_alu 0xfffe
	s_or_b32 exec_lo, exec_lo, s31
	s_wait_loadcnt_dscnt 0x0
	s_barrier_signal -1
	s_barrier_wait -1
	global_inv scope:SCOPE_SE
	s_and_saveexec_b32 s31, s3
	s_cbranch_execz .LBB96_22
; %bb.21:                               ;   in Loop: Header=BB96_4 Depth=1
	ds_load_2addr_stride64_b64 v[10:13], v19 offset1:1
	s_wait_dscnt 0x0
	v_add_f64_e32 v[10:11], v[12:13], v[10:11]
	ds_store_b64 v19, v[10:11]
.LBB96_22:                              ;   in Loop: Header=BB96_4 Depth=1
	s_wait_alu 0xfffe
	s_or_b32 exec_lo, exec_lo, s31
	s_wait_loadcnt_dscnt 0x0
	s_barrier_signal -1
	s_barrier_wait -1
	global_inv scope:SCOPE_SE
	s_and_saveexec_b32 s31, s4
	s_cbranch_execz .LBB96_24
; %bb.23:                               ;   in Loop: Header=BB96_4 Depth=1
	ds_load_2addr_b64 v[10:13], v19 offset1:32
	s_wait_dscnt 0x0
	v_add_f64_e32 v[10:11], v[12:13], v[10:11]
	ds_store_b64 v19, v[10:11]
.LBB96_24:                              ;   in Loop: Header=BB96_4 Depth=1
	s_wait_alu 0xfffe
	s_or_b32 exec_lo, exec_lo, s31
	s_wait_loadcnt_dscnt 0x0
	s_barrier_signal -1
	s_barrier_wait -1
	global_inv scope:SCOPE_SE
	s_and_saveexec_b32 s31, s5
	s_cbranch_execz .LBB96_26
; %bb.25:                               ;   in Loop: Header=BB96_4 Depth=1
	ds_load_2addr_b64 v[10:13], v19 offset1:16
	s_wait_dscnt 0x0
	v_add_f64_e32 v[10:11], v[12:13], v[10:11]
	ds_store_b64 v19, v[10:11]
.LBB96_26:                              ;   in Loop: Header=BB96_4 Depth=1
	;; [unrolled: 14-line block ×5, first 2 shown]
	s_wait_alu 0xfffe
	s_or_b32 exec_lo, exec_lo, s31
	s_wait_loadcnt_dscnt 0x0
	s_barrier_signal -1
	s_barrier_wait -1
	global_inv scope:SCOPE_SE
	s_and_saveexec_b32 s31, s0
	s_cbranch_execz .LBB96_34
; %bb.33:                               ;   in Loop: Header=BB96_4 Depth=1
	ds_load_b128 v[10:13], v16
	s_wait_dscnt 0x0
	v_add_f64_e32 v[10:11], v[12:13], v[10:11]
	ds_store_b64 v16, v[10:11]
.LBB96_34:                              ;   in Loop: Header=BB96_4 Depth=1
	s_wait_alu 0xfffe
	s_or_b32 exec_lo, exec_lo, s31
	s_wait_loadcnt_dscnt 0x0
	s_barrier_signal -1
	s_barrier_wait -1
	global_inv scope:SCOPE_SE
                                        ; implicit-def: $vgpr10_vgpr11
	s_and_saveexec_b32 s31, s0
	s_cbranch_execz .LBB96_38
; %bb.35:                               ;   in Loop: Header=BB96_4 Depth=1
	ds_load_b64 v[10:11], v16
	v_cmp_eq_f64_e32 vcc_lo, 0, v[6:7]
	s_wait_dscnt 0x0
	v_mul_f64_e32 v[10:11], v[8:9], v[10:11]
	s_cbranch_vccnz .LBB96_37
; %bb.36:                               ;   in Loop: Header=BB96_4 Depth=1
	s_add_nc_u64 s[48:49], s[44:45], s[40:41]
	global_load_b64 v[8:9], v16, s[48:49]
	s_wait_loadcnt 0x0
	v_fma_f64 v[10:11], v[6:7], v[8:9], v[10:11]
.LBB96_37:                              ;   in Loop: Header=BB96_4 Depth=1
	s_or_b32 s9, s9, exec_lo
.LBB96_38:                              ;   in Loop: Header=BB96_4 Depth=1
	s_wait_alu 0xfffe
	s_or_b32 exec_lo, exec_lo, s31
.LBB96_39:                              ;   in Loop: Header=BB96_4 Depth=1
	s_wait_alu 0xfffe
	s_and_saveexec_b32 s31, s9
	s_cbranch_execz .LBB96_2
; %bb.40:                               ;   in Loop: Header=BB96_4 Depth=1
	s_add_nc_u64 s[44:45], s[44:45], s[40:41]
	global_store_b64 v16, v[10:11], s[44:45]
	s_branch .LBB96_2
.LBB96_41:
	s_endpgm
	.section	.rodata,"a",@progbits
	.p2align	6, 0x0
	.amdhsa_kernel _ZL20rocblas_gemvt_kernelILb1ELi256EdPKddEviiT2_lPKT1_lilS5_lilS2_lPT3_lili
		.amdhsa_group_segment_fixed_size 2048
		.amdhsa_private_segment_fixed_size 0
		.amdhsa_kernarg_size 140
		.amdhsa_user_sgpr_count 2
		.amdhsa_user_sgpr_dispatch_ptr 0
		.amdhsa_user_sgpr_queue_ptr 0
		.amdhsa_user_sgpr_kernarg_segment_ptr 1
		.amdhsa_user_sgpr_dispatch_id 0
		.amdhsa_user_sgpr_private_segment_size 0
		.amdhsa_wavefront_size32 1
		.amdhsa_uses_dynamic_stack 0
		.amdhsa_enable_private_segment 0
		.amdhsa_system_sgpr_workgroup_id_x 1
		.amdhsa_system_sgpr_workgroup_id_y 0
		.amdhsa_system_sgpr_workgroup_id_z 1
		.amdhsa_system_sgpr_workgroup_info 0
		.amdhsa_system_vgpr_workitem_id 0
		.amdhsa_next_free_vgpr 24
		.amdhsa_next_free_sgpr 52
		.amdhsa_reserve_vcc 1
		.amdhsa_float_round_mode_32 0
		.amdhsa_float_round_mode_16_64 0
		.amdhsa_float_denorm_mode_32 3
		.amdhsa_float_denorm_mode_16_64 3
		.amdhsa_fp16_overflow 0
		.amdhsa_workgroup_processor_mode 1
		.amdhsa_memory_ordered 1
		.amdhsa_forward_progress 1
		.amdhsa_inst_pref_size 14
		.amdhsa_round_robin_scheduling 0
		.amdhsa_exception_fp_ieee_invalid_op 0
		.amdhsa_exception_fp_denorm_src 0
		.amdhsa_exception_fp_ieee_div_zero 0
		.amdhsa_exception_fp_ieee_overflow 0
		.amdhsa_exception_fp_ieee_underflow 0
		.amdhsa_exception_fp_ieee_inexact 0
		.amdhsa_exception_int_div_zero 0
	.end_amdhsa_kernel
	.section	.text._ZL20rocblas_gemvt_kernelILb1ELi256EdPKddEviiT2_lPKT1_lilS5_lilS2_lPT3_lili,"axG",@progbits,_ZL20rocblas_gemvt_kernelILb1ELi256EdPKddEviiT2_lPKT1_lilS5_lilS2_lPT3_lili,comdat
.Lfunc_end96:
	.size	_ZL20rocblas_gemvt_kernelILb1ELi256EdPKddEviiT2_lPKT1_lilS5_lilS2_lPT3_lili, .Lfunc_end96-_ZL20rocblas_gemvt_kernelILb1ELi256EdPKddEviiT2_lPKT1_lilS5_lilS2_lPT3_lili
                                        ; -- End function
	.set _ZL20rocblas_gemvt_kernelILb1ELi256EdPKddEviiT2_lPKT1_lilS5_lilS2_lPT3_lili.num_vgpr, 24
	.set _ZL20rocblas_gemvt_kernelILb1ELi256EdPKddEviiT2_lPKT1_lilS5_lilS2_lPT3_lili.num_agpr, 0
	.set _ZL20rocblas_gemvt_kernelILb1ELi256EdPKddEviiT2_lPKT1_lilS5_lilS2_lPT3_lili.numbered_sgpr, 52
	.set _ZL20rocblas_gemvt_kernelILb1ELi256EdPKddEviiT2_lPKT1_lilS5_lilS2_lPT3_lili.num_named_barrier, 0
	.set _ZL20rocblas_gemvt_kernelILb1ELi256EdPKddEviiT2_lPKT1_lilS5_lilS2_lPT3_lili.private_seg_size, 0
	.set _ZL20rocblas_gemvt_kernelILb1ELi256EdPKddEviiT2_lPKT1_lilS5_lilS2_lPT3_lili.uses_vcc, 1
	.set _ZL20rocblas_gemvt_kernelILb1ELi256EdPKddEviiT2_lPKT1_lilS5_lilS2_lPT3_lili.uses_flat_scratch, 0
	.set _ZL20rocblas_gemvt_kernelILb1ELi256EdPKddEviiT2_lPKT1_lilS5_lilS2_lPT3_lili.has_dyn_sized_stack, 0
	.set _ZL20rocblas_gemvt_kernelILb1ELi256EdPKddEviiT2_lPKT1_lilS5_lilS2_lPT3_lili.has_recursion, 0
	.set _ZL20rocblas_gemvt_kernelILb1ELi256EdPKddEviiT2_lPKT1_lilS5_lilS2_lPT3_lili.has_indirect_call, 0
	.section	.AMDGPU.csdata,"",@progbits
; Kernel info:
; codeLenInByte = 1688
; TotalNumSgprs: 54
; NumVgprs: 24
; ScratchSize: 0
; MemoryBound: 0
; FloatMode: 240
; IeeeMode: 1
; LDSByteSize: 2048 bytes/workgroup (compile time only)
; SGPRBlocks: 0
; VGPRBlocks: 2
; NumSGPRsForWavesPerEU: 54
; NumVGPRsForWavesPerEU: 24
; Occupancy: 16
; WaveLimiterHint : 0
; COMPUTE_PGM_RSRC2:SCRATCH_EN: 0
; COMPUTE_PGM_RSRC2:USER_SGPR: 2
; COMPUTE_PGM_RSRC2:TRAP_HANDLER: 0
; COMPUTE_PGM_RSRC2:TGID_X_EN: 1
; COMPUTE_PGM_RSRC2:TGID_Y_EN: 0
; COMPUTE_PGM_RSRC2:TGID_Z_EN: 1
; COMPUTE_PGM_RSRC2:TIDIG_COMP_CNT: 0
	.section	.text._ZL20rocblas_gemvt_kernelILb1ELi256EdddEviiT2_lPKT1_lilS3_lilS0_lPT3_lili,"axG",@progbits,_ZL20rocblas_gemvt_kernelILb1ELi256EdddEviiT2_lPKT1_lilS3_lilS0_lPT3_lili,comdat
	.globl	_ZL20rocblas_gemvt_kernelILb1ELi256EdddEviiT2_lPKT1_lilS3_lilS0_lPT3_lili ; -- Begin function _ZL20rocblas_gemvt_kernelILb1ELi256EdddEviiT2_lPKT1_lilS3_lilS0_lPT3_lili
	.p2align	8
	.type	_ZL20rocblas_gemvt_kernelILb1ELi256EdddEviiT2_lPKT1_lilS3_lilS0_lPT3_lili,@function
_ZL20rocblas_gemvt_kernelILb1ELi256EdddEviiT2_lPKT1_lilS3_lilS0_lPT3_lili: ; @_ZL20rocblas_gemvt_kernelILb1ELi256EdddEviiT2_lPKT1_lilS3_lilS0_lPT3_lili
; %bb.0:
	s_load_b32 s33, s[0:1], 0x88
	s_lshr_b32 s28, ttmp7, 16
	s_wait_kmcnt 0x0
	s_cmp_ge_u32 s28, s33
	s_cbranch_scc1 .LBB97_41
; %bb.1:
	s_clause 0x9
	s_load_b64 s[30:31], s[0:1], 0x8
	s_load_b128 s[12:15], s[0:1], 0x50
	s_load_b32 s36, s[0:1], 0x28
	s_load_b96 s[24:26], s[0:1], 0x40
	s_load_b32 s27, s[0:1], 0x0
	s_load_b32 s38, s[0:1], 0x78
	s_load_b128 s[20:23], s[0:1], 0x18
	s_load_b128 s[8:11], s[0:1], 0x68
	;; [unrolled: 1-line block ×3, first 2 shown]
	s_load_b64 s[34:35], s[0:1], 0x80
	s_mov_b32 s6, ttmp9
	s_ashr_i32 s7, ttmp9, 31
	v_cmp_eq_u32_e64 s0, 0, v0
	v_dual_mov_b32 v12, 0 :: v_dual_lshlrev_b32 v13, 3, v0
	v_cmp_gt_u32_e64 s1, 0x80, v0
	v_cmp_gt_u32_e64 s2, 64, v0
	;; [unrolled: 1-line block ×5, first 2 shown]
	s_wait_kmcnt 0x0
	v_cmp_neq_f64_e64 s46, s[30:31], 0
	v_cmp_neq_f64_e64 s47, s[14:15], 1.0
	s_ashr_i32 s37, s36, 31
	s_lshl_b64 s[24:25], s[24:25], 3
	v_cmp_gt_i32_e32 vcc_lo, s27, v0
	s_ashr_i32 s39, s38, 31
	s_lshl_b64 s[44:45], s[22:23], 3
	s_ashr_i32 s22, s27, 31
	s_lshl_b64 s[42:43], s[10:11], 3
	v_cndmask_b32_e32 v3, 0, v0, vcc_lo
	s_lshr_b32 s22, s22, 24
	s_add_nc_u64 s[10:11], s[18:19], s[24:25]
	s_add_nc_u64 s[18:19], s[8:9], s[42:43]
	;; [unrolled: 1-line block ×3, first 2 shown]
	v_lshlrev_b32_e32 v3, 3, v3
	s_mul_u64 s[24:25], s[36:37], s[6:7]
	s_mul_u64 s[36:37], s[38:39], s[6:7]
	s_add_co_i32 s6, s27, s22
	s_lshl_b64 s[38:39], s[24:25], 3
	s_and_b32 s22, s6, 0xffffff00
	v_add_co_u32 v6, s6, s8, v3
	s_delay_alu instid0(VALU_DEP_1) | instskip(SKIP_1) | instid1(VALU_DEP_3)
	v_add_co_ci_u32_e64 v7, null, s9, 0, s6
	v_cmp_eq_f64_e64 s43, s[30:31], 0
	v_add_co_u32 v14, vcc_lo, v6, s38
	s_wait_alu 0xfffd
	s_delay_alu instid0(VALU_DEP_3)
	v_add_co_ci_u32_e64 v15, null, s39, v7, vcc_lo
	s_add_nc_u64 s[38:39], s[38:39], s[44:45]
	v_cmp_neq_f64_e64 s44, s[14:15], 0
	v_mad_co_i64_i32 v[1:2], null, s26, v0, 0
	v_or_b32_e32 v4, s22, v0
	v_cmp_gt_u32_e64 s7, 4, v0
	v_cmp_gt_u32_e64 s8, 2, v0
	s_wait_alu 0xfffe
	s_add_nc_u64 s[20:21], s[20:21], s[38:39]
	s_ashr_i32 s41, s26, 31
	v_cmp_gt_i32_e64 s6, s27, v4
	v_lshlrev_b64_e32 v[1:2], 3, v[1:2]
	v_mad_co_i64_i32 v[4:5], null, s26, v4, 0
	s_or_b32 s9, s46, s47
	s_cmp_gt_i32 s27, 0xff
	s_mov_b32 s40, s26
	v_add_co_u32 v0, vcc_lo, s10, v1
	s_wait_alu 0xfffd
	v_add_co_ci_u32_e64 v1, null, s11, v2, vcc_lo
	v_add_co_u32 v2, s20, s20, v3
	v_lshlrev_b64_e32 v[4:5], 3, v[4:5]
	s_wait_alu 0xf1ff
	v_add_co_ci_u32_e64 v3, null, s21, 0, s20
	s_cselect_b32 s42, -1, 0
	s_ashr_i32 s23, s22, 31
	s_mov_b32 s29, 0
	s_lshl_b64 s[24:25], s[12:13], 3
	s_lshl_b64 s[26:27], s[40:41], 11
	;; [unrolled: 1-line block ×4, first 2 shown]
	s_wait_alu 0xfffe
	s_lshl_b64 s[38:39], s[22:23], 3
	s_branch .LBB97_4
.LBB97_2:                               ;   in Loop: Header=BB97_4 Depth=1
	s_or_b32 exec_lo, exec_lo, s45
.LBB97_3:                               ;   in Loop: Header=BB97_4 Depth=1
	s_add_co_i32 s28, s28, 0x10000
	s_wait_alu 0xfffe
	s_cmp_lt_u32 s28, s33
	s_cbranch_scc0 .LBB97_41
.LBB97_4:                               ; =>This Loop Header: Depth=1
                                        ;     Child Loop BB97_15 Depth 2
	s_and_not1_b32 vcc_lo, exec_lo, s9
	s_wait_alu 0xfffe
	s_cbranch_vccnz .LBB97_3
; %bb.5:                                ;   in Loop: Header=BB97_4 Depth=1
	s_mul_u64 s[40:41], s[34:35], s[28:29]
	s_and_not1_b32 vcc_lo, exec_lo, s43
	s_lshl_b64 s[40:41], s[40:41], 3
	s_delay_alu instid0(SALU_CYCLE_1)
	s_add_nc_u64 s[40:41], s[18:19], s[40:41]
	s_wait_alu 0xfffe
	s_cbranch_vccnz .LBB97_9
; %bb.6:                                ;   in Loop: Header=BB97_4 Depth=1
	s_mov_b32 s45, 0
	s_mov_b32 s23, 0
                                        ; implicit-def: $vgpr6_vgpr7
	s_and_saveexec_b32 s46, s0
	s_cbranch_execz .LBB97_10
; %bb.7:                                ;   in Loop: Header=BB97_4 Depth=1
	s_and_not1_b32 vcc_lo, exec_lo, s44
	s_wait_alu 0xfffe
	s_cbranch_vccnz .LBB97_11
; %bb.8:                                ;   in Loop: Header=BB97_4 Depth=1
	s_add_nc_u64 s[48:49], s[40:41], s[36:37]
	global_load_b64 v[6:7], v12, s[48:49]
	s_wait_loadcnt 0x0
	v_mul_f64_e32 v[6:7], s[14:15], v[6:7]
	s_branch .LBB97_12
.LBB97_9:                               ;   in Loop: Header=BB97_4 Depth=1
	s_mov_b32 s23, 0
                                        ; implicit-def: $vgpr6_vgpr7
	s_cbranch_execnz .LBB97_13
	s_branch .LBB97_39
.LBB97_10:                              ;   in Loop: Header=BB97_4 Depth=1
	s_wait_alu 0xfffe
	s_or_b32 exec_lo, exec_lo, s46
	s_delay_alu instid0(SALU_CYCLE_1)
	s_and_b32 vcc_lo, exec_lo, s45
	s_wait_alu 0xfffe
	s_cbranch_vccnz .LBB97_13
	s_branch .LBB97_39
.LBB97_11:                              ;   in Loop: Header=BB97_4 Depth=1
	v_mov_b32_e32 v6, 0
	v_mov_b32_e32 v7, 0
.LBB97_12:                              ;   in Loop: Header=BB97_4 Depth=1
	s_mov_b32 s23, exec_lo
	s_or_b32 exec_lo, exec_lo, s46
	s_delay_alu instid0(SALU_CYCLE_1)
	s_and_b32 vcc_lo, exec_lo, s45
	s_wait_alu 0xfffe
	s_cbranch_vccz .LBB97_39
.LBB97_13:                              ;   in Loop: Header=BB97_4 Depth=1
	v_mov_b32_e32 v6, 0
	v_mov_b32_e32 v7, 0
	s_and_not1_b32 vcc_lo, exec_lo, s42
	s_wait_alu 0xfffe
	s_cbranch_vccnz .LBB97_16
; %bb.14:                               ;   in Loop: Header=BB97_4 Depth=1
	v_mad_co_u64_u32 v[8:9], null, s24, s28, v[0:1]
	v_mad_co_u64_u32 v[10:11], null, s20, s28, v[2:3]
	s_mov_b32 s45, 0
	v_dual_mov_b32 v6, v9 :: v_dual_mov_b32 v7, v11
	s_delay_alu instid0(VALU_DEP_1) | instskip(SKIP_3) | instid1(VALU_DEP_4)
	v_mad_co_u64_u32 v[16:17], null, s25, s28, v[6:7]
	v_mad_co_u64_u32 v[17:18], null, s21, s28, v[7:8]
	v_mov_b32_e32 v6, 0
	v_mov_b32_e32 v7, 0
	;; [unrolled: 1-line block ×3, first 2 shown]
	s_delay_alu instid0(VALU_DEP_4)
	v_mov_b32_e32 v11, v17
.LBB97_15:                              ;   Parent Loop BB97_4 Depth=1
                                        ; =>  This Inner Loop Header: Depth=2
	global_load_b64 v[16:17], v[10:11], off
	global_load_b64 v[18:19], v[8:9], off
	v_add_co_u32 v8, vcc_lo, v8, s26
	s_wait_alu 0xfffd
	v_add_co_ci_u32_e64 v9, null, s27, v9, vcc_lo
	v_add_co_u32 v10, vcc_lo, 0x800, v10
	s_wait_alu 0xfffd
	v_add_co_ci_u32_e64 v11, null, 0, v11, vcc_lo
	s_addk_co_i32 s45, 0x100
	s_delay_alu instid0(SALU_CYCLE_1)
	s_cmp_ge_i32 s45, s22
	s_wait_loadcnt 0x0
	v_fma_f64 v[6:7], v[16:17], v[18:19], v[6:7]
	s_cbranch_scc0 .LBB97_15
.LBB97_16:                              ;   in Loop: Header=BB97_4 Depth=1
	s_and_saveexec_b32 s45, s6
	s_cbranch_execz .LBB97_18
; %bb.17:                               ;   in Loop: Header=BB97_4 Depth=1
	s_mul_u64 s[46:47], s[16:17], s[28:29]
	s_mul_u64 s[48:49], s[12:13], s[28:29]
	s_wait_alu 0xfffe
	s_lshl_b64 s[46:47], s[46:47], 3
	s_lshl_b64 s[48:49], s[48:49], 3
	s_wait_alu 0xfffe
	v_add_co_u32 v8, vcc_lo, v14, s46
	s_wait_alu 0xfffd
	v_add_co_ci_u32_e64 v9, null, s47, v15, vcc_lo
	s_add_nc_u64 s[46:47], s[10:11], s[48:49]
	v_add_co_u32 v8, vcc_lo, v8, s38
	s_wait_alu 0xfffd
	v_add_co_ci_u32_e64 v9, null, s39, v9, vcc_lo
	s_wait_alu 0xfffe
	v_add_co_u32 v10, vcc_lo, s46, v4
	s_wait_alu 0xfffd
	v_add_co_ci_u32_e64 v11, null, s47, v5, vcc_lo
	global_load_b64 v[8:9], v[8:9], off
	global_load_b64 v[10:11], v[10:11], off
	s_wait_loadcnt 0x0
	v_fma_f64 v[6:7], v[8:9], v[10:11], v[6:7]
.LBB97_18:                              ;   in Loop: Header=BB97_4 Depth=1
	s_or_b32 exec_lo, exec_lo, s45
	ds_store_b64 v13, v[6:7]
	s_wait_dscnt 0x0
	s_barrier_signal -1
	s_barrier_wait -1
	global_inv scope:SCOPE_SE
	s_and_saveexec_b32 s45, s1
	s_cbranch_execz .LBB97_20
; %bb.19:                               ;   in Loop: Header=BB97_4 Depth=1
	ds_load_2addr_stride64_b64 v[6:9], v13 offset1:2
	s_wait_dscnt 0x0
	v_add_f64_e32 v[6:7], v[8:9], v[6:7]
	ds_store_b64 v13, v[6:7]
.LBB97_20:                              ;   in Loop: Header=BB97_4 Depth=1
	s_or_b32 exec_lo, exec_lo, s45
	s_wait_loadcnt_dscnt 0x0
	s_barrier_signal -1
	s_barrier_wait -1
	global_inv scope:SCOPE_SE
	s_and_saveexec_b32 s45, s2
	s_cbranch_execz .LBB97_22
; %bb.21:                               ;   in Loop: Header=BB97_4 Depth=1
	ds_load_2addr_stride64_b64 v[6:9], v13 offset1:1
	s_wait_dscnt 0x0
	v_add_f64_e32 v[6:7], v[8:9], v[6:7]
	ds_store_b64 v13, v[6:7]
.LBB97_22:                              ;   in Loop: Header=BB97_4 Depth=1
	s_or_b32 exec_lo, exec_lo, s45
	s_wait_loadcnt_dscnt 0x0
	s_barrier_signal -1
	s_barrier_wait -1
	global_inv scope:SCOPE_SE
	s_and_saveexec_b32 s45, s3
	s_cbranch_execz .LBB97_24
; %bb.23:                               ;   in Loop: Header=BB97_4 Depth=1
	ds_load_2addr_b64 v[6:9], v13 offset1:32
	s_wait_dscnt 0x0
	v_add_f64_e32 v[6:7], v[8:9], v[6:7]
	ds_store_b64 v13, v[6:7]
.LBB97_24:                              ;   in Loop: Header=BB97_4 Depth=1
	s_or_b32 exec_lo, exec_lo, s45
	s_wait_loadcnt_dscnt 0x0
	s_barrier_signal -1
	s_barrier_wait -1
	global_inv scope:SCOPE_SE
	s_and_saveexec_b32 s45, s4
	s_cbranch_execz .LBB97_26
; %bb.25:                               ;   in Loop: Header=BB97_4 Depth=1
	ds_load_2addr_b64 v[6:9], v13 offset1:16
	s_wait_dscnt 0x0
	v_add_f64_e32 v[6:7], v[8:9], v[6:7]
	ds_store_b64 v13, v[6:7]
.LBB97_26:                              ;   in Loop: Header=BB97_4 Depth=1
	;; [unrolled: 13-line block ×5, first 2 shown]
	s_or_b32 exec_lo, exec_lo, s45
	s_wait_loadcnt_dscnt 0x0
	s_barrier_signal -1
	s_barrier_wait -1
	global_inv scope:SCOPE_SE
	s_and_saveexec_b32 s45, s0
	s_cbranch_execz .LBB97_34
; %bb.33:                               ;   in Loop: Header=BB97_4 Depth=1
	ds_load_b128 v[6:9], v12
	s_wait_dscnt 0x0
	v_add_f64_e32 v[6:7], v[8:9], v[6:7]
	ds_store_b64 v12, v[6:7]
.LBB97_34:                              ;   in Loop: Header=BB97_4 Depth=1
	s_or_b32 exec_lo, exec_lo, s45
	s_wait_loadcnt_dscnt 0x0
	s_barrier_signal -1
	s_barrier_wait -1
	global_inv scope:SCOPE_SE
                                        ; implicit-def: $vgpr6_vgpr7
	s_and_saveexec_b32 s45, s0
	s_cbranch_execz .LBB97_38
; %bb.35:                               ;   in Loop: Header=BB97_4 Depth=1
	ds_load_b64 v[6:7], v12
	s_and_not1_b32 vcc_lo, exec_lo, s44
	s_wait_dscnt 0x0
	v_mul_f64_e32 v[6:7], s[30:31], v[6:7]
	s_wait_alu 0xfffe
	s_cbranch_vccnz .LBB97_37
; %bb.36:                               ;   in Loop: Header=BB97_4 Depth=1
	s_add_nc_u64 s[46:47], s[40:41], s[36:37]
	global_load_b64 v[8:9], v12, s[46:47]
	s_wait_loadcnt 0x0
	v_fma_f64 v[6:7], s[14:15], v[8:9], v[6:7]
.LBB97_37:                              ;   in Loop: Header=BB97_4 Depth=1
	s_or_b32 s23, s23, exec_lo
.LBB97_38:                              ;   in Loop: Header=BB97_4 Depth=1
	s_or_b32 exec_lo, exec_lo, s45
.LBB97_39:                              ;   in Loop: Header=BB97_4 Depth=1
	s_wait_alu 0xfffe
	s_and_saveexec_b32 s45, s23
	s_cbranch_execz .LBB97_2
; %bb.40:                               ;   in Loop: Header=BB97_4 Depth=1
	s_add_nc_u64 s[40:41], s[40:41], s[36:37]
	global_store_b64 v12, v[6:7], s[40:41]
	s_branch .LBB97_2
.LBB97_41:
	s_endpgm
	.section	.rodata,"a",@progbits
	.p2align	6, 0x0
	.amdhsa_kernel _ZL20rocblas_gemvt_kernelILb1ELi256EdddEviiT2_lPKT1_lilS3_lilS0_lPT3_lili
		.amdhsa_group_segment_fixed_size 2048
		.amdhsa_private_segment_fixed_size 0
		.amdhsa_kernarg_size 140
		.amdhsa_user_sgpr_count 2
		.amdhsa_user_sgpr_dispatch_ptr 0
		.amdhsa_user_sgpr_queue_ptr 0
		.amdhsa_user_sgpr_kernarg_segment_ptr 1
		.amdhsa_user_sgpr_dispatch_id 0
		.amdhsa_user_sgpr_private_segment_size 0
		.amdhsa_wavefront_size32 1
		.amdhsa_uses_dynamic_stack 0
		.amdhsa_enable_private_segment 0
		.amdhsa_system_sgpr_workgroup_id_x 1
		.amdhsa_system_sgpr_workgroup_id_y 0
		.amdhsa_system_sgpr_workgroup_id_z 1
		.amdhsa_system_sgpr_workgroup_info 0
		.amdhsa_system_vgpr_workitem_id 0
		.amdhsa_next_free_vgpr 20
		.amdhsa_next_free_sgpr 50
		.amdhsa_reserve_vcc 1
		.amdhsa_float_round_mode_32 0
		.amdhsa_float_round_mode_16_64 0
		.amdhsa_float_denorm_mode_32 3
		.amdhsa_float_denorm_mode_16_64 3
		.amdhsa_fp16_overflow 0
		.amdhsa_workgroup_processor_mode 1
		.amdhsa_memory_ordered 1
		.amdhsa_forward_progress 1
		.amdhsa_inst_pref_size 13
		.amdhsa_round_robin_scheduling 0
		.amdhsa_exception_fp_ieee_invalid_op 0
		.amdhsa_exception_fp_denorm_src 0
		.amdhsa_exception_fp_ieee_div_zero 0
		.amdhsa_exception_fp_ieee_overflow 0
		.amdhsa_exception_fp_ieee_underflow 0
		.amdhsa_exception_fp_ieee_inexact 0
		.amdhsa_exception_int_div_zero 0
	.end_amdhsa_kernel
	.section	.text._ZL20rocblas_gemvt_kernelILb1ELi256EdddEviiT2_lPKT1_lilS3_lilS0_lPT3_lili,"axG",@progbits,_ZL20rocblas_gemvt_kernelILb1ELi256EdddEviiT2_lPKT1_lilS3_lilS0_lPT3_lili,comdat
.Lfunc_end97:
	.size	_ZL20rocblas_gemvt_kernelILb1ELi256EdddEviiT2_lPKT1_lilS3_lilS0_lPT3_lili, .Lfunc_end97-_ZL20rocblas_gemvt_kernelILb1ELi256EdddEviiT2_lPKT1_lilS3_lilS0_lPT3_lili
                                        ; -- End function
	.set _ZL20rocblas_gemvt_kernelILb1ELi256EdddEviiT2_lPKT1_lilS3_lilS0_lPT3_lili.num_vgpr, 20
	.set _ZL20rocblas_gemvt_kernelILb1ELi256EdddEviiT2_lPKT1_lilS3_lilS0_lPT3_lili.num_agpr, 0
	.set _ZL20rocblas_gemvt_kernelILb1ELi256EdddEviiT2_lPKT1_lilS3_lilS0_lPT3_lili.numbered_sgpr, 50
	.set _ZL20rocblas_gemvt_kernelILb1ELi256EdddEviiT2_lPKT1_lilS3_lilS0_lPT3_lili.num_named_barrier, 0
	.set _ZL20rocblas_gemvt_kernelILb1ELi256EdddEviiT2_lPKT1_lilS3_lilS0_lPT3_lili.private_seg_size, 0
	.set _ZL20rocblas_gemvt_kernelILb1ELi256EdddEviiT2_lPKT1_lilS3_lilS0_lPT3_lili.uses_vcc, 1
	.set _ZL20rocblas_gemvt_kernelILb1ELi256EdddEviiT2_lPKT1_lilS3_lilS0_lPT3_lili.uses_flat_scratch, 0
	.set _ZL20rocblas_gemvt_kernelILb1ELi256EdddEviiT2_lPKT1_lilS3_lilS0_lPT3_lili.has_dyn_sized_stack, 0
	.set _ZL20rocblas_gemvt_kernelILb1ELi256EdddEviiT2_lPKT1_lilS3_lilS0_lPT3_lili.has_recursion, 0
	.set _ZL20rocblas_gemvt_kernelILb1ELi256EdddEviiT2_lPKT1_lilS3_lilS0_lPT3_lili.has_indirect_call, 0
	.section	.AMDGPU.csdata,"",@progbits
; Kernel info:
; codeLenInByte = 1632
; TotalNumSgprs: 52
; NumVgprs: 20
; ScratchSize: 0
; MemoryBound: 0
; FloatMode: 240
; IeeeMode: 1
; LDSByteSize: 2048 bytes/workgroup (compile time only)
; SGPRBlocks: 0
; VGPRBlocks: 2
; NumSGPRsForWavesPerEU: 52
; NumVGPRsForWavesPerEU: 20
; Occupancy: 16
; WaveLimiterHint : 0
; COMPUTE_PGM_RSRC2:SCRATCH_EN: 0
; COMPUTE_PGM_RSRC2:USER_SGPR: 2
; COMPUTE_PGM_RSRC2:TRAP_HANDLER: 0
; COMPUTE_PGM_RSRC2:TGID_X_EN: 1
; COMPUTE_PGM_RSRC2:TGID_Y_EN: 0
; COMPUTE_PGM_RSRC2:TGID_Z_EN: 1
; COMPUTE_PGM_RSRC2:TIDIG_COMP_CNT: 0
	.section	.text._ZL32rocblas_gemvt_warp_reduce_kernelILb1ELi1024EidPKddEviiT3_lPKT2_lT1_lS5_lS6_lS2_lPT4_lS6_li,"axG",@progbits,_ZL32rocblas_gemvt_warp_reduce_kernelILb1ELi1024EidPKddEviiT3_lPKT2_lT1_lS5_lS6_lS2_lPT4_lS6_li,comdat
	.globl	_ZL32rocblas_gemvt_warp_reduce_kernelILb1ELi1024EidPKddEviiT3_lPKT2_lT1_lS5_lS6_lS2_lPT4_lS6_li ; -- Begin function _ZL32rocblas_gemvt_warp_reduce_kernelILb1ELi1024EidPKddEviiT3_lPKT2_lT1_lS5_lS6_lS2_lPT4_lS6_li
	.p2align	8
	.type	_ZL32rocblas_gemvt_warp_reduce_kernelILb1ELi1024EidPKddEviiT3_lPKT2_lT1_lS5_lS6_lS2_lPT4_lS6_li,@function
_ZL32rocblas_gemvt_warp_reduce_kernelILb1ELi1024EidPKddEviiT3_lPKT2_lT1_lS5_lS6_lS2_lPT4_lS6_li: ; @_ZL32rocblas_gemvt_warp_reduce_kernelILb1ELi1024EidPKddEviiT3_lPKT2_lT1_lS5_lS6_lS2_lPT4_lS6_li
; %bb.0:
	s_load_b32 s33, s[0:1], 0x88
	s_lshr_b32 s28, ttmp7, 16
	s_wait_kmcnt 0x0
	s_cmp_ge_u32 s28, s33
	s_cbranch_scc1 .LBB98_34
; %bb.1:
	s_clause 0x7
	s_load_b96 s[4:6], s[0:1], 0x40
	s_load_b96 s[36:38], s[0:1], 0x70
	s_load_b256 s[8:15], s[0:1], 0x8
	s_load_b32 s7, s[0:1], 0x0
	s_load_b32 s39, s[0:1], 0x28
	s_load_b128 s[24:27], s[0:1], 0x30
	s_load_b256 s[16:23], s[0:1], 0x50
	s_load_b64 s[30:31], s[0:1], 0x80
	v_mbcnt_lo_u32_b32 v22, -1, 0
	v_cmp_eq_u32_e64 s0, 0, v0
	s_mov_b32 s29, 0
	v_lshl_or_b32 v23, v22, 2, 64
	s_wait_kmcnt 0x0
	s_lshl_b64 s[2:3], s[4:5], 3
	s_lshl_b64 s[4:5], s[36:37], 3
	;; [unrolled: 1-line block ×3, first 2 shown]
	v_cmp_gt_i32_e32 vcc_lo, s7, v0
	s_ashr_i32 s1, s7, 31
	v_mov_b32_e32 v1, 0
	s_lshr_b32 s1, s1, 22
	s_add_nc_u64 s[14:15], s[26:27], s[2:3]
	v_cndmask_b32_e32 v2, 0, v0, vcc_lo
	s_add_co_i32 s1, s7, s1
	s_add_nc_u64 s[2:3], s[12:13], s[34:35]
	s_and_b32 s26, s1, 0xfffffc00
	s_mul_i32 s36, s38, ttmp9
	v_or_b32_e32 v3, s26, v0
	v_lshlrev_b32_e32 v2, 3, v2
	s_mul_i32 s38, s39, ttmp9
	v_mul_lo_u32 v21, v0, s6
	s_ashr_i32 s39, s38, 31
	v_mul_lo_u32 v5, s6, v3
	v_add_co_u32 v4, s1, s2, v2
	s_delay_alu instid0(VALU_DEP_1)
	v_add_co_ci_u32_e64 v6, null, s3, 0, s1
	s_lshl_b64 s[38:39], s[38:39], 3
	v_cmp_gt_i32_e64 s2, s7, v3
	v_add_co_u32 v17, vcc_lo, v4, s38
	v_and_b32_e32 v3, 31, v0
	s_wait_alu 0xfffd
	v_add_co_ci_u32_e64 v18, null, s39, v6, vcc_lo
	v_ashrrev_i32_e32 v6, 31, v5
	s_add_nc_u64 s[34:35], s[34:35], s[38:39]
	v_lshrrev_b32_e32 v4, 2, v0
	s_lshl_b32 s40, s6, 10
	s_add_nc_u64 s[6:7], s[12:13], s[34:35]
	s_add_nc_u64 s[22:23], s[22:23], s[4:5]
	v_lshlrev_b32_e32 v19, 3, v3
	v_cmp_eq_u32_e64 s4, 0, v3
	s_wait_alu 0xfffe
	v_add_co_u32 v3, s5, s6, v2
	v_lshlrev_b64_e32 v[5:6], 3, v[5:6]
	v_cmp_gt_i32_e64 s1, s26, v0
	v_cmp_gt_u32_e64 s3, 32, v0
	v_and_b32_e32 v20, 0xf8, v4
	v_add_co_ci_u32_e64 v4, null, s7, 0, s5
	s_ashr_i32 s37, s36, 31
	s_ashr_i32 s27, s26, 31
	s_lshl_b64 s[6:7], s[24:25], 3
	s_lshl_b64 s[12:13], s[36:37], 3
	s_wait_alu 0xfffe
	s_lshl_b64 s[34:35], s[26:27], 3
	s_branch .LBB98_4
.LBB98_2:                               ;   in Loop: Header=BB98_4 Depth=1
	s_wait_alu 0xfffe
	s_or_b32 exec_lo, exec_lo, s5
.LBB98_3:                               ;   in Loop: Header=BB98_4 Depth=1
	s_add_co_i32 s28, s28, 0x10000
	s_wait_alu 0xfffe
	s_cmp_lt_u32 s28, s33
	s_cbranch_scc0 .LBB98_34
.LBB98_4:                               ; =>This Loop Header: Depth=1
                                        ;     Child Loop BB98_23 Depth 2
	s_mul_u64 s[36:37], s[10:11], s[28:29]
	s_mul_u64 s[38:39], s[20:21], s[28:29]
	s_lshl_b64 s[36:37], s[36:37], 3
	s_wait_alu 0xfffe
	s_lshl_b64 s[38:39], s[38:39], 3
	s_add_nc_u64 s[36:37], s[8:9], s[36:37]
	s_wait_alu 0xfffe
	s_add_nc_u64 s[38:39], s[18:19], s[38:39]
	s_clause 0x1
	global_load_b64 v[9:10], v1, s[36:37]
	global_load_b64 v[7:8], v1, s[38:39]
	s_wait_loadcnt 0x1
	v_cmp_eq_f64_e32 vcc_lo, 0, v[9:10]
	s_wait_loadcnt 0x0
	v_cmp_eq_f64_e64 s5, 1.0, v[7:8]
	s_and_b32 s5, vcc_lo, s5
	s_wait_alu 0xfffe
	s_and_b32 vcc_lo, exec_lo, s5
	s_wait_alu 0xfffe
	s_cbranch_vccnz .LBB98_3
; %bb.5:                                ;   in Loop: Header=BB98_4 Depth=1
	v_cmp_neq_f64_e32 vcc_lo, 0, v[9:10]
	s_mul_u64 s[36:37], s[30:31], s[28:29]
	s_delay_alu instid0(SALU_CYCLE_1) | instskip(NEXT) | instid1(SALU_CYCLE_1)
	s_lshl_b64 s[36:37], s[36:37], 3
	s_add_nc_u64 s[36:37], s[22:23], s[36:37]
	s_cbranch_vccnz .LBB98_9
; %bb.6:                                ;   in Loop: Header=BB98_4 Depth=1
	s_mov_b32 s5, 0
	s_mov_b32 s27, 0
                                        ; implicit-def: $vgpr11_vgpr12
	s_and_saveexec_b32 s38, s0
	s_cbranch_execz .LBB98_10
; %bb.7:                                ;   in Loop: Header=BB98_4 Depth=1
	v_cmp_eq_f64_e32 vcc_lo, 0, v[7:8]
	s_cbranch_vccnz .LBB98_11
; %bb.8:                                ;   in Loop: Header=BB98_4 Depth=1
	s_add_nc_u64 s[42:43], s[36:37], s[12:13]
	global_load_b64 v[11:12], v1, s[42:43]
	s_wait_loadcnt 0x0
	v_mul_f64_e32 v[11:12], v[7:8], v[11:12]
	s_branch .LBB98_12
.LBB98_9:                               ;   in Loop: Header=BB98_4 Depth=1
	s_mov_b32 s27, 0
                                        ; implicit-def: $vgpr11_vgpr12
	s_cbranch_execnz .LBB98_13
	s_branch .LBB98_32
.LBB98_10:                              ;   in Loop: Header=BB98_4 Depth=1
	s_wait_alu 0xfffe
	s_or_b32 exec_lo, exec_lo, s38
	s_delay_alu instid0(SALU_CYCLE_1)
	s_and_b32 vcc_lo, exec_lo, s5
	s_wait_alu 0xfffe
	s_cbranch_vccnz .LBB98_13
	s_branch .LBB98_32
.LBB98_11:                              ;   in Loop: Header=BB98_4 Depth=1
	v_mov_b32_e32 v11, 0
	v_mov_b32_e32 v12, 0
.LBB98_12:                              ;   in Loop: Header=BB98_4 Depth=1
	s_mov_b32 s27, exec_lo
	s_wait_alu 0xfffe
	s_or_b32 exec_lo, exec_lo, s38
	s_delay_alu instid0(SALU_CYCLE_1)
	s_and_b32 vcc_lo, exec_lo, s5
	s_wait_alu 0xfffe
	s_cbranch_vccz .LBB98_32
.LBB98_13:                              ;   in Loop: Header=BB98_4 Depth=1
	s_mul_u64 s[38:39], s[16:17], s[28:29]
	v_mov_b32_e32 v11, 0
	v_mov_b32_e32 v12, 0
	s_wait_alu 0xfffe
	s_lshl_b64 s[38:39], s[38:39], 3
	s_wait_alu 0xfffe
	s_add_nc_u64 s[38:39], s[14:15], s[38:39]
	s_and_saveexec_b32 s41, s1
	s_cbranch_execnz .LBB98_22
; %bb.14:                               ;   in Loop: Header=BB98_4 Depth=1
	s_wait_alu 0xfffe
	s_or_b32 exec_lo, exec_lo, s41
	s_and_saveexec_b32 s5, s2
	s_cbranch_execnz .LBB98_25
.LBB98_15:                              ;   in Loop: Header=BB98_4 Depth=1
	s_wait_alu 0xfffe
	s_or_b32 exec_lo, exec_lo, s5
	s_and_saveexec_b32 s5, s3
.LBB98_16:                              ;   in Loop: Header=BB98_4 Depth=1
	v_mov_b32_e32 v2, v1
	ds_store_b64 v19, v[1:2]
.LBB98_17:                              ;   in Loop: Header=BB98_4 Depth=1
	s_wait_alu 0xfffe
	s_or_b32 exec_lo, exec_lo, s5
	s_wait_dscnt 0x0
	ds_bpermute_b32 v13, v23, v11
	ds_bpermute_b32 v14, v23, v12
	v_cmp_gt_u32_e32 vcc_lo, 24, v22
	s_wait_dscnt 0x0
	s_barrier_signal -1
	s_barrier_wait -1
	global_inv scope:SCOPE_SE
	s_wait_alu 0xfffd
	v_cndmask_b32_e64 v2, 0, 8, vcc_lo
	v_cmp_gt_u32_e32 vcc_lo, 28, v22
	s_delay_alu instid0(VALU_DEP_2)
	v_add_lshl_u32 v2, v2, v22, 2
	v_add_f64_e32 v[11:12], v[11:12], v[13:14]
	ds_bpermute_b32 v13, v2, v11
	ds_bpermute_b32 v14, v2, v12
	s_wait_dscnt 0x0
	v_add_f64_e32 v[11:12], v[11:12], v[13:14]
	s_wait_alu 0xfffd
	v_cndmask_b32_e64 v13, 0, 4, vcc_lo
	v_cmp_gt_u32_e32 vcc_lo, 30, v22
	s_delay_alu instid0(VALU_DEP_2)
	v_add_lshl_u32 v15, v13, v22, 2
	ds_bpermute_b32 v13, v15, v11
	ds_bpermute_b32 v14, v15, v12
	s_wait_dscnt 0x0
	v_add_f64_e32 v[11:12], v[11:12], v[13:14]
	s_wait_alu 0xfffd
	v_cndmask_b32_e64 v13, 0, 2, vcc_lo
	v_cmp_ne_u32_e32 vcc_lo, 31, v22
	s_delay_alu instid0(VALU_DEP_2)
	v_add_lshl_u32 v16, v13, v22, 2
	ds_bpermute_b32 v13, v16, v11
	ds_bpermute_b32 v14, v16, v12
	s_wait_dscnt 0x0
	v_add_f64_e32 v[11:12], v[11:12], v[13:14]
	s_wait_alu 0xfffd
	v_add_co_ci_u32_e64 v13, null, 0, v22, vcc_lo
	s_delay_alu instid0(VALU_DEP_1)
	v_lshlrev_b32_e32 v24, 2, v13
	ds_bpermute_b32 v13, v24, v11
	ds_bpermute_b32 v14, v24, v12
	s_and_saveexec_b32 s5, s4
	s_cbranch_execz .LBB98_19
; %bb.18:                               ;   in Loop: Header=BB98_4 Depth=1
	s_wait_dscnt 0x0
	v_add_f64_e32 v[11:12], v[11:12], v[13:14]
	ds_store_b64 v20, v[11:12]
.LBB98_19:                              ;   in Loop: Header=BB98_4 Depth=1
	s_wait_alu 0xfffe
	s_or_b32 exec_lo, exec_lo, s5
	s_wait_dscnt 0x0
	v_mov_b32_e32 v13, 0
	v_mov_b32_e32 v14, 0
	s_wait_loadcnt 0x0
	s_barrier_signal -1
	s_barrier_wait -1
	global_inv scope:SCOPE_SE
	s_and_saveexec_b32 s5, s3
	s_cbranch_execnz .LBB98_26
; %bb.20:                               ;   in Loop: Header=BB98_4 Depth=1
	s_wait_alu 0xfffe
	s_or_b32 exec_lo, exec_lo, s5
	s_and_saveexec_b32 s5, s3
	s_cbranch_execnz .LBB98_27
.LBB98_21:                              ;   in Loop: Header=BB98_4 Depth=1
	s_wait_alu 0xfffe
	s_or_b32 exec_lo, exec_lo, s5
                                        ; implicit-def: $vgpr11_vgpr12
	s_and_saveexec_b32 s5, s0
	s_cbranch_execnz .LBB98_28
	s_branch .LBB98_31
.LBB98_22:                              ;   in Loop: Header=BB98_4 Depth=1
	s_wait_dscnt 0x0
	v_mad_co_u64_u32 v[13:14], null, s6, s28, v[3:4]
	s_mov_b32 s42, 0
	v_mov_b32_e32 v11, 0
	v_mov_b32_e32 v12, 0
	;; [unrolled: 1-line block ×3, first 2 shown]
	s_delay_alu instid0(VALU_DEP_1)
	v_mad_co_u64_u32 v[14:15], null, s7, s28, v[2:3]
	v_dual_mov_b32 v2, v0 :: v_dual_mov_b32 v15, v21
.LBB98_23:                              ;   Parent Loop BB98_4 Depth=1
                                        ; =>  This Inner Loop Header: Depth=2
	s_delay_alu instid0(VALU_DEP_1) | instskip(NEXT) | instid1(VALU_DEP_2)
	v_ashrrev_i32_e32 v16, 31, v15
	v_add_nc_u32_e32 v2, 0x400, v2
	s_delay_alu instid0(VALU_DEP_2) | instskip(NEXT) | instid1(VALU_DEP_2)
	v_lshlrev_b64_e32 v[24:25], 3, v[15:16]
	v_cmp_le_i32_e64 s5, s26, v2
	v_add_nc_u32_e32 v15, s40, v15
	s_wait_alu 0xfffe
	s_or_b32 s42, s5, s42
	v_add_co_u32 v24, vcc_lo, s38, v24
	s_wait_alu 0xfffd
	v_add_co_ci_u32_e64 v25, null, s39, v25, vcc_lo
	global_load_b64 v[26:27], v[13:14], off
	global_load_b64 v[24:25], v[24:25], off
	v_add_co_u32 v13, vcc_lo, 0x2000, v13
	s_wait_alu 0xfffd
	v_add_co_ci_u32_e64 v14, null, 0, v14, vcc_lo
	s_wait_loadcnt 0x0
	v_fma_f64 v[11:12], v[26:27], v[24:25], v[11:12]
	s_wait_alu 0xfffe
	s_and_not1_b32 exec_lo, exec_lo, s42
	s_cbranch_execnz .LBB98_23
; %bb.24:                               ;   in Loop: Header=BB98_4 Depth=1
	s_or_b32 exec_lo, exec_lo, s42
	s_delay_alu instid0(SALU_CYCLE_1)
	s_or_b32 exec_lo, exec_lo, s41
	s_and_saveexec_b32 s5, s2
	s_cbranch_execz .LBB98_15
.LBB98_25:                              ;   in Loop: Header=BB98_4 Depth=1
	s_mul_u64 s[42:43], s[24:25], s[28:29]
	s_wait_alu 0xfffe
	s_lshl_b64 s[42:43], s[42:43], 3
	s_wait_alu 0xfffe
	v_add_co_u32 v2, vcc_lo, v17, s42
	s_wait_dscnt 0x0
	s_wait_alu 0xfffd
	v_add_co_ci_u32_e64 v14, null, s43, v18, vcc_lo
	s_delay_alu instid0(VALU_DEP_2) | instskip(SKIP_1) | instid1(VALU_DEP_2)
	v_add_co_u32 v13, vcc_lo, v2, s34
	s_wait_alu 0xfffd
	v_add_co_ci_u32_e64 v14, null, s35, v14, vcc_lo
	v_add_co_u32 v15, vcc_lo, s38, v5
	s_wait_alu 0xfffd
	v_add_co_ci_u32_e64 v16, null, s39, v6, vcc_lo
	global_load_b64 v[13:14], v[13:14], off
	global_load_b64 v[15:16], v[15:16], off
	s_wait_loadcnt 0x0
	v_fma_f64 v[11:12], v[13:14], v[15:16], v[11:12]
	s_or_b32 exec_lo, exec_lo, s5
	s_and_saveexec_b32 s5, s3
	s_cbranch_execnz .LBB98_16
	s_branch .LBB98_17
.LBB98_26:                              ;   in Loop: Header=BB98_4 Depth=1
	ds_load_b64 v[13:14], v19
	s_wait_alu 0xfffe
	s_or_b32 exec_lo, exec_lo, s5
	s_and_saveexec_b32 s5, s3
	s_cbranch_execz .LBB98_21
.LBB98_27:                              ;   in Loop: Header=BB98_4 Depth=1
	s_wait_dscnt 0x0
	ds_bpermute_b32 v11, v23, v13
	ds_bpermute_b32 v12, v23, v14
	s_wait_dscnt 0x0
	v_add_f64_e32 v[11:12], v[13:14], v[11:12]
	ds_bpermute_b32 v13, v2, v11
	ds_bpermute_b32 v14, v2, v12
	s_wait_dscnt 0x0
	v_add_f64_e32 v[11:12], v[11:12], v[13:14]
	;; [unrolled: 4-line block ×5, first 2 shown]
	s_wait_alu 0xfffe
	s_or_b32 exec_lo, exec_lo, s5
                                        ; implicit-def: $vgpr11_vgpr12
	s_and_saveexec_b32 s5, s0
	s_cbranch_execz .LBB98_31
.LBB98_28:                              ;   in Loop: Header=BB98_4 Depth=1
	v_cmp_eq_f64_e32 vcc_lo, 0, v[7:8]
	s_wait_dscnt 0x0
	s_delay_alu instid0(VALU_DEP_2)
	v_mul_f64_e32 v[11:12], v[9:10], v[13:14]
	s_cbranch_vccnz .LBB98_30
; %bb.29:                               ;   in Loop: Header=BB98_4 Depth=1
	s_add_nc_u64 s[38:39], s[36:37], s[12:13]
	global_load_b64 v[9:10], v1, s[38:39]
	s_wait_loadcnt 0x0
	v_fma_f64 v[11:12], v[7:8], v[9:10], v[11:12]
.LBB98_30:                              ;   in Loop: Header=BB98_4 Depth=1
	s_or_b32 s27, s27, exec_lo
.LBB98_31:                              ;   in Loop: Header=BB98_4 Depth=1
	s_wait_alu 0xfffe
	s_or_b32 exec_lo, exec_lo, s5
.LBB98_32:                              ;   in Loop: Header=BB98_4 Depth=1
	s_wait_alu 0xfffe
	s_and_saveexec_b32 s5, s27
	s_cbranch_execz .LBB98_2
; %bb.33:                               ;   in Loop: Header=BB98_4 Depth=1
	s_add_nc_u64 s[36:37], s[36:37], s[12:13]
	global_store_b64 v1, v[11:12], s[36:37]
	s_branch .LBB98_2
.LBB98_34:
	s_endpgm
	.section	.rodata,"a",@progbits
	.p2align	6, 0x0
	.amdhsa_kernel _ZL32rocblas_gemvt_warp_reduce_kernelILb1ELi1024EidPKddEviiT3_lPKT2_lT1_lS5_lS6_lS2_lPT4_lS6_li
		.amdhsa_group_segment_fixed_size 256
		.amdhsa_private_segment_fixed_size 0
		.amdhsa_kernarg_size 140
		.amdhsa_user_sgpr_count 2
		.amdhsa_user_sgpr_dispatch_ptr 0
		.amdhsa_user_sgpr_queue_ptr 0
		.amdhsa_user_sgpr_kernarg_segment_ptr 1
		.amdhsa_user_sgpr_dispatch_id 0
		.amdhsa_user_sgpr_private_segment_size 0
		.amdhsa_wavefront_size32 1
		.amdhsa_uses_dynamic_stack 0
		.amdhsa_enable_private_segment 0
		.amdhsa_system_sgpr_workgroup_id_x 1
		.amdhsa_system_sgpr_workgroup_id_y 0
		.amdhsa_system_sgpr_workgroup_id_z 1
		.amdhsa_system_sgpr_workgroup_info 0
		.amdhsa_system_vgpr_workitem_id 0
		.amdhsa_next_free_vgpr 28
		.amdhsa_next_free_sgpr 44
		.amdhsa_reserve_vcc 1
		.amdhsa_float_round_mode_32 0
		.amdhsa_float_round_mode_16_64 0
		.amdhsa_float_denorm_mode_32 3
		.amdhsa_float_denorm_mode_16_64 3
		.amdhsa_fp16_overflow 0
		.amdhsa_workgroup_processor_mode 1
		.amdhsa_memory_ordered 1
		.amdhsa_forward_progress 1
		.amdhsa_inst_pref_size 14
		.amdhsa_round_robin_scheduling 0
		.amdhsa_exception_fp_ieee_invalid_op 0
		.amdhsa_exception_fp_denorm_src 0
		.amdhsa_exception_fp_ieee_div_zero 0
		.amdhsa_exception_fp_ieee_overflow 0
		.amdhsa_exception_fp_ieee_underflow 0
		.amdhsa_exception_fp_ieee_inexact 0
		.amdhsa_exception_int_div_zero 0
	.end_amdhsa_kernel
	.section	.text._ZL32rocblas_gemvt_warp_reduce_kernelILb1ELi1024EidPKddEviiT3_lPKT2_lT1_lS5_lS6_lS2_lPT4_lS6_li,"axG",@progbits,_ZL32rocblas_gemvt_warp_reduce_kernelILb1ELi1024EidPKddEviiT3_lPKT2_lT1_lS5_lS6_lS2_lPT4_lS6_li,comdat
.Lfunc_end98:
	.size	_ZL32rocblas_gemvt_warp_reduce_kernelILb1ELi1024EidPKddEviiT3_lPKT2_lT1_lS5_lS6_lS2_lPT4_lS6_li, .Lfunc_end98-_ZL32rocblas_gemvt_warp_reduce_kernelILb1ELi1024EidPKddEviiT3_lPKT2_lT1_lS5_lS6_lS2_lPT4_lS6_li
                                        ; -- End function
	.set _ZL32rocblas_gemvt_warp_reduce_kernelILb1ELi1024EidPKddEviiT3_lPKT2_lT1_lS5_lS6_lS2_lPT4_lS6_li.num_vgpr, 28
	.set _ZL32rocblas_gemvt_warp_reduce_kernelILb1ELi1024EidPKddEviiT3_lPKT2_lT1_lS5_lS6_lS2_lPT4_lS6_li.num_agpr, 0
	.set _ZL32rocblas_gemvt_warp_reduce_kernelILb1ELi1024EidPKddEviiT3_lPKT2_lT1_lS5_lS6_lS2_lPT4_lS6_li.numbered_sgpr, 44
	.set _ZL32rocblas_gemvt_warp_reduce_kernelILb1ELi1024EidPKddEviiT3_lPKT2_lT1_lS5_lS6_lS2_lPT4_lS6_li.num_named_barrier, 0
	.set _ZL32rocblas_gemvt_warp_reduce_kernelILb1ELi1024EidPKddEviiT3_lPKT2_lT1_lS5_lS6_lS2_lPT4_lS6_li.private_seg_size, 0
	.set _ZL32rocblas_gemvt_warp_reduce_kernelILb1ELi1024EidPKddEviiT3_lPKT2_lT1_lS5_lS6_lS2_lPT4_lS6_li.uses_vcc, 1
	.set _ZL32rocblas_gemvt_warp_reduce_kernelILb1ELi1024EidPKddEviiT3_lPKT2_lT1_lS5_lS6_lS2_lPT4_lS6_li.uses_flat_scratch, 0
	.set _ZL32rocblas_gemvt_warp_reduce_kernelILb1ELi1024EidPKddEviiT3_lPKT2_lT1_lS5_lS6_lS2_lPT4_lS6_li.has_dyn_sized_stack, 0
	.set _ZL32rocblas_gemvt_warp_reduce_kernelILb1ELi1024EidPKddEviiT3_lPKT2_lT1_lS5_lS6_lS2_lPT4_lS6_li.has_recursion, 0
	.set _ZL32rocblas_gemvt_warp_reduce_kernelILb1ELi1024EidPKddEviiT3_lPKT2_lT1_lS5_lS6_lS2_lPT4_lS6_li.has_indirect_call, 0
	.section	.AMDGPU.csdata,"",@progbits
; Kernel info:
; codeLenInByte = 1700
; TotalNumSgprs: 46
; NumVgprs: 28
; ScratchSize: 0
; MemoryBound: 0
; FloatMode: 240
; IeeeMode: 1
; LDSByteSize: 256 bytes/workgroup (compile time only)
; SGPRBlocks: 0
; VGPRBlocks: 3
; NumSGPRsForWavesPerEU: 46
; NumVGPRsForWavesPerEU: 28
; Occupancy: 16
; WaveLimiterHint : 0
; COMPUTE_PGM_RSRC2:SCRATCH_EN: 0
; COMPUTE_PGM_RSRC2:USER_SGPR: 2
; COMPUTE_PGM_RSRC2:TRAP_HANDLER: 0
; COMPUTE_PGM_RSRC2:TGID_X_EN: 1
; COMPUTE_PGM_RSRC2:TGID_Y_EN: 0
; COMPUTE_PGM_RSRC2:TGID_Z_EN: 1
; COMPUTE_PGM_RSRC2:TIDIG_COMP_CNT: 0
	.section	.text._ZL32rocblas_gemvt_warp_reduce_kernelILb1ELi1024EldPKddEviiT3_lPKT2_lT1_lS5_lS6_lS2_lPT4_lS6_li,"axG",@progbits,_ZL32rocblas_gemvt_warp_reduce_kernelILb1ELi1024EldPKddEviiT3_lPKT2_lT1_lS5_lS6_lS2_lPT4_lS6_li,comdat
	.globl	_ZL32rocblas_gemvt_warp_reduce_kernelILb1ELi1024EldPKddEviiT3_lPKT2_lT1_lS5_lS6_lS2_lPT4_lS6_li ; -- Begin function _ZL32rocblas_gemvt_warp_reduce_kernelILb1ELi1024EldPKddEviiT3_lPKT2_lT1_lS5_lS6_lS2_lPT4_lS6_li
	.p2align	8
	.type	_ZL32rocblas_gemvt_warp_reduce_kernelILb1ELi1024EldPKddEviiT3_lPKT2_lT1_lS5_lS6_lS2_lPT4_lS6_li,@function
_ZL32rocblas_gemvt_warp_reduce_kernelILb1ELi1024EldPKddEviiT3_lPKT2_lT1_lS5_lS6_lS2_lPT4_lS6_li: ; @_ZL32rocblas_gemvt_warp_reduce_kernelILb1ELi1024EldPKddEviiT3_lPKT2_lT1_lS5_lS6_lS2_lPT4_lS6_li
; %bb.0:
	s_load_b32 s33, s[0:1], 0x88
	s_lshr_b32 s6, ttmp7, 16
	s_wait_kmcnt 0x0
	s_cmp_ge_u32 s6, s33
	s_cbranch_scc1 .LBB99_34
; %bb.1:
	s_clause 0x2
	s_load_b512 s[8:23], s[0:1], 0x8
	s_load_b512 s[36:51], s[0:1], 0x48
	s_load_b32 s28, s[0:1], 0x0
	s_mov_b32 s2, ttmp9
	s_ashr_i32 s3, ttmp9, 31
	v_mbcnt_lo_u32_b32 v23, -1, 0
	v_cmp_eq_u32_e64 s0, 0, v0
	s_mov_b32 s7, 0
	v_lshl_or_b32 v24, v23, 2, 64
	s_wait_kmcnt 0x0
	s_lshl_b64 s[4:5], s[22:23], 3
	s_lshl_b64 s[24:25], s[14:15], 3
	v_cmp_gt_i32_e32 vcc_lo, s28, v0
	v_mov_b32_e32 v1, 0
	s_ashr_i32 s1, s28, 31
	v_mad_co_u64_u32 v[2:3], null, s36, v0, 0
	v_cndmask_b32_e32 v4, 0, v0, vcc_lo
	s_lshr_b32 s1, s1, 22
	s_add_nc_u64 s[14:15], s[20:21], s[4:5]
	s_add_nc_u64 s[4:5], s[12:13], s[24:25]
	s_add_co_i32 s1, s28, s1
	v_lshlrev_b32_e32 v9, 3, v4
	s_and_b32 s20, s1, 0xfffffc00
	s_lshl_b64 s[22:23], s[46:47], 3
	s_mul_u64 s[26:27], s[48:49], s[2:3]
	s_mul_u64 s[2:3], s[16:17], s[2:3]
	v_add_co_u32 v4, s1, s4, v9
	v_or_b32_e32 v5, s20, v0
	s_add_nc_u64 s[16:17], s[44:45], s[22:23]
	s_lshl_b64 s[22:23], s[2:3], 3
	v_add_co_ci_u32_e64 v6, null, s5, 0, s1
	v_add_co_u32 v19, vcc_lo, v4, s22
	v_mad_co_u64_u32 v[3:4], null, s37, v0, v[3:4]
	v_mul_lo_u32 v10, s37, v5
	v_mad_co_u64_u32 v[7:8], null, s36, v5, 0
	v_cmp_gt_i32_e64 s2, s28, v5
	v_lshrrev_b32_e32 v5, 2, v0
	s_ashr_i32 s21, s20, 31
	s_wait_alu 0xfffd
	v_add_co_ci_u32_e64 v20, null, s23, v6, vcc_lo
	s_wait_alu 0xfffe
	s_mul_i32 s3, s36, s21
	v_and_b32_e32 v22, 0xf8, v5
	v_lshlrev_b64_e32 v[5:6], 3, v[2:3]
	v_add3_u32 v8, v8, s3, v10
	s_add_nc_u64 s[22:23], s[22:23], s[24:25]
	v_and_b32_e32 v4, 31, v0
	s_wait_alu 0xfffe
	s_add_nc_u64 s[12:13], s[12:13], s[22:23]
	v_cmp_gt_i32_e64 s1, s20, v0
	v_add_co_u32 v3, s5, s12, v9
	v_add_co_u32 v5, vcc_lo, s14, v5
	v_lshlrev_b64_e32 v[7:8], 3, v[7:8]
	v_cmp_gt_u32_e64 s3, 32, v0
	v_lshlrev_b32_e32 v21, 3, v4
	v_cmp_eq_u32_e64 s4, 0, v4
	s_wait_alu 0xf1ff
	v_add_co_ci_u32_e64 v4, null, s13, 0, s5
	s_wait_alu 0xfffd
	v_add_co_ci_u32_e64 v6, null, s15, v6, vcc_lo
	s_lshl_b64 s[12:13], s[18:19], 3
	s_lshl_b64 s[22:23], s[38:39], 3
	;; [unrolled: 1-line block ×5, first 2 shown]
	s_branch .LBB99_4
.LBB99_2:                               ;   in Loop: Header=BB99_4 Depth=1
	s_wait_alu 0xfffe
	s_or_b32 exec_lo, exec_lo, s5
.LBB99_3:                               ;   in Loop: Header=BB99_4 Depth=1
	s_add_co_i32 s6, s6, 0x10000
	s_wait_alu 0xfffe
	s_cmp_lt_u32 s6, s33
	s_cbranch_scc0 .LBB99_34
.LBB99_4:                               ; =>This Loop Header: Depth=1
                                        ;     Child Loop BB99_23 Depth 2
	s_mul_u64 s[30:31], s[10:11], s[6:7]
	s_mul_u64 s[34:35], s[42:43], s[6:7]
	s_lshl_b64 s[30:31], s[30:31], 3
	s_wait_alu 0xfffe
	s_lshl_b64 s[34:35], s[34:35], 3
	s_add_nc_u64 s[30:31], s[8:9], s[30:31]
	s_wait_alu 0xfffe
	s_add_nc_u64 s[34:35], s[40:41], s[34:35]
	s_clause 0x1
	global_load_b64 v[11:12], v1, s[30:31]
	global_load_b64 v[9:10], v1, s[34:35]
	s_wait_loadcnt 0x1
	v_cmp_eq_f64_e32 vcc_lo, 0, v[11:12]
	s_wait_loadcnt 0x0
	v_cmp_eq_f64_e64 s5, 1.0, v[9:10]
	s_and_b32 s5, vcc_lo, s5
	s_wait_alu 0xfffe
	s_and_b32 vcc_lo, exec_lo, s5
	s_wait_alu 0xfffe
	s_cbranch_vccnz .LBB99_3
; %bb.5:                                ;   in Loop: Header=BB99_4 Depth=1
	v_cmp_neq_f64_e32 vcc_lo, 0, v[11:12]
	s_mul_u64 s[30:31], s[50:51], s[6:7]
	s_delay_alu instid0(SALU_CYCLE_1) | instskip(NEXT) | instid1(SALU_CYCLE_1)
	s_lshl_b64 s[30:31], s[30:31], 3
	s_add_nc_u64 s[30:31], s[16:17], s[30:31]
	s_cbranch_vccnz .LBB99_9
; %bb.6:                                ;   in Loop: Header=BB99_4 Depth=1
	s_mov_b32 s5, 0
	s_mov_b32 s21, 0
                                        ; implicit-def: $vgpr13_vgpr14
	s_and_saveexec_b32 s34, s0
	s_cbranch_execz .LBB99_10
; %bb.7:                                ;   in Loop: Header=BB99_4 Depth=1
	v_cmp_eq_f64_e32 vcc_lo, 0, v[9:10]
	s_cbranch_vccnz .LBB99_11
; %bb.8:                                ;   in Loop: Header=BB99_4 Depth=1
	s_add_nc_u64 s[36:37], s[30:31], s[26:27]
	global_load_b64 v[13:14], v1, s[36:37]
	s_wait_loadcnt 0x0
	v_mul_f64_e32 v[13:14], v[9:10], v[13:14]
	s_branch .LBB99_12
.LBB99_9:                               ;   in Loop: Header=BB99_4 Depth=1
	s_mov_b32 s21, 0
                                        ; implicit-def: $vgpr13_vgpr14
	s_cbranch_execnz .LBB99_13
	s_branch .LBB99_32
.LBB99_10:                              ;   in Loop: Header=BB99_4 Depth=1
	s_wait_alu 0xfffe
	s_or_b32 exec_lo, exec_lo, s34
	s_delay_alu instid0(SALU_CYCLE_1)
	s_and_b32 vcc_lo, exec_lo, s5
	s_wait_alu 0xfffe
	s_cbranch_vccnz .LBB99_13
	s_branch .LBB99_32
.LBB99_11:                              ;   in Loop: Header=BB99_4 Depth=1
	v_mov_b32_e32 v13, 0
	v_mov_b32_e32 v14, 0
.LBB99_12:                              ;   in Loop: Header=BB99_4 Depth=1
	s_mov_b32 s21, exec_lo
	s_wait_alu 0xfffe
	s_or_b32 exec_lo, exec_lo, s34
	s_delay_alu instid0(SALU_CYCLE_1)
	s_and_b32 vcc_lo, exec_lo, s5
	s_wait_alu 0xfffe
	s_cbranch_vccz .LBB99_32
.LBB99_13:                              ;   in Loop: Header=BB99_4 Depth=1
	v_mov_b32_e32 v13, 0
	v_mov_b32_e32 v14, 0
	s_and_saveexec_b32 s34, s1
	s_cbranch_execnz .LBB99_22
; %bb.14:                               ;   in Loop: Header=BB99_4 Depth=1
	s_wait_alu 0xfffe
	s_or_b32 exec_lo, exec_lo, s34
	s_and_saveexec_b32 s5, s2
	s_cbranch_execnz .LBB99_25
.LBB99_15:                              ;   in Loop: Header=BB99_4 Depth=1
	s_wait_alu 0xfffe
	s_or_b32 exec_lo, exec_lo, s5
	s_and_saveexec_b32 s5, s3
.LBB99_16:                              ;   in Loop: Header=BB99_4 Depth=1
	v_mov_b32_e32 v2, v1
	ds_store_b64 v21, v[1:2]
.LBB99_17:                              ;   in Loop: Header=BB99_4 Depth=1
	s_wait_alu 0xfffe
	s_or_b32 exec_lo, exec_lo, s5
	s_wait_dscnt 0x0
	ds_bpermute_b32 v15, v24, v13
	ds_bpermute_b32 v16, v24, v14
	v_cmp_gt_u32_e32 vcc_lo, 24, v23
	s_wait_dscnt 0x0
	s_barrier_signal -1
	s_barrier_wait -1
	global_inv scope:SCOPE_SE
	s_wait_alu 0xfffd
	v_cndmask_b32_e64 v2, 0, 8, vcc_lo
	v_cmp_gt_u32_e32 vcc_lo, 28, v23
	s_delay_alu instid0(VALU_DEP_2)
	v_add_lshl_u32 v2, v2, v23, 2
	v_add_f64_e32 v[13:14], v[13:14], v[15:16]
	ds_bpermute_b32 v15, v2, v13
	ds_bpermute_b32 v16, v2, v14
	s_wait_dscnt 0x0
	v_add_f64_e32 v[13:14], v[13:14], v[15:16]
	s_wait_alu 0xfffd
	v_cndmask_b32_e64 v15, 0, 4, vcc_lo
	v_cmp_gt_u32_e32 vcc_lo, 30, v23
	s_delay_alu instid0(VALU_DEP_2)
	v_add_lshl_u32 v17, v15, v23, 2
	ds_bpermute_b32 v15, v17, v13
	ds_bpermute_b32 v16, v17, v14
	s_wait_dscnt 0x0
	v_add_f64_e32 v[13:14], v[13:14], v[15:16]
	s_wait_alu 0xfffd
	v_cndmask_b32_e64 v15, 0, 2, vcc_lo
	v_cmp_ne_u32_e32 vcc_lo, 31, v23
	s_delay_alu instid0(VALU_DEP_2)
	v_add_lshl_u32 v18, v15, v23, 2
	ds_bpermute_b32 v15, v18, v13
	ds_bpermute_b32 v16, v18, v14
	s_wait_dscnt 0x0
	v_add_f64_e32 v[13:14], v[13:14], v[15:16]
	s_wait_alu 0xfffd
	v_add_co_ci_u32_e64 v15, null, 0, v23, vcc_lo
	s_delay_alu instid0(VALU_DEP_1)
	v_lshlrev_b32_e32 v25, 2, v15
	ds_bpermute_b32 v15, v25, v13
	ds_bpermute_b32 v16, v25, v14
	s_and_saveexec_b32 s5, s4
	s_cbranch_execz .LBB99_19
; %bb.18:                               ;   in Loop: Header=BB99_4 Depth=1
	s_wait_dscnt 0x0
	v_add_f64_e32 v[13:14], v[13:14], v[15:16]
	ds_store_b64 v22, v[13:14]
.LBB99_19:                              ;   in Loop: Header=BB99_4 Depth=1
	s_wait_alu 0xfffe
	s_or_b32 exec_lo, exec_lo, s5
	s_wait_dscnt 0x0
	v_mov_b32_e32 v15, 0
	v_mov_b32_e32 v16, 0
	s_wait_loadcnt 0x0
	s_barrier_signal -1
	s_barrier_wait -1
	global_inv scope:SCOPE_SE
	s_and_saveexec_b32 s5, s3
	s_cbranch_execnz .LBB99_26
; %bb.20:                               ;   in Loop: Header=BB99_4 Depth=1
	s_wait_alu 0xfffe
	s_or_b32 exec_lo, exec_lo, s5
	s_and_saveexec_b32 s5, s3
	s_cbranch_execnz .LBB99_27
.LBB99_21:                              ;   in Loop: Header=BB99_4 Depth=1
	s_wait_alu 0xfffe
	s_or_b32 exec_lo, exec_lo, s5
                                        ; implicit-def: $vgpr13_vgpr14
	s_and_saveexec_b32 s5, s0
	s_cbranch_execnz .LBB99_28
	s_branch .LBB99_31
.LBB99_22:                              ;   in Loop: Header=BB99_4 Depth=1
	s_wait_dscnt 0x0
	v_mad_co_u64_u32 v[15:16], null, s12, s6, v[3:4]
	v_mad_co_u64_u32 v[17:18], null, s22, s6, v[5:6]
	s_mov_b32 s35, 0
	v_dual_mov_b32 v2, v16 :: v_dual_mov_b32 v13, v18
	s_delay_alu instid0(VALU_DEP_1) | instskip(NEXT) | instid1(VALU_DEP_2)
	v_mad_co_u64_u32 v[25:26], null, s13, s6, v[2:3]
	v_mad_co_u64_u32 v[26:27], null, s23, s6, v[13:14]
	v_mov_b32_e32 v13, 0
	v_mov_b32_e32 v14, 0
	;; [unrolled: 1-line block ×5, first 2 shown]
.LBB99_23:                              ;   Parent Loop BB99_4 Depth=1
                                        ; =>  This Inner Loop Header: Depth=2
	global_load_b64 v[25:26], v[15:16], off
	global_load_b64 v[27:28], v[17:18], off
	v_add_nc_u32_e32 v2, 0x400, v2
	v_add_co_u32 v15, vcc_lo, 0x2000, v15
	s_wait_alu 0xfffd
	v_add_co_ci_u32_e64 v16, null, 0, v16, vcc_lo
	s_delay_alu instid0(VALU_DEP_3)
	v_cmp_le_i32_e32 vcc_lo, s20, v2
	v_add_co_u32 v17, s5, v17, s24
	s_wait_alu 0xf1ff
	v_add_co_ci_u32_e64 v18, null, s25, v18, s5
	s_wait_alu 0xfffe
	s_or_b32 s35, vcc_lo, s35
	s_wait_loadcnt 0x0
	v_fma_f64 v[13:14], v[25:26], v[27:28], v[13:14]
	s_wait_alu 0xfffe
	s_and_not1_b32 exec_lo, exec_lo, s35
	s_cbranch_execnz .LBB99_23
; %bb.24:                               ;   in Loop: Header=BB99_4 Depth=1
	s_or_b32 exec_lo, exec_lo, s35
	s_delay_alu instid0(SALU_CYCLE_1)
	s_or_b32 exec_lo, exec_lo, s34
	s_and_saveexec_b32 s5, s2
	s_cbranch_execz .LBB99_15
.LBB99_25:                              ;   in Loop: Header=BB99_4 Depth=1
	s_mul_u64 s[34:35], s[18:19], s[6:7]
	s_mul_u64 s[36:37], s[38:39], s[6:7]
	s_wait_alu 0xfffe
	s_lshl_b64 s[34:35], s[34:35], 3
	s_lshl_b64 s[36:37], s[36:37], 3
	s_wait_alu 0xfffe
	v_add_co_u32 v2, vcc_lo, v19, s34
	s_wait_dscnt 0x0
	s_wait_alu 0xfffd
	v_add_co_ci_u32_e64 v16, null, s35, v20, vcc_lo
	s_add_nc_u64 s[34:35], s[14:15], s[36:37]
	v_add_co_u32 v15, vcc_lo, v2, s28
	s_wait_alu 0xfffd
	v_add_co_ci_u32_e64 v16, null, s29, v16, vcc_lo
	s_wait_alu 0xfffe
	v_add_co_u32 v17, vcc_lo, s34, v7
	s_wait_alu 0xfffd
	v_add_co_ci_u32_e64 v18, null, s35, v8, vcc_lo
	global_load_b64 v[15:16], v[15:16], off
	global_load_b64 v[17:18], v[17:18], off
	s_wait_loadcnt 0x0
	v_fma_f64 v[13:14], v[15:16], v[17:18], v[13:14]
	s_or_b32 exec_lo, exec_lo, s5
	s_and_saveexec_b32 s5, s3
	s_cbranch_execnz .LBB99_16
	s_branch .LBB99_17
.LBB99_26:                              ;   in Loop: Header=BB99_4 Depth=1
	ds_load_b64 v[15:16], v21
	s_wait_alu 0xfffe
	s_or_b32 exec_lo, exec_lo, s5
	s_and_saveexec_b32 s5, s3
	s_cbranch_execz .LBB99_21
.LBB99_27:                              ;   in Loop: Header=BB99_4 Depth=1
	s_wait_dscnt 0x0
	ds_bpermute_b32 v13, v24, v15
	ds_bpermute_b32 v14, v24, v16
	s_wait_dscnt 0x0
	v_add_f64_e32 v[13:14], v[15:16], v[13:14]
	ds_bpermute_b32 v15, v2, v13
	ds_bpermute_b32 v16, v2, v14
	s_wait_dscnt 0x0
	v_add_f64_e32 v[13:14], v[13:14], v[15:16]
	ds_bpermute_b32 v15, v17, v13
	ds_bpermute_b32 v16, v17, v14
	s_wait_dscnt 0x0
	v_add_f64_e32 v[13:14], v[13:14], v[15:16]
	ds_bpermute_b32 v15, v18, v13
	ds_bpermute_b32 v16, v18, v14
	s_wait_dscnt 0x0
	v_add_f64_e32 v[13:14], v[13:14], v[15:16]
	ds_bpermute_b32 v15, v25, v13
	ds_bpermute_b32 v16, v25, v14
	s_wait_dscnt 0x0
	v_add_f64_e32 v[15:16], v[13:14], v[15:16]
	s_wait_alu 0xfffe
	s_or_b32 exec_lo, exec_lo, s5
                                        ; implicit-def: $vgpr13_vgpr14
	s_and_saveexec_b32 s5, s0
	s_cbranch_execz .LBB99_31
.LBB99_28:                              ;   in Loop: Header=BB99_4 Depth=1
	v_cmp_eq_f64_e32 vcc_lo, 0, v[9:10]
	s_wait_dscnt 0x0
	s_delay_alu instid0(VALU_DEP_2)
	v_mul_f64_e32 v[13:14], v[11:12], v[15:16]
	s_cbranch_vccnz .LBB99_30
; %bb.29:                               ;   in Loop: Header=BB99_4 Depth=1
	s_add_nc_u64 s[34:35], s[30:31], s[26:27]
	global_load_b64 v[11:12], v1, s[34:35]
	s_wait_loadcnt 0x0
	v_fma_f64 v[13:14], v[9:10], v[11:12], v[13:14]
.LBB99_30:                              ;   in Loop: Header=BB99_4 Depth=1
	s_or_b32 s21, s21, exec_lo
.LBB99_31:                              ;   in Loop: Header=BB99_4 Depth=1
	s_wait_alu 0xfffe
	s_or_b32 exec_lo, exec_lo, s5
.LBB99_32:                              ;   in Loop: Header=BB99_4 Depth=1
	s_wait_alu 0xfffe
	s_and_saveexec_b32 s5, s21
	s_cbranch_execz .LBB99_2
; %bb.33:                               ;   in Loop: Header=BB99_4 Depth=1
	s_add_nc_u64 s[30:31], s[30:31], s[26:27]
	global_store_b64 v1, v[13:14], s[30:31]
	s_branch .LBB99_2
.LBB99_34:
	s_endpgm
	.section	.rodata,"a",@progbits
	.p2align	6, 0x0
	.amdhsa_kernel _ZL32rocblas_gemvt_warp_reduce_kernelILb1ELi1024EldPKddEviiT3_lPKT2_lT1_lS5_lS6_lS2_lPT4_lS6_li
		.amdhsa_group_segment_fixed_size 256
		.amdhsa_private_segment_fixed_size 0
		.amdhsa_kernarg_size 140
		.amdhsa_user_sgpr_count 2
		.amdhsa_user_sgpr_dispatch_ptr 0
		.amdhsa_user_sgpr_queue_ptr 0
		.amdhsa_user_sgpr_kernarg_segment_ptr 1
		.amdhsa_user_sgpr_dispatch_id 0
		.amdhsa_user_sgpr_private_segment_size 0
		.amdhsa_wavefront_size32 1
		.amdhsa_uses_dynamic_stack 0
		.amdhsa_enable_private_segment 0
		.amdhsa_system_sgpr_workgroup_id_x 1
		.amdhsa_system_sgpr_workgroup_id_y 0
		.amdhsa_system_sgpr_workgroup_id_z 1
		.amdhsa_system_sgpr_workgroup_info 0
		.amdhsa_system_vgpr_workitem_id 0
		.amdhsa_next_free_vgpr 29
		.amdhsa_next_free_sgpr 52
		.amdhsa_reserve_vcc 1
		.amdhsa_float_round_mode_32 0
		.amdhsa_float_round_mode_16_64 0
		.amdhsa_float_denorm_mode_32 3
		.amdhsa_float_denorm_mode_16_64 3
		.amdhsa_fp16_overflow 0
		.amdhsa_workgroup_processor_mode 1
		.amdhsa_memory_ordered 1
		.amdhsa_forward_progress 1
		.amdhsa_inst_pref_size 14
		.amdhsa_round_robin_scheduling 0
		.amdhsa_exception_fp_ieee_invalid_op 0
		.amdhsa_exception_fp_denorm_src 0
		.amdhsa_exception_fp_ieee_div_zero 0
		.amdhsa_exception_fp_ieee_overflow 0
		.amdhsa_exception_fp_ieee_underflow 0
		.amdhsa_exception_fp_ieee_inexact 0
		.amdhsa_exception_int_div_zero 0
	.end_amdhsa_kernel
	.section	.text._ZL32rocblas_gemvt_warp_reduce_kernelILb1ELi1024EldPKddEviiT3_lPKT2_lT1_lS5_lS6_lS2_lPT4_lS6_li,"axG",@progbits,_ZL32rocblas_gemvt_warp_reduce_kernelILb1ELi1024EldPKddEviiT3_lPKT2_lT1_lS5_lS6_lS2_lPT4_lS6_li,comdat
.Lfunc_end99:
	.size	_ZL32rocblas_gemvt_warp_reduce_kernelILb1ELi1024EldPKddEviiT3_lPKT2_lT1_lS5_lS6_lS2_lPT4_lS6_li, .Lfunc_end99-_ZL32rocblas_gemvt_warp_reduce_kernelILb1ELi1024EldPKddEviiT3_lPKT2_lT1_lS5_lS6_lS2_lPT4_lS6_li
                                        ; -- End function
	.set _ZL32rocblas_gemvt_warp_reduce_kernelILb1ELi1024EldPKddEviiT3_lPKT2_lT1_lS5_lS6_lS2_lPT4_lS6_li.num_vgpr, 29
	.set _ZL32rocblas_gemvt_warp_reduce_kernelILb1ELi1024EldPKddEviiT3_lPKT2_lT1_lS5_lS6_lS2_lPT4_lS6_li.num_agpr, 0
	.set _ZL32rocblas_gemvt_warp_reduce_kernelILb1ELi1024EldPKddEviiT3_lPKT2_lT1_lS5_lS6_lS2_lPT4_lS6_li.numbered_sgpr, 52
	.set _ZL32rocblas_gemvt_warp_reduce_kernelILb1ELi1024EldPKddEviiT3_lPKT2_lT1_lS5_lS6_lS2_lPT4_lS6_li.num_named_barrier, 0
	.set _ZL32rocblas_gemvt_warp_reduce_kernelILb1ELi1024EldPKddEviiT3_lPKT2_lT1_lS5_lS6_lS2_lPT4_lS6_li.private_seg_size, 0
	.set _ZL32rocblas_gemvt_warp_reduce_kernelILb1ELi1024EldPKddEviiT3_lPKT2_lT1_lS5_lS6_lS2_lPT4_lS6_li.uses_vcc, 1
	.set _ZL32rocblas_gemvt_warp_reduce_kernelILb1ELi1024EldPKddEviiT3_lPKT2_lT1_lS5_lS6_lS2_lPT4_lS6_li.uses_flat_scratch, 0
	.set _ZL32rocblas_gemvt_warp_reduce_kernelILb1ELi1024EldPKddEviiT3_lPKT2_lT1_lS5_lS6_lS2_lPT4_lS6_li.has_dyn_sized_stack, 0
	.set _ZL32rocblas_gemvt_warp_reduce_kernelILb1ELi1024EldPKddEviiT3_lPKT2_lT1_lS5_lS6_lS2_lPT4_lS6_li.has_recursion, 0
	.set _ZL32rocblas_gemvt_warp_reduce_kernelILb1ELi1024EldPKddEviiT3_lPKT2_lT1_lS5_lS6_lS2_lPT4_lS6_li.has_indirect_call, 0
	.section	.AMDGPU.csdata,"",@progbits
; Kernel info:
; codeLenInByte = 1708
; TotalNumSgprs: 54
; NumVgprs: 29
; ScratchSize: 0
; MemoryBound: 0
; FloatMode: 240
; IeeeMode: 1
; LDSByteSize: 256 bytes/workgroup (compile time only)
; SGPRBlocks: 0
; VGPRBlocks: 3
; NumSGPRsForWavesPerEU: 54
; NumVGPRsForWavesPerEU: 29
; Occupancy: 16
; WaveLimiterHint : 0
; COMPUTE_PGM_RSRC2:SCRATCH_EN: 0
; COMPUTE_PGM_RSRC2:USER_SGPR: 2
; COMPUTE_PGM_RSRC2:TRAP_HANDLER: 0
; COMPUTE_PGM_RSRC2:TGID_X_EN: 1
; COMPUTE_PGM_RSRC2:TGID_Y_EN: 0
; COMPUTE_PGM_RSRC2:TGID_Z_EN: 1
; COMPUTE_PGM_RSRC2:TIDIG_COMP_CNT: 0
	.section	.text._ZL32rocblas_gemvt_warp_reduce_kernelILb1ELi1024EidddEviiT3_lPKT2_lT1_lS3_lS4_lS0_lPT4_lS4_li,"axG",@progbits,_ZL32rocblas_gemvt_warp_reduce_kernelILb1ELi1024EidddEviiT3_lPKT2_lT1_lS3_lS4_lS0_lPT4_lS4_li,comdat
	.globl	_ZL32rocblas_gemvt_warp_reduce_kernelILb1ELi1024EidddEviiT3_lPKT2_lT1_lS3_lS4_lS0_lPT4_lS4_li ; -- Begin function _ZL32rocblas_gemvt_warp_reduce_kernelILb1ELi1024EidddEviiT3_lPKT2_lT1_lS3_lS4_lS0_lPT4_lS4_li
	.p2align	8
	.type	_ZL32rocblas_gemvt_warp_reduce_kernelILb1ELi1024EidddEviiT3_lPKT2_lT1_lS3_lS4_lS0_lPT4_lS4_li,@function
_ZL32rocblas_gemvt_warp_reduce_kernelILb1ELi1024EidddEviiT3_lPKT2_lT1_lS3_lS4_lS0_lPT4_lS4_li: ; @_ZL32rocblas_gemvt_warp_reduce_kernelILb1ELi1024EidddEviiT3_lPKT2_lT1_lS3_lS4_lS0_lPT4_lS4_li
; %bb.0:
	s_load_b32 s33, s[0:1], 0x88
	s_lshr_b32 s24, ttmp7, 16
	s_wait_kmcnt 0x0
	s_cmp_ge_u32 s24, s33
	s_cbranch_scc1 .LBB100_34
; %bb.1:
	s_clause 0x9
	s_load_b96 s[20:22], s[0:1], 0x40
	s_load_b128 s[4:7], s[0:1], 0x68
	s_load_b128 s[16:19], s[0:1], 0x18
	s_load_b64 s[26:27], s[0:1], 0x8
	s_load_b128 s[8:11], s[0:1], 0x50
	s_load_b32 s23, s[0:1], 0x78
	s_load_b32 s36, s[0:1], 0x0
	s_load_b128 s[12:15], s[0:1], 0x30
	s_load_b32 s37, s[0:1], 0x28
	s_load_b64 s[28:29], s[0:1], 0x80
	v_mbcnt_lo_u32_b32 v18, -1, 0
	v_cmp_eq_u32_e64 s0, 0, v0
	s_mov_b32 s25, 0
	v_lshl_or_b32 v19, v18, 2, 64
	s_wait_kmcnt 0x0
	s_lshl_b64 s[2:3], s[20:21], 3
	s_lshl_b64 s[20:21], s[6:7], 3
	;; [unrolled: 1-line block ×3, first 2 shown]
	v_cmp_neq_f64_e64 s38, s[26:27], 0
	v_cmp_neq_f64_e64 s39, s[10:11], 1.0
	v_mul_lo_u32 v17, v0, s22
	v_cmp_gt_i32_e32 vcc_lo, s36, v0
	s_add_nc_u64 s[6:7], s[14:15], s[2:3]
	s_add_nc_u64 s[14:15], s[4:5], s[20:21]
	s_mul_i32 s4, s37, ttmp9
	s_ashr_i32 s1, s36, 31
	v_cndmask_b32_e32 v1, 0, v0, vcc_lo
	s_lshr_b32 s1, s1, 22
	s_add_nc_u64 s[2:3], s[16:17], s[30:31]
	s_add_co_i32 s1, s36, s1
	s_ashr_i32 s5, s4, 31
	s_and_b32 s18, s1, 0xfffffc00
	v_dual_mov_b32 v1, 0 :: v_dual_lshlrev_b32 v2, 3, v1
	v_or_b32_e32 v3, s18, v0
	s_lshl_b64 s[20:21], s[4:5], 3
	s_mul_i32 s34, s23, ttmp9
	s_delay_alu instid0(VALU_DEP_2) | instskip(NEXT) | instid1(VALU_DEP_2)
	v_add_co_u32 v4, s1, s2, v2
	v_mul_lo_u32 v5, s22, v3
	v_add_co_ci_u32_e64 v6, null, s3, 0, s1
	s_delay_alu instid0(VALU_DEP_3)
	v_add_co_u32 v13, vcc_lo, v4, s20
	v_cmp_gt_i32_e64 s2, s36, v3
	v_and_b32_e32 v3, 31, v0
	s_wait_alu 0xfffd
	v_add_co_ci_u32_e64 v14, null, s21, v6, vcc_lo
	v_ashrrev_i32_e32 v6, 31, v5
	s_add_nc_u64 s[20:21], s[30:31], s[20:21]
	v_lshrrev_b32_e32 v4, 2, v0
	s_wait_alu 0xfffe
	s_add_nc_u64 s[16:17], s[16:17], s[20:21]
	v_lshlrev_b32_e32 v15, 3, v3
	v_cmp_eq_u32_e64 s4, 0, v3
	v_add_co_u32 v3, s5, s16, v2
	v_lshlrev_b64_e32 v[5:6], 3, v[5:6]
	s_or_b32 s37, s38, s39
	v_cmp_eq_f64_e64 s38, s[26:27], 0
	v_cmp_neq_f64_e64 s39, s[10:11], 0
	v_cmp_gt_i32_e64 s1, s18, v0
	v_cmp_gt_u32_e64 s3, 32, v0
	v_and_b32_e32 v16, 0xf8, v4
	v_add_co_ci_u32_e64 v4, null, s17, 0, s5
	s_ashr_i32 s35, s34, 31
	s_ashr_i32 s19, s18, 31
	s_lshl_b32 s36, s22, 10
	s_lshl_b64 s[16:17], s[12:13], 3
	s_lshl_b64 s[20:21], s[34:35], 3
	s_wait_alu 0xfffe
	s_lshl_b64 s[22:23], s[18:19], 3
	s_branch .LBB100_4
.LBB100_2:                              ;   in Loop: Header=BB100_4 Depth=1
	s_wait_alu 0xfffe
	s_or_b32 exec_lo, exec_lo, s5
.LBB100_3:                              ;   in Loop: Header=BB100_4 Depth=1
	s_add_co_i32 s24, s24, 0x10000
	s_wait_alu 0xfffe
	s_cmp_lt_u32 s24, s33
	s_cbranch_scc0 .LBB100_34
.LBB100_4:                              ; =>This Loop Header: Depth=1
                                        ;     Child Loop BB100_23 Depth 2
	s_and_not1_b32 vcc_lo, exec_lo, s37
	s_wait_alu 0xfffe
	s_cbranch_vccnz .LBB100_3
; %bb.5:                                ;   in Loop: Header=BB100_4 Depth=1
	s_mul_u64 s[30:31], s[28:29], s[24:25]
	s_and_not1_b32 vcc_lo, exec_lo, s38
	s_lshl_b64 s[30:31], s[30:31], 3
	s_delay_alu instid0(SALU_CYCLE_1)
	s_add_nc_u64 s[30:31], s[14:15], s[30:31]
	s_wait_alu 0xfffe
	s_cbranch_vccnz .LBB100_9
; %bb.6:                                ;   in Loop: Header=BB100_4 Depth=1
	s_mov_b32 s5, 0
	s_mov_b32 s19, 0
                                        ; implicit-def: $vgpr7_vgpr8
	s_and_saveexec_b32 s34, s0
	s_cbranch_execz .LBB100_10
; %bb.7:                                ;   in Loop: Header=BB100_4 Depth=1
	s_and_not1_b32 vcc_lo, exec_lo, s39
	s_wait_alu 0xfffe
	s_cbranch_vccnz .LBB100_11
; %bb.8:                                ;   in Loop: Header=BB100_4 Depth=1
	s_add_nc_u64 s[40:41], s[30:31], s[20:21]
	global_load_b64 v[7:8], v1, s[40:41]
	s_wait_loadcnt 0x0
	v_mul_f64_e32 v[7:8], s[10:11], v[7:8]
	s_branch .LBB100_12
.LBB100_9:                              ;   in Loop: Header=BB100_4 Depth=1
	s_mov_b32 s19, 0
                                        ; implicit-def: $vgpr7_vgpr8
	s_cbranch_execnz .LBB100_13
	s_branch .LBB100_32
.LBB100_10:                             ;   in Loop: Header=BB100_4 Depth=1
	s_wait_alu 0xfffe
	s_or_b32 exec_lo, exec_lo, s34
	s_delay_alu instid0(SALU_CYCLE_1)
	s_and_b32 vcc_lo, exec_lo, s5
	s_wait_alu 0xfffe
	s_cbranch_vccnz .LBB100_13
	s_branch .LBB100_32
.LBB100_11:                             ;   in Loop: Header=BB100_4 Depth=1
	v_mov_b32_e32 v7, 0
	v_mov_b32_e32 v8, 0
.LBB100_12:                             ;   in Loop: Header=BB100_4 Depth=1
	s_mov_b32 s19, exec_lo
	s_or_b32 exec_lo, exec_lo, s34
	s_delay_alu instid0(SALU_CYCLE_1)
	s_and_b32 vcc_lo, exec_lo, s5
	s_wait_alu 0xfffe
	s_cbranch_vccz .LBB100_32
.LBB100_13:                             ;   in Loop: Header=BB100_4 Depth=1
	s_mul_u64 s[34:35], s[8:9], s[24:25]
	v_mov_b32_e32 v7, 0
	v_mov_b32_e32 v8, 0
	s_wait_alu 0xfffe
	s_lshl_b64 s[34:35], s[34:35], 3
	s_wait_alu 0xfffe
	s_add_nc_u64 s[34:35], s[6:7], s[34:35]
	s_and_saveexec_b32 s40, s1
	s_cbranch_execnz .LBB100_22
; %bb.14:                               ;   in Loop: Header=BB100_4 Depth=1
	s_wait_alu 0xfffe
	s_or_b32 exec_lo, exec_lo, s40
	s_and_saveexec_b32 s5, s2
	s_cbranch_execnz .LBB100_25
.LBB100_15:                             ;   in Loop: Header=BB100_4 Depth=1
	s_wait_alu 0xfffe
	s_or_b32 exec_lo, exec_lo, s5
	s_and_saveexec_b32 s5, s3
.LBB100_16:                             ;   in Loop: Header=BB100_4 Depth=1
	v_mov_b32_e32 v2, v1
	ds_store_b64 v15, v[1:2]
.LBB100_17:                             ;   in Loop: Header=BB100_4 Depth=1
	s_wait_alu 0xfffe
	s_or_b32 exec_lo, exec_lo, s5
	s_wait_dscnt 0x0
	ds_bpermute_b32 v9, v19, v7
	ds_bpermute_b32 v10, v19, v8
	v_cmp_gt_u32_e32 vcc_lo, 24, v18
	s_wait_dscnt 0x0
	s_barrier_signal -1
	s_barrier_wait -1
	global_inv scope:SCOPE_SE
	s_wait_alu 0xfffd
	v_cndmask_b32_e64 v2, 0, 8, vcc_lo
	v_cmp_gt_u32_e32 vcc_lo, 28, v18
	s_delay_alu instid0(VALU_DEP_2)
	v_add_lshl_u32 v2, v2, v18, 2
	v_add_f64_e32 v[7:8], v[7:8], v[9:10]
	ds_bpermute_b32 v9, v2, v7
	ds_bpermute_b32 v10, v2, v8
	s_wait_dscnt 0x0
	v_add_f64_e32 v[7:8], v[7:8], v[9:10]
	s_wait_alu 0xfffd
	v_cndmask_b32_e64 v9, 0, 4, vcc_lo
	v_cmp_gt_u32_e32 vcc_lo, 30, v18
	s_delay_alu instid0(VALU_DEP_2)
	v_add_lshl_u32 v11, v9, v18, 2
	ds_bpermute_b32 v9, v11, v7
	ds_bpermute_b32 v10, v11, v8
	s_wait_dscnt 0x0
	v_add_f64_e32 v[7:8], v[7:8], v[9:10]
	s_wait_alu 0xfffd
	v_cndmask_b32_e64 v9, 0, 2, vcc_lo
	v_cmp_ne_u32_e32 vcc_lo, 31, v18
	s_delay_alu instid0(VALU_DEP_2)
	v_add_lshl_u32 v12, v9, v18, 2
	ds_bpermute_b32 v9, v12, v7
	ds_bpermute_b32 v10, v12, v8
	s_wait_dscnt 0x0
	v_add_f64_e32 v[7:8], v[7:8], v[9:10]
	s_wait_alu 0xfffd
	v_add_co_ci_u32_e64 v9, null, 0, v18, vcc_lo
	s_delay_alu instid0(VALU_DEP_1)
	v_lshlrev_b32_e32 v20, 2, v9
	ds_bpermute_b32 v9, v20, v7
	ds_bpermute_b32 v10, v20, v8
	s_and_saveexec_b32 s5, s4
	s_cbranch_execz .LBB100_19
; %bb.18:                               ;   in Loop: Header=BB100_4 Depth=1
	s_wait_dscnt 0x0
	v_add_f64_e32 v[7:8], v[7:8], v[9:10]
	ds_store_b64 v16, v[7:8]
.LBB100_19:                             ;   in Loop: Header=BB100_4 Depth=1
	s_wait_alu 0xfffe
	s_or_b32 exec_lo, exec_lo, s5
	s_wait_dscnt 0x0
	v_mov_b32_e32 v9, 0
	v_mov_b32_e32 v10, 0
	s_wait_loadcnt 0x0
	s_barrier_signal -1
	s_barrier_wait -1
	global_inv scope:SCOPE_SE
	s_and_saveexec_b32 s5, s3
	s_cbranch_execnz .LBB100_26
; %bb.20:                               ;   in Loop: Header=BB100_4 Depth=1
	s_wait_alu 0xfffe
	s_or_b32 exec_lo, exec_lo, s5
	s_and_saveexec_b32 s5, s3
	s_cbranch_execnz .LBB100_27
.LBB100_21:                             ;   in Loop: Header=BB100_4 Depth=1
	s_wait_alu 0xfffe
	s_or_b32 exec_lo, exec_lo, s5
                                        ; implicit-def: $vgpr7_vgpr8
	s_and_saveexec_b32 s5, s0
	s_cbranch_execnz .LBB100_28
	s_branch .LBB100_31
.LBB100_22:                             ;   in Loop: Header=BB100_4 Depth=1
	s_wait_dscnt 0x0
	v_mad_co_u64_u32 v[9:10], null, s16, s24, v[3:4]
	s_mov_b32 s41, 0
	v_mov_b32_e32 v7, 0
	v_mov_b32_e32 v8, 0
	;; [unrolled: 1-line block ×3, first 2 shown]
	s_delay_alu instid0(VALU_DEP_1)
	v_mad_co_u64_u32 v[10:11], null, s17, s24, v[2:3]
	v_dual_mov_b32 v2, v0 :: v_dual_mov_b32 v11, v17
.LBB100_23:                             ;   Parent Loop BB100_4 Depth=1
                                        ; =>  This Inner Loop Header: Depth=2
	s_delay_alu instid0(VALU_DEP_1) | instskip(NEXT) | instid1(VALU_DEP_2)
	v_ashrrev_i32_e32 v12, 31, v11
	v_add_nc_u32_e32 v2, 0x400, v2
	s_delay_alu instid0(VALU_DEP_2) | instskip(NEXT) | instid1(VALU_DEP_2)
	v_lshlrev_b64_e32 v[20:21], 3, v[11:12]
	v_cmp_le_i32_e64 s5, s18, v2
	v_add_nc_u32_e32 v11, s36, v11
	s_wait_alu 0xfffe
	s_or_b32 s41, s5, s41
	v_add_co_u32 v20, vcc_lo, s34, v20
	s_wait_alu 0xfffd
	v_add_co_ci_u32_e64 v21, null, s35, v21, vcc_lo
	global_load_b64 v[22:23], v[9:10], off
	global_load_b64 v[20:21], v[20:21], off
	v_add_co_u32 v9, vcc_lo, 0x2000, v9
	s_wait_alu 0xfffd
	v_add_co_ci_u32_e64 v10, null, 0, v10, vcc_lo
	s_wait_loadcnt 0x0
	v_fma_f64 v[7:8], v[22:23], v[20:21], v[7:8]
	s_wait_alu 0xfffe
	s_and_not1_b32 exec_lo, exec_lo, s41
	s_cbranch_execnz .LBB100_23
; %bb.24:                               ;   in Loop: Header=BB100_4 Depth=1
	s_or_b32 exec_lo, exec_lo, s41
	s_delay_alu instid0(SALU_CYCLE_1)
	s_or_b32 exec_lo, exec_lo, s40
	s_and_saveexec_b32 s5, s2
	s_cbranch_execz .LBB100_15
.LBB100_25:                             ;   in Loop: Header=BB100_4 Depth=1
	s_mul_u64 s[40:41], s[12:13], s[24:25]
	s_wait_alu 0xfffe
	s_lshl_b64 s[40:41], s[40:41], 3
	s_wait_alu 0xfffe
	v_add_co_u32 v2, vcc_lo, v13, s40
	s_wait_dscnt 0x0
	s_wait_alu 0xfffd
	v_add_co_ci_u32_e64 v10, null, s41, v14, vcc_lo
	s_delay_alu instid0(VALU_DEP_2) | instskip(SKIP_1) | instid1(VALU_DEP_2)
	v_add_co_u32 v9, vcc_lo, v2, s22
	s_wait_alu 0xfffd
	v_add_co_ci_u32_e64 v10, null, s23, v10, vcc_lo
	v_add_co_u32 v11, vcc_lo, s34, v5
	s_wait_alu 0xfffd
	v_add_co_ci_u32_e64 v12, null, s35, v6, vcc_lo
	global_load_b64 v[9:10], v[9:10], off
	global_load_b64 v[11:12], v[11:12], off
	s_wait_loadcnt 0x0
	v_fma_f64 v[7:8], v[9:10], v[11:12], v[7:8]
	s_or_b32 exec_lo, exec_lo, s5
	s_and_saveexec_b32 s5, s3
	s_cbranch_execnz .LBB100_16
	s_branch .LBB100_17
.LBB100_26:                             ;   in Loop: Header=BB100_4 Depth=1
	ds_load_b64 v[9:10], v15
	s_wait_alu 0xfffe
	s_or_b32 exec_lo, exec_lo, s5
	s_and_saveexec_b32 s5, s3
	s_cbranch_execz .LBB100_21
.LBB100_27:                             ;   in Loop: Header=BB100_4 Depth=1
	s_wait_dscnt 0x0
	ds_bpermute_b32 v7, v19, v9
	ds_bpermute_b32 v8, v19, v10
	s_wait_dscnt 0x0
	v_add_f64_e32 v[7:8], v[9:10], v[7:8]
	ds_bpermute_b32 v9, v2, v7
	ds_bpermute_b32 v10, v2, v8
	s_wait_dscnt 0x0
	v_add_f64_e32 v[7:8], v[7:8], v[9:10]
	;; [unrolled: 4-line block ×5, first 2 shown]
	s_wait_alu 0xfffe
	s_or_b32 exec_lo, exec_lo, s5
                                        ; implicit-def: $vgpr7_vgpr8
	s_and_saveexec_b32 s5, s0
	s_cbranch_execz .LBB100_31
.LBB100_28:                             ;   in Loop: Header=BB100_4 Depth=1
	s_wait_dscnt 0x0
	s_delay_alu instid0(VALU_DEP_1)
	v_mul_f64_e32 v[7:8], s[26:27], v[9:10]
	s_and_not1_b32 vcc_lo, exec_lo, s39
	s_wait_alu 0xfffe
	s_cbranch_vccnz .LBB100_30
; %bb.29:                               ;   in Loop: Header=BB100_4 Depth=1
	s_add_nc_u64 s[34:35], s[30:31], s[20:21]
	global_load_b64 v[9:10], v1, s[34:35]
	s_wait_loadcnt 0x0
	v_fma_f64 v[7:8], s[10:11], v[9:10], v[7:8]
.LBB100_30:                             ;   in Loop: Header=BB100_4 Depth=1
	s_or_b32 s19, s19, exec_lo
.LBB100_31:                             ;   in Loop: Header=BB100_4 Depth=1
	s_wait_alu 0xfffe
	s_or_b32 exec_lo, exec_lo, s5
.LBB100_32:                             ;   in Loop: Header=BB100_4 Depth=1
	s_wait_alu 0xfffe
	s_and_saveexec_b32 s5, s19
	s_cbranch_execz .LBB100_2
; %bb.33:                               ;   in Loop: Header=BB100_4 Depth=1
	s_add_nc_u64 s[30:31], s[30:31], s[20:21]
	global_store_b64 v1, v[7:8], s[30:31]
	s_branch .LBB100_2
.LBB100_34:
	s_endpgm
	.section	.rodata,"a",@progbits
	.p2align	6, 0x0
	.amdhsa_kernel _ZL32rocblas_gemvt_warp_reduce_kernelILb1ELi1024EidddEviiT3_lPKT2_lT1_lS3_lS4_lS0_lPT4_lS4_li
		.amdhsa_group_segment_fixed_size 256
		.amdhsa_private_segment_fixed_size 0
		.amdhsa_kernarg_size 140
		.amdhsa_user_sgpr_count 2
		.amdhsa_user_sgpr_dispatch_ptr 0
		.amdhsa_user_sgpr_queue_ptr 0
		.amdhsa_user_sgpr_kernarg_segment_ptr 1
		.amdhsa_user_sgpr_dispatch_id 0
		.amdhsa_user_sgpr_private_segment_size 0
		.amdhsa_wavefront_size32 1
		.amdhsa_uses_dynamic_stack 0
		.amdhsa_enable_private_segment 0
		.amdhsa_system_sgpr_workgroup_id_x 1
		.amdhsa_system_sgpr_workgroup_id_y 0
		.amdhsa_system_sgpr_workgroup_id_z 1
		.amdhsa_system_sgpr_workgroup_info 0
		.amdhsa_system_vgpr_workitem_id 0
		.amdhsa_next_free_vgpr 24
		.amdhsa_next_free_sgpr 42
		.amdhsa_reserve_vcc 1
		.amdhsa_float_round_mode_32 0
		.amdhsa_float_round_mode_16_64 0
		.amdhsa_float_denorm_mode_32 3
		.amdhsa_float_denorm_mode_16_64 3
		.amdhsa_fp16_overflow 0
		.amdhsa_workgroup_processor_mode 1
		.amdhsa_memory_ordered 1
		.amdhsa_forward_progress 1
		.amdhsa_inst_pref_size 14
		.amdhsa_round_robin_scheduling 0
		.amdhsa_exception_fp_ieee_invalid_op 0
		.amdhsa_exception_fp_denorm_src 0
		.amdhsa_exception_fp_ieee_div_zero 0
		.amdhsa_exception_fp_ieee_overflow 0
		.amdhsa_exception_fp_ieee_underflow 0
		.amdhsa_exception_fp_ieee_inexact 0
		.amdhsa_exception_int_div_zero 0
	.end_amdhsa_kernel
	.section	.text._ZL32rocblas_gemvt_warp_reduce_kernelILb1ELi1024EidddEviiT3_lPKT2_lT1_lS3_lS4_lS0_lPT4_lS4_li,"axG",@progbits,_ZL32rocblas_gemvt_warp_reduce_kernelILb1ELi1024EidddEviiT3_lPKT2_lT1_lS3_lS4_lS0_lPT4_lS4_li,comdat
.Lfunc_end100:
	.size	_ZL32rocblas_gemvt_warp_reduce_kernelILb1ELi1024EidddEviiT3_lPKT2_lT1_lS3_lS4_lS0_lPT4_lS4_li, .Lfunc_end100-_ZL32rocblas_gemvt_warp_reduce_kernelILb1ELi1024EidddEviiT3_lPKT2_lT1_lS3_lS4_lS0_lPT4_lS4_li
                                        ; -- End function
	.set _ZL32rocblas_gemvt_warp_reduce_kernelILb1ELi1024EidddEviiT3_lPKT2_lT1_lS3_lS4_lS0_lPT4_lS4_li.num_vgpr, 24
	.set _ZL32rocblas_gemvt_warp_reduce_kernelILb1ELi1024EidddEviiT3_lPKT2_lT1_lS3_lS4_lS0_lPT4_lS4_li.num_agpr, 0
	.set _ZL32rocblas_gemvt_warp_reduce_kernelILb1ELi1024EidddEviiT3_lPKT2_lT1_lS3_lS4_lS0_lPT4_lS4_li.numbered_sgpr, 42
	.set _ZL32rocblas_gemvt_warp_reduce_kernelILb1ELi1024EidddEviiT3_lPKT2_lT1_lS3_lS4_lS0_lPT4_lS4_li.num_named_barrier, 0
	.set _ZL32rocblas_gemvt_warp_reduce_kernelILb1ELi1024EidddEviiT3_lPKT2_lT1_lS3_lS4_lS0_lPT4_lS4_li.private_seg_size, 0
	.set _ZL32rocblas_gemvt_warp_reduce_kernelILb1ELi1024EidddEviiT3_lPKT2_lT1_lS3_lS4_lS0_lPT4_lS4_li.uses_vcc, 1
	.set _ZL32rocblas_gemvt_warp_reduce_kernelILb1ELi1024EidddEviiT3_lPKT2_lT1_lS3_lS4_lS0_lPT4_lS4_li.uses_flat_scratch, 0
	.set _ZL32rocblas_gemvt_warp_reduce_kernelILb1ELi1024EidddEviiT3_lPKT2_lT1_lS3_lS4_lS0_lPT4_lS4_li.has_dyn_sized_stack, 0
	.set _ZL32rocblas_gemvt_warp_reduce_kernelILb1ELi1024EidddEviiT3_lPKT2_lT1_lS3_lS4_lS0_lPT4_lS4_li.has_recursion, 0
	.set _ZL32rocblas_gemvt_warp_reduce_kernelILb1ELi1024EidddEviiT3_lPKT2_lT1_lS3_lS4_lS0_lPT4_lS4_li.has_indirect_call, 0
	.section	.AMDGPU.csdata,"",@progbits
; Kernel info:
; codeLenInByte = 1676
; TotalNumSgprs: 44
; NumVgprs: 24
; ScratchSize: 0
; MemoryBound: 0
; FloatMode: 240
; IeeeMode: 1
; LDSByteSize: 256 bytes/workgroup (compile time only)
; SGPRBlocks: 0
; VGPRBlocks: 2
; NumSGPRsForWavesPerEU: 44
; NumVGPRsForWavesPerEU: 24
; Occupancy: 16
; WaveLimiterHint : 0
; COMPUTE_PGM_RSRC2:SCRATCH_EN: 0
; COMPUTE_PGM_RSRC2:USER_SGPR: 2
; COMPUTE_PGM_RSRC2:TRAP_HANDLER: 0
; COMPUTE_PGM_RSRC2:TGID_X_EN: 1
; COMPUTE_PGM_RSRC2:TGID_Y_EN: 0
; COMPUTE_PGM_RSRC2:TGID_Z_EN: 1
; COMPUTE_PGM_RSRC2:TIDIG_COMP_CNT: 0
	.section	.text._ZL32rocblas_gemvt_warp_reduce_kernelILb1ELi1024EldddEviiT3_lPKT2_lT1_lS3_lS4_lS0_lPT4_lS4_li,"axG",@progbits,_ZL32rocblas_gemvt_warp_reduce_kernelILb1ELi1024EldddEviiT3_lPKT2_lT1_lS3_lS4_lS0_lPT4_lS4_li,comdat
	.globl	_ZL32rocblas_gemvt_warp_reduce_kernelILb1ELi1024EldddEviiT3_lPKT2_lT1_lS3_lS4_lS0_lPT4_lS4_li ; -- Begin function _ZL32rocblas_gemvt_warp_reduce_kernelILb1ELi1024EldddEviiT3_lPKT2_lT1_lS3_lS4_lS0_lPT4_lS4_li
	.p2align	8
	.type	_ZL32rocblas_gemvt_warp_reduce_kernelILb1ELi1024EldddEviiT3_lPKT2_lT1_lS3_lS4_lS0_lPT4_lS4_li,@function
_ZL32rocblas_gemvt_warp_reduce_kernelILb1ELi1024EldddEviiT3_lPKT2_lT1_lS3_lS4_lS0_lPT4_lS4_li: ; @_ZL32rocblas_gemvt_warp_reduce_kernelILb1ELi1024EldddEviiT3_lPKT2_lT1_lS3_lS4_lS0_lPT4_lS4_li
; %bb.0:
	s_load_b32 s33, s[0:1], 0x88
	s_lshr_b32 s6, ttmp7, 16
	s_wait_kmcnt 0x0
	s_cmp_ge_u32 s6, s33
	s_cbranch_scc1 .LBB101_34
; %bb.1:
	s_clause 0x4
	s_load_b512 s[8:23], s[0:1], 0x18
	s_load_b256 s[24:31], s[0:1], 0x68
	s_load_b64 s[34:35], s[0:1], 0x8
	s_load_b64 s[36:37], s[0:1], 0x58
	s_load_b32 s38, s[0:1], 0x0
	s_mov_b32 s2, ttmp9
	s_ashr_i32 s3, ttmp9, 31
	v_mbcnt_lo_u32_b32 v19, -1, 0
	v_cmp_eq_u32_e64 s0, 0, v0
	s_mov_b32 s7, 0
	v_lshl_or_b32 v20, v19, 2, 64
	s_wait_kmcnt 0x0
	s_lshl_b64 s[4:5], s[18:19], 3
	s_lshl_b64 s[18:19], s[26:27], 3
	v_cmp_neq_f64_e64 s39, s[34:35], 0
	v_cmp_neq_f64_e64 s40, s[36:37], 1.0
	s_ashr_i32 s1, s38, 31
	v_cmp_gt_i32_e32 vcc_lo, s38, v0
	s_lshr_b32 s1, s1, 22
	s_lshl_b64 s[26:27], s[10:11], 3
	s_add_co_i32 s1, s38, s1
	s_add_nc_u64 s[10:11], s[16:17], s[4:5]
	s_and_b32 s16, s1, 0xfffffc00
	v_dual_mov_b32 v1, 0 :: v_dual_cndmask_b32 v2, 0, v0
	v_or_b32_e32 v6, s16, v0
	s_mul_u64 s[28:29], s[28:29], s[2:3]
	s_mul_u64 s[2:3], s[12:13], s[2:3]
	s_add_nc_u64 s[12:13], s[24:25], s[18:19]
	v_lshlrev_b32_e32 v9, 3, v2
	s_lshl_b64 s[18:19], s[2:3], 3
	v_cmp_gt_i32_e64 s2, s38, v6
	s_add_nc_u64 s[4:5], s[8:9], s[26:27]
	v_mad_co_u64_u32 v[2:3], null, s20, v0, 0
	v_add_co_u32 v4, s1, s4, v9
	s_delay_alu instid0(VALU_DEP_1) | instskip(SKIP_1) | instid1(VALU_DEP_3)
	v_add_co_ci_u32_e64 v5, null, s5, 0, s1
	v_mad_co_u64_u32 v[7:8], null, s20, v6, 0
	v_add_co_u32 v15, vcc_lo, v4, s18
	s_wait_alu 0xfffd
	s_delay_alu instid0(VALU_DEP_3)
	v_add_co_ci_u32_e64 v16, null, s19, v5, vcc_lo
	v_mul_lo_u32 v5, s21, v6
	s_ashr_i32 s17, s16, 31
	v_mad_co_u64_u32 v[3:4], null, s21, v0, v[3:4]
	s_wait_alu 0xfffe
	s_mul_i32 s3, s20, s17
	s_add_nc_u64 s[18:19], s[18:19], s[26:27]
	v_and_b32_e32 v4, 31, v0
	s_wait_alu 0xfffe
	s_add_nc_u64 s[8:9], s[8:9], s[18:19]
	s_or_b32 s38, s39, s40
	v_cmp_eq_f64_e64 s39, s[34:35], 0
	v_cmp_neq_f64_e64 s40, s[36:37], 0
	v_add3_u32 v8, v8, s3, v5
	v_lshrrev_b32_e32 v5, 2, v0
	v_cmp_gt_i32_e64 s1, s16, v0
	v_cmp_gt_u32_e64 s3, 32, v0
	v_lshlrev_b32_e32 v17, 3, v4
	v_lshlrev_b64_e32 v[7:8], 3, v[7:8]
	v_and_b32_e32 v18, 0xf8, v5
	v_lshlrev_b64_e32 v[5:6], 3, v[2:3]
	v_add_co_u32 v3, s5, s8, v9
	v_cmp_eq_u32_e64 s4, 0, v4
	s_wait_alu 0xf1ff
	v_add_co_ci_u32_e64 v4, null, s9, 0, s5
	s_delay_alu instid0(VALU_DEP_4)
	v_add_co_u32 v5, vcc_lo, s10, v5
	s_wait_alu 0xfffd
	v_add_co_ci_u32_e64 v6, null, s11, v6, vcc_lo
	s_lshl_b64 s[8:9], s[14:15], 3
	s_lshl_b64 s[18:19], s[22:23], 3
	;; [unrolled: 1-line block ×5, first 2 shown]
	s_branch .LBB101_4
.LBB101_2:                              ;   in Loop: Header=BB101_4 Depth=1
	s_wait_alu 0xfffe
	s_or_b32 exec_lo, exec_lo, s5
.LBB101_3:                              ;   in Loop: Header=BB101_4 Depth=1
	s_add_co_i32 s6, s6, 0x10000
	s_wait_alu 0xfffe
	s_cmp_lt_u32 s6, s33
	s_cbranch_scc0 .LBB101_34
.LBB101_4:                              ; =>This Loop Header: Depth=1
                                        ;     Child Loop BB101_23 Depth 2
	s_wait_alu 0xfffe
	s_and_not1_b32 vcc_lo, exec_lo, s38
	s_wait_alu 0xfffe
	s_cbranch_vccnz .LBB101_3
; %bb.5:                                ;   in Loop: Header=BB101_4 Depth=1
	s_mul_u64 s[28:29], s[30:31], s[6:7]
	s_and_not1_b32 vcc_lo, exec_lo, s39
	s_lshl_b64 s[28:29], s[28:29], 3
	s_delay_alu instid0(SALU_CYCLE_1)
	s_add_nc_u64 s[28:29], s[12:13], s[28:29]
	s_wait_alu 0xfffe
	s_cbranch_vccnz .LBB101_9
; %bb.6:                                ;   in Loop: Header=BB101_4 Depth=1
	s_mov_b32 s5, 0
	s_mov_b32 s17, 0
                                        ; implicit-def: $vgpr9_vgpr10
	s_and_saveexec_b32 s41, s0
	s_cbranch_execz .LBB101_10
; %bb.7:                                ;   in Loop: Header=BB101_4 Depth=1
	s_and_not1_b32 vcc_lo, exec_lo, s40
	s_wait_alu 0xfffe
	s_cbranch_vccnz .LBB101_11
; %bb.8:                                ;   in Loop: Header=BB101_4 Depth=1
	s_add_nc_u64 s[42:43], s[28:29], s[24:25]
	global_load_b64 v[9:10], v1, s[42:43]
	s_wait_loadcnt 0x0
	v_mul_f64_e32 v[9:10], s[36:37], v[9:10]
	s_branch .LBB101_12
.LBB101_9:                              ;   in Loop: Header=BB101_4 Depth=1
	s_mov_b32 s17, 0
                                        ; implicit-def: $vgpr9_vgpr10
	s_cbranch_execnz .LBB101_13
	s_branch .LBB101_32
.LBB101_10:                             ;   in Loop: Header=BB101_4 Depth=1
	s_or_b32 exec_lo, exec_lo, s41
	s_wait_alu 0xfffe
	s_and_b32 vcc_lo, exec_lo, s5
	s_wait_alu 0xfffe
	s_cbranch_vccnz .LBB101_13
	s_branch .LBB101_32
.LBB101_11:                             ;   in Loop: Header=BB101_4 Depth=1
	v_mov_b32_e32 v9, 0
	v_mov_b32_e32 v10, 0
.LBB101_12:                             ;   in Loop: Header=BB101_4 Depth=1
	s_mov_b32 s17, exec_lo
	s_or_b32 exec_lo, exec_lo, s41
	s_delay_alu instid0(SALU_CYCLE_1)
	s_and_b32 vcc_lo, exec_lo, s5
	s_wait_alu 0xfffe
	s_cbranch_vccz .LBB101_32
.LBB101_13:                             ;   in Loop: Header=BB101_4 Depth=1
	v_mov_b32_e32 v9, 0
	v_mov_b32_e32 v10, 0
	s_and_saveexec_b32 s41, s1
	s_cbranch_execnz .LBB101_22
; %bb.14:                               ;   in Loop: Header=BB101_4 Depth=1
	s_or_b32 exec_lo, exec_lo, s41
	s_and_saveexec_b32 s5, s2
	s_cbranch_execnz .LBB101_25
.LBB101_15:                             ;   in Loop: Header=BB101_4 Depth=1
	s_wait_alu 0xfffe
	s_or_b32 exec_lo, exec_lo, s5
	s_and_saveexec_b32 s5, s3
.LBB101_16:                             ;   in Loop: Header=BB101_4 Depth=1
	v_mov_b32_e32 v2, v1
	ds_store_b64 v17, v[1:2]
.LBB101_17:                             ;   in Loop: Header=BB101_4 Depth=1
	s_wait_alu 0xfffe
	s_or_b32 exec_lo, exec_lo, s5
	s_wait_dscnt 0x0
	ds_bpermute_b32 v11, v20, v9
	ds_bpermute_b32 v12, v20, v10
	v_cmp_gt_u32_e32 vcc_lo, 24, v19
	s_wait_dscnt 0x0
	s_barrier_signal -1
	s_barrier_wait -1
	global_inv scope:SCOPE_SE
	s_wait_alu 0xfffd
	v_cndmask_b32_e64 v2, 0, 8, vcc_lo
	v_cmp_gt_u32_e32 vcc_lo, 28, v19
	s_delay_alu instid0(VALU_DEP_2)
	v_add_lshl_u32 v2, v2, v19, 2
	v_add_f64_e32 v[9:10], v[9:10], v[11:12]
	ds_bpermute_b32 v11, v2, v9
	ds_bpermute_b32 v12, v2, v10
	s_wait_dscnt 0x0
	v_add_f64_e32 v[9:10], v[9:10], v[11:12]
	s_wait_alu 0xfffd
	v_cndmask_b32_e64 v11, 0, 4, vcc_lo
	v_cmp_gt_u32_e32 vcc_lo, 30, v19
	s_delay_alu instid0(VALU_DEP_2)
	v_add_lshl_u32 v13, v11, v19, 2
	ds_bpermute_b32 v11, v13, v9
	ds_bpermute_b32 v12, v13, v10
	s_wait_dscnt 0x0
	v_add_f64_e32 v[9:10], v[9:10], v[11:12]
	s_wait_alu 0xfffd
	v_cndmask_b32_e64 v11, 0, 2, vcc_lo
	v_cmp_ne_u32_e32 vcc_lo, 31, v19
	s_delay_alu instid0(VALU_DEP_2)
	v_add_lshl_u32 v14, v11, v19, 2
	ds_bpermute_b32 v11, v14, v9
	ds_bpermute_b32 v12, v14, v10
	s_wait_dscnt 0x0
	v_add_f64_e32 v[9:10], v[9:10], v[11:12]
	s_wait_alu 0xfffd
	v_add_co_ci_u32_e64 v11, null, 0, v19, vcc_lo
	s_delay_alu instid0(VALU_DEP_1)
	v_lshlrev_b32_e32 v21, 2, v11
	ds_bpermute_b32 v11, v21, v9
	ds_bpermute_b32 v12, v21, v10
	s_and_saveexec_b32 s5, s4
	s_cbranch_execz .LBB101_19
; %bb.18:                               ;   in Loop: Header=BB101_4 Depth=1
	s_wait_dscnt 0x0
	v_add_f64_e32 v[9:10], v[9:10], v[11:12]
	ds_store_b64 v18, v[9:10]
.LBB101_19:                             ;   in Loop: Header=BB101_4 Depth=1
	s_wait_alu 0xfffe
	s_or_b32 exec_lo, exec_lo, s5
	s_wait_dscnt 0x0
	v_mov_b32_e32 v11, 0
	v_mov_b32_e32 v12, 0
	s_wait_loadcnt 0x0
	s_barrier_signal -1
	s_barrier_wait -1
	global_inv scope:SCOPE_SE
	s_and_saveexec_b32 s5, s3
	s_cbranch_execnz .LBB101_26
; %bb.20:                               ;   in Loop: Header=BB101_4 Depth=1
	s_wait_alu 0xfffe
	s_or_b32 exec_lo, exec_lo, s5
	s_and_saveexec_b32 s5, s3
	s_cbranch_execnz .LBB101_27
.LBB101_21:                             ;   in Loop: Header=BB101_4 Depth=1
	s_wait_alu 0xfffe
	s_or_b32 exec_lo, exec_lo, s5
                                        ; implicit-def: $vgpr9_vgpr10
	s_and_saveexec_b32 s5, s0
	s_cbranch_execnz .LBB101_28
	s_branch .LBB101_31
.LBB101_22:                             ;   in Loop: Header=BB101_4 Depth=1
	s_wait_dscnt 0x0
	v_mad_co_u64_u32 v[11:12], null, s8, s6, v[3:4]
	v_mad_co_u64_u32 v[13:14], null, s18, s6, v[5:6]
	s_mov_b32 s42, 0
	v_dual_mov_b32 v2, v12 :: v_dual_mov_b32 v9, v14
	s_delay_alu instid0(VALU_DEP_1) | instskip(NEXT) | instid1(VALU_DEP_2)
	v_mad_co_u64_u32 v[21:22], null, s9, s6, v[2:3]
	v_mad_co_u64_u32 v[22:23], null, s19, s6, v[9:10]
	v_mov_b32_e32 v9, 0
	v_mov_b32_e32 v10, 0
	;; [unrolled: 1-line block ×5, first 2 shown]
.LBB101_23:                             ;   Parent Loop BB101_4 Depth=1
                                        ; =>  This Inner Loop Header: Depth=2
	global_load_b64 v[21:22], v[11:12], off
	global_load_b64 v[23:24], v[13:14], off
	v_add_nc_u32_e32 v2, 0x400, v2
	v_add_co_u32 v11, vcc_lo, 0x2000, v11
	s_wait_alu 0xfffd
	v_add_co_ci_u32_e64 v12, null, 0, v12, vcc_lo
	s_delay_alu instid0(VALU_DEP_3)
	v_cmp_le_i32_e32 vcc_lo, s16, v2
	v_add_co_u32 v13, s5, v13, s20
	s_wait_alu 0xf1ff
	v_add_co_ci_u32_e64 v14, null, s21, v14, s5
	s_wait_alu 0xfffe
	s_or_b32 s42, vcc_lo, s42
	s_wait_loadcnt 0x0
	v_fma_f64 v[9:10], v[21:22], v[23:24], v[9:10]
	s_wait_alu 0xfffe
	s_and_not1_b32 exec_lo, exec_lo, s42
	s_cbranch_execnz .LBB101_23
; %bb.24:                               ;   in Loop: Header=BB101_4 Depth=1
	s_or_b32 exec_lo, exec_lo, s42
	s_delay_alu instid0(SALU_CYCLE_1)
	s_or_b32 exec_lo, exec_lo, s41
	s_and_saveexec_b32 s5, s2
	s_cbranch_execz .LBB101_15
.LBB101_25:                             ;   in Loop: Header=BB101_4 Depth=1
	s_mul_u64 s[42:43], s[14:15], s[6:7]
	s_mul_u64 s[44:45], s[22:23], s[6:7]
	s_wait_alu 0xfffe
	s_lshl_b64 s[42:43], s[42:43], 3
	s_lshl_b64 s[44:45], s[44:45], 3
	s_wait_alu 0xfffe
	v_add_co_u32 v2, vcc_lo, v15, s42
	s_wait_dscnt 0x0
	s_wait_alu 0xfffd
	v_add_co_ci_u32_e64 v12, null, s43, v16, vcc_lo
	s_add_nc_u64 s[42:43], s[10:11], s[44:45]
	v_add_co_u32 v11, vcc_lo, v2, s26
	s_wait_alu 0xfffd
	v_add_co_ci_u32_e64 v12, null, s27, v12, vcc_lo
	s_wait_alu 0xfffe
	v_add_co_u32 v13, vcc_lo, s42, v7
	s_wait_alu 0xfffd
	v_add_co_ci_u32_e64 v14, null, s43, v8, vcc_lo
	global_load_b64 v[11:12], v[11:12], off
	global_load_b64 v[13:14], v[13:14], off
	s_wait_loadcnt 0x0
	v_fma_f64 v[9:10], v[11:12], v[13:14], v[9:10]
	s_or_b32 exec_lo, exec_lo, s5
	s_and_saveexec_b32 s5, s3
	s_cbranch_execnz .LBB101_16
	s_branch .LBB101_17
.LBB101_26:                             ;   in Loop: Header=BB101_4 Depth=1
	ds_load_b64 v[11:12], v17
	s_wait_alu 0xfffe
	s_or_b32 exec_lo, exec_lo, s5
	s_and_saveexec_b32 s5, s3
	s_cbranch_execz .LBB101_21
.LBB101_27:                             ;   in Loop: Header=BB101_4 Depth=1
	s_wait_dscnt 0x0
	ds_bpermute_b32 v9, v20, v11
	ds_bpermute_b32 v10, v20, v12
	s_wait_dscnt 0x0
	v_add_f64_e32 v[9:10], v[11:12], v[9:10]
	ds_bpermute_b32 v11, v2, v9
	ds_bpermute_b32 v12, v2, v10
	s_wait_dscnt 0x0
	v_add_f64_e32 v[9:10], v[9:10], v[11:12]
	;; [unrolled: 4-line block ×5, first 2 shown]
	s_wait_alu 0xfffe
	s_or_b32 exec_lo, exec_lo, s5
                                        ; implicit-def: $vgpr9_vgpr10
	s_and_saveexec_b32 s5, s0
	s_cbranch_execz .LBB101_31
.LBB101_28:                             ;   in Loop: Header=BB101_4 Depth=1
	s_wait_dscnt 0x0
	s_delay_alu instid0(VALU_DEP_1)
	v_mul_f64_e32 v[9:10], s[34:35], v[11:12]
	s_and_not1_b32 vcc_lo, exec_lo, s40
	s_wait_alu 0xfffe
	s_cbranch_vccnz .LBB101_30
; %bb.29:                               ;   in Loop: Header=BB101_4 Depth=1
	s_add_nc_u64 s[42:43], s[28:29], s[24:25]
	global_load_b64 v[11:12], v1, s[42:43]
	s_wait_loadcnt 0x0
	v_fma_f64 v[9:10], s[36:37], v[11:12], v[9:10]
.LBB101_30:                             ;   in Loop: Header=BB101_4 Depth=1
	s_or_b32 s17, s17, exec_lo
.LBB101_31:                             ;   in Loop: Header=BB101_4 Depth=1
	s_wait_alu 0xfffe
	s_or_b32 exec_lo, exec_lo, s5
.LBB101_32:                             ;   in Loop: Header=BB101_4 Depth=1
	s_wait_alu 0xfffe
	s_and_saveexec_b32 s5, s17
	s_cbranch_execz .LBB101_2
; %bb.33:                               ;   in Loop: Header=BB101_4 Depth=1
	s_add_nc_u64 s[28:29], s[28:29], s[24:25]
	global_store_b64 v1, v[9:10], s[28:29]
	s_branch .LBB101_2
.LBB101_34:
	s_endpgm
	.section	.rodata,"a",@progbits
	.p2align	6, 0x0
	.amdhsa_kernel _ZL32rocblas_gemvt_warp_reduce_kernelILb1ELi1024EldddEviiT3_lPKT2_lT1_lS3_lS4_lS0_lPT4_lS4_li
		.amdhsa_group_segment_fixed_size 256
		.amdhsa_private_segment_fixed_size 0
		.amdhsa_kernarg_size 140
		.amdhsa_user_sgpr_count 2
		.amdhsa_user_sgpr_dispatch_ptr 0
		.amdhsa_user_sgpr_queue_ptr 0
		.amdhsa_user_sgpr_kernarg_segment_ptr 1
		.amdhsa_user_sgpr_dispatch_id 0
		.amdhsa_user_sgpr_private_segment_size 0
		.amdhsa_wavefront_size32 1
		.amdhsa_uses_dynamic_stack 0
		.amdhsa_enable_private_segment 0
		.amdhsa_system_sgpr_workgroup_id_x 1
		.amdhsa_system_sgpr_workgroup_id_y 0
		.amdhsa_system_sgpr_workgroup_id_z 1
		.amdhsa_system_sgpr_workgroup_info 0
		.amdhsa_system_vgpr_workitem_id 0
		.amdhsa_next_free_vgpr 25
		.amdhsa_next_free_sgpr 46
		.amdhsa_reserve_vcc 1
		.amdhsa_float_round_mode_32 0
		.amdhsa_float_round_mode_16_64 0
		.amdhsa_float_denorm_mode_32 3
		.amdhsa_float_denorm_mode_16_64 3
		.amdhsa_fp16_overflow 0
		.amdhsa_workgroup_processor_mode 1
		.amdhsa_memory_ordered 1
		.amdhsa_forward_progress 1
		.amdhsa_inst_pref_size 14
		.amdhsa_round_robin_scheduling 0
		.amdhsa_exception_fp_ieee_invalid_op 0
		.amdhsa_exception_fp_denorm_src 0
		.amdhsa_exception_fp_ieee_div_zero 0
		.amdhsa_exception_fp_ieee_overflow 0
		.amdhsa_exception_fp_ieee_underflow 0
		.amdhsa_exception_fp_ieee_inexact 0
		.amdhsa_exception_int_div_zero 0
	.end_amdhsa_kernel
	.section	.text._ZL32rocblas_gemvt_warp_reduce_kernelILb1ELi1024EldddEviiT3_lPKT2_lT1_lS3_lS4_lS0_lPT4_lS4_li,"axG",@progbits,_ZL32rocblas_gemvt_warp_reduce_kernelILb1ELi1024EldddEviiT3_lPKT2_lT1_lS3_lS4_lS0_lPT4_lS4_li,comdat
.Lfunc_end101:
	.size	_ZL32rocblas_gemvt_warp_reduce_kernelILb1ELi1024EldddEviiT3_lPKT2_lT1_lS3_lS4_lS0_lPT4_lS4_li, .Lfunc_end101-_ZL32rocblas_gemvt_warp_reduce_kernelILb1ELi1024EldddEviiT3_lPKT2_lT1_lS3_lS4_lS0_lPT4_lS4_li
                                        ; -- End function
	.set _ZL32rocblas_gemvt_warp_reduce_kernelILb1ELi1024EldddEviiT3_lPKT2_lT1_lS3_lS4_lS0_lPT4_lS4_li.num_vgpr, 25
	.set _ZL32rocblas_gemvt_warp_reduce_kernelILb1ELi1024EldddEviiT3_lPKT2_lT1_lS3_lS4_lS0_lPT4_lS4_li.num_agpr, 0
	.set _ZL32rocblas_gemvt_warp_reduce_kernelILb1ELi1024EldddEviiT3_lPKT2_lT1_lS3_lS4_lS0_lPT4_lS4_li.numbered_sgpr, 46
	.set _ZL32rocblas_gemvt_warp_reduce_kernelILb1ELi1024EldddEviiT3_lPKT2_lT1_lS3_lS4_lS0_lPT4_lS4_li.num_named_barrier, 0
	.set _ZL32rocblas_gemvt_warp_reduce_kernelILb1ELi1024EldddEviiT3_lPKT2_lT1_lS3_lS4_lS0_lPT4_lS4_li.private_seg_size, 0
	.set _ZL32rocblas_gemvt_warp_reduce_kernelILb1ELi1024EldddEviiT3_lPKT2_lT1_lS3_lS4_lS0_lPT4_lS4_li.uses_vcc, 1
	.set _ZL32rocblas_gemvt_warp_reduce_kernelILb1ELi1024EldddEviiT3_lPKT2_lT1_lS3_lS4_lS0_lPT4_lS4_li.uses_flat_scratch, 0
	.set _ZL32rocblas_gemvt_warp_reduce_kernelILb1ELi1024EldddEviiT3_lPKT2_lT1_lS3_lS4_lS0_lPT4_lS4_li.has_dyn_sized_stack, 0
	.set _ZL32rocblas_gemvt_warp_reduce_kernelILb1ELi1024EldddEviiT3_lPKT2_lT1_lS3_lS4_lS0_lPT4_lS4_li.has_recursion, 0
	.set _ZL32rocblas_gemvt_warp_reduce_kernelILb1ELi1024EldddEviiT3_lPKT2_lT1_lS3_lS4_lS0_lPT4_lS4_li.has_indirect_call, 0
	.section	.AMDGPU.csdata,"",@progbits
; Kernel info:
; codeLenInByte = 1688
; TotalNumSgprs: 48
; NumVgprs: 25
; ScratchSize: 0
; MemoryBound: 0
; FloatMode: 240
; IeeeMode: 1
; LDSByteSize: 256 bytes/workgroup (compile time only)
; SGPRBlocks: 0
; VGPRBlocks: 3
; NumSGPRsForWavesPerEU: 48
; NumVGPRsForWavesPerEU: 25
; Occupancy: 16
; WaveLimiterHint : 0
; COMPUTE_PGM_RSRC2:SCRATCH_EN: 0
; COMPUTE_PGM_RSRC2:USER_SGPR: 2
; COMPUTE_PGM_RSRC2:TRAP_HANDLER: 0
; COMPUTE_PGM_RSRC2:TGID_X_EN: 1
; COMPUTE_PGM_RSRC2:TGID_Y_EN: 0
; COMPUTE_PGM_RSRC2:TGID_Z_EN: 1
; COMPUTE_PGM_RSRC2:TIDIG_COMP_CNT: 0
	.section	.text._ZL34rocblas_gemvn_sm_mn_batched_kernelILi32ELi24E19rocblas_complex_numIfEPKS1_S1_EviiT2_lPKT1_lilS7_lilS4_lPT3_lili,"axG",@progbits,_ZL34rocblas_gemvn_sm_mn_batched_kernelILi32ELi24E19rocblas_complex_numIfEPKS1_S1_EviiT2_lPKT1_lilS7_lilS4_lPT3_lili,comdat
	.globl	_ZL34rocblas_gemvn_sm_mn_batched_kernelILi32ELi24E19rocblas_complex_numIfEPKS1_S1_EviiT2_lPKT1_lilS7_lilS4_lPT3_lili ; -- Begin function _ZL34rocblas_gemvn_sm_mn_batched_kernelILi32ELi24E19rocblas_complex_numIfEPKS1_S1_EviiT2_lPKT1_lilS7_lilS4_lPT3_lili
	.p2align	8
	.type	_ZL34rocblas_gemvn_sm_mn_batched_kernelILi32ELi24E19rocblas_complex_numIfEPKS1_S1_EviiT2_lPKT1_lilS7_lilS4_lPT3_lili,@function
_ZL34rocblas_gemvn_sm_mn_batched_kernelILi32ELi24E19rocblas_complex_numIfEPKS1_S1_EviiT2_lPKT1_lilS7_lilS4_lPT3_lili: ; @_ZL34rocblas_gemvn_sm_mn_batched_kernelILi32ELi24E19rocblas_complex_numIfEPKS1_S1_EviiT2_lPKT1_lilS7_lilS4_lPT3_lili
; %bb.0:
	s_endpgm
	.section	.rodata,"a",@progbits
	.p2align	6, 0x0
	.amdhsa_kernel _ZL34rocblas_gemvn_sm_mn_batched_kernelILi32ELi24E19rocblas_complex_numIfEPKS1_S1_EviiT2_lPKT1_lilS7_lilS4_lPT3_lili
		.amdhsa_group_segment_fixed_size 0
		.amdhsa_private_segment_fixed_size 0
		.amdhsa_kernarg_size 140
		.amdhsa_user_sgpr_count 2
		.amdhsa_user_sgpr_dispatch_ptr 0
		.amdhsa_user_sgpr_queue_ptr 0
		.amdhsa_user_sgpr_kernarg_segment_ptr 1
		.amdhsa_user_sgpr_dispatch_id 0
		.amdhsa_user_sgpr_private_segment_size 0
		.amdhsa_wavefront_size32 1
		.amdhsa_uses_dynamic_stack 0
		.amdhsa_enable_private_segment 0
		.amdhsa_system_sgpr_workgroup_id_x 1
		.amdhsa_system_sgpr_workgroup_id_y 0
		.amdhsa_system_sgpr_workgroup_id_z 0
		.amdhsa_system_sgpr_workgroup_info 0
		.amdhsa_system_vgpr_workitem_id 0
		.amdhsa_next_free_vgpr 1
		.amdhsa_next_free_sgpr 1
		.amdhsa_reserve_vcc 0
		.amdhsa_float_round_mode_32 0
		.amdhsa_float_round_mode_16_64 0
		.amdhsa_float_denorm_mode_32 3
		.amdhsa_float_denorm_mode_16_64 3
		.amdhsa_fp16_overflow 0
		.amdhsa_workgroup_processor_mode 1
		.amdhsa_memory_ordered 1
		.amdhsa_forward_progress 1
		.amdhsa_inst_pref_size 1
		.amdhsa_round_robin_scheduling 0
		.amdhsa_exception_fp_ieee_invalid_op 0
		.amdhsa_exception_fp_denorm_src 0
		.amdhsa_exception_fp_ieee_div_zero 0
		.amdhsa_exception_fp_ieee_overflow 0
		.amdhsa_exception_fp_ieee_underflow 0
		.amdhsa_exception_fp_ieee_inexact 0
		.amdhsa_exception_int_div_zero 0
	.end_amdhsa_kernel
	.section	.text._ZL34rocblas_gemvn_sm_mn_batched_kernelILi32ELi24E19rocblas_complex_numIfEPKS1_S1_EviiT2_lPKT1_lilS7_lilS4_lPT3_lili,"axG",@progbits,_ZL34rocblas_gemvn_sm_mn_batched_kernelILi32ELi24E19rocblas_complex_numIfEPKS1_S1_EviiT2_lPKT1_lilS7_lilS4_lPT3_lili,comdat
.Lfunc_end102:
	.size	_ZL34rocblas_gemvn_sm_mn_batched_kernelILi32ELi24E19rocblas_complex_numIfEPKS1_S1_EviiT2_lPKT1_lilS7_lilS4_lPT3_lili, .Lfunc_end102-_ZL34rocblas_gemvn_sm_mn_batched_kernelILi32ELi24E19rocblas_complex_numIfEPKS1_S1_EviiT2_lPKT1_lilS7_lilS4_lPT3_lili
                                        ; -- End function
	.set _ZL34rocblas_gemvn_sm_mn_batched_kernelILi32ELi24E19rocblas_complex_numIfEPKS1_S1_EviiT2_lPKT1_lilS7_lilS4_lPT3_lili.num_vgpr, 0
	.set _ZL34rocblas_gemvn_sm_mn_batched_kernelILi32ELi24E19rocblas_complex_numIfEPKS1_S1_EviiT2_lPKT1_lilS7_lilS4_lPT3_lili.num_agpr, 0
	.set _ZL34rocblas_gemvn_sm_mn_batched_kernelILi32ELi24E19rocblas_complex_numIfEPKS1_S1_EviiT2_lPKT1_lilS7_lilS4_lPT3_lili.numbered_sgpr, 0
	.set _ZL34rocblas_gemvn_sm_mn_batched_kernelILi32ELi24E19rocblas_complex_numIfEPKS1_S1_EviiT2_lPKT1_lilS7_lilS4_lPT3_lili.num_named_barrier, 0
	.set _ZL34rocblas_gemvn_sm_mn_batched_kernelILi32ELi24E19rocblas_complex_numIfEPKS1_S1_EviiT2_lPKT1_lilS7_lilS4_lPT3_lili.private_seg_size, 0
	.set _ZL34rocblas_gemvn_sm_mn_batched_kernelILi32ELi24E19rocblas_complex_numIfEPKS1_S1_EviiT2_lPKT1_lilS7_lilS4_lPT3_lili.uses_vcc, 0
	.set _ZL34rocblas_gemvn_sm_mn_batched_kernelILi32ELi24E19rocblas_complex_numIfEPKS1_S1_EviiT2_lPKT1_lilS7_lilS4_lPT3_lili.uses_flat_scratch, 0
	.set _ZL34rocblas_gemvn_sm_mn_batched_kernelILi32ELi24E19rocblas_complex_numIfEPKS1_S1_EviiT2_lPKT1_lilS7_lilS4_lPT3_lili.has_dyn_sized_stack, 0
	.set _ZL34rocblas_gemvn_sm_mn_batched_kernelILi32ELi24E19rocblas_complex_numIfEPKS1_S1_EviiT2_lPKT1_lilS7_lilS4_lPT3_lili.has_recursion, 0
	.set _ZL34rocblas_gemvn_sm_mn_batched_kernelILi32ELi24E19rocblas_complex_numIfEPKS1_S1_EviiT2_lPKT1_lilS7_lilS4_lPT3_lili.has_indirect_call, 0
	.section	.AMDGPU.csdata,"",@progbits
; Kernel info:
; codeLenInByte = 4
; TotalNumSgprs: 0
; NumVgprs: 0
; ScratchSize: 0
; MemoryBound: 0
; FloatMode: 240
; IeeeMode: 1
; LDSByteSize: 0 bytes/workgroup (compile time only)
; SGPRBlocks: 0
; VGPRBlocks: 0
; NumSGPRsForWavesPerEU: 1
; NumVGPRsForWavesPerEU: 1
; Occupancy: 16
; WaveLimiterHint : 0
; COMPUTE_PGM_RSRC2:SCRATCH_EN: 0
; COMPUTE_PGM_RSRC2:USER_SGPR: 2
; COMPUTE_PGM_RSRC2:TRAP_HANDLER: 0
; COMPUTE_PGM_RSRC2:TGID_X_EN: 1
; COMPUTE_PGM_RSRC2:TGID_Y_EN: 0
; COMPUTE_PGM_RSRC2:TGID_Z_EN: 0
; COMPUTE_PGM_RSRC2:TIDIG_COMP_CNT: 0
	.section	.text._ZL34rocblas_gemvn_sm_mn_batched_kernelILi32ELi24E19rocblas_complex_numIfES1_S1_EviiT2_lPKT1_lilS5_lilS2_lPT3_lili,"axG",@progbits,_ZL34rocblas_gemvn_sm_mn_batched_kernelILi32ELi24E19rocblas_complex_numIfES1_S1_EviiT2_lPKT1_lilS5_lilS2_lPT3_lili,comdat
	.globl	_ZL34rocblas_gemvn_sm_mn_batched_kernelILi32ELi24E19rocblas_complex_numIfES1_S1_EviiT2_lPKT1_lilS5_lilS2_lPT3_lili ; -- Begin function _ZL34rocblas_gemvn_sm_mn_batched_kernelILi32ELi24E19rocblas_complex_numIfES1_S1_EviiT2_lPKT1_lilS5_lilS2_lPT3_lili
	.p2align	8
	.type	_ZL34rocblas_gemvn_sm_mn_batched_kernelILi32ELi24E19rocblas_complex_numIfES1_S1_EviiT2_lPKT1_lilS5_lilS2_lPT3_lili,@function
_ZL34rocblas_gemvn_sm_mn_batched_kernelILi32ELi24E19rocblas_complex_numIfES1_S1_EviiT2_lPKT1_lilS5_lilS2_lPT3_lili: ; @_ZL34rocblas_gemvn_sm_mn_batched_kernelILi32ELi24E19rocblas_complex_numIfES1_S1_EviiT2_lPKT1_lilS5_lilS2_lPT3_lili
; %bb.0:
	s_endpgm
	.section	.rodata,"a",@progbits
	.p2align	6, 0x0
	.amdhsa_kernel _ZL34rocblas_gemvn_sm_mn_batched_kernelILi32ELi24E19rocblas_complex_numIfES1_S1_EviiT2_lPKT1_lilS5_lilS2_lPT3_lili
		.amdhsa_group_segment_fixed_size 0
		.amdhsa_private_segment_fixed_size 0
		.amdhsa_kernarg_size 140
		.amdhsa_user_sgpr_count 2
		.amdhsa_user_sgpr_dispatch_ptr 0
		.amdhsa_user_sgpr_queue_ptr 0
		.amdhsa_user_sgpr_kernarg_segment_ptr 1
		.amdhsa_user_sgpr_dispatch_id 0
		.amdhsa_user_sgpr_private_segment_size 0
		.amdhsa_wavefront_size32 1
		.amdhsa_uses_dynamic_stack 0
		.amdhsa_enable_private_segment 0
		.amdhsa_system_sgpr_workgroup_id_x 1
		.amdhsa_system_sgpr_workgroup_id_y 0
		.amdhsa_system_sgpr_workgroup_id_z 0
		.amdhsa_system_sgpr_workgroup_info 0
		.amdhsa_system_vgpr_workitem_id 0
		.amdhsa_next_free_vgpr 1
		.amdhsa_next_free_sgpr 1
		.amdhsa_reserve_vcc 0
		.amdhsa_float_round_mode_32 0
		.amdhsa_float_round_mode_16_64 0
		.amdhsa_float_denorm_mode_32 3
		.amdhsa_float_denorm_mode_16_64 3
		.amdhsa_fp16_overflow 0
		.amdhsa_workgroup_processor_mode 1
		.amdhsa_memory_ordered 1
		.amdhsa_forward_progress 1
		.amdhsa_inst_pref_size 1
		.amdhsa_round_robin_scheduling 0
		.amdhsa_exception_fp_ieee_invalid_op 0
		.amdhsa_exception_fp_denorm_src 0
		.amdhsa_exception_fp_ieee_div_zero 0
		.amdhsa_exception_fp_ieee_overflow 0
		.amdhsa_exception_fp_ieee_underflow 0
		.amdhsa_exception_fp_ieee_inexact 0
		.amdhsa_exception_int_div_zero 0
	.end_amdhsa_kernel
	.section	.text._ZL34rocblas_gemvn_sm_mn_batched_kernelILi32ELi24E19rocblas_complex_numIfES1_S1_EviiT2_lPKT1_lilS5_lilS2_lPT3_lili,"axG",@progbits,_ZL34rocblas_gemvn_sm_mn_batched_kernelILi32ELi24E19rocblas_complex_numIfES1_S1_EviiT2_lPKT1_lilS5_lilS2_lPT3_lili,comdat
.Lfunc_end103:
	.size	_ZL34rocblas_gemvn_sm_mn_batched_kernelILi32ELi24E19rocblas_complex_numIfES1_S1_EviiT2_lPKT1_lilS5_lilS2_lPT3_lili, .Lfunc_end103-_ZL34rocblas_gemvn_sm_mn_batched_kernelILi32ELi24E19rocblas_complex_numIfES1_S1_EviiT2_lPKT1_lilS5_lilS2_lPT3_lili
                                        ; -- End function
	.set _ZL34rocblas_gemvn_sm_mn_batched_kernelILi32ELi24E19rocblas_complex_numIfES1_S1_EviiT2_lPKT1_lilS5_lilS2_lPT3_lili.num_vgpr, 0
	.set _ZL34rocblas_gemvn_sm_mn_batched_kernelILi32ELi24E19rocblas_complex_numIfES1_S1_EviiT2_lPKT1_lilS5_lilS2_lPT3_lili.num_agpr, 0
	.set _ZL34rocblas_gemvn_sm_mn_batched_kernelILi32ELi24E19rocblas_complex_numIfES1_S1_EviiT2_lPKT1_lilS5_lilS2_lPT3_lili.numbered_sgpr, 0
	.set _ZL34rocblas_gemvn_sm_mn_batched_kernelILi32ELi24E19rocblas_complex_numIfES1_S1_EviiT2_lPKT1_lilS5_lilS2_lPT3_lili.num_named_barrier, 0
	.set _ZL34rocblas_gemvn_sm_mn_batched_kernelILi32ELi24E19rocblas_complex_numIfES1_S1_EviiT2_lPKT1_lilS5_lilS2_lPT3_lili.private_seg_size, 0
	.set _ZL34rocblas_gemvn_sm_mn_batched_kernelILi32ELi24E19rocblas_complex_numIfES1_S1_EviiT2_lPKT1_lilS5_lilS2_lPT3_lili.uses_vcc, 0
	.set _ZL34rocblas_gemvn_sm_mn_batched_kernelILi32ELi24E19rocblas_complex_numIfES1_S1_EviiT2_lPKT1_lilS5_lilS2_lPT3_lili.uses_flat_scratch, 0
	.set _ZL34rocblas_gemvn_sm_mn_batched_kernelILi32ELi24E19rocblas_complex_numIfES1_S1_EviiT2_lPKT1_lilS5_lilS2_lPT3_lili.has_dyn_sized_stack, 0
	.set _ZL34rocblas_gemvn_sm_mn_batched_kernelILi32ELi24E19rocblas_complex_numIfES1_S1_EviiT2_lPKT1_lilS5_lilS2_lPT3_lili.has_recursion, 0
	.set _ZL34rocblas_gemvn_sm_mn_batched_kernelILi32ELi24E19rocblas_complex_numIfES1_S1_EviiT2_lPKT1_lilS5_lilS2_lPT3_lili.has_indirect_call, 0
	.section	.AMDGPU.csdata,"",@progbits
; Kernel info:
; codeLenInByte = 4
; TotalNumSgprs: 0
; NumVgprs: 0
; ScratchSize: 0
; MemoryBound: 0
; FloatMode: 240
; IeeeMode: 1
; LDSByteSize: 0 bytes/workgroup (compile time only)
; SGPRBlocks: 0
; VGPRBlocks: 0
; NumSGPRsForWavesPerEU: 1
; NumVGPRsForWavesPerEU: 1
; Occupancy: 16
; WaveLimiterHint : 0
; COMPUTE_PGM_RSRC2:SCRATCH_EN: 0
; COMPUTE_PGM_RSRC2:USER_SGPR: 2
; COMPUTE_PGM_RSRC2:TRAP_HANDLER: 0
; COMPUTE_PGM_RSRC2:TGID_X_EN: 1
; COMPUTE_PGM_RSRC2:TGID_Y_EN: 0
; COMPUTE_PGM_RSRC2:TGID_Z_EN: 0
; COMPUTE_PGM_RSRC2:TIDIG_COMP_CNT: 0
	.section	.text._ZL20rocblas_gemvn_kernelILi64ELi4Ei19rocblas_complex_numIfEPKS1_S1_EviiT3_lPKT2_lT1_lS7_lS8_lS4_lPT4_lS8_li,"axG",@progbits,_ZL20rocblas_gemvn_kernelILi64ELi4Ei19rocblas_complex_numIfEPKS1_S1_EviiT3_lPKT2_lT1_lS7_lS8_lS4_lPT4_lS8_li,comdat
	.globl	_ZL20rocblas_gemvn_kernelILi64ELi4Ei19rocblas_complex_numIfEPKS1_S1_EviiT3_lPKT2_lT1_lS7_lS8_lS4_lPT4_lS8_li ; -- Begin function _ZL20rocblas_gemvn_kernelILi64ELi4Ei19rocblas_complex_numIfEPKS1_S1_EviiT3_lPKT2_lT1_lS7_lS8_lS4_lPT4_lS8_li
	.p2align	8
	.type	_ZL20rocblas_gemvn_kernelILi64ELi4Ei19rocblas_complex_numIfEPKS1_S1_EviiT3_lPKT2_lT1_lS7_lS8_lS4_lPT4_lS8_li,@function
_ZL20rocblas_gemvn_kernelILi64ELi4Ei19rocblas_complex_numIfEPKS1_S1_EviiT3_lPKT2_lT1_lS7_lS8_lS4_lPT4_lS8_li: ; @_ZL20rocblas_gemvn_kernelILi64ELi4Ei19rocblas_complex_numIfEPKS1_S1_EviiT3_lPKT2_lT1_lS7_lS8_lS4_lPT4_lS8_li
; %bb.0:
	s_load_b64 s[2:3], s[0:1], 0x9c
	s_wait_kmcnt 0x0
	s_lshr_b32 s4, s2, 16
	s_and_b32 s2, s2, 0xffff
	s_and_b32 s3, s3, 0xffff
	s_mul_i32 s2, s4, s2
	s_delay_alu instid0(SALU_CYCLE_1) | instskip(NEXT) | instid1(SALU_CYCLE_1)
	s_mul_i32 s2, s2, s3
	s_cmp_lg_u32 s2, 0x100
	s_cbranch_scc1 .LBB104_50
; %bb.1:
	s_load_b32 s31, s[0:1], 0x88
	s_lshr_b32 s34, ttmp7, 16
	s_wait_kmcnt 0x0
	s_cmp_ge_u32 s34, s31
	s_cbranch_scc1 .LBB104_50
; %bb.2:
	s_clause 0x3
	s_load_b96 s[4:6], s[0:1], 0x70
	s_load_b256 s[8:15], s[0:1], 0x8
	s_load_b96 s[28:30], s[0:1], 0x40
	s_load_b64 s[36:37], s[0:1], 0x0
	v_and_b32_e32 v5, 0x3ff, v0
	v_bfe_u32 v4, v0, 10, 10
	s_lshl_b32 s42, ttmp9, 8
	s_clause 0x3
	s_load_b32 s33, s[0:1], 0x28
	s_load_b128 s[24:27], s[0:1], 0x30
	s_load_b256 s[16:23], s[0:1], 0x50
	s_load_b64 s[38:39], s[0:1], 0x80
	v_dual_mov_b32 v1, 0 :: v_dual_lshlrev_b32 v58, 2, v4
	v_lshl_add_u32 v9, v4, 6, v5
	s_mov_b32 s35, 0
	s_delay_alu instid0(VALU_DEP_1) | instskip(SKIP_2) | instid1(VALU_DEP_1)
	v_add_nc_u32_e32 v0, s42, v9
	s_wait_kmcnt 0x0
	s_ashr_i32 s1, s6, 31
	v_mad_co_u64_u32 v[6:7], null, s6, v0, 0
	s_lshl_b64 s[2:3], s[14:15], 3
	s_ashr_i32 s7, s37, 31
	s_add_nc_u64 s[12:13], s[12:13], s[2:3]
	s_wait_alu 0xfffe
	s_lshr_b32 s2, s7, 28
	s_lshl_b64 s[4:5], s[4:5], 3
	v_mul_lo_u32 v12, v4, s33
	v_mov_b32_e32 v2, v7
	v_or_b32_e32 v57, s42, v5
	s_add_nc_u64 s[22:23], s[22:23], s[4:5]
	v_mul_lo_u32 v13, v4, s30
	s_lshl_b64 s[14:15], s[28:29], 3
	v_mad_co_u64_u32 v[2:3], null, s1, v0, v[2:3]
	v_add_nc_u32_e32 v10, 0x80, v57
	v_add_nc_u32_e32 v8, 64, v57
	;; [unrolled: 1-line block ×3, first 2 shown]
	s_add_co_i32 s1, s37, s2
	v_lshlrev_b32_e32 v3, 3, v5
	v_cmp_gt_i32_e64 s3, s36, v10
	v_mov_b32_e32 v7, v2
	v_or_b32_e32 v2, s42, v9
	v_mul_lo_u32 v10, s33, v58
	v_cmp_gt_i32_e64 s2, s36, v8
	s_wait_alu 0xfffe
	s_and_b32 s43, s1, -16
	v_cmp_gt_i32_e64 s4, s36, v11
	v_mul_lo_u32 v8, s6, v2
	v_or_b32_e32 v11, 2, v58
	s_wait_alu 0xfffe
	s_sub_co_i32 s5, s37, s43
	s_ashr_i32 s29, s36, 31
	v_add3_u32 v60, v10, s33, v5
	v_or_b32_e32 v10, 3, v58
	s_mov_b32 s28, s36
	s_cmp_gt_i32 s5, 0
	v_cmp_gt_u32_e64 s5, 0x100, v9
	v_ashrrev_i32_e32 v9, 31, v8
	s_add_nc_u64 s[14:15], s[26:27], s[14:15]
	v_cmp_gt_i64_e32 vcc_lo, s[28:29], v[0:1]
	v_lshl_add_u32 v0, v4, 11, v3
	v_lshl_add_u32 v59, v4, 9, v3
	v_cmp_gt_i32_e64 s6, s36, v2
	v_mad_co_u64_u32 v[2:3], null, s33, v11, v[5:6]
	s_mov_b32 s26, s30
	v_mad_co_u64_u32 v[3:4], null, s33, v10, v[5:6]
	v_lshl_add_u32 v61, v12, 2, v5
	v_mad_co_u64_u32 v[4:5], null, s30, v58, s[26:27]
	v_mul_lo_u32 v62, s30, v11
	v_mul_lo_u32 v63, s30, v10
	v_lshlrev_b64_e32 v[5:6], 3, v[6:7]
	v_lshlrev_b64_e32 v[7:8], 3, v[8:9]
	v_cmp_gt_i32_e64 s0, s36, v57
	v_cmp_gt_i32_e64 s1, s43, v58
	v_lshlrev_b32_e32 v64, 2, v13
	s_cselect_b32 s36, -1, 0
	s_and_b32 s44, s5, vcc_lo
	s_lshl_b32 s45, s33, 4
	s_lshl_b32 s46, s30, 4
	s_branch .LBB104_6
.LBB104_3:                              ;   in Loop: Header=BB104_6 Depth=1
	v_add_co_u32 v11, vcc_lo, s26, v7
	s_wait_alu 0xfffd
	v_add_co_ci_u32_e64 v12, null, s27, v8, vcc_lo
	global_store_b64 v[11:12], v[9:10], off
.LBB104_4:                              ;   in Loop: Header=BB104_6 Depth=1
	s_wait_alu 0xfffe
	s_or_b32 exec_lo, exec_lo, s7
.LBB104_5:                              ;   in Loop: Header=BB104_6 Depth=1
	s_add_co_i32 s34, s34, 0x10000
	s_delay_alu instid0(SALU_CYCLE_1)
	s_cmp_lt_u32 s34, s31
	s_cbranch_scc0 .LBB104_50
.LBB104_6:                              ; =>This Loop Header: Depth=1
                                        ;     Child Loop BB104_22 Depth 2
	s_mul_u64 s[26:27], s[10:11], s[34:35]
	s_wait_alu 0xfffe
	s_lshl_b64 s[26:27], s[26:27], 3
	s_wait_alu 0xfffe
	s_add_nc_u64 s[26:27], s[8:9], s[26:27]
	global_load_b64 v[9:10], v1, s[26:27]
	s_mul_u64 s[26:27], s[20:21], s[34:35]
	s_wait_alu 0xfffe
	s_lshl_b64 s[26:27], s[26:27], 3
	s_wait_alu 0xfffe
	s_add_nc_u64 s[26:27], s[18:19], s[26:27]
	global_load_b64 v[11:12], v1, s[26:27]
	s_wait_loadcnt 0x1
	v_readfirstlane_b32 s49, v9
	v_readfirstlane_b32 s50, v10
	s_cmp_neq_f32 s49, 0
	s_wait_loadcnt 0x0
	v_readfirstlane_b32 s47, v11
	v_readfirstlane_b32 s48, v12
	s_cselect_b32 s7, -1, 0
	s_cmp_neq_f32 s50, 0
	s_cselect_b32 s26, -1, 0
	s_wait_alu 0xfffe
	s_or_b32 s7, s7, s26
	s_wait_alu 0xfffe
	s_and_b32 vcc_lo, exec_lo, s7
	s_mov_b32 s7, -1
	s_wait_alu 0xfffe
	s_cbranch_vccnz .LBB104_8
; %bb.7:                                ;   in Loop: Header=BB104_6 Depth=1
	s_cmp_neq_f32 s47, 1.0
	s_cselect_b32 s7, -1, 0
	s_cmp_neq_f32 s48, 0
	s_cselect_b32 s26, -1, 0
	s_wait_alu 0xfffe
	s_or_b32 s7, s7, s26
.LBB104_8:                              ;   in Loop: Header=BB104_6 Depth=1
	s_wait_alu 0xfffe
	s_and_not1_b32 vcc_lo, exec_lo, s7
	s_wait_alu 0xfffe
	s_cbranch_vccnz .LBB104_5
; %bb.9:                                ;   in Loop: Header=BB104_6 Depth=1
	s_mul_u64 s[26:27], s[38:39], s[34:35]
	s_or_b32 s7, s49, s50
	s_wait_alu 0xfffe
	s_lshl_b64 s[26:27], s[26:27], 3
	s_bitset0_b32 s7, 31
	s_wait_alu 0xfffe
	s_add_nc_u64 s[26:27], s[22:23], s[26:27]
	s_cmp_lg_u32 s7, 0
	s_mov_b32 s7, -1
	s_cbranch_scc1 .LBB104_15
; %bb.10:                               ;   in Loop: Header=BB104_6 Depth=1
	s_and_saveexec_b32 s7, s44
	s_cbranch_execz .LBB104_14
; %bb.11:                               ;   in Loop: Header=BB104_6 Depth=1
	s_cmp_neq_f32 s47, 0
	v_dual_mov_b32 v9, 0 :: v_dual_mov_b32 v10, 0
	s_cselect_b32 s28, -1, 0
	s_cmp_neq_f32 s48, 0
	s_cselect_b32 s29, -1, 0
	s_wait_alu 0xfffe
	s_or_b32 s28, s28, s29
	s_wait_alu 0xfffe
	s_and_not1_b32 vcc_lo, exec_lo, s28
	s_wait_alu 0xfffe
	s_cbranch_vccnz .LBB104_13
; %bb.12:                               ;   in Loop: Header=BB104_6 Depth=1
	v_add_co_u32 v9, vcc_lo, s26, v5
	s_wait_alu 0xfffd
	v_add_co_ci_u32_e64 v10, null, s27, v6, vcc_lo
	global_load_b64 v[11:12], v[9:10], off
	s_wait_loadcnt 0x0
	v_mul_f32_e32 v10, s47, v12
	s_delay_alu instid0(VALU_DEP_1) | instskip(NEXT) | instid1(VALU_DEP_1)
	v_dual_mul_f32 v9, s48, v12 :: v_dual_fmac_f32 v10, s48, v11
	v_fma_f32 v9, s47, v11, -v9
.LBB104_13:                             ;   in Loop: Header=BB104_6 Depth=1
	v_add_co_u32 v11, vcc_lo, s26, v5
	s_wait_alu 0xfffd
	v_add_co_ci_u32_e64 v12, null, s27, v6, vcc_lo
	global_store_b64 v[11:12], v[9:10], off
.LBB104_14:                             ;   in Loop: Header=BB104_6 Depth=1
	s_wait_alu 0xfffe
	s_or_b32 exec_lo, exec_lo, s7
	s_mov_b32 s7, 0
.LBB104_15:                             ;   in Loop: Header=BB104_6 Depth=1
	s_wait_alu 0xfffe
	s_and_not1_b32 vcc_lo, exec_lo, s7
	s_wait_alu 0xfffe
	s_cbranch_vccnz .LBB104_5
; %bb.16:                               ;   in Loop: Header=BB104_6 Depth=1
	s_mul_u64 s[28:29], s[24:25], s[34:35]
	s_mul_u64 s[40:41], s[16:17], s[34:35]
	v_dual_mov_b32 v10, 0 :: v_dual_mov_b32 v65, v58
	v_dual_mov_b32 v9, 0 :: v_dual_mov_b32 v12, 0
	;; [unrolled: 1-line block ×4, first 2 shown]
	v_mov_b32_e32 v15, 0
	s_wait_alu 0xfffe
	s_lshl_b64 s[28:29], s[28:29], 3
	s_lshl_b64 s[40:41], s[40:41], 3
	s_wait_alu 0xfffe
	s_add_nc_u64 s[28:29], s[12:13], s[28:29]
	s_add_nc_u64 s[40:41], s[14:15], s[40:41]
	s_and_saveexec_b32 s7, s1
	s_cbranch_execz .LBB104_28
; %bb.17:                               ;   in Loop: Header=BB104_6 Depth=1
	v_dual_mov_b32 v10, 0 :: v_dual_mov_b32 v67, v3
	v_dual_mov_b32 v66, v61 :: v_dual_mov_b32 v69, v60
	;; [unrolled: 1-line block ×3, first 2 shown]
	s_delay_alu instid0(VALU_DEP_3)
	v_dual_mov_b32 v9, v10 :: v_dual_mov_b32 v12, v10
	v_dual_mov_b32 v11, v10 :: v_dual_mov_b32 v14, v10
	;; [unrolled: 1-line block ×3, first 2 shown]
	v_mov_b32_e32 v15, v10
	s_mov_b32 s51, 0
	s_mov_b32 s52, 0
	s_branch .LBB104_22
.LBB104_18:                             ;   in Loop: Header=BB104_22 Depth=2
	s_or_b32 exec_lo, exec_lo, s56
	s_wait_loadcnt 0x3
	v_mul_f32_e32 v49, v30, v48
	v_mul_f32_e32 v48, v29, v48
	s_wait_loadcnt 0x1
	v_dual_mul_f32 v50, v26, v46 :: v_dual_mul_f32 v51, v20, v44
	v_mul_f32_e32 v46, v25, v46
	v_fma_f32 v49, v29, v47, -v49
	v_fmac_f32_e32 v48, v30, v47
	s_delay_alu instid0(VALU_DEP_4) | instskip(SKIP_4) | instid1(VALU_DEP_2)
	v_fma_f32 v50, v25, v45, -v50
	s_wait_loadcnt 0x0
	v_mul_f32_e32 v47, v18, v42
	v_dual_mul_f32 v42, v17, v42 :: v_dual_add_f32 v11, v11, v49
	v_mul_f32_e32 v44, v19, v44
	v_fmac_f32_e32 v42, v18, v41
	s_delay_alu instid0(VALU_DEP_3) | instskip(SKIP_4) | instid1(VALU_DEP_3)
	v_add_f32_e32 v11, v50, v11
	v_fmac_f32_e32 v46, v26, v45
	v_fma_f32 v45, v19, v43, -v51
	v_fmac_f32_e32 v44, v20, v43
	v_fma_f32 v43, v17, v41, -v47
	v_dual_add_f32 v11, v45, v11 :: v_dual_add_f32 v12, v12, v48
	s_delay_alu instid0(VALU_DEP_1) | instskip(NEXT) | instid1(VALU_DEP_1)
	v_dual_add_f32 v11, v43, v11 :: v_dual_add_f32 v12, v46, v12
	v_add_f32_e32 v12, v44, v12
	s_delay_alu instid0(VALU_DEP_1)
	v_add_f32_e32 v12, v42, v12
.LBB104_19:                             ;   in Loop: Header=BB104_22 Depth=2
	s_or_b32 exec_lo, exec_lo, s55
	s_wait_loadcnt 0x3
	v_mul_f32_e32 v41, v30, v40
	s_wait_loadcnt 0x1
	v_dual_mul_f32 v42, v26, v38 :: v_dual_mul_f32 v43, v20, v36
	v_mul_f32_e32 v38, v25, v38
	v_mul_f32_e32 v40, v29, v40
	v_fma_f32 v41, v29, v39, -v41
	v_mul_f32_e32 v36, v19, v36
	v_fma_f32 v42, v25, v37, -v42
	v_fmac_f32_e32 v38, v26, v37
	v_fma_f32 v37, v19, v35, -v43
	s_delay_alu instid0(VALU_DEP_4) | instskip(NEXT) | instid1(VALU_DEP_1)
	v_dual_add_f32 v13, v13, v41 :: v_dual_fmac_f32 v36, v20, v35
	v_add_f32_e32 v13, v42, v13
	v_fmac_f32_e32 v40, v30, v39
	s_wait_loadcnt 0x0
	v_mul_f32_e32 v39, v18, v34
	v_mul_f32_e32 v34, v17, v34
	v_add_f32_e32 v13, v37, v13
	s_delay_alu instid0(VALU_DEP_3) | instskip(SKIP_1) | instid1(VALU_DEP_4)
	v_fma_f32 v35, v17, v33, -v39
	v_add_f32_e32 v14, v14, v40
	v_fmac_f32_e32 v34, v18, v33
	s_delay_alu instid0(VALU_DEP_2) | instskip(NEXT) | instid1(VALU_DEP_1)
	v_dual_add_f32 v13, v35, v13 :: v_dual_add_f32 v14, v38, v14
	v_add_f32_e32 v14, v36, v14
	s_delay_alu instid0(VALU_DEP_1)
	v_add_f32_e32 v14, v34, v14
.LBB104_20:                             ;   in Loop: Header=BB104_22 Depth=2
	s_or_b32 exec_lo, exec_lo, s54
	s_wait_loadcnt 0x3
	v_mul_f32_e32 v33, v30, v32
	v_mul_f32_e32 v32, v29, v32
	s_wait_loadcnt 0x1
	s_delay_alu instid0(VALU_DEP_1)
	v_dual_mul_f32 v35, v20, v24 :: v_dual_fmac_f32 v32, v30, v31
	s_wait_loadcnt 0x0
	v_mul_f32_e32 v30, v18, v22
	v_mul_f32_e32 v22, v17, v22
	v_fma_f32 v29, v29, v31, -v33
	v_add_f32_e32 v16, v16, v32
	s_delay_alu instid0(VALU_DEP_4) | instskip(SKIP_1) | instid1(VALU_DEP_4)
	v_fma_f32 v17, v17, v21, -v30
	v_mul_f32_e32 v24, v19, v24
	v_dual_add_f32 v15, v15, v29 :: v_dual_mul_f32 v34, v26, v28
	v_fma_f32 v19, v19, v23, -v35
	v_mul_f32_e32 v28, v25, v28
	v_fmac_f32_e32 v22, v18, v21
	s_delay_alu instid0(VALU_DEP_4) | instskip(NEXT) | instid1(VALU_DEP_1)
	v_fma_f32 v25, v25, v27, -v34
	v_add_f32_e32 v15, v25, v15
	s_delay_alu instid0(VALU_DEP_1) | instskip(SKIP_1) | instid1(VALU_DEP_2)
	v_add_f32_e32 v15, v19, v15
	v_fmac_f32_e32 v28, v26, v27
	v_add_f32_e32 v15, v17, v15
	v_fmac_f32_e32 v24, v20, v23
	s_delay_alu instid0(VALU_DEP_3) | instskip(NEXT) | instid1(VALU_DEP_1)
	v_add_f32_e32 v16, v28, v16
	v_add_f32_e32 v16, v24, v16
	s_delay_alu instid0(VALU_DEP_1)
	v_add_f32_e32 v16, v22, v16
.LBB104_21:                             ;   in Loop: Header=BB104_22 Depth=2
	s_wait_alu 0xfffe
	s_or_b32 exec_lo, exec_lo, s53
	v_add_nc_u32_e32 v65, 16, v65
	v_add_nc_u32_e32 v69, s45, v69
	;; [unrolled: 1-line block ×5, first 2 shown]
	v_cmp_le_i32_e32 vcc_lo, s43, v65
	s_add_co_i32 s52, s52, s46
	s_or_b32 s51, vcc_lo, s51
	s_wait_alu 0xfffe
	s_and_not1_b32 exec_lo, exec_lo, s51
	s_cbranch_execz .LBB104_27
.LBB104_22:                             ;   Parent Loop BB104_6 Depth=1
                                        ; =>  This Inner Loop Header: Depth=2
	s_and_saveexec_b32 s53, s0
	s_cbranch_execz .LBB104_21
; %bb.23:                               ;   in Loop: Header=BB104_22 Depth=2
	s_wait_alu 0xfffe
	v_add_nc_u32_e32 v17, s52, v64
	v_add_nc_u32_e32 v19, s52, v4
	;; [unrolled: 1-line block ×5, first 2 shown]
	v_ashrrev_i32_e32 v18, 31, v17
	v_ashrrev_i32_e32 v20, 31, v19
	;; [unrolled: 1-line block ×3, first 2 shown]
	v_add_nc_u32_e32 v27, s42, v69
	v_ashrrev_i32_e32 v24, 31, v23
	v_lshlrev_b64_e32 v[17:18], 3, v[17:18]
	v_lshlrev_b64_e32 v[19:20], 3, v[19:20]
	v_ashrrev_i32_e32 v26, 31, v25
	v_lshlrev_b64_e32 v[21:22], 3, v[21:22]
	v_ashrrev_i32_e32 v28, 31, v27
	v_lshlrev_b64_e32 v[23:24], 3, v[23:24]
	v_add_co_u32 v17, vcc_lo, s40, v17
	v_add_nc_u32_e32 v29, s42, v68
	s_wait_alu 0xfffd
	v_add_co_ci_u32_e64 v18, null, s41, v18, vcc_lo
	v_add_co_u32 v19, vcc_lo, s40, v19
	v_lshlrev_b64_e32 v[25:26], 3, v[25:26]
	v_add_nc_u32_e32 v31, s42, v67
	s_wait_alu 0xfffd
	v_add_co_ci_u32_e64 v20, null, s41, v20, vcc_lo
	v_add_co_u32 v21, vcc_lo, s40, v21
	v_lshlrev_b64_e32 v[27:28], 3, v[27:28]
	v_ashrrev_i32_e32 v30, 31, v29
	s_wait_alu 0xfffd
	v_add_co_ci_u32_e64 v22, null, s41, v22, vcc_lo
	v_add_co_u32 v23, vcc_lo, s40, v23
	v_ashrrev_i32_e32 v32, 31, v31
	s_wait_alu 0xfffd
	v_add_co_ci_u32_e64 v24, null, s41, v24, vcc_lo
	v_add_co_u32 v55, vcc_lo, s28, v25
	s_wait_alu 0xfffd
	v_add_co_ci_u32_e64 v56, null, s29, v26, vcc_lo
	v_lshlrev_b64_e32 v[25:26], 3, v[29:30]
	v_add_co_u32 v53, vcc_lo, s28, v27
	s_wait_alu 0xfffd
	v_add_co_ci_u32_e64 v54, null, s29, v28, vcc_lo
	v_lshlrev_b64_e32 v[27:28], 3, v[31:32]
	s_delay_alu instid0(VALU_DEP_4) | instskip(SKIP_2) | instid1(VALU_DEP_3)
	v_add_co_u32 v51, vcc_lo, s28, v25
	s_wait_alu 0xfffd
	v_add_co_ci_u32_e64 v52, null, s29, v26, vcc_lo
	v_add_co_u32 v49, vcc_lo, s28, v27
	s_wait_alu 0xfffd
	v_add_co_ci_u32_e64 v50, null, s29, v28, vcc_lo
	s_clause 0x3
	global_load_b64 v[29:30], v[17:18], off
	global_load_b64 v[25:26], v[19:20], off
	;; [unrolled: 1-line block ×4, first 2 shown]
	s_clause 0x3
	global_load_b64 v[31:32], v[55:56], off
	global_load_b64 v[27:28], v[53:54], off
	;; [unrolled: 1-line block ×4, first 2 shown]
	s_and_saveexec_b32 s54, s2
	s_cbranch_execz .LBB104_20
; %bb.24:                               ;   in Loop: Header=BB104_22 Depth=2
	s_clause 0x3
	global_load_b64 v[39:40], v[55:56], off offset:512
	global_load_b64 v[37:38], v[53:54], off offset:512
	global_load_b64 v[35:36], v[51:52], off offset:512
	global_load_b64 v[33:34], v[49:50], off offset:512
	s_and_saveexec_b32 s55, s3
	s_cbranch_execz .LBB104_19
; %bb.25:                               ;   in Loop: Header=BB104_22 Depth=2
	s_clause 0x3
	global_load_b64 v[47:48], v[55:56], off offset:1024
	global_load_b64 v[45:46], v[53:54], off offset:1024
	global_load_b64 v[43:44], v[51:52], off offset:1024
	global_load_b64 v[41:42], v[49:50], off offset:1024
	;; [unrolled: 8-line block ×3, first 2 shown]
	s_wait_loadcnt 0x1
	v_dual_mul_f32 v71, v26, v54 :: v_dual_mul_f32 v72, v20, v52
	v_mul_f32_e32 v54, v25, v54
	s_delay_alu instid0(VALU_DEP_2) | instskip(SKIP_2) | instid1(VALU_DEP_4)
	v_fma_f32 v71, v25, v53, -v71
	v_mul_f32_e32 v70, v30, v56
	v_mul_f32_e32 v56, v29, v56
	v_fmac_f32_e32 v54, v26, v53
	v_fma_f32 v53, v19, v51, -v72
	s_delay_alu instid0(VALU_DEP_4) | instskip(NEXT) | instid1(VALU_DEP_1)
	v_fma_f32 v70, v29, v55, -v70
	v_dual_mul_f32 v52, v19, v52 :: v_dual_add_f32 v9, v9, v70
	s_delay_alu instid0(VALU_DEP_1) | instskip(SKIP_4) | instid1(VALU_DEP_3)
	v_dual_fmac_f32 v52, v20, v51 :: v_dual_add_f32 v9, v71, v9
	v_fmac_f32_e32 v56, v30, v55
	s_wait_loadcnt 0x0
	v_mul_f32_e32 v55, v18, v50
	v_mul_f32_e32 v50, v17, v50
	v_dual_add_f32 v9, v53, v9 :: v_dual_add_f32 v10, v10, v56
	s_delay_alu instid0(VALU_DEP_3) | instskip(NEXT) | instid1(VALU_DEP_3)
	v_fma_f32 v51, v17, v49, -v55
	v_fmac_f32_e32 v50, v18, v49
	s_delay_alu instid0(VALU_DEP_2) | instskip(NEXT) | instid1(VALU_DEP_1)
	v_dual_add_f32 v10, v54, v10 :: v_dual_add_f32 v9, v51, v9
	v_add_f32_e32 v10, v52, v10
	s_delay_alu instid0(VALU_DEP_1)
	v_add_f32_e32 v10, v50, v10
	s_branch .LBB104_18
.LBB104_27:                             ;   in Loop: Header=BB104_6 Depth=1
	s_or_b32 exec_lo, exec_lo, s51
.LBB104_28:                             ;   in Loop: Header=BB104_6 Depth=1
	s_wait_alu 0xfffe
	s_or_b32 exec_lo, exec_lo, s7
	s_delay_alu instid0(SALU_CYCLE_1)
	s_and_not1_b32 vcc_lo, exec_lo, s36
	s_wait_alu 0xfffe
	s_cbranch_vccnz .LBB104_46
; %bb.29:                               ;   in Loop: Header=BB104_6 Depth=1
	v_cmp_gt_i32_e32 vcc_lo, s37, v65
	v_dual_mov_b32 v17, 0 :: v_dual_mov_b32 v18, 0
	v_or_b32_e32 v25, 1, v65
	v_dual_mov_b32 v19, 0 :: v_dual_mov_b32 v20, 0
	v_dual_mov_b32 v21, 0 :: v_dual_mov_b32 v22, 0
	;; [unrolled: 1-line block ×3, first 2 shown]
	s_and_saveexec_b32 s51, vcc_lo
	s_cbranch_execz .LBB104_37
; %bb.30:                               ;   in Loop: Header=BB104_6 Depth=1
	v_mul_lo_u32 v17, v65, s30
	v_dual_mov_b32 v24, 0 :: v_dual_mov_b32 v23, 0
	v_dual_mov_b32 v22, 0 :: v_dual_mov_b32 v21, 0
	;; [unrolled: 1-line block ×3, first 2 shown]
	s_mov_b32 s52, exec_lo
	s_delay_alu instid0(VALU_DEP_4) | instskip(NEXT) | instid1(VALU_DEP_1)
	v_ashrrev_i32_e32 v18, 31, v17
	v_lshlrev_b64_e32 v[17:18], 3, v[17:18]
	s_delay_alu instid0(VALU_DEP_1) | instskip(SKIP_1) | instid1(VALU_DEP_2)
	v_add_co_u32 v17, s7, s40, v17
	s_wait_alu 0xf1ff
	v_add_co_ci_u32_e64 v18, null, s41, v18, s7
	global_load_b64 v[17:18], v[17:18], off
	v_cmpx_gt_i32_e64 s37, v25
	s_cbranch_execz .LBB104_36
; %bb.31:                               ;   in Loop: Header=BB104_6 Depth=1
	v_mul_lo_u32 v19, v25, s30
	v_or_b32_e32 v26, 2, v65
	v_dual_mov_b32 v24, 0 :: v_dual_mov_b32 v23, 0
	v_dual_mov_b32 v22, 0 :: v_dual_mov_b32 v21, 0
	s_mov_b32 s53, exec_lo
	s_delay_alu instid0(VALU_DEP_4) | instskip(NEXT) | instid1(VALU_DEP_1)
	v_ashrrev_i32_e32 v20, 31, v19
	v_lshlrev_b64_e32 v[19:20], 3, v[19:20]
	s_delay_alu instid0(VALU_DEP_1) | instskip(SKIP_1) | instid1(VALU_DEP_2)
	v_add_co_u32 v19, s7, s40, v19
	s_wait_alu 0xf1ff
	v_add_co_ci_u32_e64 v20, null, s41, v20, s7
	global_load_b64 v[19:20], v[19:20], off
	v_cmpx_gt_i32_e64 s37, v26
	s_cbranch_execz .LBB104_35
; %bb.32:                               ;   in Loop: Header=BB104_6 Depth=1
	v_mul_lo_u32 v21, v26, s30
	v_or_b32_e32 v26, 3, v65
	v_dual_mov_b32 v24, 0 :: v_dual_mov_b32 v23, 0
	s_mov_b32 s54, exec_lo
	s_delay_alu instid0(VALU_DEP_3) | instskip(NEXT) | instid1(VALU_DEP_1)
	v_ashrrev_i32_e32 v22, 31, v21
	v_lshlrev_b64_e32 v[21:22], 3, v[21:22]
	s_delay_alu instid0(VALU_DEP_1) | instskip(SKIP_1) | instid1(VALU_DEP_2)
	v_add_co_u32 v21, s7, s40, v21
	s_wait_alu 0xf1ff
	v_add_co_ci_u32_e64 v22, null, s41, v22, s7
	global_load_b64 v[21:22], v[21:22], off
	v_cmpx_gt_i32_e64 s37, v26
	s_cbranch_execz .LBB104_34
; %bb.33:                               ;   in Loop: Header=BB104_6 Depth=1
	v_mul_lo_u32 v23, v26, s30
	s_delay_alu instid0(VALU_DEP_1) | instskip(NEXT) | instid1(VALU_DEP_1)
	v_ashrrev_i32_e32 v24, 31, v23
	v_lshlrev_b64_e32 v[23:24], 3, v[23:24]
	s_delay_alu instid0(VALU_DEP_1) | instskip(SKIP_1) | instid1(VALU_DEP_2)
	v_add_co_u32 v23, s7, s40, v23
	s_wait_alu 0xf1ff
	v_add_co_ci_u32_e64 v24, null, s41, v24, s7
	global_load_b64 v[23:24], v[23:24], off
.LBB104_34:                             ;   in Loop: Header=BB104_6 Depth=1
	s_or_b32 exec_lo, exec_lo, s54
.LBB104_35:                             ;   in Loop: Header=BB104_6 Depth=1
	s_wait_alu 0xfffe
	s_or_b32 exec_lo, exec_lo, s53
.LBB104_36:                             ;   in Loop: Header=BB104_6 Depth=1
	s_wait_alu 0xfffe
	s_or_b32 exec_lo, exec_lo, s52
.LBB104_37:                             ;   in Loop: Header=BB104_6 Depth=1
	s_wait_alu 0xfffe
	s_or_b32 exec_lo, exec_lo, s51
	s_and_saveexec_b32 s7, s0
	s_cbranch_execz .LBB104_45
; %bb.38:                               ;   in Loop: Header=BB104_6 Depth=1
	v_mul_lo_u32 v27, v65, s33
	v_or_b32_e32 v26, 2, v65
	v_mul_lo_u32 v29, v25, s33
	v_or_b32_e32 v28, 3, v65
	s_delay_alu instid0(VALU_DEP_3) | instskip(NEXT) | instid1(VALU_DEP_2)
	v_mul_lo_u32 v30, v26, s33
	v_mul_lo_u32 v31, v28, s33
	v_cndmask_b32_e32 v27, 0, v27, vcc_lo
	v_cmp_gt_i32_e32 vcc_lo, s37, v25
	s_wait_alu 0xfffd
	v_cndmask_b32_e32 v29, 0, v29, vcc_lo
	v_cmp_gt_i32_e32 vcc_lo, s37, v26
	s_wait_alu 0xfffd
	;; [unrolled: 3-line block ×3, first 2 shown]
	v_dual_cndmask_b32 v28, 0, v31 :: v_dual_add_nc_u32 v25, v27, v57
	v_add_nc_u32_e32 v27, v29, v57
	v_add_nc_u32_e32 v29, v26, v57
	s_delay_alu instid0(VALU_DEP_3) | instskip(NEXT) | instid1(VALU_DEP_4)
	v_ashrrev_i32_e32 v26, 31, v25
	v_add_nc_u32_e32 v31, v28, v57
	s_delay_alu instid0(VALU_DEP_4) | instskip(NEXT) | instid1(VALU_DEP_4)
	v_ashrrev_i32_e32 v28, 31, v27
	v_ashrrev_i32_e32 v30, 31, v29
	s_delay_alu instid0(VALU_DEP_4) | instskip(NEXT) | instid1(VALU_DEP_4)
	v_lshlrev_b64_e32 v[25:26], 3, v[25:26]
	v_ashrrev_i32_e32 v32, 31, v31
	s_delay_alu instid0(VALU_DEP_4) | instskip(NEXT) | instid1(VALU_DEP_4)
	v_lshlrev_b64_e32 v[27:28], 3, v[27:28]
	v_lshlrev_b64_e32 v[29:30], 3, v[29:30]
	s_delay_alu instid0(VALU_DEP_4) | instskip(NEXT) | instid1(VALU_DEP_4)
	v_add_co_u32 v55, vcc_lo, s28, v25
	v_lshlrev_b64_e32 v[31:32], 3, v[31:32]
	s_wait_alu 0xfffd
	v_add_co_ci_u32_e64 v56, null, s29, v26, vcc_lo
	v_add_co_u32 v53, vcc_lo, s28, v27
	s_wait_alu 0xfffd
	v_add_co_ci_u32_e64 v54, null, s29, v28, vcc_lo
	v_add_co_u32 v51, vcc_lo, s28, v29
	;; [unrolled: 3-line block ×3, first 2 shown]
	s_wait_alu 0xfffd
	v_add_co_ci_u32_e64 v50, null, s29, v32, vcc_lo
	s_clause 0x3
	global_load_b64 v[31:32], v[55:56], off
	global_load_b64 v[29:30], v[53:54], off
	global_load_b64 v[27:28], v[51:52], off
	global_load_b64 v[25:26], v[49:50], off
	s_and_saveexec_b32 s28, s2
	s_cbranch_execz .LBB104_44
; %bb.39:                               ;   in Loop: Header=BB104_6 Depth=1
	s_clause 0x3
	global_load_b64 v[39:40], v[55:56], off offset:512
	global_load_b64 v[37:38], v[53:54], off offset:512
	global_load_b64 v[35:36], v[51:52], off offset:512
	global_load_b64 v[33:34], v[49:50], off offset:512
	s_and_saveexec_b32 s29, s3
	s_cbranch_execz .LBB104_43
; %bb.40:                               ;   in Loop: Header=BB104_6 Depth=1
	s_clause 0x3
	global_load_b64 v[47:48], v[55:56], off offset:1024
	global_load_b64 v[45:46], v[53:54], off offset:1024
	global_load_b64 v[43:44], v[51:52], off offset:1024
	global_load_b64 v[41:42], v[49:50], off offset:1024
	;; [unrolled: 8-line block ×3, first 2 shown]
	s_wait_loadcnt 0x2
	v_dual_mul_f32 v65, v18, v56 :: v_dual_mul_f32 v66, v20, v54
	v_mul_f32_e32 v56, v17, v56
	s_wait_loadcnt 0x1
	v_dual_mul_f32 v54, v19, v54 :: v_dual_mul_f32 v67, v22, v52
	s_delay_alu instid0(VALU_DEP_3)
	v_fma_f32 v65, v17, v55, -v65
	v_fma_f32 v66, v19, v53, -v66
	s_wait_loadcnt 0x0
	v_dual_fmac_f32 v56, v18, v55 :: v_dual_mul_f32 v55, v24, v50
	v_fmac_f32_e32 v54, v20, v53
	v_add_f32_e32 v9, v9, v65
	v_mul_f32_e32 v52, v21, v52
	v_fma_f32 v53, v21, v51, -v67
	s_delay_alu instid0(VALU_DEP_3) | instskip(SKIP_1) | instid1(VALU_DEP_2)
	v_dual_mul_f32 v50, v23, v50 :: v_dual_add_f32 v9, v66, v9
	v_add_f32_e32 v10, v10, v56
	v_fmac_f32_e32 v50, v24, v49
	s_delay_alu instid0(VALU_DEP_3) | instskip(NEXT) | instid1(VALU_DEP_3)
	v_dual_add_f32 v9, v53, v9 :: v_dual_fmac_f32 v52, v22, v51
	v_add_f32_e32 v10, v54, v10
	v_fma_f32 v51, v23, v49, -v55
	s_delay_alu instid0(VALU_DEP_1) | instskip(NEXT) | instid1(VALU_DEP_1)
	v_dual_add_f32 v9, v51, v9 :: v_dual_add_f32 v10, v52, v10
	v_add_f32_e32 v10, v50, v10
.LBB104_42:                             ;   in Loop: Header=BB104_6 Depth=1
	s_wait_alu 0xfffe
	s_or_b32 exec_lo, exec_lo, s40
	s_wait_loadcnt 0x2
	v_dual_mul_f32 v49, v18, v48 :: v_dual_mul_f32 v50, v20, v46
	v_mul_f32_e32 v48, v17, v48
	s_wait_loadcnt 0x1
	v_dual_mul_f32 v46, v19, v46 :: v_dual_mul_f32 v51, v22, v44
	s_delay_alu instid0(VALU_DEP_3)
	v_fma_f32 v49, v17, v47, -v49
	v_mul_f32_e32 v44, v21, v44
	v_fmac_f32_e32 v48, v18, v47
	v_fma_f32 v50, v19, v45, -v50
	s_wait_loadcnt 0x0
	v_mul_f32_e32 v47, v24, v42
	v_add_f32_e32 v11, v11, v49
	v_fmac_f32_e32 v46, v20, v45
	v_fma_f32 v45, v21, v43, -v51
	v_mul_f32_e32 v42, v23, v42
	v_fmac_f32_e32 v44, v22, v43
	v_dual_add_f32 v11, v50, v11 :: v_dual_add_f32 v12, v12, v48
	v_fma_f32 v43, v23, v41, -v47
	s_delay_alu instid0(VALU_DEP_2) | instskip(NEXT) | instid1(VALU_DEP_1)
	v_dual_fmac_f32 v42, v24, v41 :: v_dual_add_f32 v11, v45, v11
	v_dual_add_f32 v12, v46, v12 :: v_dual_add_f32 v11, v43, v11
	s_delay_alu instid0(VALU_DEP_1) | instskip(NEXT) | instid1(VALU_DEP_1)
	v_add_f32_e32 v12, v44, v12
	v_add_f32_e32 v12, v42, v12
.LBB104_43:                             ;   in Loop: Header=BB104_6 Depth=1
	s_wait_alu 0xfffe
	s_or_b32 exec_lo, exec_lo, s29
	s_wait_loadcnt 0x2
	v_dual_mul_f32 v41, v18, v40 :: v_dual_mul_f32 v42, v20, v38
	v_mul_f32_e32 v40, v17, v40
	s_wait_loadcnt 0x1
	v_dual_mul_f32 v38, v19, v38 :: v_dual_mul_f32 v43, v22, v36
	s_delay_alu instid0(VALU_DEP_3)
	v_fma_f32 v41, v17, v39, -v41
	v_fma_f32 v42, v19, v37, -v42
	s_wait_loadcnt 0x0
	v_dual_fmac_f32 v40, v18, v39 :: v_dual_mul_f32 v39, v24, v34
	v_fmac_f32_e32 v38, v20, v37
	v_add_f32_e32 v13, v13, v41
	v_mul_f32_e32 v36, v21, v36
	v_fma_f32 v37, v21, v35, -v43
	s_delay_alu instid0(VALU_DEP_3) | instskip(SKIP_1) | instid1(VALU_DEP_2)
	v_dual_mul_f32 v34, v23, v34 :: v_dual_add_f32 v13, v42, v13
	v_add_f32_e32 v14, v14, v40
	v_fmac_f32_e32 v34, v24, v33
	s_delay_alu instid0(VALU_DEP_3) | instskip(NEXT) | instid1(VALU_DEP_3)
	v_dual_add_f32 v13, v37, v13 :: v_dual_fmac_f32 v36, v22, v35
	v_add_f32_e32 v14, v38, v14
	v_fma_f32 v35, v23, v33, -v39
	s_delay_alu instid0(VALU_DEP_1) | instskip(NEXT) | instid1(VALU_DEP_1)
	v_dual_add_f32 v13, v35, v13 :: v_dual_add_f32 v14, v36, v14
	v_add_f32_e32 v14, v34, v14
.LBB104_44:                             ;   in Loop: Header=BB104_6 Depth=1
	s_wait_alu 0xfffe
	s_or_b32 exec_lo, exec_lo, s28
	s_wait_loadcnt 0x2
	v_dual_mul_f32 v33, v18, v32 :: v_dual_mul_f32 v34, v20, v30
	v_mul_f32_e32 v32, v17, v32
	s_wait_loadcnt 0x1
	v_dual_mul_f32 v30, v19, v30 :: v_dual_mul_f32 v35, v22, v28
	s_delay_alu instid0(VALU_DEP_3) | instskip(SKIP_2) | instid1(VALU_DEP_3)
	v_fma_f32 v17, v17, v31, -v33
	v_mul_f32_e32 v28, v21, v28
	v_fma_f32 v19, v19, v29, -v34
	v_add_f32_e32 v15, v15, v17
	s_wait_loadcnt 0x0
	v_dual_mul_f32 v17, v23, v26 :: v_dual_fmac_f32 v32, v18, v31
	v_mul_f32_e32 v18, v24, v26
	v_fmac_f32_e32 v28, v22, v27
	v_add_f32_e32 v15, v19, v15
	s_delay_alu instid0(VALU_DEP_4) | instskip(SKIP_4) | instid1(VALU_DEP_1)
	v_fmac_f32_e32 v17, v24, v25
	v_add_f32_e32 v16, v16, v32
	v_fma_f32 v18, v23, v25, -v18
	v_fmac_f32_e32 v30, v20, v29
	v_fma_f32 v20, v21, v27, -v35
	v_add_f32_e32 v15, v20, v15
	s_delay_alu instid0(VALU_DEP_1) | instskip(NEXT) | instid1(VALU_DEP_4)
	v_add_f32_e32 v15, v18, v15
	v_add_f32_e32 v16, v30, v16
	s_delay_alu instid0(VALU_DEP_1) | instskip(NEXT) | instid1(VALU_DEP_1)
	v_add_f32_e32 v16, v28, v16
	v_add_f32_e32 v16, v17, v16
.LBB104_45:                             ;   in Loop: Header=BB104_6 Depth=1
	s_wait_alu 0xfffe
	s_or_b32 exec_lo, exec_lo, s7
.LBB104_46:                             ;   in Loop: Header=BB104_6 Depth=1
	ds_store_2addr_stride64_b64 v0, v[15:16], v[13:14] offset1:1
	ds_store_2addr_stride64_b64 v0, v[11:12], v[9:10] offset0:2 offset1:3
	s_wait_storecnt 0x0
	s_wait_loadcnt_dscnt 0x0
	s_barrier_signal -1
	s_barrier_wait -1
	global_inv scope:SCOPE_SE
	s_and_saveexec_b32 s7, s5
	s_cbranch_execz .LBB104_4
; %bb.47:                               ;   in Loop: Header=BB104_6 Depth=1
	ds_load_2addr_stride64_b64 v[9:12], v59 offset1:4
	ds_load_2addr_stride64_b64 v[13:16], v59 offset0:8 offset1:12
	s_wait_dscnt 0x1
	v_dual_add_f32 v9, v9, v11 :: v_dual_add_f32 v10, v10, v12
	s_wait_dscnt 0x0
	s_delay_alu instid0(VALU_DEP_1) | instskip(NEXT) | instid1(VALU_DEP_1)
	v_dual_add_f32 v9, v9, v13 :: v_dual_add_f32 v10, v10, v14
	v_dual_add_f32 v11, v9, v15 :: v_dual_add_f32 v12, v10, v16
	ds_store_b64 v59, v[11:12]
	s_and_b32 exec_lo, exec_lo, s6
	s_cbranch_execz .LBB104_4
; %bb.48:                               ;   in Loop: Header=BB104_6 Depth=1
	s_cmp_neq_f32 s47, 0
	v_mul_f32_e32 v10, s49, v12
	v_mul_f32_e32 v9, s50, v12
	s_cselect_b32 s28, -1, 0
	s_cmp_neq_f32 s48, 0
	s_delay_alu instid0(VALU_DEP_2) | instskip(NEXT) | instid1(VALU_DEP_2)
	v_fmac_f32_e32 v10, s50, v11
	v_fma_f32 v9, v11, s49, -v9
	s_cselect_b32 s29, -1, 0
	s_wait_alu 0xfffe
	s_or_b32 s28, s28, s29
	s_wait_alu 0xfffe
	s_and_not1_b32 vcc_lo, exec_lo, s28
	s_wait_alu 0xfffe
	s_cbranch_vccnz .LBB104_3
; %bb.49:                               ;   in Loop: Header=BB104_6 Depth=1
	v_add_co_u32 v11, vcc_lo, s26, v7
	s_wait_alu 0xfffd
	v_add_co_ci_u32_e64 v12, null, s27, v8, vcc_lo
	global_load_b64 v[11:12], v[11:12], off
	s_wait_loadcnt 0x0
	v_mul_f32_e32 v13, s48, v12
	v_mul_f32_e32 v12, s47, v12
	s_delay_alu instid0(VALU_DEP_1) | instskip(NEXT) | instid1(VALU_DEP_3)
	v_fmac_f32_e32 v12, s48, v11
	v_fma_f32 v13, s47, v11, -v13
	s_delay_alu instid0(VALU_DEP_1)
	v_dual_add_f32 v10, v10, v12 :: v_dual_add_f32 v9, v9, v13
	s_branch .LBB104_3
.LBB104_50:
	s_endpgm
	.section	.rodata,"a",@progbits
	.p2align	6, 0x0
	.amdhsa_kernel _ZL20rocblas_gemvn_kernelILi64ELi4Ei19rocblas_complex_numIfEPKS1_S1_EviiT3_lPKT2_lT1_lS7_lS8_lS4_lPT4_lS8_li
		.amdhsa_group_segment_fixed_size 8192
		.amdhsa_private_segment_fixed_size 0
		.amdhsa_kernarg_size 400
		.amdhsa_user_sgpr_count 2
		.amdhsa_user_sgpr_dispatch_ptr 0
		.amdhsa_user_sgpr_queue_ptr 0
		.amdhsa_user_sgpr_kernarg_segment_ptr 1
		.amdhsa_user_sgpr_dispatch_id 0
		.amdhsa_user_sgpr_private_segment_size 0
		.amdhsa_wavefront_size32 1
		.amdhsa_uses_dynamic_stack 0
		.amdhsa_enable_private_segment 0
		.amdhsa_system_sgpr_workgroup_id_x 1
		.amdhsa_system_sgpr_workgroup_id_y 0
		.amdhsa_system_sgpr_workgroup_id_z 1
		.amdhsa_system_sgpr_workgroup_info 0
		.amdhsa_system_vgpr_workitem_id 1
		.amdhsa_next_free_vgpr 73
		.amdhsa_next_free_sgpr 57
		.amdhsa_reserve_vcc 1
		.amdhsa_float_round_mode_32 0
		.amdhsa_float_round_mode_16_64 0
		.amdhsa_float_denorm_mode_32 3
		.amdhsa_float_denorm_mode_16_64 3
		.amdhsa_fp16_overflow 0
		.amdhsa_workgroup_processor_mode 1
		.amdhsa_memory_ordered 1
		.amdhsa_forward_progress 1
		.amdhsa_inst_pref_size 32
		.amdhsa_round_robin_scheduling 0
		.amdhsa_exception_fp_ieee_invalid_op 0
		.amdhsa_exception_fp_denorm_src 0
		.amdhsa_exception_fp_ieee_div_zero 0
		.amdhsa_exception_fp_ieee_overflow 0
		.amdhsa_exception_fp_ieee_underflow 0
		.amdhsa_exception_fp_ieee_inexact 0
		.amdhsa_exception_int_div_zero 0
	.end_amdhsa_kernel
	.section	.text._ZL20rocblas_gemvn_kernelILi64ELi4Ei19rocblas_complex_numIfEPKS1_S1_EviiT3_lPKT2_lT1_lS7_lS8_lS4_lPT4_lS8_li,"axG",@progbits,_ZL20rocblas_gemvn_kernelILi64ELi4Ei19rocblas_complex_numIfEPKS1_S1_EviiT3_lPKT2_lT1_lS7_lS8_lS4_lPT4_lS8_li,comdat
.Lfunc_end104:
	.size	_ZL20rocblas_gemvn_kernelILi64ELi4Ei19rocblas_complex_numIfEPKS1_S1_EviiT3_lPKT2_lT1_lS7_lS8_lS4_lPT4_lS8_li, .Lfunc_end104-_ZL20rocblas_gemvn_kernelILi64ELi4Ei19rocblas_complex_numIfEPKS1_S1_EviiT3_lPKT2_lT1_lS7_lS8_lS4_lPT4_lS8_li
                                        ; -- End function
	.set _ZL20rocblas_gemvn_kernelILi64ELi4Ei19rocblas_complex_numIfEPKS1_S1_EviiT3_lPKT2_lT1_lS7_lS8_lS4_lPT4_lS8_li.num_vgpr, 73
	.set _ZL20rocblas_gemvn_kernelILi64ELi4Ei19rocblas_complex_numIfEPKS1_S1_EviiT3_lPKT2_lT1_lS7_lS8_lS4_lPT4_lS8_li.num_agpr, 0
	.set _ZL20rocblas_gemvn_kernelILi64ELi4Ei19rocblas_complex_numIfEPKS1_S1_EviiT3_lPKT2_lT1_lS7_lS8_lS4_lPT4_lS8_li.numbered_sgpr, 57
	.set _ZL20rocblas_gemvn_kernelILi64ELi4Ei19rocblas_complex_numIfEPKS1_S1_EviiT3_lPKT2_lT1_lS7_lS8_lS4_lPT4_lS8_li.num_named_barrier, 0
	.set _ZL20rocblas_gemvn_kernelILi64ELi4Ei19rocblas_complex_numIfEPKS1_S1_EviiT3_lPKT2_lT1_lS7_lS8_lS4_lPT4_lS8_li.private_seg_size, 0
	.set _ZL20rocblas_gemvn_kernelILi64ELi4Ei19rocblas_complex_numIfEPKS1_S1_EviiT3_lPKT2_lT1_lS7_lS8_lS4_lPT4_lS8_li.uses_vcc, 1
	.set _ZL20rocblas_gemvn_kernelILi64ELi4Ei19rocblas_complex_numIfEPKS1_S1_EviiT3_lPKT2_lT1_lS7_lS8_lS4_lPT4_lS8_li.uses_flat_scratch, 0
	.set _ZL20rocblas_gemvn_kernelILi64ELi4Ei19rocblas_complex_numIfEPKS1_S1_EviiT3_lPKT2_lT1_lS7_lS8_lS4_lPT4_lS8_li.has_dyn_sized_stack, 0
	.set _ZL20rocblas_gemvn_kernelILi64ELi4Ei19rocblas_complex_numIfEPKS1_S1_EviiT3_lPKT2_lT1_lS7_lS8_lS4_lPT4_lS8_li.has_recursion, 0
	.set _ZL20rocblas_gemvn_kernelILi64ELi4Ei19rocblas_complex_numIfEPKS1_S1_EviiT3_lPKT2_lT1_lS7_lS8_lS4_lPT4_lS8_li.has_indirect_call, 0
	.section	.AMDGPU.csdata,"",@progbits
; Kernel info:
; codeLenInByte = 4092
; TotalNumSgprs: 59
; NumVgprs: 73
; ScratchSize: 0
; MemoryBound: 0
; FloatMode: 240
; IeeeMode: 1
; LDSByteSize: 8192 bytes/workgroup (compile time only)
; SGPRBlocks: 0
; VGPRBlocks: 9
; NumSGPRsForWavesPerEU: 59
; NumVGPRsForWavesPerEU: 73
; Occupancy: 16
; WaveLimiterHint : 1
; COMPUTE_PGM_RSRC2:SCRATCH_EN: 0
; COMPUTE_PGM_RSRC2:USER_SGPR: 2
; COMPUTE_PGM_RSRC2:TRAP_HANDLER: 0
; COMPUTE_PGM_RSRC2:TGID_X_EN: 1
; COMPUTE_PGM_RSRC2:TGID_Y_EN: 0
; COMPUTE_PGM_RSRC2:TGID_Z_EN: 1
; COMPUTE_PGM_RSRC2:TIDIG_COMP_CNT: 1
	.section	.text._ZL20rocblas_gemvn_kernelILi64ELi4El19rocblas_complex_numIfEPKS1_S1_EviiT3_lPKT2_lT1_lS7_lS8_lS4_lPT4_lS8_li,"axG",@progbits,_ZL20rocblas_gemvn_kernelILi64ELi4El19rocblas_complex_numIfEPKS1_S1_EviiT3_lPKT2_lT1_lS7_lS8_lS4_lPT4_lS8_li,comdat
	.globl	_ZL20rocblas_gemvn_kernelILi64ELi4El19rocblas_complex_numIfEPKS1_S1_EviiT3_lPKT2_lT1_lS7_lS8_lS4_lPT4_lS8_li ; -- Begin function _ZL20rocblas_gemvn_kernelILi64ELi4El19rocblas_complex_numIfEPKS1_S1_EviiT3_lPKT2_lT1_lS7_lS8_lS4_lPT4_lS8_li
	.p2align	8
	.type	_ZL20rocblas_gemvn_kernelILi64ELi4El19rocblas_complex_numIfEPKS1_S1_EviiT3_lPKT2_lT1_lS7_lS8_lS4_lPT4_lS8_li,@function
_ZL20rocblas_gemvn_kernelILi64ELi4El19rocblas_complex_numIfEPKS1_S1_EviiT3_lPKT2_lT1_lS7_lS8_lS4_lPT4_lS8_li: ; @_ZL20rocblas_gemvn_kernelILi64ELi4El19rocblas_complex_numIfEPKS1_S1_EviiT3_lPKT2_lT1_lS7_lS8_lS4_lPT4_lS8_li
; %bb.0:
	s_load_b64 s[2:3], s[0:1], 0x9c
	s_wait_kmcnt 0x0
	s_lshr_b32 s4, s2, 16
	s_and_b32 s2, s2, 0xffff
	s_and_b32 s3, s3, 0xffff
	s_mul_i32 s2, s4, s2
	s_delay_alu instid0(SALU_CYCLE_1) | instskip(NEXT) | instid1(SALU_CYCLE_1)
	s_mul_i32 s2, s2, s3
	s_cmp_lg_u32 s2, 0x100
	s_cbranch_scc1 .LBB105_50
; %bb.1:
	s_load_b32 s33, s[0:1], 0x88
	s_lshr_b32 s10, ttmp7, 16
	s_wait_kmcnt 0x0
	s_cmp_ge_u32 s10, s33
	s_cbranch_scc1 .LBB105_50
; %bb.2:
	s_clause 0x2
	s_load_b512 s[12:27], s[0:1], 0x8
	s_load_b512 s[36:51], s[0:1], 0x48
	s_load_b64 s[8:9], s[0:1], 0x0
	v_dual_mov_b32 v1, 0 :: v_dual_and_b32 v10, 0x3ff, v0
	v_bfe_u32 v19, v0, 10, 10
	s_lshl_b32 s30, ttmp9, 8
	s_delay_alu instid0(VALU_DEP_2) | instid1(SALU_CYCLE_1)
	v_or_b32_e32 v4, s30, v10
	s_delay_alu instid0(VALU_DEP_2) | instskip(NEXT) | instid1(VALU_DEP_2)
	v_lshl_add_u32 v12, v19, 6, v10
	v_add_nc_u32_e32 v2, 64, v4
	v_add_nc_u32_e32 v8, 0xc0, v4
	s_delay_alu instid0(VALU_DEP_3) | instskip(SKIP_3) | instid1(VALU_DEP_2)
	v_add_nc_u32_e32 v0, s30, v12
	v_ashrrev_i32_e32 v5, 31, v4
	s_wait_kmcnt 0x0
	s_lshl_b64 s[4:5], s[18:19], 3
	v_mad_co_u64_u32 v[6:7], null, s48, v0, 0
	v_add_nc_u32_e32 v3, 0x80, v4
	v_cmp_gt_i32_e64 s1, s8, v2
	v_cmp_gt_i32_e64 s3, s8, v8
	v_mad_co_u64_u32 v[8:9], null, s36, v19, 0
	v_dual_mov_b32 v2, v7 :: v_dual_lshlrev_b32 v13, 3, v10
	v_cmp_gt_i32_e64 s2, s8, v3
	s_ashr_i32 s11, s9, 31
	s_add_nc_u64 s[16:17], s[16:17], s[4:5]
	s_lshr_b32 s4, s11, 28
	v_mad_co_u64_u32 v[2:3], null, s49, v0, v[2:3]
	v_lshlrev_b32_e32 v60, 2, v19
	s_add_co_i32 s4, s9, s4
	s_lshl_b64 s[6:7], s[26:27], 3
	s_and_b32 s52, s4, -16
	s_lshl_b64 s[26:27], s[46:47], 3
	s_sub_co_i32 s5, s9, s52
	s_delay_alu instid0(VALU_DEP_2)
	v_dual_mov_b32 v7, v2 :: v_dual_mov_b32 v2, v9
	v_or_b32_e32 v9, s30, v12
	s_ashr_i32 s29, s8, 31
	s_cmp_gt_i32 s5, 0
	s_add_nc_u64 s[18:19], s[24:25], s[6:7]
	v_mad_co_u64_u32 v[2:3], null, s37, v19, v[2:3]
	v_mul_lo_u32 v3, s49, v9
	v_mad_co_u64_u32 v[10:11], null, s48, v9, 0
	v_cmp_gt_i32_e64 s6, s8, v9
	v_or_b32_e32 v16, 3, v60
	s_cselect_b32 s53, -1, 0
	v_mov_b32_e32 v9, v2
	s_ashr_i32 s7, s30, 31
	v_or_b32_e32 v21, 2, v60
	s_mul_i32 s7, s48, s7
	s_mov_b32 s28, s8
	v_add3_u32 v11, v11, s7, v3
	v_lshlrev_b64_e32 v[2:3], 5, v[8:9]
	v_mad_co_u64_u32 v[8:9], null, s20, v16, 0
	v_cmp_gt_i64_e32 vcc_lo, s[28:29], v[0:1]
	v_lshl_add_u32 v0, v19, 11, v13
	v_cmp_gt_u32_e64 s5, 0x100, v12
	v_lshl_add_u32 v61, v19, 9, v13
	v_mad_co_u64_u32 v[12:13], null, s20, v19, 0
	v_mad_co_u64_u32 v[14:15], null, s20, v21, 0
	;; [unrolled: 1-line block ×4, first 2 shown]
	s_and_b32 s54, s5, vcc_lo
	v_add_co_u32 v2, vcc_lo, s18, v2
	v_mad_co_u64_u32 v[19:20], null, s21, v19, v[13:14]
	v_mov_b32_e32 v13, v15
	v_mov_b32_e32 v9, v16
	v_add_co_ci_u32_e64 v3, null, s19, v3, vcc_lo
	v_cmp_gt_i32_e64 s0, s8, v4
	s_delay_alu instid0(VALU_DEP_4) | instskip(SKIP_4) | instid1(VALU_DEP_4)
	v_mad_co_u64_u32 v[15:16], null, s21, v21, v[13:14]
	v_dual_mov_b32 v16, v18 :: v_dual_mov_b32 v13, v19
	v_lshlrev_b64_e32 v[8:9], 3, v[8:9]
	v_lshlrev_b64_e32 v[4:5], 3, v[4:5]
	;; [unrolled: 1-line block ×3, first 2 shown]
	v_mad_co_u64_u32 v[18:19], null, s21, v60, v[16:17]
	v_lshlrev_b64_e32 v[12:13], 5, v[12:13]
	v_add_co_u32 v62, vcc_lo, s16, v8
	s_wait_alu 0xfffd
	v_add_co_ci_u32_e64 v63, null, s17, v9, vcc_lo
	v_lshlrev_b64_e32 v[8:9], 3, v[14:15]
	s_delay_alu instid0(VALU_DEP_4) | instskip(SKIP_3) | instid1(VALU_DEP_4)
	v_add_co_u32 v64, vcc_lo, s16, v12
	s_wait_alu 0xfffd
	v_add_co_ci_u32_e64 v65, null, s17, v13, vcc_lo
	v_lshlrev_b64_e32 v[12:13], 3, v[17:18]
	v_add_co_u32 v66, vcc_lo, s16, v8
	s_wait_alu 0xfffd
	v_add_co_ci_u32_e64 v67, null, s17, v9, vcc_lo
	v_lshlrev_b64_e32 v[8:9], 3, v[10:11]
	s_delay_alu instid0(VALU_DEP_4)
	v_add_co_u32 v68, vcc_lo, s16, v12
	v_cmp_gt_i32_e64 s4, s52, v60
	s_wait_alu 0xfffd
	v_add_co_ci_u32_e64 v69, null, s17, v13, vcc_lo
	s_add_nc_u64 s[24:25], s[44:45], s[26:27]
	s_mov_b32 s11, 0
	s_lshl_b64 s[26:27], s[38:39], 3
	s_lshl_b64 s[28:29], s[36:37], 7
	;; [unrolled: 1-line block ×5, first 2 shown]
	s_branch .LBB105_6
.LBB105_3:                              ;   in Loop: Header=BB105_6 Depth=1
	v_add_co_u32 v12, vcc_lo, s46, v8
	s_wait_alu 0xfffd
	v_add_co_ci_u32_e64 v13, null, s47, v9, vcc_lo
	global_store_b64 v[12:13], v[10:11], off
.LBB105_4:                              ;   in Loop: Header=BB105_6 Depth=1
	s_wait_alu 0xfffe
	s_or_b32 exec_lo, exec_lo, s7
.LBB105_5:                              ;   in Loop: Header=BB105_6 Depth=1
	s_add_co_i32 s10, s10, 0x10000
	s_wait_alu 0xfffe
	s_cmp_lt_u32 s10, s33
	s_cbranch_scc0 .LBB105_50
.LBB105_6:                              ; =>This Loop Header: Depth=1
                                        ;     Child Loop BB105_22 Depth 2
	s_mul_u64 s[46:47], s[14:15], s[10:11]
	s_wait_alu 0xfffe
	s_lshl_b64 s[46:47], s[46:47], 3
	s_wait_alu 0xfffe
	s_add_nc_u64 s[46:47], s[12:13], s[46:47]
	global_load_b64 v[10:11], v1, s[46:47]
	s_mul_u64 s[46:47], s[42:43], s[10:11]
	s_wait_alu 0xfffe
	s_lshl_b64 s[46:47], s[46:47], 3
	s_wait_alu 0xfffe
	s_add_nc_u64 s[46:47], s[40:41], s[46:47]
	global_load_b64 v[12:13], v1, s[46:47]
	s_wait_loadcnt 0x1
	v_readfirstlane_b32 s57, v10
	v_readfirstlane_b32 s58, v11
	s_cmp_neq_f32 s57, 0
	s_wait_loadcnt 0x0
	v_readfirstlane_b32 s55, v12
	v_readfirstlane_b32 s56, v13
	s_cselect_b32 s7, -1, 0
	s_cmp_neq_f32 s58, 0
	s_cselect_b32 s8, -1, 0
	s_wait_alu 0xfffe
	s_or_b32 s7, s7, s8
	s_wait_alu 0xfffe
	s_and_b32 vcc_lo, exec_lo, s7
	s_mov_b32 s7, -1
	s_wait_alu 0xfffe
	s_cbranch_vccnz .LBB105_8
; %bb.7:                                ;   in Loop: Header=BB105_6 Depth=1
	s_cmp_neq_f32 s55, 1.0
	s_cselect_b32 s7, -1, 0
	s_cmp_neq_f32 s56, 0
	s_cselect_b32 s8, -1, 0
	s_wait_alu 0xfffe
	s_or_b32 s7, s7, s8
.LBB105_8:                              ;   in Loop: Header=BB105_6 Depth=1
	s_wait_alu 0xfffe
	s_and_not1_b32 vcc_lo, exec_lo, s7
	s_wait_alu 0xfffe
	s_cbranch_vccnz .LBB105_5
; %bb.9:                                ;   in Loop: Header=BB105_6 Depth=1
	s_mul_u64 s[46:47], s[50:51], s[10:11]
	s_or_b32 s7, s57, s58
	s_wait_alu 0xfffe
	s_lshl_b64 s[46:47], s[46:47], 3
	s_bitset0_b32 s7, 31
	s_wait_alu 0xfffe
	s_add_nc_u64 s[46:47], s[24:25], s[46:47]
	s_cmp_lg_u32 s7, 0
	s_mov_b32 s7, -1
	s_cbranch_scc1 .LBB105_15
; %bb.10:                               ;   in Loop: Header=BB105_6 Depth=1
	s_and_saveexec_b32 s7, s54
	s_cbranch_execz .LBB105_14
; %bb.11:                               ;   in Loop: Header=BB105_6 Depth=1
	s_cmp_neq_f32 s55, 0
	v_dual_mov_b32 v10, 0 :: v_dual_mov_b32 v11, 0
	s_cselect_b32 s8, -1, 0
	s_cmp_neq_f32 s56, 0
	s_cselect_b32 s48, -1, 0
	s_wait_alu 0xfffe
	s_or_b32 s8, s8, s48
	s_wait_alu 0xfffe
	s_and_not1_b32 vcc_lo, exec_lo, s8
	s_wait_alu 0xfffe
	s_cbranch_vccnz .LBB105_13
; %bb.12:                               ;   in Loop: Header=BB105_6 Depth=1
	v_add_co_u32 v10, vcc_lo, s46, v6
	s_wait_alu 0xfffd
	v_add_co_ci_u32_e64 v11, null, s47, v7, vcc_lo
	global_load_b64 v[12:13], v[10:11], off
	s_wait_loadcnt 0x0
	v_mul_f32_e32 v11, s55, v13
	s_delay_alu instid0(VALU_DEP_1) | instskip(NEXT) | instid1(VALU_DEP_1)
	v_dual_mul_f32 v10, s56, v13 :: v_dual_fmac_f32 v11, s56, v12
	v_fma_f32 v10, s55, v12, -v10
.LBB105_13:                             ;   in Loop: Header=BB105_6 Depth=1
	v_add_co_u32 v12, vcc_lo, s46, v6
	s_wait_alu 0xfffd
	v_add_co_ci_u32_e64 v13, null, s47, v7, vcc_lo
	global_store_b64 v[12:13], v[10:11], off
.LBB105_14:                             ;   in Loop: Header=BB105_6 Depth=1
	s_wait_alu 0xfffe
	s_or_b32 exec_lo, exec_lo, s7
	s_mov_b32 s7, 0
.LBB105_15:                             ;   in Loop: Header=BB105_6 Depth=1
	s_wait_alu 0xfffe
	s_and_not1_b32 vcc_lo, exec_lo, s7
	s_wait_alu 0xfffe
	s_cbranch_vccnz .LBB105_5
; %bb.16:                               ;   in Loop: Header=BB105_6 Depth=1
	v_dual_mov_b32 v11, 0 :: v_dual_mov_b32 v70, v60
	v_dual_mov_b32 v10, 0 :: v_dual_mov_b32 v13, 0
	;; [unrolled: 1-line block ×4, first 2 shown]
	v_mov_b32_e32 v16, 0
	s_and_saveexec_b32 s8, s4
	s_cbranch_execz .LBB105_28
; %bb.17:                               ;   in Loop: Header=BB105_6 Depth=1
	v_mad_co_u64_u32 v[18:19], null, s26, s10, v[2:3]
	v_mov_b32_e32 v11, 0
	s_mul_u64 s[48:49], s[30:31], s[10:11]
	v_mov_b32_e32 v70, v60
	s_wait_alu 0xfffe
	v_add_co_u32 v71, vcc_lo, v62, s48
	s_wait_alu 0xfffd
	v_add_co_ci_u32_e64 v72, null, s49, v63, vcc_lo
	v_mov_b32_e32 v10, v19
	v_add_co_u32 v73, vcc_lo, v64, s48
	s_wait_alu 0xfffd
	v_add_co_ci_u32_e64 v74, null, s49, v65, vcc_lo
	s_delay_alu instid0(VALU_DEP_3) | instskip(SKIP_4) | instid1(VALU_DEP_4)
	v_mad_co_u64_u32 v[12:13], null, s27, s10, v[10:11]
	v_add_co_u32 v75, vcc_lo, v66, s48
	s_wait_alu 0xfffd
	v_add_co_ci_u32_e64 v76, null, s49, v67, vcc_lo
	v_add_co_u32 v77, vcc_lo, v68, s48
	v_mov_b32_e32 v19, v12
	s_wait_alu 0xfffd
	v_add_co_ci_u32_e64 v78, null, s49, v69, vcc_lo
	v_dual_mov_b32 v10, v11 :: v_dual_mov_b32 v13, v11
	v_dual_mov_b32 v12, v11 :: v_dual_mov_b32 v15, v11
	;; [unrolled: 1-line block ×3, first 2 shown]
	v_mov_b32_e32 v16, v11
	s_mov_b32 s48, 0
	s_branch .LBB105_22
.LBB105_18:                             ;   in Loop: Header=BB105_22 Depth=2
	s_wait_alu 0xfffe
	s_or_b32 exec_lo, exec_lo, s60
	s_wait_loadcnt 0x3
	v_mul_f32_e32 v52, v33, v51
	s_wait_loadcnt 0x1
	v_dual_mul_f32 v53, v29, v49 :: v_dual_mul_f32 v54, v23, v47
	v_mul_f32_e32 v49, v28, v49
	v_mul_f32_e32 v51, v32, v51
	v_fma_f32 v52, v32, v50, -v52
	v_mul_f32_e32 v47, v22, v47
	v_fma_f32 v53, v28, v48, -v53
	v_fmac_f32_e32 v49, v29, v48
	v_fma_f32 v48, v22, v46, -v54
	s_delay_alu instid0(VALU_DEP_4) | instskip(NEXT) | instid1(VALU_DEP_1)
	v_dual_add_f32 v12, v12, v52 :: v_dual_fmac_f32 v47, v23, v46
	v_add_f32_e32 v12, v53, v12
	v_fmac_f32_e32 v51, v33, v50
	s_wait_loadcnt 0x0
	v_mul_f32_e32 v50, v21, v45
	v_mul_f32_e32 v45, v20, v45
	v_add_f32_e32 v12, v48, v12
	s_delay_alu instid0(VALU_DEP_3) | instskip(SKIP_1) | instid1(VALU_DEP_4)
	v_fma_f32 v46, v20, v44, -v50
	v_add_f32_e32 v13, v13, v51
	v_fmac_f32_e32 v45, v21, v44
	s_delay_alu instid0(VALU_DEP_2) | instskip(NEXT) | instid1(VALU_DEP_1)
	v_dual_add_f32 v12, v46, v12 :: v_dual_add_f32 v13, v49, v13
	v_add_f32_e32 v13, v47, v13
	s_delay_alu instid0(VALU_DEP_1)
	v_add_f32_e32 v13, v45, v13
.LBB105_19:                             ;   in Loop: Header=BB105_22 Depth=2
	s_wait_alu 0xfffe
	s_or_b32 exec_lo, exec_lo, s59
	s_wait_loadcnt 0x3
	v_mul_f32_e32 v44, v33, v43
	v_mul_f32_e32 v43, v32, v43
	s_wait_loadcnt 0x1
	v_dual_mul_f32 v45, v29, v41 :: v_dual_mul_f32 v46, v23, v39
	v_mul_f32_e32 v41, v28, v41
	v_fma_f32 v44, v32, v42, -v44
	v_fmac_f32_e32 v43, v33, v42
	s_delay_alu instid0(VALU_DEP_4) | instskip(SKIP_4) | instid1(VALU_DEP_2)
	v_fma_f32 v45, v28, v40, -v45
	s_wait_loadcnt 0x0
	v_mul_f32_e32 v42, v21, v37
	v_dual_mul_f32 v37, v20, v37 :: v_dual_add_f32 v14, v14, v44
	v_mul_f32_e32 v39, v22, v39
	v_fmac_f32_e32 v37, v21, v36
	s_delay_alu instid0(VALU_DEP_3) | instskip(SKIP_4) | instid1(VALU_DEP_3)
	v_add_f32_e32 v14, v45, v14
	v_fmac_f32_e32 v41, v29, v40
	v_fma_f32 v40, v22, v38, -v46
	v_fmac_f32_e32 v39, v23, v38
	v_fma_f32 v38, v20, v36, -v42
	v_dual_add_f32 v14, v40, v14 :: v_dual_add_f32 v15, v15, v43
	s_delay_alu instid0(VALU_DEP_1) | instskip(NEXT) | instid1(VALU_DEP_1)
	v_dual_add_f32 v14, v38, v14 :: v_dual_add_f32 v15, v41, v15
	v_add_f32_e32 v15, v39, v15
	s_delay_alu instid0(VALU_DEP_1)
	v_add_f32_e32 v15, v37, v15
.LBB105_20:                             ;   in Loop: Header=BB105_22 Depth=2
	s_wait_alu 0xfffe
	s_or_b32 exec_lo, exec_lo, s49
	s_wait_loadcnt 0x1
	v_mul_f32_e32 v38, v23, v27
	v_mul_f32_e32 v36, v33, v35
	v_mul_f32_e32 v27, v22, v27
	s_delay_alu instid0(VALU_DEP_3) | instskip(SKIP_1) | instid1(VALU_DEP_1)
	v_fma_f32 v22, v22, v26, -v38
	v_mul_f32_e32 v35, v32, v35
	v_fmac_f32_e32 v35, v33, v34
	s_wait_loadcnt 0x0
	v_mul_f32_e32 v33, v21, v25
	v_mul_f32_e32 v25, v20, v25
	v_fma_f32 v32, v32, v34, -v36
	v_mul_f32_e32 v37, v29, v31
	v_mul_f32_e32 v31, v28, v31
	v_add_f32_e32 v17, v17, v35
	v_fma_f32 v20, v20, v24, -v33
	v_add_f32_e32 v16, v16, v32
	v_fma_f32 v28, v28, v30, -v37
	v_fmac_f32_e32 v31, v29, v30
	v_fmac_f32_e32 v25, v21, v24
	s_delay_alu instid0(VALU_DEP_3) | instskip(NEXT) | instid1(VALU_DEP_1)
	v_dual_add_f32 v16, v28, v16 :: v_dual_fmac_f32 v27, v23, v26
	v_dual_add_f32 v17, v31, v17 :: v_dual_add_f32 v16, v22, v16
	s_delay_alu instid0(VALU_DEP_1) | instskip(NEXT) | instid1(VALU_DEP_1)
	v_dual_add_f32 v17, v27, v17 :: v_dual_add_f32 v16, v20, v16
	v_add_f32_e32 v17, v25, v17
.LBB105_21:                             ;   in Loop: Header=BB105_22 Depth=2
	s_wait_alu 0xfffe
	s_or_b32 exec_lo, exec_lo, s7
	v_add_co_u32 v18, vcc_lo, v18, s28
	s_wait_alu 0xfffd
	v_add_co_ci_u32_e64 v19, null, s29, v19, vcc_lo
	v_add_co_u32 v71, vcc_lo, v71, s34
	v_add_nc_u32_e32 v70, 16, v70
	s_wait_alu 0xfffd
	v_add_co_ci_u32_e64 v72, null, s35, v72, vcc_lo
	v_add_co_u32 v73, vcc_lo, v73, s34
	s_wait_alu 0xfffd
	v_add_co_ci_u32_e64 v74, null, s35, v74, vcc_lo
	v_add_co_u32 v75, vcc_lo, v75, s34
	s_wait_alu 0xfffd
	v_add_co_ci_u32_e64 v76, null, s35, v76, vcc_lo
	v_cmp_le_i32_e32 vcc_lo, s52, v70
	v_add_co_u32 v77, s7, v77, s34
	s_wait_alu 0xf1ff
	v_add_co_ci_u32_e64 v78, null, s35, v78, s7
	s_or_b32 s48, vcc_lo, s48
	s_wait_alu 0xfffe
	s_and_not1_b32 exec_lo, exec_lo, s48
	s_cbranch_execz .LBB105_27
.LBB105_22:                             ;   Parent Loop BB105_6 Depth=1
                                        ; =>  This Inner Loop Header: Depth=2
	s_and_saveexec_b32 s7, s0
	s_cbranch_execz .LBB105_21
; %bb.23:                               ;   in Loop: Header=BB105_22 Depth=2
	v_add_co_u32 v20, vcc_lo, v18, s44
	s_wait_alu 0xfffd
	v_add_co_ci_u32_e64 v21, null, s45, v19, vcc_lo
	s_delay_alu instid0(VALU_DEP_2) | instskip(SKIP_1) | instid1(VALU_DEP_2)
	v_add_co_u32 v22, vcc_lo, v20, s44
	s_wait_alu 0xfffd
	v_add_co_ci_u32_e64 v23, null, s45, v21, vcc_lo
	s_delay_alu instid0(VALU_DEP_2) | instskip(SKIP_1) | instid1(VALU_DEP_2)
	v_add_co_u32 v24, vcc_lo, v22, s44
	s_wait_alu 0xfffd
	v_add_co_ci_u32_e64 v25, null, s45, v23, vcc_lo
	v_add_co_u32 v58, vcc_lo, v73, v4
	s_wait_alu 0xfffd
	v_add_co_ci_u32_e64 v59, null, v74, v5, vcc_lo
	;; [unrolled: 3-line block ×5, first 2 shown]
	s_clause 0x3
	global_load_b64 v[32:33], v[18:19], off
	global_load_b64 v[28:29], v[20:21], off
	;; [unrolled: 1-line block ×8, first 2 shown]
	s_and_saveexec_b32 s49, s1
	s_cbranch_execz .LBB105_20
; %bb.24:                               ;   in Loop: Header=BB105_22 Depth=2
	global_load_b64 v[42:43], v[58:59], off offset:512
	global_load_b64 v[40:41], v[56:57], off offset:512
	global_load_b64 v[38:39], v[54:55], off offset:512
	global_load_b64 v[36:37], v[52:53], off offset:512
	s_and_saveexec_b32 s59, s2
	s_cbranch_execz .LBB105_19
; %bb.25:                               ;   in Loop: Header=BB105_22 Depth=2
	global_load_b64 v[50:51], v[58:59], off offset:1024
	global_load_b64 v[48:49], v[56:57], off offset:1024
	global_load_b64 v[46:47], v[54:55], off offset:1024
	global_load_b64 v[44:45], v[52:53], off offset:1024
	s_and_saveexec_b32 s60, s3
	s_cbranch_execz .LBB105_18
; %bb.26:                               ;   in Loop: Header=BB105_22 Depth=2
	global_load_b64 v[58:59], v[58:59], off offset:1536
	global_load_b64 v[56:57], v[56:57], off offset:1536
	global_load_b64 v[54:55], v[54:55], off offset:1536
	global_load_b64 v[52:53], v[52:53], off offset:1536
	s_wait_loadcnt 0x1
	v_dual_mul_f32 v80, v29, v57 :: v_dual_mul_f32 v81, v23, v55
	s_delay_alu instid0(VALU_DEP_1) | instskip(SKIP_2) | instid1(VALU_DEP_2)
	v_fma_f32 v80, v28, v56, -v80
	v_mul_f32_e32 v79, v33, v59
	v_mul_f32_e32 v59, v32, v59
	v_fma_f32 v79, v32, v58, -v79
	v_mul_f32_e32 v57, v28, v57
	s_delay_alu instid0(VALU_DEP_3)
	v_fmac_f32_e32 v59, v33, v58
	s_wait_loadcnt 0x0
	v_mul_f32_e32 v58, v21, v53
	v_dual_mul_f32 v53, v20, v53 :: v_dual_add_f32 v10, v10, v79
	v_fmac_f32_e32 v57, v29, v56
	v_fma_f32 v56, v22, v54, -v81
	v_add_f32_e32 v11, v11, v59
	s_delay_alu instid0(VALU_DEP_4) | instskip(NEXT) | instid1(VALU_DEP_1)
	v_dual_fmac_f32 v53, v21, v52 :: v_dual_add_f32 v10, v80, v10
	v_dual_mul_f32 v55, v22, v55 :: v_dual_add_f32 v10, v56, v10
	s_delay_alu instid0(VALU_DEP_1) | instskip(SKIP_1) | instid1(VALU_DEP_1)
	v_fmac_f32_e32 v55, v23, v54
	v_fma_f32 v54, v20, v52, -v58
	v_dual_add_f32 v10, v54, v10 :: v_dual_add_f32 v11, v57, v11
	s_delay_alu instid0(VALU_DEP_1) | instskip(NEXT) | instid1(VALU_DEP_1)
	v_add_f32_e32 v11, v55, v11
	v_add_f32_e32 v11, v53, v11
	s_branch .LBB105_18
.LBB105_27:                             ;   in Loop: Header=BB105_6 Depth=1
	s_or_b32 exec_lo, exec_lo, s48
.LBB105_28:                             ;   in Loop: Header=BB105_6 Depth=1
	s_wait_alu 0xfffe
	s_or_b32 exec_lo, exec_lo, s8
	s_delay_alu instid0(SALU_CYCLE_1)
	s_and_not1_b32 vcc_lo, exec_lo, s53
	s_wait_alu 0xfffe
	s_cbranch_vccnz .LBB105_46
; %bb.29:                               ;   in Loop: Header=BB105_6 Depth=1
	v_cmp_gt_i32_e32 vcc_lo, s9, v70
	v_dual_mov_b32 v18, 0 :: v_dual_mov_b32 v19, 0
	v_or_b32_e32 v26, 1, v70
	v_dual_mov_b32 v20, 0 :: v_dual_mov_b32 v21, 0
	v_dual_mov_b32 v22, 0 :: v_dual_mov_b32 v23, 0
	v_dual_mov_b32 v24, 0 :: v_dual_mov_b32 v25, 0
	s_and_saveexec_b32 s8, vcc_lo
	s_cbranch_execz .LBB105_37
; %bb.30:                               ;   in Loop: Header=BB105_6 Depth=1
	v_mad_co_u64_u32 v[18:19], null, s36, v70, 0
	s_mul_u64 s[48:49], s[38:39], s[10:11]
	v_dual_mov_b32 v25, 0 :: v_dual_mov_b32 v24, 0
	s_wait_alu 0xfffe
	s_lshl_b64 s[48:49], s[48:49], 3
	v_dual_mov_b32 v23, 0 :: v_dual_mov_b32 v22, 0
	v_mad_co_u64_u32 v[19:20], null, s37, v70, v[19:20]
	s_wait_alu 0xfffe
	s_add_nc_u64 s[48:49], s[18:19], s[48:49]
	v_dual_mov_b32 v21, 0 :: v_dual_mov_b32 v20, 0
	s_mov_b32 s59, exec_lo
	s_delay_alu instid0(VALU_DEP_2) | instskip(SKIP_1) | instid1(VALU_DEP_1)
	v_lshlrev_b64_e32 v[18:19], 3, v[18:19]
	s_wait_alu 0xfffe
	v_add_co_u32 v18, s7, s48, v18
	s_wait_alu 0xf1ff
	s_delay_alu instid0(VALU_DEP_2)
	v_add_co_ci_u32_e64 v19, null, s49, v19, s7
	global_load_b64 v[18:19], v[18:19], off
	v_cmpx_gt_i32_e64 s9, v26
	s_cbranch_execz .LBB105_36
; %bb.31:                               ;   in Loop: Header=BB105_6 Depth=1
	v_mad_co_u64_u32 v[20:21], null, s36, v26, 0
	v_or_b32_e32 v27, 2, v70
	v_dual_mov_b32 v25, 0 :: v_dual_mov_b32 v24, 0
	v_mov_b32_e32 v23, 0
	s_mov_b32 s60, exec_lo
	s_delay_alu instid0(VALU_DEP_4) | instskip(SKIP_1) | instid1(VALU_DEP_2)
	v_mad_co_u64_u32 v[21:22], null, s37, v26, v[21:22]
	v_mov_b32_e32 v22, 0
	v_lshlrev_b64_e32 v[20:21], 3, v[20:21]
	s_delay_alu instid0(VALU_DEP_1) | instskip(SKIP_1) | instid1(VALU_DEP_2)
	v_add_co_u32 v20, s7, s48, v20
	s_wait_alu 0xf1ff
	v_add_co_ci_u32_e64 v21, null, s49, v21, s7
	global_load_b64 v[20:21], v[20:21], off
	v_cmpx_gt_i32_e64 s9, v27
	s_cbranch_execz .LBB105_35
; %bb.32:                               ;   in Loop: Header=BB105_6 Depth=1
	v_mad_co_u64_u32 v[22:23], null, s36, v27, 0
	v_mov_b32_e32 v25, 0
	s_mov_b32 s61, exec_lo
	s_delay_alu instid0(VALU_DEP_2) | instskip(SKIP_2) | instid1(VALU_DEP_3)
	v_mad_co_u64_u32 v[23:24], null, s37, v27, v[23:24]
	v_or_b32_e32 v27, 3, v70
	v_mov_b32_e32 v24, 0
	v_lshlrev_b64_e32 v[22:23], 3, v[22:23]
	s_delay_alu instid0(VALU_DEP_1) | instskip(SKIP_1) | instid1(VALU_DEP_2)
	v_add_co_u32 v22, s7, s48, v22
	s_wait_alu 0xf1ff
	v_add_co_ci_u32_e64 v23, null, s49, v23, s7
	global_load_b64 v[22:23], v[22:23], off
	v_cmpx_gt_i32_e64 s9, v27
	s_cbranch_execz .LBB105_34
; %bb.33:                               ;   in Loop: Header=BB105_6 Depth=1
	v_mad_co_u64_u32 v[24:25], null, s36, v27, 0
	s_delay_alu instid0(VALU_DEP_1) | instskip(NEXT) | instid1(VALU_DEP_1)
	v_mad_co_u64_u32 v[27:28], null, s37, v27, v[25:26]
	v_mov_b32_e32 v25, v27
	s_delay_alu instid0(VALU_DEP_1) | instskip(NEXT) | instid1(VALU_DEP_1)
	v_lshlrev_b64_e32 v[24:25], 3, v[24:25]
	v_add_co_u32 v24, s7, s48, v24
	s_wait_alu 0xf1ff
	s_delay_alu instid0(VALU_DEP_2)
	v_add_co_ci_u32_e64 v25, null, s49, v25, s7
	global_load_b64 v[24:25], v[24:25], off
.LBB105_34:                             ;   in Loop: Header=BB105_6 Depth=1
	s_wait_alu 0xfffe
	s_or_b32 exec_lo, exec_lo, s61
.LBB105_35:                             ;   in Loop: Header=BB105_6 Depth=1
	s_wait_alu 0xfffe
	s_or_b32 exec_lo, exec_lo, s60
.LBB105_36:                             ;   in Loop: Header=BB105_6 Depth=1
	s_delay_alu instid0(SALU_CYCLE_1)
	s_or_b32 exec_lo, exec_lo, s59
.LBB105_37:                             ;   in Loop: Header=BB105_6 Depth=1
	s_wait_alu 0xfffe
	s_or_b32 exec_lo, exec_lo, s8
	s_and_saveexec_b32 s48, s0
	s_cbranch_execz .LBB105_45
; %bb.38:                               ;   in Loop: Header=BB105_6 Depth=1
	v_mad_co_u64_u32 v[27:28], null, s20, v70, 0
	v_mad_co_u64_u32 v[29:30], null, s20, v26, 0
	v_or_b32_e32 v38, 2, v70
	v_or_b32_e32 v39, 3, v70
	s_mul_u64 s[60:61], s[22:23], s[10:11]
	s_wait_alu 0xfffe
	s_lshl_b64 s[60:61], s[60:61], 3
	v_cmp_gt_i32_e64 s7, s9, v38
	s_delay_alu instid0(VALU_DEP_4)
	v_mad_co_u64_u32 v[31:32], null, s21, v70, v[28:29]
	v_mad_co_u64_u32 v[32:33], null, s20, v38, 0
	;; [unrolled: 1-line block ×3, first 2 shown]
	v_cndmask_b32_e32 v27, 0, v27, vcc_lo
	s_wait_alu 0xfffe
	s_add_nc_u64 s[60:61], s[16:17], s[60:61]
	s_delay_alu instid0(VALU_DEP_4) | instskip(SKIP_4) | instid1(VALU_DEP_2)
	v_cndmask_b32_e32 v28, 0, v31, vcc_lo
	v_cmp_gt_i32_e32 vcc_lo, s9, v26
	v_mov_b32_e32 v31, v33
	s_wait_alu 0xfffd
	v_cndmask_b32_e32 v29, 0, v29, vcc_lo
	v_mad_co_u64_u32 v[36:37], null, s21, v26, v[30:31]
	v_mov_b32_e32 v26, v35
	v_lshlrev_b64_e32 v[27:28], 3, v[27:28]
	s_delay_alu instid0(VALU_DEP_3) | instskip(SKIP_1) | instid1(VALU_DEP_2)
	v_cndmask_b32_e32 v30, 0, v36, vcc_lo
	s_wait_alu 0xfffe
	v_add_co_u32 v27, s8, s60, v27
	s_wait_alu 0xf1ff
	s_delay_alu instid0(VALU_DEP_3) | instskip(SKIP_1) | instid1(VALU_DEP_3)
	v_add_co_ci_u32_e64 v28, null, s61, v28, s8
	v_mad_co_u64_u32 v[37:38], null, s21, v38, v[31:32]
	v_add_co_u32 v52, vcc_lo, v27, v4
	s_wait_alu 0xfffd
	s_delay_alu instid0(VALU_DEP_3) | instskip(SKIP_4) | instid1(VALU_DEP_4)
	v_add_co_ci_u32_e64 v53, null, v28, v5, vcc_lo
	v_lshlrev_b64_e32 v[27:28], 3, v[29:30]
	v_cndmask_b32_e64 v29, 0, v32, s7
	v_cndmask_b32_e64 v30, 0, v37, s7
	v_cmp_gt_i32_e32 vcc_lo, s9, v39
	v_mad_co_u64_u32 v[31:32], null, s21, v39, v[26:27]
	v_add_co_u32 v32, s7, s60, v27
	s_wait_alu 0xf1ff
	v_add_co_ci_u32_e64 v33, null, s61, v28, s7
	v_lshlrev_b64_e32 v[26:27], 3, v[29:30]
	s_wait_alu 0xfffd
	s_delay_alu instid0(VALU_DEP_4) | instskip(SKIP_3) | instid1(VALU_DEP_3)
	v_dual_cndmask_b32 v28, 0, v34 :: v_dual_cndmask_b32 v29, 0, v31
	v_add_co_u32 v54, vcc_lo, v32, v4
	s_wait_alu 0xfffd
	v_add_co_ci_u32_e64 v55, null, v33, v5, vcc_lo
	v_lshlrev_b64_e32 v[28:29], 3, v[28:29]
	v_add_co_u32 v26, vcc_lo, s60, v26
	s_wait_alu 0xfffd
	v_add_co_ci_u32_e64 v27, null, s61, v27, vcc_lo
	s_delay_alu instid0(VALU_DEP_3)
	v_add_co_u32 v28, vcc_lo, s60, v28
	s_wait_alu 0xfffd
	v_add_co_ci_u32_e64 v29, null, s61, v29, vcc_lo
	v_add_co_u32 v56, vcc_lo, v26, v4
	s_wait_alu 0xfffd
	v_add_co_ci_u32_e64 v57, null, v27, v5, vcc_lo
	;; [unrolled: 3-line block ×3, first 2 shown]
	s_clause 0x3
	global_load_b64 v[32:33], v[52:53], off
	global_load_b64 v[30:31], v[54:55], off
	;; [unrolled: 1-line block ×4, first 2 shown]
	s_and_saveexec_b32 s7, s1
	s_cbranch_execz .LBB105_44
; %bb.39:                               ;   in Loop: Header=BB105_6 Depth=1
	s_clause 0x3
	global_load_b64 v[40:41], v[52:53], off offset:512
	global_load_b64 v[38:39], v[54:55], off offset:512
	global_load_b64 v[36:37], v[56:57], off offset:512
	global_load_b64 v[34:35], v[50:51], off offset:512
	s_and_saveexec_b32 s8, s2
	s_cbranch_execz .LBB105_43
; %bb.40:                               ;   in Loop: Header=BB105_6 Depth=1
	s_clause 0x3
	global_load_b64 v[48:49], v[52:53], off offset:1024
	global_load_b64 v[46:47], v[54:55], off offset:1024
	global_load_b64 v[44:45], v[56:57], off offset:1024
	global_load_b64 v[42:43], v[50:51], off offset:1024
	;; [unrolled: 8-line block ×3, first 2 shown]
	s_wait_loadcnt 0x2
	v_dual_mul_f32 v58, v19, v53 :: v_dual_mul_f32 v59, v21, v55
	v_mul_f32_e32 v53, v18, v53
	s_wait_loadcnt 0x1
	v_dual_mul_f32 v55, v20, v55 :: v_dual_mul_f32 v70, v23, v57
	s_delay_alu instid0(VALU_DEP_3)
	v_fma_f32 v58, v18, v52, -v58
	v_fma_f32 v59, v20, v54, -v59
	s_wait_loadcnt 0x0
	v_dual_fmac_f32 v53, v19, v52 :: v_dual_mul_f32 v52, v25, v51
	v_fmac_f32_e32 v55, v21, v54
	v_add_f32_e32 v10, v10, v58
	v_mul_f32_e32 v57, v22, v57
	v_mul_f32_e32 v51, v24, v51
	v_fma_f32 v52, v24, v50, -v52
	s_delay_alu instid0(VALU_DEP_4) | instskip(SKIP_3) | instid1(VALU_DEP_2)
	v_add_f32_e32 v10, v59, v10
	v_add_f32_e32 v11, v11, v53
	v_fma_f32 v53, v22, v56, -v70
	v_fmac_f32_e32 v51, v25, v50
	v_dual_add_f32 v10, v53, v10 :: v_dual_fmac_f32 v57, v23, v56
	s_delay_alu instid0(VALU_DEP_1) | instskip(NEXT) | instid1(VALU_DEP_1)
	v_dual_add_f32 v11, v55, v11 :: v_dual_add_f32 v10, v52, v10
	v_add_f32_e32 v11, v57, v11
	s_delay_alu instid0(VALU_DEP_1)
	v_add_f32_e32 v11, v51, v11
.LBB105_42:                             ;   in Loop: Header=BB105_6 Depth=1
	s_wait_alu 0xfffe
	s_or_b32 exec_lo, exec_lo, s49
	s_wait_loadcnt 0x2
	v_dual_mul_f32 v50, v19, v49 :: v_dual_mul_f32 v51, v21, v47
	v_mul_f32_e32 v49, v18, v49
	s_wait_loadcnt 0x1
	v_dual_mul_f32 v47, v20, v47 :: v_dual_mul_f32 v52, v23, v45
	s_delay_alu instid0(VALU_DEP_3)
	v_fma_f32 v50, v18, v48, -v50
	v_mul_f32_e32 v45, v22, v45
	v_fmac_f32_e32 v49, v19, v48
	v_fma_f32 v51, v20, v46, -v51
	s_wait_loadcnt 0x0
	v_mul_f32_e32 v48, v25, v43
	v_add_f32_e32 v12, v12, v50
	v_fmac_f32_e32 v47, v21, v46
	v_fma_f32 v46, v22, v44, -v52
	v_mul_f32_e32 v43, v24, v43
	v_fmac_f32_e32 v45, v23, v44
	v_dual_add_f32 v12, v51, v12 :: v_dual_add_f32 v13, v13, v49
	v_fma_f32 v44, v24, v42, -v48
	s_delay_alu instid0(VALU_DEP_2) | instskip(NEXT) | instid1(VALU_DEP_1)
	v_dual_fmac_f32 v43, v25, v42 :: v_dual_add_f32 v12, v46, v12
	v_dual_add_f32 v13, v47, v13 :: v_dual_add_f32 v12, v44, v12
	s_delay_alu instid0(VALU_DEP_1) | instskip(NEXT) | instid1(VALU_DEP_1)
	v_add_f32_e32 v13, v45, v13
	v_add_f32_e32 v13, v43, v13
.LBB105_43:                             ;   in Loop: Header=BB105_6 Depth=1
	s_wait_alu 0xfffe
	s_or_b32 exec_lo, exec_lo, s8
	s_wait_loadcnt 0x2
	v_dual_mul_f32 v42, v19, v41 :: v_dual_mul_f32 v43, v21, v39
	v_mul_f32_e32 v41, v18, v41
	s_wait_loadcnt 0x1
	v_dual_mul_f32 v39, v20, v39 :: v_dual_mul_f32 v44, v23, v37
	s_delay_alu instid0(VALU_DEP_3)
	v_fma_f32 v42, v18, v40, -v42
	v_fma_f32 v43, v20, v38, -v43
	s_wait_loadcnt 0x0
	v_dual_fmac_f32 v41, v19, v40 :: v_dual_mul_f32 v40, v25, v35
	v_fmac_f32_e32 v39, v21, v38
	v_add_f32_e32 v14, v14, v42
	v_mul_f32_e32 v37, v22, v37
	v_fma_f32 v38, v22, v36, -v44
	s_delay_alu instid0(VALU_DEP_3) | instskip(SKIP_1) | instid1(VALU_DEP_2)
	v_dual_mul_f32 v35, v24, v35 :: v_dual_add_f32 v14, v43, v14
	v_add_f32_e32 v15, v15, v41
	v_fmac_f32_e32 v35, v25, v34
	s_delay_alu instid0(VALU_DEP_3) | instskip(NEXT) | instid1(VALU_DEP_3)
	v_dual_add_f32 v14, v38, v14 :: v_dual_fmac_f32 v37, v23, v36
	v_add_f32_e32 v15, v39, v15
	v_fma_f32 v36, v24, v34, -v40
	s_delay_alu instid0(VALU_DEP_1) | instskip(NEXT) | instid1(VALU_DEP_1)
	v_dual_add_f32 v14, v36, v14 :: v_dual_add_f32 v15, v37, v15
	v_add_f32_e32 v15, v35, v15
.LBB105_44:                             ;   in Loop: Header=BB105_6 Depth=1
	s_wait_alu 0xfffe
	s_or_b32 exec_lo, exec_lo, s7
	s_wait_loadcnt 0x2
	v_dual_mul_f32 v34, v19, v33 :: v_dual_mul_f32 v35, v21, v31
	v_mul_f32_e32 v33, v18, v33
	s_wait_loadcnt 0x1
	v_dual_mul_f32 v31, v20, v31 :: v_dual_mul_f32 v36, v23, v29
	s_delay_alu instid0(VALU_DEP_3) | instskip(SKIP_2) | instid1(VALU_DEP_3)
	v_fma_f32 v18, v18, v32, -v34
	v_mul_f32_e32 v29, v22, v29
	v_fma_f32 v20, v20, v30, -v35
	v_add_f32_e32 v16, v16, v18
	s_wait_loadcnt 0x0
	v_dual_mul_f32 v18, v24, v27 :: v_dual_fmac_f32 v33, v19, v32
	v_mul_f32_e32 v19, v25, v27
	v_fmac_f32_e32 v29, v23, v28
	v_add_f32_e32 v16, v20, v16
	s_delay_alu instid0(VALU_DEP_4) | instskip(SKIP_4) | instid1(VALU_DEP_1)
	v_fmac_f32_e32 v18, v25, v26
	v_add_f32_e32 v17, v17, v33
	v_fma_f32 v19, v24, v26, -v19
	v_fmac_f32_e32 v31, v21, v30
	v_fma_f32 v21, v22, v28, -v36
	v_add_f32_e32 v16, v21, v16
	s_delay_alu instid0(VALU_DEP_1) | instskip(NEXT) | instid1(VALU_DEP_4)
	v_add_f32_e32 v16, v19, v16
	v_add_f32_e32 v17, v31, v17
	s_delay_alu instid0(VALU_DEP_1) | instskip(NEXT) | instid1(VALU_DEP_1)
	v_add_f32_e32 v17, v29, v17
	v_add_f32_e32 v17, v18, v17
.LBB105_45:                             ;   in Loop: Header=BB105_6 Depth=1
	s_wait_alu 0xfffe
	s_or_b32 exec_lo, exec_lo, s48
.LBB105_46:                             ;   in Loop: Header=BB105_6 Depth=1
	ds_store_2addr_stride64_b64 v0, v[16:17], v[14:15] offset1:1
	ds_store_2addr_stride64_b64 v0, v[12:13], v[10:11] offset0:2 offset1:3
	s_wait_storecnt 0x0
	s_wait_loadcnt_dscnt 0x0
	s_barrier_signal -1
	s_barrier_wait -1
	global_inv scope:SCOPE_SE
	s_and_saveexec_b32 s7, s5
	s_cbranch_execz .LBB105_4
; %bb.47:                               ;   in Loop: Header=BB105_6 Depth=1
	ds_load_2addr_stride64_b64 v[10:13], v61 offset1:4
	ds_load_2addr_stride64_b64 v[14:17], v61 offset0:8 offset1:12
	s_wait_dscnt 0x1
	v_dual_add_f32 v10, v10, v12 :: v_dual_add_f32 v11, v11, v13
	s_wait_dscnt 0x0
	s_delay_alu instid0(VALU_DEP_1) | instskip(NEXT) | instid1(VALU_DEP_1)
	v_dual_add_f32 v10, v10, v14 :: v_dual_add_f32 v11, v11, v15
	v_dual_add_f32 v12, v10, v16 :: v_dual_add_f32 v13, v11, v17
	ds_store_b64 v61, v[12:13]
	s_and_b32 exec_lo, exec_lo, s6
	s_cbranch_execz .LBB105_4
; %bb.48:                               ;   in Loop: Header=BB105_6 Depth=1
	s_cmp_neq_f32 s55, 0
	v_mul_f32_e32 v11, s57, v13
	v_mul_f32_e32 v10, s58, v13
	s_cselect_b32 s8, -1, 0
	s_cmp_neq_f32 s56, 0
	s_delay_alu instid0(VALU_DEP_2) | instskip(NEXT) | instid1(VALU_DEP_2)
	v_fmac_f32_e32 v11, s58, v12
	v_fma_f32 v10, v12, s57, -v10
	s_cselect_b32 s48, -1, 0
	s_wait_alu 0xfffe
	s_or_b32 s8, s8, s48
	s_wait_alu 0xfffe
	s_and_not1_b32 vcc_lo, exec_lo, s8
	s_wait_alu 0xfffe
	s_cbranch_vccnz .LBB105_3
; %bb.49:                               ;   in Loop: Header=BB105_6 Depth=1
	v_add_co_u32 v12, vcc_lo, s46, v8
	s_wait_alu 0xfffd
	v_add_co_ci_u32_e64 v13, null, s47, v9, vcc_lo
	global_load_b64 v[12:13], v[12:13], off
	s_wait_loadcnt 0x0
	v_mul_f32_e32 v14, s56, v13
	v_mul_f32_e32 v13, s55, v13
	s_delay_alu instid0(VALU_DEP_1) | instskip(NEXT) | instid1(VALU_DEP_3)
	v_fmac_f32_e32 v13, s56, v12
	v_fma_f32 v14, s55, v12, -v14
	s_delay_alu instid0(VALU_DEP_1)
	v_dual_add_f32 v11, v11, v13 :: v_dual_add_f32 v10, v10, v14
	s_branch .LBB105_3
.LBB105_50:
	s_endpgm
	.section	.rodata,"a",@progbits
	.p2align	6, 0x0
	.amdhsa_kernel _ZL20rocblas_gemvn_kernelILi64ELi4El19rocblas_complex_numIfEPKS1_S1_EviiT3_lPKT2_lT1_lS7_lS8_lS4_lPT4_lS8_li
		.amdhsa_group_segment_fixed_size 8192
		.amdhsa_private_segment_fixed_size 0
		.amdhsa_kernarg_size 400
		.amdhsa_user_sgpr_count 2
		.amdhsa_user_sgpr_dispatch_ptr 0
		.amdhsa_user_sgpr_queue_ptr 0
		.amdhsa_user_sgpr_kernarg_segment_ptr 1
		.amdhsa_user_sgpr_dispatch_id 0
		.amdhsa_user_sgpr_private_segment_size 0
		.amdhsa_wavefront_size32 1
		.amdhsa_uses_dynamic_stack 0
		.amdhsa_enable_private_segment 0
		.amdhsa_system_sgpr_workgroup_id_x 1
		.amdhsa_system_sgpr_workgroup_id_y 0
		.amdhsa_system_sgpr_workgroup_id_z 1
		.amdhsa_system_sgpr_workgroup_info 0
		.amdhsa_system_vgpr_workitem_id 1
		.amdhsa_next_free_vgpr 82
		.amdhsa_next_free_sgpr 62
		.amdhsa_reserve_vcc 1
		.amdhsa_float_round_mode_32 0
		.amdhsa_float_round_mode_16_64 0
		.amdhsa_float_denorm_mode_32 3
		.amdhsa_float_denorm_mode_16_64 3
		.amdhsa_fp16_overflow 0
		.amdhsa_workgroup_processor_mode 1
		.amdhsa_memory_ordered 1
		.amdhsa_forward_progress 1
		.amdhsa_inst_pref_size 35
		.amdhsa_round_robin_scheduling 0
		.amdhsa_exception_fp_ieee_invalid_op 0
		.amdhsa_exception_fp_denorm_src 0
		.amdhsa_exception_fp_ieee_div_zero 0
		.amdhsa_exception_fp_ieee_overflow 0
		.amdhsa_exception_fp_ieee_underflow 0
		.amdhsa_exception_fp_ieee_inexact 0
		.amdhsa_exception_int_div_zero 0
	.end_amdhsa_kernel
	.section	.text._ZL20rocblas_gemvn_kernelILi64ELi4El19rocblas_complex_numIfEPKS1_S1_EviiT3_lPKT2_lT1_lS7_lS8_lS4_lPT4_lS8_li,"axG",@progbits,_ZL20rocblas_gemvn_kernelILi64ELi4El19rocblas_complex_numIfEPKS1_S1_EviiT3_lPKT2_lT1_lS7_lS8_lS4_lPT4_lS8_li,comdat
.Lfunc_end105:
	.size	_ZL20rocblas_gemvn_kernelILi64ELi4El19rocblas_complex_numIfEPKS1_S1_EviiT3_lPKT2_lT1_lS7_lS8_lS4_lPT4_lS8_li, .Lfunc_end105-_ZL20rocblas_gemvn_kernelILi64ELi4El19rocblas_complex_numIfEPKS1_S1_EviiT3_lPKT2_lT1_lS7_lS8_lS4_lPT4_lS8_li
                                        ; -- End function
	.set _ZL20rocblas_gemvn_kernelILi64ELi4El19rocblas_complex_numIfEPKS1_S1_EviiT3_lPKT2_lT1_lS7_lS8_lS4_lPT4_lS8_li.num_vgpr, 82
	.set _ZL20rocblas_gemvn_kernelILi64ELi4El19rocblas_complex_numIfEPKS1_S1_EviiT3_lPKT2_lT1_lS7_lS8_lS4_lPT4_lS8_li.num_agpr, 0
	.set _ZL20rocblas_gemvn_kernelILi64ELi4El19rocblas_complex_numIfEPKS1_S1_EviiT3_lPKT2_lT1_lS7_lS8_lS4_lPT4_lS8_li.numbered_sgpr, 62
	.set _ZL20rocblas_gemvn_kernelILi64ELi4El19rocblas_complex_numIfEPKS1_S1_EviiT3_lPKT2_lT1_lS7_lS8_lS4_lPT4_lS8_li.num_named_barrier, 0
	.set _ZL20rocblas_gemvn_kernelILi64ELi4El19rocblas_complex_numIfEPKS1_S1_EviiT3_lPKT2_lT1_lS7_lS8_lS4_lPT4_lS8_li.private_seg_size, 0
	.set _ZL20rocblas_gemvn_kernelILi64ELi4El19rocblas_complex_numIfEPKS1_S1_EviiT3_lPKT2_lT1_lS7_lS8_lS4_lPT4_lS8_li.uses_vcc, 1
	.set _ZL20rocblas_gemvn_kernelILi64ELi4El19rocblas_complex_numIfEPKS1_S1_EviiT3_lPKT2_lT1_lS7_lS8_lS4_lPT4_lS8_li.uses_flat_scratch, 0
	.set _ZL20rocblas_gemvn_kernelILi64ELi4El19rocblas_complex_numIfEPKS1_S1_EviiT3_lPKT2_lT1_lS7_lS8_lS4_lPT4_lS8_li.has_dyn_sized_stack, 0
	.set _ZL20rocblas_gemvn_kernelILi64ELi4El19rocblas_complex_numIfEPKS1_S1_EviiT3_lPKT2_lT1_lS7_lS8_lS4_lPT4_lS8_li.has_recursion, 0
	.set _ZL20rocblas_gemvn_kernelILi64ELi4El19rocblas_complex_numIfEPKS1_S1_EviiT3_lPKT2_lT1_lS7_lS8_lS4_lPT4_lS8_li.has_indirect_call, 0
	.section	.AMDGPU.csdata,"",@progbits
; Kernel info:
; codeLenInByte = 4420
; TotalNumSgprs: 64
; NumVgprs: 82
; ScratchSize: 0
; MemoryBound: 0
; FloatMode: 240
; IeeeMode: 1
; LDSByteSize: 8192 bytes/workgroup (compile time only)
; SGPRBlocks: 0
; VGPRBlocks: 10
; NumSGPRsForWavesPerEU: 64
; NumVGPRsForWavesPerEU: 82
; Occupancy: 16
; WaveLimiterHint : 1
; COMPUTE_PGM_RSRC2:SCRATCH_EN: 0
; COMPUTE_PGM_RSRC2:USER_SGPR: 2
; COMPUTE_PGM_RSRC2:TRAP_HANDLER: 0
; COMPUTE_PGM_RSRC2:TGID_X_EN: 1
; COMPUTE_PGM_RSRC2:TGID_Y_EN: 0
; COMPUTE_PGM_RSRC2:TGID_Z_EN: 1
; COMPUTE_PGM_RSRC2:TIDIG_COMP_CNT: 1
	.section	.text._ZL20rocblas_gemvn_kernelILi64ELi4Ei19rocblas_complex_numIfES1_S1_EviiT3_lPKT2_lT1_lS5_lS6_lS2_lPT4_lS6_li,"axG",@progbits,_ZL20rocblas_gemvn_kernelILi64ELi4Ei19rocblas_complex_numIfES1_S1_EviiT3_lPKT2_lT1_lS5_lS6_lS2_lPT4_lS6_li,comdat
	.globl	_ZL20rocblas_gemvn_kernelILi64ELi4Ei19rocblas_complex_numIfES1_S1_EviiT3_lPKT2_lT1_lS5_lS6_lS2_lPT4_lS6_li ; -- Begin function _ZL20rocblas_gemvn_kernelILi64ELi4Ei19rocblas_complex_numIfES1_S1_EviiT3_lPKT2_lT1_lS5_lS6_lS2_lPT4_lS6_li
	.p2align	8
	.type	_ZL20rocblas_gemvn_kernelILi64ELi4Ei19rocblas_complex_numIfES1_S1_EviiT3_lPKT2_lT1_lS5_lS6_lS2_lPT4_lS6_li,@function
_ZL20rocblas_gemvn_kernelILi64ELi4Ei19rocblas_complex_numIfES1_S1_EviiT3_lPKT2_lT1_lS5_lS6_lS2_lPT4_lS6_li: ; @_ZL20rocblas_gemvn_kernelILi64ELi4Ei19rocblas_complex_numIfES1_S1_EviiT3_lPKT2_lT1_lS5_lS6_lS2_lPT4_lS6_li
; %bb.0:
	s_load_b64 s[2:3], s[0:1], 0x9c
	s_wait_kmcnt 0x0
	s_lshr_b32 s4, s2, 16
	s_and_b32 s2, s2, 0xffff
	s_and_b32 s3, s3, 0xffff
	s_mul_i32 s2, s4, s2
	s_delay_alu instid0(SALU_CYCLE_1) | instskip(NEXT) | instid1(SALU_CYCLE_1)
	s_mul_i32 s2, s2, s3
	s_cmp_lg_u32 s2, 0x100
	s_cbranch_scc1 .LBB106_48
; %bb.1:
	s_load_b32 s27, s[0:1], 0x88
	s_lshr_b32 s28, ttmp7, 16
	s_wait_kmcnt 0x0
	s_cmp_ge_u32 s28, s27
	s_cbranch_scc1 .LBB106_48
; %bb.2:
	s_clause 0x7
	s_load_b128 s[4:7], s[0:1], 0x18
	s_load_b96 s[24:26], s[0:1], 0x40
	s_load_b128 s[20:23], s[0:1], 0x68
	s_load_b32 s36, s[0:1], 0x78
	s_load_b128 s[8:11], s[0:1], 0x0
	s_load_b128 s[12:15], s[0:1], 0x50
	s_load_b32 s33, s[0:1], 0x28
	s_load_b128 s[16:19], s[0:1], 0x30
	v_and_b32_e32 v3, 0x3ff, v0
	v_bfe_u32 v2, v0, 10, 10
	v_mov_b32_e32 v1, 0
	s_mov_b32 s29, 0
	s_delay_alu instid0(VALU_DEP_3) | instskip(NEXT) | instid1(VALU_DEP_3)
	v_lshlrev_b32_e32 v0, 3, v3
	v_lshl_add_u32 v4, v2, 6, v3
	v_lshlrev_b32_e32 v55, 2, v2
	s_delay_alu instid0(VALU_DEP_3)
	v_lshl_add_u32 v56, v2, 11, v0
	v_lshl_add_u32 v57, v2, 9, v0
	s_wait_kmcnt 0x0
	s_lshl_b64 s[2:3], s[6:7], 3
	s_lshl_b64 s[6:7], s[24:25], 3
	;; [unrolled: 1-line block ×3, first 2 shown]
	s_ashr_i32 s37, s36, 31
	s_cmp_neq_f32 s10, 0
	s_load_b64 s[22:23], s[0:1], 0x80
	s_mov_b32 s34, s8
	v_mul_lo_u32 v8, s33, v55
	s_cselect_b32 s0, -1, 0
	s_cmp_neq_f32 s11, 0
	s_add_nc_u64 s[24:25], s[4:5], s[2:3]
	v_mul_lo_u32 v11, v2, s26
	s_add_nc_u64 s[20:21], s[20:21], s[30:31]
	s_cselect_b32 s1, -1, 0
	s_mov_b32 s30, s26
	s_or_b32 s42, s0, s1
	s_cmp_neq_f32 s14, 1.0
	v_cmp_gt_u32_e64 s0, 0x100, v4
	v_add3_u32 v59, v8, s33, v3
	v_or_b32_e32 v8, 3, v55
	s_cselect_b32 s43, -1, 0
	s_cmp_neq_f32 s15, 0
	s_add_nc_u64 s[18:19], s[18:19], s[6:7]
	v_lshlrev_b32_e32 v63, 2, v11
	v_mul_lo_u32 v62, s26, v8
	s_cselect_b32 s44, -1, 0
	s_or_b32 s1, s10, s11
	s_delay_alu instid0(SALU_CYCLE_1) | instskip(NEXT) | instid1(SALU_CYCLE_1)
	s_bitset0_b32 s1, 31
	s_cmp_eq_u32 s1, 0
	s_cselect_b32 s38, -1, 0
	s_lshl_b32 s39, ttmp9, 8
	s_ashr_i32 s35, s8, 31
	v_add_nc_u32_e32 v0, s39, v4
	v_or_b32_e32 v6, s39, v4
	v_or_b32_e32 v58, s39, v3
	s_cmp_neq_f32 s14, 0
	s_delay_alu instid0(VALU_DEP_3)
	v_mad_co_u64_u32 v[4:5], null, s36, v0, 0
	v_cmp_gt_i64_e32 vcc_lo, s[34:35], v[0:1]
	s_cselect_b32 s1, -1, 0
	s_ashr_i32 s2, s9, 31
	v_add_nc_u32_e32 v9, 0x80, v58
	s_lshr_b32 s3, s2, 28
	v_cmp_gt_i32_e64 s2, s8, v6
	s_delay_alu instid0(VALU_DEP_4)
	v_mov_b32_e32 v1, v5
	v_mul_lo_u32 v6, s36, v6
	v_add_nc_u32_e32 v7, 64, v58
	v_cmp_gt_i32_e64 s4, s8, v9
	v_or_b32_e32 v9, 2, v55
	v_mad_co_u64_u32 v[0:1], null, s37, v0, v[1:2]
	v_add_nc_u32_e32 v10, 0xc0, v58
	s_add_co_i32 s3, s9, s3
	s_delay_alu instid0(VALU_DEP_3)
	v_mul_lo_u32 v61, s26, v9
	s_and_b32 s41, s3, -16
	v_cmp_gt_i32_e64 s3, s8, v7
	v_ashrrev_i32_e32 v7, 31, v6
	v_mov_b32_e32 v5, v0
	v_cmp_gt_i32_e64 s5, s8, v10
	v_mul_lo_u32 v10, v2, s33
	v_mad_co_u64_u32 v[0:1], null, s33, v9, v[3:4]
	v_mad_co_u64_u32 v[1:2], null, s33, v8, v[3:4]
	s_sub_co_i32 s7, s9, s41
	s_or_b32 s40, s1, s44
	s_cmp_gt_i32 s7, 0
	v_lshl_add_u32 v60, v10, 2, v3
	v_mad_co_u64_u32 v[2:3], null, s26, v55, s[30:31]
	v_lshlrev_b64_e32 v[3:4], 3, v[4:5]
	v_lshlrev_b64_e32 v[5:6], 3, v[6:7]
	v_cmp_gt_i32_e64 s1, s8, v58
	v_cmp_gt_i32_e64 s6, s41, v55
	s_cselect_b32 s8, -1, 0
	s_or_b32 s7, s42, s43
	s_and_b32 s43, s0, vcc_lo
	s_or_b32 s42, s7, s44
	s_lshl_b32 s44, s33, 4
	s_lshl_b32 s45, s26, 4
	s_branch .LBB106_6
.LBB106_3:                              ;   in Loop: Header=BB106_6 Depth=1
	v_add_co_u32 v9, vcc_lo, s30, v5
	s_wait_alu 0xfffd
	v_add_co_ci_u32_e64 v10, null, s31, v6, vcc_lo
	global_store_b64 v[9:10], v[7:8], off
.LBB106_4:                              ;   in Loop: Header=BB106_6 Depth=1
	s_wait_alu 0xfffe
	s_or_b32 exec_lo, exec_lo, s7
.LBB106_5:                              ;   in Loop: Header=BB106_6 Depth=1
	s_add_co_i32 s28, s28, 0x10000
	s_delay_alu instid0(SALU_CYCLE_1)
	s_cmp_lt_u32 s28, s27
	s_cbranch_scc0 .LBB106_48
.LBB106_6:                              ; =>This Loop Header: Depth=1
                                        ;     Child Loop BB106_20 Depth 2
	s_and_not1_b32 vcc_lo, exec_lo, s42
	s_wait_alu 0xfffe
	s_cbranch_vccnz .LBB106_5
; %bb.7:                                ;   in Loop: Header=BB106_6 Depth=1
	s_wait_kmcnt 0x0
	s_mul_u64 s[30:31], s[22:23], s[28:29]
	s_and_not1_b32 vcc_lo, exec_lo, s38
	s_wait_alu 0xfffe
	s_lshl_b64 s[30:31], s[30:31], 3
	s_mov_b32 s7, -1
	s_wait_alu 0xfffe
	s_add_nc_u64 s[30:31], s[20:21], s[30:31]
	s_cbranch_vccnz .LBB106_13
; %bb.8:                                ;   in Loop: Header=BB106_6 Depth=1
	s_and_saveexec_b32 s7, s43
	s_cbranch_execz .LBB106_12
; %bb.9:                                ;   in Loop: Header=BB106_6 Depth=1
	v_dual_mov_b32 v7, 0 :: v_dual_mov_b32 v8, 0
	s_and_not1_b32 vcc_lo, exec_lo, s40
	s_wait_alu 0xfffe
	s_cbranch_vccnz .LBB106_11
; %bb.10:                               ;   in Loop: Header=BB106_6 Depth=1
	v_add_co_u32 v7, vcc_lo, s30, v3
	s_wait_alu 0xfffd
	v_add_co_ci_u32_e64 v8, null, s31, v4, vcc_lo
	global_load_b64 v[9:10], v[7:8], off
	s_wait_loadcnt 0x0
	v_mul_f32_e32 v8, s14, v10
	s_delay_alu instid0(VALU_DEP_1) | instskip(NEXT) | instid1(VALU_DEP_1)
	v_dual_mul_f32 v7, s15, v10 :: v_dual_fmac_f32 v8, s15, v9
	v_fma_f32 v7, s14, v9, -v7
.LBB106_11:                             ;   in Loop: Header=BB106_6 Depth=1
	v_add_co_u32 v9, vcc_lo, s30, v3
	s_wait_alu 0xfffd
	v_add_co_ci_u32_e64 v10, null, s31, v4, vcc_lo
	global_store_b64 v[9:10], v[7:8], off
.LBB106_12:                             ;   in Loop: Header=BB106_6 Depth=1
	s_wait_alu 0xfffe
	s_or_b32 exec_lo, exec_lo, s7
	s_mov_b32 s7, 0
.LBB106_13:                             ;   in Loop: Header=BB106_6 Depth=1
	s_wait_alu 0xfffe
	s_and_not1_b32 vcc_lo, exec_lo, s7
	s_wait_alu 0xfffe
	s_cbranch_vccnz .LBB106_5
; %bb.14:                               ;   in Loop: Header=BB106_6 Depth=1
	s_mul_u64 s[34:35], s[16:17], s[28:29]
	s_mul_u64 s[36:37], s[12:13], s[28:29]
	v_dual_mov_b32 v8, 0 :: v_dual_mov_b32 v7, 0
	v_dual_mov_b32 v64, v55 :: v_dual_mov_b32 v9, 0
	;; [unrolled: 1-line block ×4, first 2 shown]
	v_mov_b32_e32 v14, 0
	s_wait_alu 0xfffe
	s_lshl_b64 s[34:35], s[34:35], 3
	s_lshl_b64 s[36:37], s[36:37], 3
	s_wait_alu 0xfffe
	s_add_nc_u64 s[34:35], s[24:25], s[34:35]
	s_add_nc_u64 s[36:37], s[18:19], s[36:37]
	s_and_saveexec_b32 s7, s6
	s_cbranch_execz .LBB106_26
; %bb.15:                               ;   in Loop: Header=BB106_6 Depth=1
	v_dual_mov_b32 v8, 0 :: v_dual_mov_b32 v65, v60
	v_dual_mov_b32 v66, v1 :: v_dual_mov_b32 v67, v0
	s_delay_alu instid0(VALU_DEP_2)
	v_dual_mov_b32 v68, v59 :: v_dual_mov_b32 v7, v8
	v_dual_mov_b32 v64, v55 :: v_dual_mov_b32 v9, v8
	;; [unrolled: 1-line block ×4, first 2 shown]
	v_mov_b32_e32 v14, v8
	s_mov_b32 s46, 0
	s_mov_b32 s47, 0
	s_branch .LBB106_20
.LBB106_16:                             ;   in Loop: Header=BB106_20 Depth=2
	s_or_b32 exec_lo, exec_lo, s51
	s_wait_loadcnt 0x3
	v_mul_f32_e32 v47, v28, v46
	v_mul_f32_e32 v46, v27, v46
	s_wait_loadcnt 0x1
	v_dual_mul_f32 v48, v24, v44 :: v_dual_mul_f32 v49, v18, v42
	v_mul_f32_e32 v44, v23, v44
	v_fma_f32 v47, v27, v45, -v47
	v_fmac_f32_e32 v46, v28, v45
	s_delay_alu instid0(VALU_DEP_4) | instskip(SKIP_4) | instid1(VALU_DEP_2)
	v_fma_f32 v48, v23, v43, -v48
	s_wait_loadcnt 0x0
	v_mul_f32_e32 v45, v16, v40
	v_dual_mul_f32 v40, v15, v40 :: v_dual_add_f32 v9, v9, v47
	v_mul_f32_e32 v42, v17, v42
	v_fmac_f32_e32 v40, v16, v39
	s_delay_alu instid0(VALU_DEP_3) | instskip(SKIP_4) | instid1(VALU_DEP_3)
	v_add_f32_e32 v9, v48, v9
	v_fmac_f32_e32 v44, v24, v43
	v_fma_f32 v43, v17, v41, -v49
	v_fmac_f32_e32 v42, v18, v41
	v_fma_f32 v41, v15, v39, -v45
	v_dual_add_f32 v9, v43, v9 :: v_dual_add_f32 v10, v10, v46
	s_delay_alu instid0(VALU_DEP_1) | instskip(NEXT) | instid1(VALU_DEP_1)
	v_dual_add_f32 v9, v41, v9 :: v_dual_add_f32 v10, v44, v10
	v_add_f32_e32 v10, v42, v10
	s_delay_alu instid0(VALU_DEP_1)
	v_add_f32_e32 v10, v40, v10
.LBB106_17:                             ;   in Loop: Header=BB106_20 Depth=2
	s_or_b32 exec_lo, exec_lo, s50
	s_wait_loadcnt 0x3
	v_mul_f32_e32 v39, v28, v38
	s_wait_loadcnt 0x1
	v_dual_mul_f32 v40, v24, v36 :: v_dual_mul_f32 v41, v18, v34
	v_mul_f32_e32 v36, v23, v36
	v_mul_f32_e32 v38, v27, v38
	v_fma_f32 v39, v27, v37, -v39
	v_mul_f32_e32 v34, v17, v34
	v_fma_f32 v40, v23, v35, -v40
	v_fmac_f32_e32 v36, v24, v35
	v_fma_f32 v35, v17, v33, -v41
	s_delay_alu instid0(VALU_DEP_4) | instskip(NEXT) | instid1(VALU_DEP_1)
	v_dual_add_f32 v11, v11, v39 :: v_dual_fmac_f32 v34, v18, v33
	v_add_f32_e32 v11, v40, v11
	v_fmac_f32_e32 v38, v28, v37
	s_wait_loadcnt 0x0
	v_mul_f32_e32 v37, v16, v32
	v_mul_f32_e32 v32, v15, v32
	v_add_f32_e32 v11, v35, v11
	s_delay_alu instid0(VALU_DEP_3) | instskip(SKIP_1) | instid1(VALU_DEP_4)
	v_fma_f32 v33, v15, v31, -v37
	v_add_f32_e32 v12, v12, v38
	v_fmac_f32_e32 v32, v16, v31
	s_delay_alu instid0(VALU_DEP_2) | instskip(NEXT) | instid1(VALU_DEP_1)
	v_dual_add_f32 v11, v33, v11 :: v_dual_add_f32 v12, v36, v12
	v_add_f32_e32 v12, v34, v12
	s_delay_alu instid0(VALU_DEP_1)
	v_add_f32_e32 v12, v32, v12
.LBB106_18:                             ;   in Loop: Header=BB106_20 Depth=2
	s_or_b32 exec_lo, exec_lo, s49
	s_wait_loadcnt 0x3
	v_mul_f32_e32 v31, v28, v30
	v_mul_f32_e32 v30, v27, v30
	s_wait_loadcnt 0x1
	s_delay_alu instid0(VALU_DEP_1)
	v_dual_mul_f32 v33, v18, v22 :: v_dual_fmac_f32 v30, v28, v29
	s_wait_loadcnt 0x0
	v_mul_f32_e32 v28, v16, v20
	v_mul_f32_e32 v20, v15, v20
	v_fma_f32 v27, v27, v29, -v31
	v_add_f32_e32 v14, v14, v30
	s_delay_alu instid0(VALU_DEP_4) | instskip(SKIP_1) | instid1(VALU_DEP_4)
	v_fma_f32 v15, v15, v19, -v28
	v_mul_f32_e32 v22, v17, v22
	v_dual_add_f32 v13, v13, v27 :: v_dual_mul_f32 v32, v24, v26
	v_fma_f32 v17, v17, v21, -v33
	v_mul_f32_e32 v26, v23, v26
	v_fmac_f32_e32 v20, v16, v19
	s_delay_alu instid0(VALU_DEP_4) | instskip(NEXT) | instid1(VALU_DEP_1)
	v_fma_f32 v23, v23, v25, -v32
	v_add_f32_e32 v13, v23, v13
	s_delay_alu instid0(VALU_DEP_1) | instskip(SKIP_1) | instid1(VALU_DEP_2)
	v_add_f32_e32 v13, v17, v13
	v_fmac_f32_e32 v26, v24, v25
	v_add_f32_e32 v13, v15, v13
	v_fmac_f32_e32 v22, v18, v21
	s_delay_alu instid0(VALU_DEP_3) | instskip(NEXT) | instid1(VALU_DEP_1)
	v_add_f32_e32 v14, v26, v14
	v_add_f32_e32 v14, v22, v14
	s_delay_alu instid0(VALU_DEP_1)
	v_add_f32_e32 v14, v20, v14
.LBB106_19:                             ;   in Loop: Header=BB106_20 Depth=2
	s_or_b32 exec_lo, exec_lo, s48
	v_add_nc_u32_e32 v64, 16, v64
	v_add_nc_u32_e32 v68, s44, v68
	;; [unrolled: 1-line block ×5, first 2 shown]
	v_cmp_le_i32_e32 vcc_lo, s41, v64
	s_wait_alu 0xfffe
	s_add_co_i32 s47, s47, s45
	s_or_b32 s46, vcc_lo, s46
	s_wait_alu 0xfffe
	s_and_not1_b32 exec_lo, exec_lo, s46
	s_cbranch_execz .LBB106_25
.LBB106_20:                             ;   Parent Loop BB106_6 Depth=1
                                        ; =>  This Inner Loop Header: Depth=2
	s_and_saveexec_b32 s48, s1
	s_cbranch_execz .LBB106_19
; %bb.21:                               ;   in Loop: Header=BB106_20 Depth=2
	s_wait_alu 0xfffe
	v_add_nc_u32_e32 v15, s47, v63
	v_add_nc_u32_e32 v17, s47, v2
	;; [unrolled: 1-line block ×5, first 2 shown]
	v_ashrrev_i32_e32 v16, 31, v15
	v_ashrrev_i32_e32 v18, 31, v17
	;; [unrolled: 1-line block ×3, first 2 shown]
	v_add_nc_u32_e32 v25, s39, v68
	v_ashrrev_i32_e32 v22, 31, v21
	v_lshlrev_b64_e32 v[15:16], 3, v[15:16]
	v_lshlrev_b64_e32 v[17:18], 3, v[17:18]
	v_ashrrev_i32_e32 v24, 31, v23
	v_lshlrev_b64_e32 v[19:20], 3, v[19:20]
	v_ashrrev_i32_e32 v26, 31, v25
	v_lshlrev_b64_e32 v[21:22], 3, v[21:22]
	v_add_co_u32 v15, vcc_lo, s36, v15
	v_add_nc_u32_e32 v27, s39, v67
	s_wait_alu 0xfffd
	v_add_co_ci_u32_e64 v16, null, s37, v16, vcc_lo
	v_add_co_u32 v17, vcc_lo, s36, v17
	v_lshlrev_b64_e32 v[23:24], 3, v[23:24]
	v_add_nc_u32_e32 v29, s39, v66
	s_wait_alu 0xfffd
	v_add_co_ci_u32_e64 v18, null, s37, v18, vcc_lo
	v_add_co_u32 v19, vcc_lo, s36, v19
	v_lshlrev_b64_e32 v[25:26], 3, v[25:26]
	v_ashrrev_i32_e32 v28, 31, v27
	s_wait_alu 0xfffd
	v_add_co_ci_u32_e64 v20, null, s37, v20, vcc_lo
	v_add_co_u32 v21, vcc_lo, s36, v21
	v_ashrrev_i32_e32 v30, 31, v29
	s_wait_alu 0xfffd
	v_add_co_ci_u32_e64 v22, null, s37, v22, vcc_lo
	v_add_co_u32 v53, vcc_lo, s34, v23
	s_wait_alu 0xfffd
	v_add_co_ci_u32_e64 v54, null, s35, v24, vcc_lo
	v_lshlrev_b64_e32 v[23:24], 3, v[27:28]
	v_add_co_u32 v51, vcc_lo, s34, v25
	s_wait_alu 0xfffd
	v_add_co_ci_u32_e64 v52, null, s35, v26, vcc_lo
	v_lshlrev_b64_e32 v[25:26], 3, v[29:30]
	s_delay_alu instid0(VALU_DEP_4) | instskip(SKIP_2) | instid1(VALU_DEP_3)
	v_add_co_u32 v49, vcc_lo, s34, v23
	s_wait_alu 0xfffd
	v_add_co_ci_u32_e64 v50, null, s35, v24, vcc_lo
	v_add_co_u32 v47, vcc_lo, s34, v25
	s_wait_alu 0xfffd
	v_add_co_ci_u32_e64 v48, null, s35, v26, vcc_lo
	s_clause 0x3
	global_load_b64 v[27:28], v[15:16], off
	global_load_b64 v[23:24], v[17:18], off
	global_load_b64 v[17:18], v[19:20], off
	global_load_b64 v[15:16], v[21:22], off
	s_clause 0x3
	global_load_b64 v[29:30], v[53:54], off
	global_load_b64 v[25:26], v[51:52], off
	;; [unrolled: 1-line block ×4, first 2 shown]
	s_and_saveexec_b32 s49, s3
	s_cbranch_execz .LBB106_18
; %bb.22:                               ;   in Loop: Header=BB106_20 Depth=2
	s_clause 0x3
	global_load_b64 v[37:38], v[53:54], off offset:512
	global_load_b64 v[35:36], v[51:52], off offset:512
	global_load_b64 v[33:34], v[49:50], off offset:512
	global_load_b64 v[31:32], v[47:48], off offset:512
	s_and_saveexec_b32 s50, s4
	s_cbranch_execz .LBB106_17
; %bb.23:                               ;   in Loop: Header=BB106_20 Depth=2
	s_clause 0x3
	global_load_b64 v[45:46], v[53:54], off offset:1024
	global_load_b64 v[43:44], v[51:52], off offset:1024
	global_load_b64 v[41:42], v[49:50], off offset:1024
	global_load_b64 v[39:40], v[47:48], off offset:1024
	;; [unrolled: 8-line block ×3, first 2 shown]
	s_wait_loadcnt 0x3
	v_mul_f32_e32 v69, v28, v54
	v_mul_f32_e32 v54, v27, v54
	s_wait_loadcnt 0x1
	v_dual_mul_f32 v70, v24, v52 :: v_dual_mul_f32 v71, v18, v50
	v_mul_f32_e32 v52, v23, v52
	v_fma_f32 v69, v27, v53, -v69
	v_mul_f32_e32 v50, v17, v50
	s_delay_alu instid0(VALU_DEP_4) | instskip(NEXT) | instid1(VALU_DEP_3)
	v_fma_f32 v70, v23, v51, -v70
	v_dual_fmac_f32 v52, v24, v51 :: v_dual_add_f32 v7, v7, v69
	v_fmac_f32_e32 v54, v28, v53
	s_wait_loadcnt 0x0
	v_mul_f32_e32 v53, v16, v48
	v_fma_f32 v51, v17, v49, -v71
	v_fmac_f32_e32 v50, v18, v49
	v_dual_add_f32 v7, v70, v7 :: v_dual_add_f32 v8, v8, v54
	s_delay_alu instid0(VALU_DEP_4) | instskip(NEXT) | instid1(VALU_DEP_2)
	v_fma_f32 v49, v15, v47, -v53
	v_add_f32_e32 v7, v51, v7
	v_mul_f32_e32 v48, v15, v48
	s_delay_alu instid0(VALU_DEP_2) | instskip(NEXT) | instid1(VALU_DEP_2)
	v_dual_add_f32 v8, v52, v8 :: v_dual_add_f32 v7, v49, v7
	v_fmac_f32_e32 v48, v16, v47
	s_delay_alu instid0(VALU_DEP_2) | instskip(NEXT) | instid1(VALU_DEP_1)
	v_add_f32_e32 v8, v50, v8
	v_add_f32_e32 v8, v48, v8
	s_branch .LBB106_16
.LBB106_25:                             ;   in Loop: Header=BB106_6 Depth=1
	s_or_b32 exec_lo, exec_lo, s46
.LBB106_26:                             ;   in Loop: Header=BB106_6 Depth=1
	s_wait_alu 0xfffe
	s_or_b32 exec_lo, exec_lo, s7
	s_delay_alu instid0(SALU_CYCLE_1)
	s_and_not1_b32 vcc_lo, exec_lo, s8
	s_wait_alu 0xfffe
	s_cbranch_vccnz .LBB106_44
; %bb.27:                               ;   in Loop: Header=BB106_6 Depth=1
	v_cmp_gt_i32_e32 vcc_lo, s9, v64
	v_dual_mov_b32 v15, 0 :: v_dual_mov_b32 v16, 0
	v_or_b32_e32 v23, 1, v64
	v_dual_mov_b32 v17, 0 :: v_dual_mov_b32 v18, 0
	v_dual_mov_b32 v19, 0 :: v_dual_mov_b32 v20, 0
	;; [unrolled: 1-line block ×3, first 2 shown]
	s_and_saveexec_b32 s46, vcc_lo
	s_cbranch_execz .LBB106_35
; %bb.28:                               ;   in Loop: Header=BB106_6 Depth=1
	v_mul_lo_u32 v15, v64, s26
	v_dual_mov_b32 v22, 0 :: v_dual_mov_b32 v21, 0
	v_dual_mov_b32 v20, 0 :: v_dual_mov_b32 v19, 0
	;; [unrolled: 1-line block ×3, first 2 shown]
	s_mov_b32 s47, exec_lo
	s_delay_alu instid0(VALU_DEP_4) | instskip(NEXT) | instid1(VALU_DEP_1)
	v_ashrrev_i32_e32 v16, 31, v15
	v_lshlrev_b64_e32 v[15:16], 3, v[15:16]
	s_delay_alu instid0(VALU_DEP_1) | instskip(SKIP_1) | instid1(VALU_DEP_2)
	v_add_co_u32 v15, s7, s36, v15
	s_wait_alu 0xf1ff
	v_add_co_ci_u32_e64 v16, null, s37, v16, s7
	global_load_b64 v[15:16], v[15:16], off
	v_cmpx_gt_i32_e64 s9, v23
	s_cbranch_execz .LBB106_34
; %bb.29:                               ;   in Loop: Header=BB106_6 Depth=1
	v_mul_lo_u32 v17, v23, s26
	v_or_b32_e32 v24, 2, v64
	v_dual_mov_b32 v22, 0 :: v_dual_mov_b32 v21, 0
	v_dual_mov_b32 v20, 0 :: v_dual_mov_b32 v19, 0
	s_mov_b32 s48, exec_lo
	s_delay_alu instid0(VALU_DEP_4) | instskip(NEXT) | instid1(VALU_DEP_1)
	v_ashrrev_i32_e32 v18, 31, v17
	v_lshlrev_b64_e32 v[17:18], 3, v[17:18]
	s_delay_alu instid0(VALU_DEP_1) | instskip(SKIP_1) | instid1(VALU_DEP_2)
	v_add_co_u32 v17, s7, s36, v17
	s_wait_alu 0xf1ff
	v_add_co_ci_u32_e64 v18, null, s37, v18, s7
	global_load_b64 v[17:18], v[17:18], off
	v_cmpx_gt_i32_e64 s9, v24
	s_cbranch_execz .LBB106_33
; %bb.30:                               ;   in Loop: Header=BB106_6 Depth=1
	v_mul_lo_u32 v19, v24, s26
	v_or_b32_e32 v24, 3, v64
	v_dual_mov_b32 v22, 0 :: v_dual_mov_b32 v21, 0
	s_mov_b32 s49, exec_lo
	s_delay_alu instid0(VALU_DEP_3) | instskip(NEXT) | instid1(VALU_DEP_1)
	v_ashrrev_i32_e32 v20, 31, v19
	v_lshlrev_b64_e32 v[19:20], 3, v[19:20]
	s_delay_alu instid0(VALU_DEP_1) | instskip(SKIP_1) | instid1(VALU_DEP_2)
	v_add_co_u32 v19, s7, s36, v19
	s_wait_alu 0xf1ff
	v_add_co_ci_u32_e64 v20, null, s37, v20, s7
	global_load_b64 v[19:20], v[19:20], off
	v_cmpx_gt_i32_e64 s9, v24
	s_cbranch_execz .LBB106_32
; %bb.31:                               ;   in Loop: Header=BB106_6 Depth=1
	v_mul_lo_u32 v21, v24, s26
	s_delay_alu instid0(VALU_DEP_1) | instskip(NEXT) | instid1(VALU_DEP_1)
	v_ashrrev_i32_e32 v22, 31, v21
	v_lshlrev_b64_e32 v[21:22], 3, v[21:22]
	s_delay_alu instid0(VALU_DEP_1) | instskip(SKIP_1) | instid1(VALU_DEP_2)
	v_add_co_u32 v21, s7, s36, v21
	s_wait_alu 0xf1ff
	v_add_co_ci_u32_e64 v22, null, s37, v22, s7
	global_load_b64 v[21:22], v[21:22], off
.LBB106_32:                             ;   in Loop: Header=BB106_6 Depth=1
	s_or_b32 exec_lo, exec_lo, s49
.LBB106_33:                             ;   in Loop: Header=BB106_6 Depth=1
	s_delay_alu instid0(SALU_CYCLE_1)
	s_or_b32 exec_lo, exec_lo, s48
.LBB106_34:                             ;   in Loop: Header=BB106_6 Depth=1
	s_wait_alu 0xfffe
	s_or_b32 exec_lo, exec_lo, s47
.LBB106_35:                             ;   in Loop: Header=BB106_6 Depth=1
	s_wait_alu 0xfffe
	s_or_b32 exec_lo, exec_lo, s46
	s_and_saveexec_b32 s7, s1
	s_cbranch_execz .LBB106_43
; %bb.36:                               ;   in Loop: Header=BB106_6 Depth=1
	v_mul_lo_u32 v25, v64, s33
	v_or_b32_e32 v24, 2, v64
	v_mul_lo_u32 v27, v23, s33
	v_or_b32_e32 v26, 3, v64
	s_delay_alu instid0(VALU_DEP_3) | instskip(NEXT) | instid1(VALU_DEP_2)
	v_mul_lo_u32 v28, v24, s33
	v_mul_lo_u32 v29, v26, s33
	v_cndmask_b32_e32 v25, 0, v25, vcc_lo
	v_cmp_gt_i32_e32 vcc_lo, s9, v23
	s_wait_alu 0xfffd
	v_cndmask_b32_e32 v27, 0, v27, vcc_lo
	v_cmp_gt_i32_e32 vcc_lo, s9, v24
	s_wait_alu 0xfffd
	;; [unrolled: 3-line block ×3, first 2 shown]
	v_dual_cndmask_b32 v26, 0, v29 :: v_dual_add_nc_u32 v23, v25, v58
	v_add_nc_u32_e32 v25, v27, v58
	v_add_nc_u32_e32 v27, v24, v58
	s_delay_alu instid0(VALU_DEP_3) | instskip(NEXT) | instid1(VALU_DEP_4)
	v_ashrrev_i32_e32 v24, 31, v23
	v_add_nc_u32_e32 v29, v26, v58
	s_delay_alu instid0(VALU_DEP_4) | instskip(NEXT) | instid1(VALU_DEP_4)
	v_ashrrev_i32_e32 v26, 31, v25
	v_ashrrev_i32_e32 v28, 31, v27
	s_delay_alu instid0(VALU_DEP_4) | instskip(NEXT) | instid1(VALU_DEP_4)
	v_lshlrev_b64_e32 v[23:24], 3, v[23:24]
	v_ashrrev_i32_e32 v30, 31, v29
	s_delay_alu instid0(VALU_DEP_4) | instskip(NEXT) | instid1(VALU_DEP_4)
	v_lshlrev_b64_e32 v[25:26], 3, v[25:26]
	v_lshlrev_b64_e32 v[27:28], 3, v[27:28]
	s_delay_alu instid0(VALU_DEP_4) | instskip(NEXT) | instid1(VALU_DEP_4)
	v_add_co_u32 v53, vcc_lo, s34, v23
	v_lshlrev_b64_e32 v[29:30], 3, v[29:30]
	s_wait_alu 0xfffd
	v_add_co_ci_u32_e64 v54, null, s35, v24, vcc_lo
	v_add_co_u32 v51, vcc_lo, s34, v25
	s_wait_alu 0xfffd
	v_add_co_ci_u32_e64 v52, null, s35, v26, vcc_lo
	v_add_co_u32 v49, vcc_lo, s34, v27
	;; [unrolled: 3-line block ×3, first 2 shown]
	s_wait_alu 0xfffd
	v_add_co_ci_u32_e64 v48, null, s35, v30, vcc_lo
	s_clause 0x3
	global_load_b64 v[29:30], v[53:54], off
	global_load_b64 v[27:28], v[51:52], off
	global_load_b64 v[25:26], v[49:50], off
	global_load_b64 v[23:24], v[47:48], off
	s_and_saveexec_b32 s34, s3
	s_cbranch_execz .LBB106_42
; %bb.37:                               ;   in Loop: Header=BB106_6 Depth=1
	s_clause 0x3
	global_load_b64 v[37:38], v[53:54], off offset:512
	global_load_b64 v[35:36], v[51:52], off offset:512
	global_load_b64 v[33:34], v[49:50], off offset:512
	global_load_b64 v[31:32], v[47:48], off offset:512
	s_and_saveexec_b32 s35, s4
	s_cbranch_execz .LBB106_41
; %bb.38:                               ;   in Loop: Header=BB106_6 Depth=1
	s_clause 0x3
	global_load_b64 v[45:46], v[53:54], off offset:1024
	global_load_b64 v[43:44], v[51:52], off offset:1024
	global_load_b64 v[41:42], v[49:50], off offset:1024
	global_load_b64 v[39:40], v[47:48], off offset:1024
	;; [unrolled: 8-line block ×3, first 2 shown]
	s_wait_loadcnt 0x2
	v_dual_mul_f32 v64, v16, v54 :: v_dual_mul_f32 v65, v18, v52
	v_mul_f32_e32 v54, v15, v54
	s_delay_alu instid0(VALU_DEP_2) | instskip(SKIP_3) | instid1(VALU_DEP_3)
	v_fma_f32 v64, v15, v53, -v64
	s_wait_loadcnt 0x1
	v_mul_f32_e32 v66, v20, v50
	v_fma_f32 v65, v17, v51, -v65
	v_add_f32_e32 v7, v7, v64
	s_delay_alu instid0(VALU_DEP_1) | instskip(SKIP_1) | instid1(VALU_DEP_2)
	v_dual_mul_f32 v50, v19, v50 :: v_dual_add_f32 v7, v65, v7
	v_mul_f32_e32 v52, v17, v52
	v_fmac_f32_e32 v50, v20, v49
	s_delay_alu instid0(VALU_DEP_2) | instskip(SKIP_1) | instid1(VALU_DEP_1)
	v_fmac_f32_e32 v52, v18, v51
	v_fma_f32 v51, v19, v49, -v66
	v_dual_add_f32 v7, v51, v7 :: v_dual_fmac_f32 v54, v16, v53
	s_wait_loadcnt 0x0
	v_mul_f32_e32 v53, v22, v48
	v_mul_f32_e32 v48, v21, v48
	s_delay_alu instid0(VALU_DEP_2) | instskip(NEXT) | instid1(VALU_DEP_2)
	v_fma_f32 v49, v21, v47, -v53
	v_fmac_f32_e32 v48, v22, v47
	s_delay_alu instid0(VALU_DEP_2) | instskip(NEXT) | instid1(VALU_DEP_1)
	v_dual_add_f32 v7, v49, v7 :: v_dual_add_f32 v8, v8, v54
	v_add_f32_e32 v8, v52, v8
	s_delay_alu instid0(VALU_DEP_1) | instskip(NEXT) | instid1(VALU_DEP_1)
	v_add_f32_e32 v8, v50, v8
	v_add_f32_e32 v8, v48, v8
.LBB106_40:                             ;   in Loop: Header=BB106_6 Depth=1
	s_wait_alu 0xfffe
	s_or_b32 exec_lo, exec_lo, s36
	s_wait_loadcnt 0x2
	v_dual_mul_f32 v47, v16, v46 :: v_dual_mul_f32 v48, v18, v44
	v_mul_f32_e32 v46, v15, v46
	s_wait_loadcnt 0x1
	v_dual_mul_f32 v44, v17, v44 :: v_dual_mul_f32 v49, v20, v42
	s_delay_alu instid0(VALU_DEP_3)
	v_fma_f32 v47, v15, v45, -v47
	v_mul_f32_e32 v42, v19, v42
	v_fmac_f32_e32 v46, v16, v45
	v_fma_f32 v48, v17, v43, -v48
	s_wait_loadcnt 0x0
	v_mul_f32_e32 v45, v22, v40
	v_add_f32_e32 v9, v9, v47
	v_fmac_f32_e32 v44, v18, v43
	v_fma_f32 v43, v19, v41, -v49
	v_mul_f32_e32 v40, v21, v40
	v_fmac_f32_e32 v42, v20, v41
	v_dual_add_f32 v9, v48, v9 :: v_dual_add_f32 v10, v10, v46
	v_fma_f32 v41, v21, v39, -v45
	s_delay_alu instid0(VALU_DEP_2) | instskip(NEXT) | instid1(VALU_DEP_1)
	v_dual_fmac_f32 v40, v22, v39 :: v_dual_add_f32 v9, v43, v9
	v_dual_add_f32 v10, v44, v10 :: v_dual_add_f32 v9, v41, v9
	s_delay_alu instid0(VALU_DEP_1) | instskip(NEXT) | instid1(VALU_DEP_1)
	v_add_f32_e32 v10, v42, v10
	v_add_f32_e32 v10, v40, v10
.LBB106_41:                             ;   in Loop: Header=BB106_6 Depth=1
	s_wait_alu 0xfffe
	s_or_b32 exec_lo, exec_lo, s35
	s_wait_loadcnt 0x2
	v_dual_mul_f32 v39, v16, v38 :: v_dual_mul_f32 v40, v18, v36
	v_mul_f32_e32 v38, v15, v38
	s_wait_loadcnt 0x1
	v_dual_mul_f32 v36, v17, v36 :: v_dual_mul_f32 v41, v20, v34
	s_delay_alu instid0(VALU_DEP_3)
	v_fma_f32 v39, v15, v37, -v39
	v_fma_f32 v40, v17, v35, -v40
	s_wait_loadcnt 0x0
	v_dual_fmac_f32 v38, v16, v37 :: v_dual_mul_f32 v37, v22, v32
	v_fmac_f32_e32 v36, v18, v35
	v_add_f32_e32 v11, v11, v39
	v_mul_f32_e32 v34, v19, v34
	v_fma_f32 v35, v19, v33, -v41
	s_delay_alu instid0(VALU_DEP_3) | instskip(SKIP_1) | instid1(VALU_DEP_2)
	v_dual_mul_f32 v32, v21, v32 :: v_dual_add_f32 v11, v40, v11
	v_add_f32_e32 v12, v12, v38
	v_fmac_f32_e32 v32, v22, v31
	s_delay_alu instid0(VALU_DEP_3) | instskip(NEXT) | instid1(VALU_DEP_3)
	v_dual_add_f32 v11, v35, v11 :: v_dual_fmac_f32 v34, v20, v33
	v_add_f32_e32 v12, v36, v12
	v_fma_f32 v33, v21, v31, -v37
	s_delay_alu instid0(VALU_DEP_1) | instskip(NEXT) | instid1(VALU_DEP_1)
	v_dual_add_f32 v11, v33, v11 :: v_dual_add_f32 v12, v34, v12
	v_add_f32_e32 v12, v32, v12
.LBB106_42:                             ;   in Loop: Header=BB106_6 Depth=1
	s_wait_alu 0xfffe
	s_or_b32 exec_lo, exec_lo, s34
	s_wait_loadcnt 0x2
	v_dual_mul_f32 v31, v16, v30 :: v_dual_mul_f32 v32, v18, v28
	v_mul_f32_e32 v30, v15, v30
	s_wait_loadcnt 0x1
	v_dual_mul_f32 v28, v17, v28 :: v_dual_mul_f32 v33, v20, v26
	s_delay_alu instid0(VALU_DEP_3) | instskip(SKIP_2) | instid1(VALU_DEP_3)
	v_fma_f32 v15, v15, v29, -v31
	v_mul_f32_e32 v26, v19, v26
	v_fma_f32 v17, v17, v27, -v32
	v_add_f32_e32 v13, v13, v15
	s_wait_loadcnt 0x0
	v_dual_mul_f32 v15, v21, v24 :: v_dual_fmac_f32 v30, v16, v29
	v_mul_f32_e32 v16, v22, v24
	v_fmac_f32_e32 v26, v20, v25
	v_add_f32_e32 v13, v17, v13
	s_delay_alu instid0(VALU_DEP_4) | instskip(SKIP_4) | instid1(VALU_DEP_1)
	v_fmac_f32_e32 v15, v22, v23
	v_add_f32_e32 v14, v14, v30
	v_fma_f32 v16, v21, v23, -v16
	v_fmac_f32_e32 v28, v18, v27
	v_fma_f32 v18, v19, v25, -v33
	v_add_f32_e32 v13, v18, v13
	s_delay_alu instid0(VALU_DEP_1) | instskip(NEXT) | instid1(VALU_DEP_4)
	v_add_f32_e32 v13, v16, v13
	v_add_f32_e32 v14, v28, v14
	s_delay_alu instid0(VALU_DEP_1) | instskip(NEXT) | instid1(VALU_DEP_1)
	v_add_f32_e32 v14, v26, v14
	v_add_f32_e32 v14, v15, v14
.LBB106_43:                             ;   in Loop: Header=BB106_6 Depth=1
	s_wait_alu 0xfffe
	s_or_b32 exec_lo, exec_lo, s7
.LBB106_44:                             ;   in Loop: Header=BB106_6 Depth=1
	ds_store_2addr_stride64_b64 v56, v[13:14], v[11:12] offset1:1
	ds_store_2addr_stride64_b64 v56, v[9:10], v[7:8] offset0:2 offset1:3
	s_wait_storecnt 0x0
	s_wait_loadcnt_dscnt 0x0
	s_barrier_signal -1
	s_barrier_wait -1
	global_inv scope:SCOPE_SE
	s_and_saveexec_b32 s7, s0
	s_cbranch_execz .LBB106_4
; %bb.45:                               ;   in Loop: Header=BB106_6 Depth=1
	ds_load_2addr_stride64_b64 v[7:10], v57 offset1:4
	ds_load_2addr_stride64_b64 v[11:14], v57 offset0:8 offset1:12
	s_wait_dscnt 0x1
	v_dual_add_f32 v7, v7, v9 :: v_dual_add_f32 v8, v8, v10
	s_wait_dscnt 0x0
	s_delay_alu instid0(VALU_DEP_1) | instskip(NEXT) | instid1(VALU_DEP_1)
	v_dual_add_f32 v7, v7, v11 :: v_dual_add_f32 v8, v8, v12
	v_dual_add_f32 v9, v7, v13 :: v_dual_add_f32 v10, v8, v14
	ds_store_b64 v57, v[9:10]
	s_and_b32 exec_lo, exec_lo, s2
	s_cbranch_execz .LBB106_4
; %bb.46:                               ;   in Loop: Header=BB106_6 Depth=1
	v_mul_f32_e32 v8, s10, v10
	v_mul_f32_e32 v7, s11, v10
	s_and_not1_b32 vcc_lo, exec_lo, s40
	s_delay_alu instid0(VALU_DEP_2) | instskip(NEXT) | instid1(VALU_DEP_2)
	v_fmac_f32_e32 v8, s11, v9
	v_fma_f32 v7, v9, s10, -v7
	s_wait_alu 0xfffe
	s_cbranch_vccnz .LBB106_3
; %bb.47:                               ;   in Loop: Header=BB106_6 Depth=1
	v_add_co_u32 v9, vcc_lo, s30, v5
	s_wait_alu 0xfffd
	v_add_co_ci_u32_e64 v10, null, s31, v6, vcc_lo
	global_load_b64 v[9:10], v[9:10], off
	s_wait_loadcnt 0x0
	v_mul_f32_e32 v11, s15, v10
	v_mul_f32_e32 v10, s14, v10
	s_delay_alu instid0(VALU_DEP_1) | instskip(NEXT) | instid1(VALU_DEP_3)
	v_fmac_f32_e32 v10, s15, v9
	v_fma_f32 v11, s14, v9, -v11
	s_delay_alu instid0(VALU_DEP_1)
	v_dual_add_f32 v8, v8, v10 :: v_dual_add_f32 v7, v7, v11
	s_branch .LBB106_3
.LBB106_48:
	s_endpgm
	.section	.rodata,"a",@progbits
	.p2align	6, 0x0
	.amdhsa_kernel _ZL20rocblas_gemvn_kernelILi64ELi4Ei19rocblas_complex_numIfES1_S1_EviiT3_lPKT2_lT1_lS5_lS6_lS2_lPT4_lS6_li
		.amdhsa_group_segment_fixed_size 8192
		.amdhsa_private_segment_fixed_size 0
		.amdhsa_kernarg_size 400
		.amdhsa_user_sgpr_count 2
		.amdhsa_user_sgpr_dispatch_ptr 0
		.amdhsa_user_sgpr_queue_ptr 0
		.amdhsa_user_sgpr_kernarg_segment_ptr 1
		.amdhsa_user_sgpr_dispatch_id 0
		.amdhsa_user_sgpr_private_segment_size 0
		.amdhsa_wavefront_size32 1
		.amdhsa_uses_dynamic_stack 0
		.amdhsa_enable_private_segment 0
		.amdhsa_system_sgpr_workgroup_id_x 1
		.amdhsa_system_sgpr_workgroup_id_y 0
		.amdhsa_system_sgpr_workgroup_id_z 1
		.amdhsa_system_sgpr_workgroup_info 0
		.amdhsa_system_vgpr_workitem_id 1
		.amdhsa_next_free_vgpr 72
		.amdhsa_next_free_sgpr 52
		.amdhsa_reserve_vcc 1
		.amdhsa_float_round_mode_32 0
		.amdhsa_float_round_mode_16_64 0
		.amdhsa_float_denorm_mode_32 3
		.amdhsa_float_denorm_mode_16_64 3
		.amdhsa_fp16_overflow 0
		.amdhsa_workgroup_processor_mode 1
		.amdhsa_memory_ordered 1
		.amdhsa_forward_progress 1
		.amdhsa_inst_pref_size 31
		.amdhsa_round_robin_scheduling 0
		.amdhsa_exception_fp_ieee_invalid_op 0
		.amdhsa_exception_fp_denorm_src 0
		.amdhsa_exception_fp_ieee_div_zero 0
		.amdhsa_exception_fp_ieee_overflow 0
		.amdhsa_exception_fp_ieee_underflow 0
		.amdhsa_exception_fp_ieee_inexact 0
		.amdhsa_exception_int_div_zero 0
	.end_amdhsa_kernel
	.section	.text._ZL20rocblas_gemvn_kernelILi64ELi4Ei19rocblas_complex_numIfES1_S1_EviiT3_lPKT2_lT1_lS5_lS6_lS2_lPT4_lS6_li,"axG",@progbits,_ZL20rocblas_gemvn_kernelILi64ELi4Ei19rocblas_complex_numIfES1_S1_EviiT3_lPKT2_lT1_lS5_lS6_lS2_lPT4_lS6_li,comdat
.Lfunc_end106:
	.size	_ZL20rocblas_gemvn_kernelILi64ELi4Ei19rocblas_complex_numIfES1_S1_EviiT3_lPKT2_lT1_lS5_lS6_lS2_lPT4_lS6_li, .Lfunc_end106-_ZL20rocblas_gemvn_kernelILi64ELi4Ei19rocblas_complex_numIfES1_S1_EviiT3_lPKT2_lT1_lS5_lS6_lS2_lPT4_lS6_li
                                        ; -- End function
	.set _ZL20rocblas_gemvn_kernelILi64ELi4Ei19rocblas_complex_numIfES1_S1_EviiT3_lPKT2_lT1_lS5_lS6_lS2_lPT4_lS6_li.num_vgpr, 72
	.set _ZL20rocblas_gemvn_kernelILi64ELi4Ei19rocblas_complex_numIfES1_S1_EviiT3_lPKT2_lT1_lS5_lS6_lS2_lPT4_lS6_li.num_agpr, 0
	.set _ZL20rocblas_gemvn_kernelILi64ELi4Ei19rocblas_complex_numIfES1_S1_EviiT3_lPKT2_lT1_lS5_lS6_lS2_lPT4_lS6_li.numbered_sgpr, 52
	.set _ZL20rocblas_gemvn_kernelILi64ELi4Ei19rocblas_complex_numIfES1_S1_EviiT3_lPKT2_lT1_lS5_lS6_lS2_lPT4_lS6_li.num_named_barrier, 0
	.set _ZL20rocblas_gemvn_kernelILi64ELi4Ei19rocblas_complex_numIfES1_S1_EviiT3_lPKT2_lT1_lS5_lS6_lS2_lPT4_lS6_li.private_seg_size, 0
	.set _ZL20rocblas_gemvn_kernelILi64ELi4Ei19rocblas_complex_numIfES1_S1_EviiT3_lPKT2_lT1_lS5_lS6_lS2_lPT4_lS6_li.uses_vcc, 1
	.set _ZL20rocblas_gemvn_kernelILi64ELi4Ei19rocblas_complex_numIfES1_S1_EviiT3_lPKT2_lT1_lS5_lS6_lS2_lPT4_lS6_li.uses_flat_scratch, 0
	.set _ZL20rocblas_gemvn_kernelILi64ELi4Ei19rocblas_complex_numIfES1_S1_EviiT3_lPKT2_lT1_lS5_lS6_lS2_lPT4_lS6_li.has_dyn_sized_stack, 0
	.set _ZL20rocblas_gemvn_kernelILi64ELi4Ei19rocblas_complex_numIfES1_S1_EviiT3_lPKT2_lT1_lS5_lS6_lS2_lPT4_lS6_li.has_recursion, 0
	.set _ZL20rocblas_gemvn_kernelILi64ELi4Ei19rocblas_complex_numIfES1_S1_EviiT3_lPKT2_lT1_lS5_lS6_lS2_lPT4_lS6_li.has_indirect_call, 0
	.section	.AMDGPU.csdata,"",@progbits
; Kernel info:
; codeLenInByte = 3960
; TotalNumSgprs: 54
; NumVgprs: 72
; ScratchSize: 0
; MemoryBound: 0
; FloatMode: 240
; IeeeMode: 1
; LDSByteSize: 8192 bytes/workgroup (compile time only)
; SGPRBlocks: 0
; VGPRBlocks: 8
; NumSGPRsForWavesPerEU: 54
; NumVGPRsForWavesPerEU: 72
; Occupancy: 16
; WaveLimiterHint : 0
; COMPUTE_PGM_RSRC2:SCRATCH_EN: 0
; COMPUTE_PGM_RSRC2:USER_SGPR: 2
; COMPUTE_PGM_RSRC2:TRAP_HANDLER: 0
; COMPUTE_PGM_RSRC2:TGID_X_EN: 1
; COMPUTE_PGM_RSRC2:TGID_Y_EN: 0
; COMPUTE_PGM_RSRC2:TGID_Z_EN: 1
; COMPUTE_PGM_RSRC2:TIDIG_COMP_CNT: 1
	.section	.text._ZL20rocblas_gemvn_kernelILi64ELi4El19rocblas_complex_numIfES1_S1_EviiT3_lPKT2_lT1_lS5_lS6_lS2_lPT4_lS6_li,"axG",@progbits,_ZL20rocblas_gemvn_kernelILi64ELi4El19rocblas_complex_numIfES1_S1_EviiT3_lPKT2_lT1_lS5_lS6_lS2_lPT4_lS6_li,comdat
	.globl	_ZL20rocblas_gemvn_kernelILi64ELi4El19rocblas_complex_numIfES1_S1_EviiT3_lPKT2_lT1_lS5_lS6_lS2_lPT4_lS6_li ; -- Begin function _ZL20rocblas_gemvn_kernelILi64ELi4El19rocblas_complex_numIfES1_S1_EviiT3_lPKT2_lT1_lS5_lS6_lS2_lPT4_lS6_li
	.p2align	8
	.type	_ZL20rocblas_gemvn_kernelILi64ELi4El19rocblas_complex_numIfES1_S1_EviiT3_lPKT2_lT1_lS5_lS6_lS2_lPT4_lS6_li,@function
_ZL20rocblas_gemvn_kernelILi64ELi4El19rocblas_complex_numIfES1_S1_EviiT3_lPKT2_lT1_lS5_lS6_lS2_lPT4_lS6_li: ; @_ZL20rocblas_gemvn_kernelILi64ELi4El19rocblas_complex_numIfES1_S1_EviiT3_lPKT2_lT1_lS5_lS6_lS2_lPT4_lS6_li
; %bb.0:
	s_load_b64 s[2:3], s[0:1], 0x9c
	s_wait_kmcnt 0x0
	s_lshr_b32 s4, s2, 16
	s_and_b32 s2, s2, 0xffff
	s_and_b32 s3, s3, 0xffff
	s_mul_i32 s2, s4, s2
	s_delay_alu instid0(SALU_CYCLE_1) | instskip(NEXT) | instid1(SALU_CYCLE_1)
	s_mul_i32 s2, s2, s3
	s_cmp_lg_u32 s2, 0x100
	s_cbranch_scc1 .LBB107_48
; %bb.1:
	s_load_b32 s33, s[0:1], 0x88
	s_lshr_b32 s34, ttmp7, 16
	s_wait_kmcnt 0x0
	s_cmp_ge_u32 s34, s33
	s_cbranch_scc1 .LBB107_48
; %bb.2:
	s_clause 0x3
	s_load_b512 s[8:23], s[0:1], 0x18
	s_load_b256 s[24:31], s[0:1], 0x68
	s_load_b128 s[36:39], s[0:1], 0x0
	s_load_b64 s[40:41], s[0:1], 0x58
	v_bfe_u32 v19, v0, 10, 10
	s_mov_b32 s35, 0
	v_mov_b32_e32 v1, 0
	s_wait_kmcnt 0x0
	s_lshl_b64 s[2:3], s[10:11], 3
	s_lshl_b64 s[4:5], s[18:19], 3
	;; [unrolled: 1-line block ×3, first 2 shown]
	s_cmp_neq_f32 s38, 0
	v_mad_co_u64_u32 v[2:3], null, s20, v19, 0
	v_and_b32_e32 v5, 0x3ff, v0
	s_cselect_b32 s1, -1, 0
	s_cmp_neq_f32 s39, 0
	s_add_nc_u64 s[18:19], s[24:25], s[6:7]
	s_mov_b32 s26, s36
	v_lshlrev_b32_e32 v0, 3, v5
	s_cselect_b32 s10, -1, 0
	s_add_nc_u64 s[16:17], s[16:17], s[4:5]
	s_or_b32 s42, s1, s10
	s_cmp_neq_f32 s40, 1.0
	s_add_nc_u64 s[10:11], s[8:9], s[2:3]
	v_lshl_add_u32 v59, v19, 11, v0
	v_lshl_add_u32 v60, v19, 9, v0
	s_cselect_b32 s43, -1, 0
	s_cmp_neq_f32 s41, 0
	v_mov_b32_e32 v0, v3
	v_lshl_add_u32 v6, v19, 6, v5
	s_cselect_b32 s8, -1, 0
	s_or_b32 s1, s38, s39
	s_delay_alu instid0(VALU_DEP_2)
	v_mad_co_u64_u32 v[3:4], null, s21, v19, v[0:1]
	s_bitset0_b32 s1, 31
	v_cmp_gt_u32_e64 s0, 0x100, v6
	s_cmp_eq_u32 s1, 0
	s_cselect_b32 s48, -1, 0
	s_lshl_b32 s7, ttmp9, 8
	s_ashr_i32 s27, s36, 31
	v_add_nc_u32_e32 v0, s7, v6
	v_or_b32_e32 v8, s7, v6
	s_cmp_neq_f32 s40, 0
	v_or_b32_e32 v4, s7, v5
	s_delay_alu instid0(VALU_DEP_3)
	v_mad_co_u64_u32 v[6:7], null, s28, v0, 0
	v_lshlrev_b32_e32 v58, 2, v19
	v_cmp_gt_i64_e32 vcc_lo, s[26:27], v[0:1]
	s_cselect_b32 s1, -1, 0
	s_ashr_i32 s2, s37, 31
	v_add_nc_u32_e32 v11, 0x80, v4
	s_lshr_b32 s3, s2, 28
	s_delay_alu instid0(VALU_DEP_4)
	v_mov_b32_e32 v1, v7
	v_or_b32_e32 v20, 2, v58
	s_add_co_i32 s3, s37, s3
	v_cmp_gt_i32_e64 s2, s36, v8
	s_and_b32 s50, s3, -16
	v_mad_co_u64_u32 v[0:1], null, s29, v0, v[1:2]
	v_add_nc_u32_e32 v10, 64, v4
	v_mad_co_u64_u32 v[14:15], null, s12, v20, 0
	v_add_nc_u32_e32 v12, 0xc0, v4
	v_mul_lo_u32 v13, s29, v8
	v_mad_co_u64_u32 v[8:9], null, s28, v8, 0
	s_sub_co_i32 s6, s37, s50
	s_or_b32 s49, s1, s8
	s_wait_alu 0xfffe
	s_cmp_gt_i32 s6, 0
	v_or_b32_e32 v16, 3, v58
	v_cmp_gt_i32_e64 s1, s36, v4
	v_cmp_gt_i32_e64 s4, s36, v11
	;; [unrolled: 1-line block ×3, first 2 shown]
	v_mov_b32_e32 v7, v0
	v_cmp_gt_i32_e64 s3, s36, v10
	s_cselect_b32 s36, -1, 0
	s_ashr_i32 s7, s7, 31
	v_mad_co_u64_u32 v[10:11], null, s12, v16, 0
	s_wait_alu 0xfffe
	s_mul_i32 s7, s28, s7
	v_lshlrev_b64_e32 v[0:1], 5, v[2:3]
	s_wait_alu 0xfffe
	v_add3_u32 v9, v9, s7, v13
	v_mad_co_u64_u32 v[12:13], null, s12, v19, 0
	v_ashrrev_i32_e32 v5, 31, v4
	v_mov_b32_e32 v2, v11
	s_and_b32 s51, s0, vcc_lo
	v_add_co_u32 v0, vcc_lo, s16, v0
	s_delay_alu instid0(VALU_DEP_1)
	v_add_co_ci_u32_e64 v1, null, s17, v1, vcc_lo
	v_mov_b32_e32 v3, v13
	v_cmp_gt_i32_e64 s6, s50, v58
	s_or_b32 s7, s42, s43
	s_lshl_b64 s[24:25], s[22:23], 3
	s_lshl_b64 s[26:27], s[20:21], 7
	v_mad_co_u64_u32 v[16:17], null, s13, v16, v[2:3]
	v_mad_co_u64_u32 v[17:18], null, s12, v58, s[12:13]
	;; [unrolled: 1-line block ×3, first 2 shown]
	v_mov_b32_e32 v3, v15
	s_wait_alu 0xfffe
	s_or_b32 s52, s7, s8
	s_delay_alu instid0(VALU_DEP_4)
	v_mov_b32_e32 v11, v16
	s_lshl_b64 s[28:29], s[14:15], 3
	s_lshl_b64 s[42:43], s[12:13], 7
	v_mad_co_u64_u32 v[15:16], null, s13, v20, v[3:4]
	v_dual_mov_b32 v16, v18 :: v_dual_mov_b32 v13, v2
	v_lshlrev_b64_e32 v[2:3], 3, v[4:5]
	v_lshlrev_b64_e32 v[4:5], 3, v[10:11]
	s_lshl_b64 s[44:45], s[20:21], 3
	s_delay_alu instid0(VALU_DEP_3) | instskip(NEXT) | instid1(VALU_DEP_2)
	v_mad_co_u64_u32 v[10:11], null, s13, v58, v[16:17]
	v_add_co_u32 v61, vcc_lo, s10, v4
	s_wait_alu 0xfffd
	s_delay_alu instid0(VALU_DEP_3) | instskip(NEXT) | instid1(VALU_DEP_3)
	v_add_co_ci_u32_e64 v62, null, s11, v5, vcc_lo
	v_mov_b32_e32 v18, v10
	v_lshlrev_b64_e32 v[11:12], 5, v[12:13]
	v_lshlrev_b64_e32 v[4:5], 3, v[14:15]
	s_delay_alu instid0(VALU_DEP_2) | instskip(NEXT) | instid1(VALU_DEP_4)
	v_add_co_u32 v63, vcc_lo, s10, v11
	v_lshlrev_b64_e32 v[10:11], 3, v[17:18]
	s_wait_alu 0xfffd
	s_delay_alu instid0(VALU_DEP_4) | instskip(NEXT) | instid1(VALU_DEP_4)
	v_add_co_ci_u32_e64 v64, null, s11, v12, vcc_lo
	v_add_co_u32 v65, vcc_lo, s10, v4
	s_wait_alu 0xfffd
	v_add_co_ci_u32_e64 v66, null, s11, v5, vcc_lo
	v_add_co_u32 v67, vcc_lo, s10, v10
	v_lshlrev_b64_e32 v[4:5], 3, v[6:7]
	v_lshlrev_b64_e32 v[6:7], 3, v[8:9]
	s_wait_alu 0xfffd
	v_add_co_ci_u32_e64 v68, null, s11, v11, vcc_lo
	s_branch .LBB107_6
.LBB107_3:                              ;   in Loop: Header=BB107_6 Depth=1
	v_add_co_u32 v10, vcc_lo, s46, v6
	s_wait_alu 0xfffd
	v_add_co_ci_u32_e64 v11, null, s47, v7, vcc_lo
	global_store_b64 v[10:11], v[8:9], off
.LBB107_4:                              ;   in Loop: Header=BB107_6 Depth=1
	s_wait_alu 0xfffe
	s_or_b32 exec_lo, exec_lo, s7
.LBB107_5:                              ;   in Loop: Header=BB107_6 Depth=1
	s_add_co_i32 s34, s34, 0x10000
	s_wait_alu 0xfffe
	s_cmp_lt_u32 s34, s33
	s_cbranch_scc0 .LBB107_48
.LBB107_6:                              ; =>This Loop Header: Depth=1
                                        ;     Child Loop BB107_20 Depth 2
	s_and_not1_b32 vcc_lo, exec_lo, s52
	s_wait_alu 0xfffe
	s_cbranch_vccnz .LBB107_5
; %bb.7:                                ;   in Loop: Header=BB107_6 Depth=1
	s_mul_u64 s[8:9], s[30:31], s[34:35]
	s_and_not1_b32 vcc_lo, exec_lo, s48
	s_wait_alu 0xfffe
	s_lshl_b64 s[8:9], s[8:9], 3
	s_mov_b32 s7, -1
	s_wait_alu 0xfffe
	s_add_nc_u64 s[46:47], s[18:19], s[8:9]
	s_cbranch_vccnz .LBB107_13
; %bb.8:                                ;   in Loop: Header=BB107_6 Depth=1
	s_and_saveexec_b32 s7, s51
	s_cbranch_execz .LBB107_12
; %bb.9:                                ;   in Loop: Header=BB107_6 Depth=1
	v_dual_mov_b32 v8, 0 :: v_dual_mov_b32 v9, 0
	s_and_not1_b32 vcc_lo, exec_lo, s49
	s_wait_alu 0xfffe
	s_cbranch_vccnz .LBB107_11
; %bb.10:                               ;   in Loop: Header=BB107_6 Depth=1
	v_add_co_u32 v8, vcc_lo, s46, v4
	s_wait_alu 0xfffd
	v_add_co_ci_u32_e64 v9, null, s47, v5, vcc_lo
	global_load_b64 v[10:11], v[8:9], off
	s_wait_loadcnt 0x0
	v_mul_f32_e32 v9, s40, v11
	s_delay_alu instid0(VALU_DEP_1) | instskip(NEXT) | instid1(VALU_DEP_1)
	v_dual_mul_f32 v8, s41, v11 :: v_dual_fmac_f32 v9, s41, v10
	v_fma_f32 v8, s40, v10, -v8
.LBB107_11:                             ;   in Loop: Header=BB107_6 Depth=1
	v_add_co_u32 v10, vcc_lo, s46, v4
	s_wait_alu 0xfffd
	v_add_co_ci_u32_e64 v11, null, s47, v5, vcc_lo
	global_store_b64 v[10:11], v[8:9], off
.LBB107_12:                             ;   in Loop: Header=BB107_6 Depth=1
	s_wait_alu 0xfffe
	s_or_b32 exec_lo, exec_lo, s7
	s_mov_b32 s7, 0
.LBB107_13:                             ;   in Loop: Header=BB107_6 Depth=1
	s_wait_alu 0xfffe
	s_and_not1_b32 vcc_lo, exec_lo, s7
	s_wait_alu 0xfffe
	s_cbranch_vccnz .LBB107_5
; %bb.14:                               ;   in Loop: Header=BB107_6 Depth=1
	v_dual_mov_b32 v9, 0 :: v_dual_mov_b32 v8, 0
	v_dual_mov_b32 v69, v58 :: v_dual_mov_b32 v10, 0
	;; [unrolled: 1-line block ×4, first 2 shown]
	v_mov_b32_e32 v15, 0
	s_and_saveexec_b32 s8, s6
	s_cbranch_execz .LBB107_26
; %bb.15:                               ;   in Loop: Header=BB107_6 Depth=1
	v_mad_co_u64_u32 v[16:17], null, s24, s34, v[0:1]
	v_mov_b32_e32 v9, 0
	s_mul_u64 s[54:55], s[28:29], s[34:35]
	s_mov_b32 s9, 0
	s_wait_alu 0xfffe
	v_add_co_u32 v70, vcc_lo, v61, s54
	s_wait_alu 0xfffd
	v_add_co_ci_u32_e64 v71, null, s55, v62, vcc_lo
	v_mov_b32_e32 v8, v17
	v_add_co_u32 v72, vcc_lo, v63, s54
	s_wait_alu 0xfffd
	v_add_co_ci_u32_e64 v73, null, s55, v64, vcc_lo
	s_delay_alu instid0(VALU_DEP_3) | instskip(SKIP_4) | instid1(VALU_DEP_4)
	v_mad_co_u64_u32 v[10:11], null, s25, s34, v[8:9]
	v_add_co_u32 v74, vcc_lo, v65, s54
	s_wait_alu 0xfffd
	v_add_co_ci_u32_e64 v75, null, s55, v66, vcc_lo
	v_add_co_u32 v76, vcc_lo, v67, s54
	v_dual_mov_b32 v17, v10 :: v_dual_mov_b32 v8, v9
	s_wait_alu 0xfffd
	v_add_co_ci_u32_e64 v77, null, s55, v68, vcc_lo
	v_dual_mov_b32 v69, v58 :: v_dual_mov_b32 v10, v9
	v_dual_mov_b32 v11, v9 :: v_dual_mov_b32 v12, v9
	;; [unrolled: 1-line block ×3, first 2 shown]
	v_mov_b32_e32 v15, v9
	s_branch .LBB107_20
.LBB107_16:                             ;   in Loop: Header=BB107_20 Depth=2
	s_wait_alu 0xfffe
	s_or_b32 exec_lo, exec_lo, s55
	s_wait_loadcnt 0x3
	v_mul_f32_e32 v50, v31, v49
	s_wait_loadcnt 0x1
	v_dual_mul_f32 v51, v27, v47 :: v_dual_mul_f32 v52, v21, v45
	v_mul_f32_e32 v47, v26, v47
	v_mul_f32_e32 v49, v30, v49
	v_fma_f32 v50, v30, v48, -v50
	v_mul_f32_e32 v45, v20, v45
	v_fma_f32 v51, v26, v46, -v51
	v_fmac_f32_e32 v47, v27, v46
	v_fma_f32 v46, v20, v44, -v52
	s_delay_alu instid0(VALU_DEP_4) | instskip(NEXT) | instid1(VALU_DEP_1)
	v_dual_add_f32 v10, v10, v50 :: v_dual_fmac_f32 v45, v21, v44
	v_add_f32_e32 v10, v51, v10
	v_fmac_f32_e32 v49, v31, v48
	s_wait_loadcnt 0x0
	v_mul_f32_e32 v48, v19, v43
	v_mul_f32_e32 v43, v18, v43
	v_add_f32_e32 v10, v46, v10
	s_delay_alu instid0(VALU_DEP_3) | instskip(SKIP_1) | instid1(VALU_DEP_4)
	v_fma_f32 v44, v18, v42, -v48
	v_add_f32_e32 v11, v11, v49
	v_fmac_f32_e32 v43, v19, v42
	s_delay_alu instid0(VALU_DEP_2) | instskip(NEXT) | instid1(VALU_DEP_1)
	v_dual_add_f32 v10, v44, v10 :: v_dual_add_f32 v11, v47, v11
	v_add_f32_e32 v11, v45, v11
	s_delay_alu instid0(VALU_DEP_1)
	v_add_f32_e32 v11, v43, v11
.LBB107_17:                             ;   in Loop: Header=BB107_20 Depth=2
	s_wait_alu 0xfffe
	s_or_b32 exec_lo, exec_lo, s54
	s_wait_loadcnt 0x3
	v_mul_f32_e32 v42, v31, v41
	v_mul_f32_e32 v41, v30, v41
	s_wait_loadcnt 0x1
	v_dual_mul_f32 v43, v27, v39 :: v_dual_mul_f32 v44, v21, v37
	v_mul_f32_e32 v39, v26, v39
	v_fma_f32 v42, v30, v40, -v42
	v_fmac_f32_e32 v41, v31, v40
	s_delay_alu instid0(VALU_DEP_4) | instskip(SKIP_4) | instid1(VALU_DEP_2)
	v_fma_f32 v43, v26, v38, -v43
	s_wait_loadcnt 0x0
	v_mul_f32_e32 v40, v19, v35
	v_dual_mul_f32 v35, v18, v35 :: v_dual_add_f32 v12, v12, v42
	v_mul_f32_e32 v37, v20, v37
	v_fmac_f32_e32 v35, v19, v34
	s_delay_alu instid0(VALU_DEP_3) | instskip(SKIP_4) | instid1(VALU_DEP_3)
	v_add_f32_e32 v12, v43, v12
	v_fmac_f32_e32 v39, v27, v38
	v_fma_f32 v38, v20, v36, -v44
	v_fmac_f32_e32 v37, v21, v36
	v_fma_f32 v36, v18, v34, -v40
	v_dual_add_f32 v12, v38, v12 :: v_dual_add_f32 v13, v13, v41
	s_delay_alu instid0(VALU_DEP_1) | instskip(NEXT) | instid1(VALU_DEP_1)
	v_dual_add_f32 v12, v36, v12 :: v_dual_add_f32 v13, v39, v13
	v_add_f32_e32 v13, v37, v13
	s_delay_alu instid0(VALU_DEP_1)
	v_add_f32_e32 v13, v35, v13
.LBB107_18:                             ;   in Loop: Header=BB107_20 Depth=2
	s_or_b32 exec_lo, exec_lo, s53
	s_wait_loadcnt 0x1
	v_mul_f32_e32 v36, v21, v25
	v_mul_f32_e32 v34, v31, v33
	;; [unrolled: 1-line block ×3, first 2 shown]
	s_delay_alu instid0(VALU_DEP_3) | instskip(SKIP_1) | instid1(VALU_DEP_1)
	v_fma_f32 v20, v20, v24, -v36
	v_mul_f32_e32 v33, v30, v33
	v_fmac_f32_e32 v33, v31, v32
	s_wait_loadcnt 0x0
	v_mul_f32_e32 v31, v19, v23
	v_mul_f32_e32 v23, v18, v23
	v_fma_f32 v30, v30, v32, -v34
	v_mul_f32_e32 v35, v27, v29
	v_mul_f32_e32 v29, v26, v29
	v_add_f32_e32 v15, v15, v33
	v_fma_f32 v18, v18, v22, -v31
	v_add_f32_e32 v14, v14, v30
	v_fma_f32 v26, v26, v28, -v35
	v_fmac_f32_e32 v29, v27, v28
	v_fmac_f32_e32 v23, v19, v22
	s_delay_alu instid0(VALU_DEP_3) | instskip(NEXT) | instid1(VALU_DEP_1)
	v_dual_add_f32 v14, v26, v14 :: v_dual_fmac_f32 v25, v21, v24
	v_dual_add_f32 v15, v29, v15 :: v_dual_add_f32 v14, v20, v14
	s_delay_alu instid0(VALU_DEP_1) | instskip(NEXT) | instid1(VALU_DEP_1)
	v_dual_add_f32 v15, v25, v15 :: v_dual_add_f32 v14, v18, v14
	v_add_f32_e32 v15, v23, v15
.LBB107_19:                             ;   in Loop: Header=BB107_20 Depth=2
	s_wait_alu 0xfffe
	s_or_b32 exec_lo, exec_lo, s7
	v_add_co_u32 v16, vcc_lo, v16, s26
	s_wait_alu 0xfffd
	v_add_co_ci_u32_e64 v17, null, s27, v17, vcc_lo
	v_add_co_u32 v70, vcc_lo, v70, s42
	v_add_nc_u32_e32 v69, 16, v69
	s_wait_alu 0xfffd
	v_add_co_ci_u32_e64 v71, null, s43, v71, vcc_lo
	v_add_co_u32 v72, vcc_lo, v72, s42
	s_wait_alu 0xfffd
	v_add_co_ci_u32_e64 v73, null, s43, v73, vcc_lo
	v_add_co_u32 v74, vcc_lo, v74, s42
	s_wait_alu 0xfffd
	v_add_co_ci_u32_e64 v75, null, s43, v75, vcc_lo
	v_cmp_le_i32_e32 vcc_lo, s50, v69
	v_add_co_u32 v76, s7, v76, s42
	s_wait_alu 0xf1ff
	v_add_co_ci_u32_e64 v77, null, s43, v77, s7
	s_or_b32 s9, vcc_lo, s9
	s_wait_alu 0xfffe
	s_and_not1_b32 exec_lo, exec_lo, s9
	s_cbranch_execz .LBB107_25
.LBB107_20:                             ;   Parent Loop BB107_6 Depth=1
                                        ; =>  This Inner Loop Header: Depth=2
	s_and_saveexec_b32 s7, s1
	s_cbranch_execz .LBB107_19
; %bb.21:                               ;   in Loop: Header=BB107_20 Depth=2
	v_add_co_u32 v18, vcc_lo, v16, s44
	s_wait_alu 0xfffd
	v_add_co_ci_u32_e64 v19, null, s45, v17, vcc_lo
	s_delay_alu instid0(VALU_DEP_2) | instskip(SKIP_1) | instid1(VALU_DEP_2)
	v_add_co_u32 v20, vcc_lo, v18, s44
	s_wait_alu 0xfffd
	v_add_co_ci_u32_e64 v21, null, s45, v19, vcc_lo
	s_delay_alu instid0(VALU_DEP_2) | instskip(SKIP_1) | instid1(VALU_DEP_2)
	v_add_co_u32 v22, vcc_lo, v20, s44
	s_wait_alu 0xfffd
	v_add_co_ci_u32_e64 v23, null, s45, v21, vcc_lo
	v_add_co_u32 v56, vcc_lo, v72, v2
	s_wait_alu 0xfffd
	v_add_co_ci_u32_e64 v57, null, v73, v3, vcc_lo
	;; [unrolled: 3-line block ×5, first 2 shown]
	s_clause 0x3
	global_load_b64 v[30:31], v[16:17], off
	global_load_b64 v[26:27], v[18:19], off
	global_load_b64 v[20:21], v[20:21], off
	global_load_b64 v[18:19], v[22:23], off
	global_load_b64 v[32:33], v[56:57], off
	global_load_b64 v[28:29], v[54:55], off
	global_load_b64 v[24:25], v[52:53], off
	global_load_b64 v[22:23], v[50:51], off
	s_and_saveexec_b32 s53, s3
	s_cbranch_execz .LBB107_18
; %bb.22:                               ;   in Loop: Header=BB107_20 Depth=2
	global_load_b64 v[40:41], v[56:57], off offset:512
	global_load_b64 v[38:39], v[54:55], off offset:512
	global_load_b64 v[36:37], v[52:53], off offset:512
	global_load_b64 v[34:35], v[50:51], off offset:512
	s_and_saveexec_b32 s54, s4
	s_cbranch_execz .LBB107_17
; %bb.23:                               ;   in Loop: Header=BB107_20 Depth=2
	global_load_b64 v[48:49], v[56:57], off offset:1024
	global_load_b64 v[46:47], v[54:55], off offset:1024
	global_load_b64 v[44:45], v[52:53], off offset:1024
	global_load_b64 v[42:43], v[50:51], off offset:1024
	;; [unrolled: 7-line block ×3, first 2 shown]
	s_wait_loadcnt 0x3
	v_mul_f32_e32 v78, v31, v57
	v_mul_f32_e32 v57, v30, v57
	s_wait_loadcnt 0x1
	v_dual_mul_f32 v79, v27, v55 :: v_dual_mul_f32 v80, v21, v53
	v_mul_f32_e32 v55, v26, v55
	v_fma_f32 v78, v30, v56, -v78
	v_fmac_f32_e32 v57, v31, v56
	s_delay_alu instid0(VALU_DEP_4) | instskip(SKIP_4) | instid1(VALU_DEP_2)
	v_fma_f32 v79, v26, v54, -v79
	s_wait_loadcnt 0x0
	v_mul_f32_e32 v56, v19, v51
	v_dual_mul_f32 v51, v18, v51 :: v_dual_add_f32 v8, v8, v78
	v_mul_f32_e32 v53, v20, v53
	v_fmac_f32_e32 v51, v19, v50
	s_delay_alu instid0(VALU_DEP_3) | instskip(SKIP_4) | instid1(VALU_DEP_3)
	v_add_f32_e32 v8, v79, v8
	v_fmac_f32_e32 v55, v27, v54
	v_fma_f32 v54, v20, v52, -v80
	v_fmac_f32_e32 v53, v21, v52
	v_fma_f32 v52, v18, v50, -v56
	v_dual_add_f32 v8, v54, v8 :: v_dual_add_f32 v9, v9, v57
	s_delay_alu instid0(VALU_DEP_1) | instskip(NEXT) | instid1(VALU_DEP_1)
	v_dual_add_f32 v8, v52, v8 :: v_dual_add_f32 v9, v55, v9
	v_add_f32_e32 v9, v53, v9
	s_delay_alu instid0(VALU_DEP_1)
	v_add_f32_e32 v9, v51, v9
	s_branch .LBB107_16
.LBB107_25:                             ;   in Loop: Header=BB107_6 Depth=1
	s_or_b32 exec_lo, exec_lo, s9
.LBB107_26:                             ;   in Loop: Header=BB107_6 Depth=1
	s_wait_alu 0xfffe
	s_or_b32 exec_lo, exec_lo, s8
	s_delay_alu instid0(SALU_CYCLE_1)
	s_and_not1_b32 vcc_lo, exec_lo, s36
	s_wait_alu 0xfffe
	s_cbranch_vccnz .LBB107_44
; %bb.27:                               ;   in Loop: Header=BB107_6 Depth=1
	v_cmp_gt_i32_e32 vcc_lo, s37, v69
	v_dual_mov_b32 v16, 0 :: v_dual_mov_b32 v17, 0
	v_or_b32_e32 v24, 1, v69
	v_dual_mov_b32 v18, 0 :: v_dual_mov_b32 v19, 0
	v_dual_mov_b32 v20, 0 :: v_dual_mov_b32 v21, 0
	;; [unrolled: 1-line block ×3, first 2 shown]
	s_and_saveexec_b32 s53, vcc_lo
	s_cbranch_execz .LBB107_35
; %bb.28:                               ;   in Loop: Header=BB107_6 Depth=1
	v_mad_co_u64_u32 v[16:17], null, s20, v69, 0
	s_mul_u64 s[8:9], s[22:23], s[34:35]
	v_dual_mov_b32 v23, 0 :: v_dual_mov_b32 v22, 0
	s_wait_alu 0xfffe
	s_lshl_b64 s[8:9], s[8:9], 3
	v_dual_mov_b32 v21, 0 :: v_dual_mov_b32 v20, 0
	v_mad_co_u64_u32 v[17:18], null, s21, v69, v[17:18]
	s_wait_alu 0xfffe
	s_add_nc_u64 s[8:9], s[16:17], s[8:9]
	v_dual_mov_b32 v19, 0 :: v_dual_mov_b32 v18, 0
	s_mov_b32 s54, exec_lo
	s_delay_alu instid0(VALU_DEP_2) | instskip(SKIP_1) | instid1(VALU_DEP_1)
	v_lshlrev_b64_e32 v[16:17], 3, v[16:17]
	s_wait_alu 0xfffe
	v_add_co_u32 v16, s7, s8, v16
	s_wait_alu 0xf1ff
	s_delay_alu instid0(VALU_DEP_2)
	v_add_co_ci_u32_e64 v17, null, s9, v17, s7
	global_load_b64 v[16:17], v[16:17], off
	v_cmpx_gt_i32_e64 s37, v24
	s_cbranch_execz .LBB107_34
; %bb.29:                               ;   in Loop: Header=BB107_6 Depth=1
	v_mad_co_u64_u32 v[18:19], null, s20, v24, 0
	v_or_b32_e32 v25, 2, v69
	v_dual_mov_b32 v23, 0 :: v_dual_mov_b32 v22, 0
	v_mov_b32_e32 v21, 0
	s_mov_b32 s55, exec_lo
	s_delay_alu instid0(VALU_DEP_4) | instskip(SKIP_1) | instid1(VALU_DEP_2)
	v_mad_co_u64_u32 v[19:20], null, s21, v24, v[19:20]
	v_mov_b32_e32 v20, 0
	v_lshlrev_b64_e32 v[18:19], 3, v[18:19]
	s_delay_alu instid0(VALU_DEP_1) | instskip(SKIP_1) | instid1(VALU_DEP_2)
	v_add_co_u32 v18, s7, s8, v18
	s_wait_alu 0xf1ff
	v_add_co_ci_u32_e64 v19, null, s9, v19, s7
	global_load_b64 v[18:19], v[18:19], off
	v_cmpx_gt_i32_e64 s37, v25
	s_cbranch_execz .LBB107_33
; %bb.30:                               ;   in Loop: Header=BB107_6 Depth=1
	v_mad_co_u64_u32 v[20:21], null, s20, v25, 0
	v_mov_b32_e32 v23, 0
	s_mov_b32 s56, exec_lo
	s_delay_alu instid0(VALU_DEP_2) | instskip(SKIP_2) | instid1(VALU_DEP_3)
	v_mad_co_u64_u32 v[21:22], null, s21, v25, v[21:22]
	v_or_b32_e32 v25, 3, v69
	v_mov_b32_e32 v22, 0
	v_lshlrev_b64_e32 v[20:21], 3, v[20:21]
	s_delay_alu instid0(VALU_DEP_1) | instskip(SKIP_1) | instid1(VALU_DEP_2)
	v_add_co_u32 v20, s7, s8, v20
	s_wait_alu 0xf1ff
	v_add_co_ci_u32_e64 v21, null, s9, v21, s7
	global_load_b64 v[20:21], v[20:21], off
	v_cmpx_gt_i32_e64 s37, v25
	s_cbranch_execz .LBB107_32
; %bb.31:                               ;   in Loop: Header=BB107_6 Depth=1
	v_mad_co_u64_u32 v[22:23], null, s20, v25, 0
	s_delay_alu instid0(VALU_DEP_1) | instskip(NEXT) | instid1(VALU_DEP_1)
	v_mad_co_u64_u32 v[25:26], null, s21, v25, v[23:24]
	v_mov_b32_e32 v23, v25
	s_delay_alu instid0(VALU_DEP_1) | instskip(NEXT) | instid1(VALU_DEP_1)
	v_lshlrev_b64_e32 v[22:23], 3, v[22:23]
	v_add_co_u32 v22, s7, s8, v22
	s_wait_alu 0xf1ff
	s_delay_alu instid0(VALU_DEP_2)
	v_add_co_ci_u32_e64 v23, null, s9, v23, s7
	global_load_b64 v[22:23], v[22:23], off
.LBB107_32:                             ;   in Loop: Header=BB107_6 Depth=1
	s_or_b32 exec_lo, exec_lo, s56
.LBB107_33:                             ;   in Loop: Header=BB107_6 Depth=1
	s_wait_alu 0xfffe
	s_or_b32 exec_lo, exec_lo, s55
.LBB107_34:                             ;   in Loop: Header=BB107_6 Depth=1
	s_wait_alu 0xfffe
	s_or_b32 exec_lo, exec_lo, s54
.LBB107_35:                             ;   in Loop: Header=BB107_6 Depth=1
	s_delay_alu instid0(SALU_CYCLE_1)
	s_or_b32 exec_lo, exec_lo, s53
	s_and_saveexec_b32 s9, s1
	s_cbranch_execz .LBB107_43
; %bb.36:                               ;   in Loop: Header=BB107_6 Depth=1
	v_mad_co_u64_u32 v[25:26], null, s12, v69, 0
	v_mad_co_u64_u32 v[27:28], null, s12, v24, 0
	v_or_b32_e32 v36, 2, v69
	v_or_b32_e32 v37, 3, v69
	s_mul_u64 s[54:55], s[14:15], s[34:35]
	s_wait_alu 0xfffe
	s_lshl_b64 s[54:55], s[54:55], 3
	v_cmp_gt_i32_e64 s7, s37, v36
	s_delay_alu instid0(VALU_DEP_4)
	v_mad_co_u64_u32 v[29:30], null, s13, v69, v[26:27]
	v_mad_co_u64_u32 v[30:31], null, s12, v36, 0
	;; [unrolled: 1-line block ×3, first 2 shown]
	v_cndmask_b32_e32 v25, 0, v25, vcc_lo
	s_wait_alu 0xfffe
	s_add_nc_u64 s[54:55], s[10:11], s[54:55]
	s_delay_alu instid0(VALU_DEP_4) | instskip(SKIP_4) | instid1(VALU_DEP_2)
	v_cndmask_b32_e32 v26, 0, v29, vcc_lo
	v_cmp_gt_i32_e32 vcc_lo, s37, v24
	v_mov_b32_e32 v29, v31
	s_wait_alu 0xfffd
	v_cndmask_b32_e32 v27, 0, v27, vcc_lo
	v_mad_co_u64_u32 v[34:35], null, s13, v24, v[28:29]
	v_mov_b32_e32 v24, v33
	v_lshlrev_b64_e32 v[25:26], 3, v[25:26]
	s_delay_alu instid0(VALU_DEP_3) | instskip(SKIP_1) | instid1(VALU_DEP_2)
	v_cndmask_b32_e32 v28, 0, v34, vcc_lo
	s_wait_alu 0xfffe
	v_add_co_u32 v25, s8, s54, v25
	s_wait_alu 0xf1ff
	s_delay_alu instid0(VALU_DEP_3) | instskip(SKIP_1) | instid1(VALU_DEP_3)
	v_add_co_ci_u32_e64 v26, null, s55, v26, s8
	v_mad_co_u64_u32 v[35:36], null, s13, v36, v[29:30]
	v_add_co_u32 v50, vcc_lo, v25, v2
	s_wait_alu 0xfffd
	s_delay_alu instid0(VALU_DEP_3) | instskip(SKIP_4) | instid1(VALU_DEP_4)
	v_add_co_ci_u32_e64 v51, null, v26, v3, vcc_lo
	v_lshlrev_b64_e32 v[25:26], 3, v[27:28]
	v_cndmask_b32_e64 v27, 0, v30, s7
	v_cndmask_b32_e64 v28, 0, v35, s7
	v_cmp_gt_i32_e32 vcc_lo, s37, v37
	v_mad_co_u64_u32 v[29:30], null, s13, v37, v[24:25]
	v_add_co_u32 v30, s7, s54, v25
	s_wait_alu 0xf1ff
	v_add_co_ci_u32_e64 v31, null, s55, v26, s7
	v_lshlrev_b64_e32 v[24:25], 3, v[27:28]
	s_wait_alu 0xfffd
	s_delay_alu instid0(VALU_DEP_4) | instskip(SKIP_3) | instid1(VALU_DEP_3)
	v_dual_cndmask_b32 v26, 0, v32 :: v_dual_cndmask_b32 v27, 0, v29
	v_add_co_u32 v52, vcc_lo, v30, v2
	s_wait_alu 0xfffd
	v_add_co_ci_u32_e64 v53, null, v31, v3, vcc_lo
	v_lshlrev_b64_e32 v[26:27], 3, v[26:27]
	v_add_co_u32 v24, vcc_lo, s54, v24
	s_wait_alu 0xfffd
	v_add_co_ci_u32_e64 v25, null, s55, v25, vcc_lo
	s_delay_alu instid0(VALU_DEP_3)
	v_add_co_u32 v26, vcc_lo, s54, v26
	s_wait_alu 0xfffd
	v_add_co_ci_u32_e64 v27, null, s55, v27, vcc_lo
	v_add_co_u32 v54, vcc_lo, v24, v2
	s_wait_alu 0xfffd
	v_add_co_ci_u32_e64 v55, null, v25, v3, vcc_lo
	;; [unrolled: 3-line block ×3, first 2 shown]
	s_clause 0x3
	global_load_b64 v[30:31], v[50:51], off
	global_load_b64 v[28:29], v[52:53], off
	;; [unrolled: 1-line block ×4, first 2 shown]
	s_and_saveexec_b32 s7, s3
	s_cbranch_execz .LBB107_42
; %bb.37:                               ;   in Loop: Header=BB107_6 Depth=1
	s_clause 0x3
	global_load_b64 v[38:39], v[50:51], off offset:512
	global_load_b64 v[36:37], v[52:53], off offset:512
	global_load_b64 v[34:35], v[54:55], off offset:512
	global_load_b64 v[32:33], v[48:49], off offset:512
	s_and_saveexec_b32 s8, s4
	s_cbranch_execz .LBB107_41
; %bb.38:                               ;   in Loop: Header=BB107_6 Depth=1
	s_clause 0x3
	global_load_b64 v[46:47], v[50:51], off offset:1024
	global_load_b64 v[44:45], v[52:53], off offset:1024
	global_load_b64 v[42:43], v[54:55], off offset:1024
	global_load_b64 v[40:41], v[48:49], off offset:1024
	;; [unrolled: 8-line block ×3, first 2 shown]
	s_wait_loadcnt 0x2
	v_dual_mul_f32 v56, v17, v51 :: v_dual_mul_f32 v57, v19, v53
	v_mul_f32_e32 v51, v16, v51
	s_delay_alu instid0(VALU_DEP_2) | instskip(SKIP_1) | instid1(VALU_DEP_4)
	v_fma_f32 v56, v16, v50, -v56
	v_mul_f32_e32 v53, v18, v53
	v_fma_f32 v57, v18, v52, -v57
	s_wait_loadcnt 0x0
	v_dual_fmac_f32 v51, v17, v50 :: v_dual_mul_f32 v50, v23, v49
	v_dual_add_f32 v8, v8, v56 :: v_dual_mul_f32 v49, v22, v49
	v_fmac_f32_e32 v53, v19, v52
	s_delay_alu instid0(VALU_DEP_3) | instskip(NEXT) | instid1(VALU_DEP_4)
	v_add_f32_e32 v9, v9, v51
	v_fma_f32 v50, v22, v48, -v50
	s_delay_alu instid0(VALU_DEP_4) | instskip(SKIP_3) | instid1(VALU_DEP_3)
	v_add_f32_e32 v8, v57, v8
	v_mul_f32_e32 v69, v21, v55
	v_fmac_f32_e32 v49, v23, v48
	v_add_f32_e32 v9, v53, v9
	v_fma_f32 v51, v20, v54, -v69
	s_delay_alu instid0(VALU_DEP_1) | instskip(NEXT) | instid1(VALU_DEP_1)
	v_dual_add_f32 v8, v51, v8 :: v_dual_mul_f32 v55, v20, v55
	v_dual_add_f32 v8, v50, v8 :: v_dual_fmac_f32 v55, v21, v54
	s_delay_alu instid0(VALU_DEP_1) | instskip(NEXT) | instid1(VALU_DEP_1)
	v_add_f32_e32 v9, v55, v9
	v_add_f32_e32 v9, v49, v9
.LBB107_40:                             ;   in Loop: Header=BB107_6 Depth=1
	s_or_b32 exec_lo, exec_lo, s53
	s_wait_loadcnt 0x2
	v_dual_mul_f32 v48, v17, v47 :: v_dual_mul_f32 v49, v19, v45
	v_mul_f32_e32 v47, v16, v47
	s_wait_loadcnt 0x1
	v_dual_mul_f32 v45, v18, v45 :: v_dual_mul_f32 v50, v21, v43
	s_delay_alu instid0(VALU_DEP_3)
	v_fma_f32 v48, v16, v46, -v48
	v_mul_f32_e32 v43, v20, v43
	v_fmac_f32_e32 v47, v17, v46
	v_fma_f32 v49, v18, v44, -v49
	s_wait_loadcnt 0x0
	v_mul_f32_e32 v46, v23, v41
	v_add_f32_e32 v10, v10, v48
	v_fmac_f32_e32 v45, v19, v44
	v_fma_f32 v44, v20, v42, -v50
	v_mul_f32_e32 v41, v22, v41
	v_fmac_f32_e32 v43, v21, v42
	v_dual_add_f32 v10, v49, v10 :: v_dual_add_f32 v11, v11, v47
	v_fma_f32 v42, v22, v40, -v46
	s_delay_alu instid0(VALU_DEP_2) | instskip(NEXT) | instid1(VALU_DEP_1)
	v_dual_fmac_f32 v41, v23, v40 :: v_dual_add_f32 v10, v44, v10
	v_dual_add_f32 v11, v45, v11 :: v_dual_add_f32 v10, v42, v10
	s_delay_alu instid0(VALU_DEP_1) | instskip(NEXT) | instid1(VALU_DEP_1)
	v_add_f32_e32 v11, v43, v11
	v_add_f32_e32 v11, v41, v11
.LBB107_41:                             ;   in Loop: Header=BB107_6 Depth=1
	s_wait_alu 0xfffe
	s_or_b32 exec_lo, exec_lo, s8
	s_wait_loadcnt 0x2
	v_dual_mul_f32 v40, v17, v39 :: v_dual_mul_f32 v41, v19, v37
	v_mul_f32_e32 v39, v16, v39
	s_wait_loadcnt 0x1
	v_dual_mul_f32 v37, v18, v37 :: v_dual_mul_f32 v42, v21, v35
	s_delay_alu instid0(VALU_DEP_3)
	v_fma_f32 v40, v16, v38, -v40
	v_fma_f32 v41, v18, v36, -v41
	s_wait_loadcnt 0x0
	v_dual_fmac_f32 v39, v17, v38 :: v_dual_mul_f32 v38, v23, v33
	v_fmac_f32_e32 v37, v19, v36
	v_add_f32_e32 v12, v12, v40
	v_mul_f32_e32 v35, v20, v35
	v_fma_f32 v36, v20, v34, -v42
	s_delay_alu instid0(VALU_DEP_3) | instskip(SKIP_1) | instid1(VALU_DEP_2)
	v_dual_mul_f32 v33, v22, v33 :: v_dual_add_f32 v12, v41, v12
	v_add_f32_e32 v13, v13, v39
	v_fmac_f32_e32 v33, v23, v32
	s_delay_alu instid0(VALU_DEP_3) | instskip(NEXT) | instid1(VALU_DEP_3)
	v_dual_add_f32 v12, v36, v12 :: v_dual_fmac_f32 v35, v21, v34
	v_add_f32_e32 v13, v37, v13
	v_fma_f32 v34, v22, v32, -v38
	s_delay_alu instid0(VALU_DEP_1) | instskip(NEXT) | instid1(VALU_DEP_1)
	v_dual_add_f32 v12, v34, v12 :: v_dual_add_f32 v13, v35, v13
	v_add_f32_e32 v13, v33, v13
.LBB107_42:                             ;   in Loop: Header=BB107_6 Depth=1
	s_wait_alu 0xfffe
	s_or_b32 exec_lo, exec_lo, s7
	s_wait_loadcnt 0x2
	v_dual_mul_f32 v32, v17, v31 :: v_dual_mul_f32 v33, v19, v29
	v_mul_f32_e32 v31, v16, v31
	s_wait_loadcnt 0x1
	v_dual_mul_f32 v29, v18, v29 :: v_dual_mul_f32 v34, v21, v27
	s_delay_alu instid0(VALU_DEP_3) | instskip(SKIP_2) | instid1(VALU_DEP_3)
	v_fma_f32 v16, v16, v30, -v32
	v_mul_f32_e32 v27, v20, v27
	v_fma_f32 v18, v18, v28, -v33
	v_add_f32_e32 v14, v14, v16
	s_wait_loadcnt 0x0
	v_dual_mul_f32 v16, v22, v25 :: v_dual_fmac_f32 v31, v17, v30
	v_mul_f32_e32 v17, v23, v25
	v_fmac_f32_e32 v27, v21, v26
	v_add_f32_e32 v14, v18, v14
	s_delay_alu instid0(VALU_DEP_4) | instskip(SKIP_4) | instid1(VALU_DEP_1)
	v_fmac_f32_e32 v16, v23, v24
	v_add_f32_e32 v15, v15, v31
	v_fma_f32 v17, v22, v24, -v17
	v_fmac_f32_e32 v29, v19, v28
	v_fma_f32 v19, v20, v26, -v34
	v_add_f32_e32 v14, v19, v14
	s_delay_alu instid0(VALU_DEP_1) | instskip(NEXT) | instid1(VALU_DEP_4)
	v_add_f32_e32 v14, v17, v14
	v_add_f32_e32 v15, v29, v15
	s_delay_alu instid0(VALU_DEP_1) | instskip(NEXT) | instid1(VALU_DEP_1)
	v_add_f32_e32 v15, v27, v15
	v_add_f32_e32 v15, v16, v15
.LBB107_43:                             ;   in Loop: Header=BB107_6 Depth=1
	s_wait_alu 0xfffe
	s_or_b32 exec_lo, exec_lo, s9
.LBB107_44:                             ;   in Loop: Header=BB107_6 Depth=1
	ds_store_2addr_stride64_b64 v59, v[14:15], v[12:13] offset1:1
	ds_store_2addr_stride64_b64 v59, v[10:11], v[8:9] offset0:2 offset1:3
	s_wait_storecnt 0x0
	s_wait_loadcnt_dscnt 0x0
	s_barrier_signal -1
	s_barrier_wait -1
	global_inv scope:SCOPE_SE
	s_and_saveexec_b32 s7, s0
	s_cbranch_execz .LBB107_4
; %bb.45:                               ;   in Loop: Header=BB107_6 Depth=1
	ds_load_2addr_stride64_b64 v[8:11], v60 offset1:4
	ds_load_2addr_stride64_b64 v[12:15], v60 offset0:8 offset1:12
	s_wait_dscnt 0x1
	v_dual_add_f32 v8, v8, v10 :: v_dual_add_f32 v9, v9, v11
	s_wait_dscnt 0x0
	s_delay_alu instid0(VALU_DEP_1) | instskip(NEXT) | instid1(VALU_DEP_1)
	v_dual_add_f32 v8, v8, v12 :: v_dual_add_f32 v9, v9, v13
	v_dual_add_f32 v10, v8, v14 :: v_dual_add_f32 v11, v9, v15
	ds_store_b64 v60, v[10:11]
	s_and_b32 exec_lo, exec_lo, s2
	s_cbranch_execz .LBB107_4
; %bb.46:                               ;   in Loop: Header=BB107_6 Depth=1
	v_mul_f32_e32 v9, s38, v11
	v_mul_f32_e32 v8, s39, v11
	s_and_not1_b32 vcc_lo, exec_lo, s49
	s_delay_alu instid0(VALU_DEP_2) | instskip(NEXT) | instid1(VALU_DEP_2)
	v_fmac_f32_e32 v9, s39, v10
	v_fma_f32 v8, v10, s38, -v8
	s_wait_alu 0xfffe
	s_cbranch_vccnz .LBB107_3
; %bb.47:                               ;   in Loop: Header=BB107_6 Depth=1
	v_add_co_u32 v10, vcc_lo, s46, v6
	s_wait_alu 0xfffd
	v_add_co_ci_u32_e64 v11, null, s47, v7, vcc_lo
	global_load_b64 v[10:11], v[10:11], off
	s_wait_loadcnt 0x0
	v_mul_f32_e32 v12, s41, v11
	v_mul_f32_e32 v11, s40, v11
	s_delay_alu instid0(VALU_DEP_1) | instskip(NEXT) | instid1(VALU_DEP_3)
	v_fmac_f32_e32 v11, s41, v10
	v_fma_f32 v12, s40, v10, -v12
	s_delay_alu instid0(VALU_DEP_1)
	v_dual_add_f32 v9, v9, v11 :: v_dual_add_f32 v8, v8, v12
	s_branch .LBB107_3
.LBB107_48:
	s_endpgm
	.section	.rodata,"a",@progbits
	.p2align	6, 0x0
	.amdhsa_kernel _ZL20rocblas_gemvn_kernelILi64ELi4El19rocblas_complex_numIfES1_S1_EviiT3_lPKT2_lT1_lS5_lS6_lS2_lPT4_lS6_li
		.amdhsa_group_segment_fixed_size 8192
		.amdhsa_private_segment_fixed_size 0
		.amdhsa_kernarg_size 400
		.amdhsa_user_sgpr_count 2
		.amdhsa_user_sgpr_dispatch_ptr 0
		.amdhsa_user_sgpr_queue_ptr 0
		.amdhsa_user_sgpr_kernarg_segment_ptr 1
		.amdhsa_user_sgpr_dispatch_id 0
		.amdhsa_user_sgpr_private_segment_size 0
		.amdhsa_wavefront_size32 1
		.amdhsa_uses_dynamic_stack 0
		.amdhsa_enable_private_segment 0
		.amdhsa_system_sgpr_workgroup_id_x 1
		.amdhsa_system_sgpr_workgroup_id_y 0
		.amdhsa_system_sgpr_workgroup_id_z 1
		.amdhsa_system_sgpr_workgroup_info 0
		.amdhsa_system_vgpr_workitem_id 1
		.amdhsa_next_free_vgpr 81
		.amdhsa_next_free_sgpr 57
		.amdhsa_reserve_vcc 1
		.amdhsa_float_round_mode_32 0
		.amdhsa_float_round_mode_16_64 0
		.amdhsa_float_denorm_mode_32 3
		.amdhsa_float_denorm_mode_16_64 3
		.amdhsa_fp16_overflow 0
		.amdhsa_workgroup_processor_mode 1
		.amdhsa_memory_ordered 1
		.amdhsa_forward_progress 1
		.amdhsa_inst_pref_size 34
		.amdhsa_round_robin_scheduling 0
		.amdhsa_exception_fp_ieee_invalid_op 0
		.amdhsa_exception_fp_denorm_src 0
		.amdhsa_exception_fp_ieee_div_zero 0
		.amdhsa_exception_fp_ieee_overflow 0
		.amdhsa_exception_fp_ieee_underflow 0
		.amdhsa_exception_fp_ieee_inexact 0
		.amdhsa_exception_int_div_zero 0
	.end_amdhsa_kernel
	.section	.text._ZL20rocblas_gemvn_kernelILi64ELi4El19rocblas_complex_numIfES1_S1_EviiT3_lPKT2_lT1_lS5_lS6_lS2_lPT4_lS6_li,"axG",@progbits,_ZL20rocblas_gemvn_kernelILi64ELi4El19rocblas_complex_numIfES1_S1_EviiT3_lPKT2_lT1_lS5_lS6_lS2_lPT4_lS6_li,comdat
.Lfunc_end107:
	.size	_ZL20rocblas_gemvn_kernelILi64ELi4El19rocblas_complex_numIfES1_S1_EviiT3_lPKT2_lT1_lS5_lS6_lS2_lPT4_lS6_li, .Lfunc_end107-_ZL20rocblas_gemvn_kernelILi64ELi4El19rocblas_complex_numIfES1_S1_EviiT3_lPKT2_lT1_lS5_lS6_lS2_lPT4_lS6_li
                                        ; -- End function
	.set _ZL20rocblas_gemvn_kernelILi64ELi4El19rocblas_complex_numIfES1_S1_EviiT3_lPKT2_lT1_lS5_lS6_lS2_lPT4_lS6_li.num_vgpr, 81
	.set _ZL20rocblas_gemvn_kernelILi64ELi4El19rocblas_complex_numIfES1_S1_EviiT3_lPKT2_lT1_lS5_lS6_lS2_lPT4_lS6_li.num_agpr, 0
	.set _ZL20rocblas_gemvn_kernelILi64ELi4El19rocblas_complex_numIfES1_S1_EviiT3_lPKT2_lT1_lS5_lS6_lS2_lPT4_lS6_li.numbered_sgpr, 57
	.set _ZL20rocblas_gemvn_kernelILi64ELi4El19rocblas_complex_numIfES1_S1_EviiT3_lPKT2_lT1_lS5_lS6_lS2_lPT4_lS6_li.num_named_barrier, 0
	.set _ZL20rocblas_gemvn_kernelILi64ELi4El19rocblas_complex_numIfES1_S1_EviiT3_lPKT2_lT1_lS5_lS6_lS2_lPT4_lS6_li.private_seg_size, 0
	.set _ZL20rocblas_gemvn_kernelILi64ELi4El19rocblas_complex_numIfES1_S1_EviiT3_lPKT2_lT1_lS5_lS6_lS2_lPT4_lS6_li.uses_vcc, 1
	.set _ZL20rocblas_gemvn_kernelILi64ELi4El19rocblas_complex_numIfES1_S1_EviiT3_lPKT2_lT1_lS5_lS6_lS2_lPT4_lS6_li.uses_flat_scratch, 0
	.set _ZL20rocblas_gemvn_kernelILi64ELi4El19rocblas_complex_numIfES1_S1_EviiT3_lPKT2_lT1_lS5_lS6_lS2_lPT4_lS6_li.has_dyn_sized_stack, 0
	.set _ZL20rocblas_gemvn_kernelILi64ELi4El19rocblas_complex_numIfES1_S1_EviiT3_lPKT2_lT1_lS5_lS6_lS2_lPT4_lS6_li.has_recursion, 0
	.set _ZL20rocblas_gemvn_kernelILi64ELi4El19rocblas_complex_numIfES1_S1_EviiT3_lPKT2_lT1_lS5_lS6_lS2_lPT4_lS6_li.has_indirect_call, 0
	.section	.AMDGPU.csdata,"",@progbits
; Kernel info:
; codeLenInByte = 4296
; TotalNumSgprs: 59
; NumVgprs: 81
; ScratchSize: 0
; MemoryBound: 0
; FloatMode: 240
; IeeeMode: 1
; LDSByteSize: 8192 bytes/workgroup (compile time only)
; SGPRBlocks: 0
; VGPRBlocks: 10
; NumSGPRsForWavesPerEU: 59
; NumVGPRsForWavesPerEU: 81
; Occupancy: 16
; WaveLimiterHint : 1
; COMPUTE_PGM_RSRC2:SCRATCH_EN: 0
; COMPUTE_PGM_RSRC2:USER_SGPR: 2
; COMPUTE_PGM_RSRC2:TRAP_HANDLER: 0
; COMPUTE_PGM_RSRC2:TGID_X_EN: 1
; COMPUTE_PGM_RSRC2:TGID_Y_EN: 0
; COMPUTE_PGM_RSRC2:TGID_Z_EN: 1
; COMPUTE_PGM_RSRC2:TIDIG_COMP_CNT: 1
	.section	.text._ZL20rocblas_gemvn_kernelILi32ELi16Ei19rocblas_complex_numIfEPKS1_S1_EviiT3_lPKT2_lT1_lS7_lS8_lS4_lPT4_lS8_li,"axG",@progbits,_ZL20rocblas_gemvn_kernelILi32ELi16Ei19rocblas_complex_numIfEPKS1_S1_EviiT3_lPKT2_lT1_lS7_lS8_lS4_lPT4_lS8_li,comdat
	.globl	_ZL20rocblas_gemvn_kernelILi32ELi16Ei19rocblas_complex_numIfEPKS1_S1_EviiT3_lPKT2_lT1_lS7_lS8_lS4_lPT4_lS8_li ; -- Begin function _ZL20rocblas_gemvn_kernelILi32ELi16Ei19rocblas_complex_numIfEPKS1_S1_EviiT3_lPKT2_lT1_lS7_lS8_lS4_lPT4_lS8_li
	.p2align	8
	.type	_ZL20rocblas_gemvn_kernelILi32ELi16Ei19rocblas_complex_numIfEPKS1_S1_EviiT3_lPKT2_lT1_lS7_lS8_lS4_lPT4_lS8_li,@function
_ZL20rocblas_gemvn_kernelILi32ELi16Ei19rocblas_complex_numIfEPKS1_S1_EviiT3_lPKT2_lT1_lS7_lS8_lS4_lPT4_lS8_li: ; @_ZL20rocblas_gemvn_kernelILi32ELi16Ei19rocblas_complex_numIfEPKS1_S1_EviiT3_lPKT2_lT1_lS7_lS8_lS4_lPT4_lS8_li
; %bb.0:
	s_load_b64 s[2:3], s[0:1], 0x9c
	s_wait_kmcnt 0x0
	s_lshr_b32 s4, s2, 16
	s_and_b32 s2, s2, 0xffff
	s_and_b32 s3, s3, 0xffff
	s_mul_i32 s2, s4, s2
	s_delay_alu instid0(SALU_CYCLE_1) | instskip(NEXT) | instid1(SALU_CYCLE_1)
	s_mul_i32 s2, s2, s3
	s_cmp_lg_u32 s2, 0x200
	s_cbranch_scc1 .LBB108_50
; %bb.1:
	s_load_b32 s31, s[0:1], 0x88
	s_lshr_b32 s34, ttmp7, 16
	s_wait_kmcnt 0x0
	s_cmp_ge_u32 s34, s31
	s_cbranch_scc1 .LBB108_50
; %bb.2:
	s_clause 0x3
	s_load_b96 s[4:6], s[0:1], 0x70
	s_load_b256 s[8:15], s[0:1], 0x8
	s_load_b96 s[28:30], s[0:1], 0x40
	s_load_b64 s[36:37], s[0:1], 0x0
	v_and_b32_e32 v5, 0x3ff, v0
	v_bfe_u32 v4, v0, 10, 10
	s_lshl_b32 s42, ttmp9, 7
	s_clause 0x3
	s_load_b32 s33, s[0:1], 0x28
	s_load_b128 s[24:27], s[0:1], 0x30
	s_load_b256 s[16:23], s[0:1], 0x50
	s_load_b64 s[38:39], s[0:1], 0x80
	v_dual_mov_b32 v1, 0 :: v_dual_lshlrev_b32 v58, 2, v4
	v_lshl_add_u32 v9, v4, 5, v5
	s_mov_b32 s35, 0
	s_delay_alu instid0(VALU_DEP_1) | instskip(SKIP_2) | instid1(VALU_DEP_1)
	v_add_nc_u32_e32 v0, s42, v9
	s_wait_kmcnt 0x0
	s_ashr_i32 s1, s6, 31
	v_mad_co_u64_u32 v[6:7], null, s6, v0, 0
	s_lshl_b64 s[2:3], s[14:15], 3
	s_ashr_i32 s7, s37, 31
	s_add_nc_u64 s[12:13], s[12:13], s[2:3]
	s_wait_alu 0xfffe
	s_lshr_b32 s2, s7, 26
	s_lshl_b64 s[4:5], s[4:5], 3
	s_add_co_i32 s43, s37, s2
	v_dual_mov_b32 v2, v7 :: v_dual_add_nc_u32 v57, s42, v5
	v_mul_lo_u32 v12, v4, s33
	s_add_nc_u64 s[22:23], s[22:23], s[4:5]
	s_wait_alu 0xfffe
	s_and_not1_b32 s43, s43, 63
	v_mad_co_u64_u32 v[2:3], null, s1, v0, v[2:3]
	v_add_nc_u32_e32 v10, 64, v57
	v_add_nc_u32_e32 v8, 32, v57
	;; [unrolled: 1-line block ×3, first 2 shown]
	v_lshlrev_b32_e32 v3, 3, v5
	s_wait_alu 0xfffe
	s_sub_co_i32 s5, s37, s43
	v_cmp_gt_i32_e64 s3, s36, v10
	v_mov_b32_e32 v7, v2
	v_or_b32_e32 v2, s42, v9
	v_mul_lo_u32 v10, s33, v58
	v_cmp_gt_i32_e64 s2, s36, v8
	v_cmp_gt_i32_e64 s4, s36, v11
	v_or_b32_e32 v11, 2, v58
	v_mul_lo_u32 v8, s6, v2
	v_mul_lo_u32 v13, v4, s30
	s_lshl_b64 s[14:15], s[28:29], 3
	s_ashr_i32 s29, s36, 31
	v_add3_u32 v60, v10, s33, v5
	v_or_b32_e32 v10, 3, v58
	s_mov_b32 s28, s36
	s_cmp_gt_i32 s5, 0
	v_cmp_gt_u32_e64 s5, 0x80, v9
	v_ashrrev_i32_e32 v9, 31, v8
	s_add_nc_u64 s[14:15], s[26:27], s[14:15]
	v_cmp_gt_i64_e32 vcc_lo, s[28:29], v[0:1]
	v_lshl_add_u32 v0, v4, 10, v3
	v_lshl_add_u32 v59, v4, 8, v3
	v_cmp_gt_i32_e64 s6, s36, v2
	v_mad_co_u64_u32 v[2:3], null, s33, v11, v[5:6]
	s_mov_b32 s26, s30
	v_mad_co_u64_u32 v[3:4], null, s33, v10, v[5:6]
	v_lshl_add_u32 v61, v12, 2, v5
	v_mad_co_u64_u32 v[4:5], null, s30, v58, s[26:27]
	v_mul_lo_u32 v62, s30, v11
	v_mul_lo_u32 v63, s30, v10
	v_lshlrev_b64_e32 v[5:6], 3, v[6:7]
	v_lshlrev_b64_e32 v[7:8], 3, v[8:9]
	v_cmp_gt_i32_e64 s0, s36, v57
	v_cmp_gt_i32_e64 s1, s43, v58
	v_lshlrev_b32_e32 v64, 2, v13
	s_cselect_b32 s36, -1, 0
	s_and_b32 s44, s5, vcc_lo
	s_lshl_b32 s45, s33, 6
	s_lshl_b32 s46, s30, 6
	s_branch .LBB108_6
.LBB108_3:                              ;   in Loop: Header=BB108_6 Depth=1
	v_add_co_u32 v11, vcc_lo, s26, v7
	s_wait_alu 0xfffd
	v_add_co_ci_u32_e64 v12, null, s27, v8, vcc_lo
	global_store_b64 v[11:12], v[9:10], off
.LBB108_4:                              ;   in Loop: Header=BB108_6 Depth=1
	s_wait_alu 0xfffe
	s_or_b32 exec_lo, exec_lo, s7
.LBB108_5:                              ;   in Loop: Header=BB108_6 Depth=1
	s_add_co_i32 s34, s34, 0x10000
	s_delay_alu instid0(SALU_CYCLE_1)
	s_cmp_lt_u32 s34, s31
	s_cbranch_scc0 .LBB108_50
.LBB108_6:                              ; =>This Loop Header: Depth=1
                                        ;     Child Loop BB108_22 Depth 2
	s_mul_u64 s[26:27], s[10:11], s[34:35]
	s_wait_alu 0xfffe
	s_lshl_b64 s[26:27], s[26:27], 3
	s_wait_alu 0xfffe
	s_add_nc_u64 s[26:27], s[8:9], s[26:27]
	global_load_b64 v[9:10], v1, s[26:27]
	s_mul_u64 s[26:27], s[20:21], s[34:35]
	s_wait_alu 0xfffe
	s_lshl_b64 s[26:27], s[26:27], 3
	s_wait_alu 0xfffe
	s_add_nc_u64 s[26:27], s[18:19], s[26:27]
	global_load_b64 v[11:12], v1, s[26:27]
	s_wait_loadcnt 0x1
	v_readfirstlane_b32 s49, v9
	v_readfirstlane_b32 s50, v10
	s_cmp_neq_f32 s49, 0
	s_wait_loadcnt 0x0
	v_readfirstlane_b32 s47, v11
	v_readfirstlane_b32 s48, v12
	s_cselect_b32 s7, -1, 0
	s_cmp_neq_f32 s50, 0
	s_cselect_b32 s26, -1, 0
	s_wait_alu 0xfffe
	s_or_b32 s7, s7, s26
	s_wait_alu 0xfffe
	s_and_b32 vcc_lo, exec_lo, s7
	s_mov_b32 s7, -1
	s_wait_alu 0xfffe
	s_cbranch_vccnz .LBB108_8
; %bb.7:                                ;   in Loop: Header=BB108_6 Depth=1
	s_cmp_neq_f32 s47, 1.0
	s_cselect_b32 s7, -1, 0
	s_cmp_neq_f32 s48, 0
	s_cselect_b32 s26, -1, 0
	s_wait_alu 0xfffe
	s_or_b32 s7, s7, s26
.LBB108_8:                              ;   in Loop: Header=BB108_6 Depth=1
	s_wait_alu 0xfffe
	s_and_not1_b32 vcc_lo, exec_lo, s7
	s_wait_alu 0xfffe
	s_cbranch_vccnz .LBB108_5
; %bb.9:                                ;   in Loop: Header=BB108_6 Depth=1
	s_mul_u64 s[26:27], s[38:39], s[34:35]
	s_or_b32 s7, s49, s50
	s_wait_alu 0xfffe
	s_lshl_b64 s[26:27], s[26:27], 3
	s_bitset0_b32 s7, 31
	s_wait_alu 0xfffe
	s_add_nc_u64 s[26:27], s[22:23], s[26:27]
	s_cmp_lg_u32 s7, 0
	s_mov_b32 s7, -1
	s_cbranch_scc1 .LBB108_15
; %bb.10:                               ;   in Loop: Header=BB108_6 Depth=1
	s_and_saveexec_b32 s7, s44
	s_cbranch_execz .LBB108_14
; %bb.11:                               ;   in Loop: Header=BB108_6 Depth=1
	s_cmp_neq_f32 s47, 0
	v_dual_mov_b32 v9, 0 :: v_dual_mov_b32 v10, 0
	s_cselect_b32 s28, -1, 0
	s_cmp_neq_f32 s48, 0
	s_cselect_b32 s29, -1, 0
	s_wait_alu 0xfffe
	s_or_b32 s28, s28, s29
	s_wait_alu 0xfffe
	s_and_not1_b32 vcc_lo, exec_lo, s28
	s_wait_alu 0xfffe
	s_cbranch_vccnz .LBB108_13
; %bb.12:                               ;   in Loop: Header=BB108_6 Depth=1
	v_add_co_u32 v9, vcc_lo, s26, v5
	s_wait_alu 0xfffd
	v_add_co_ci_u32_e64 v10, null, s27, v6, vcc_lo
	global_load_b64 v[11:12], v[9:10], off
	s_wait_loadcnt 0x0
	v_mul_f32_e32 v10, s47, v12
	s_delay_alu instid0(VALU_DEP_1) | instskip(NEXT) | instid1(VALU_DEP_1)
	v_dual_mul_f32 v9, s48, v12 :: v_dual_fmac_f32 v10, s48, v11
	v_fma_f32 v9, s47, v11, -v9
.LBB108_13:                             ;   in Loop: Header=BB108_6 Depth=1
	v_add_co_u32 v11, vcc_lo, s26, v5
	s_wait_alu 0xfffd
	v_add_co_ci_u32_e64 v12, null, s27, v6, vcc_lo
	global_store_b64 v[11:12], v[9:10], off
.LBB108_14:                             ;   in Loop: Header=BB108_6 Depth=1
	s_wait_alu 0xfffe
	s_or_b32 exec_lo, exec_lo, s7
	s_mov_b32 s7, 0
.LBB108_15:                             ;   in Loop: Header=BB108_6 Depth=1
	s_wait_alu 0xfffe
	s_and_not1_b32 vcc_lo, exec_lo, s7
	s_wait_alu 0xfffe
	s_cbranch_vccnz .LBB108_5
; %bb.16:                               ;   in Loop: Header=BB108_6 Depth=1
	s_mul_u64 s[28:29], s[24:25], s[34:35]
	s_mul_u64 s[40:41], s[16:17], s[34:35]
	v_dual_mov_b32 v10, 0 :: v_dual_mov_b32 v65, v58
	v_dual_mov_b32 v9, 0 :: v_dual_mov_b32 v12, 0
	;; [unrolled: 1-line block ×4, first 2 shown]
	v_mov_b32_e32 v15, 0
	s_wait_alu 0xfffe
	s_lshl_b64 s[28:29], s[28:29], 3
	s_lshl_b64 s[40:41], s[40:41], 3
	s_wait_alu 0xfffe
	s_add_nc_u64 s[28:29], s[12:13], s[28:29]
	s_add_nc_u64 s[40:41], s[14:15], s[40:41]
	s_and_saveexec_b32 s7, s1
	s_cbranch_execz .LBB108_28
; %bb.17:                               ;   in Loop: Header=BB108_6 Depth=1
	v_dual_mov_b32 v10, 0 :: v_dual_mov_b32 v67, v3
	v_dual_mov_b32 v66, v61 :: v_dual_mov_b32 v69, v60
	;; [unrolled: 1-line block ×3, first 2 shown]
	s_delay_alu instid0(VALU_DEP_3)
	v_dual_mov_b32 v9, v10 :: v_dual_mov_b32 v12, v10
	v_dual_mov_b32 v11, v10 :: v_dual_mov_b32 v14, v10
	;; [unrolled: 1-line block ×3, first 2 shown]
	v_mov_b32_e32 v15, v10
	s_mov_b32 s51, 0
	s_mov_b32 s52, 0
	s_branch .LBB108_22
.LBB108_18:                             ;   in Loop: Header=BB108_22 Depth=2
	s_or_b32 exec_lo, exec_lo, s56
	s_wait_loadcnt 0x3
	v_mul_f32_e32 v49, v30, v48
	v_mul_f32_e32 v48, v29, v48
	s_wait_loadcnt 0x1
	v_dual_mul_f32 v50, v26, v46 :: v_dual_mul_f32 v51, v20, v44
	v_mul_f32_e32 v46, v25, v46
	v_fma_f32 v49, v29, v47, -v49
	v_fmac_f32_e32 v48, v30, v47
	s_delay_alu instid0(VALU_DEP_4) | instskip(SKIP_4) | instid1(VALU_DEP_2)
	v_fma_f32 v50, v25, v45, -v50
	s_wait_loadcnt 0x0
	v_mul_f32_e32 v47, v18, v42
	v_dual_mul_f32 v42, v17, v42 :: v_dual_add_f32 v11, v11, v49
	v_mul_f32_e32 v44, v19, v44
	v_fmac_f32_e32 v42, v18, v41
	s_delay_alu instid0(VALU_DEP_3) | instskip(SKIP_4) | instid1(VALU_DEP_3)
	v_add_f32_e32 v11, v50, v11
	v_fmac_f32_e32 v46, v26, v45
	v_fma_f32 v45, v19, v43, -v51
	v_fmac_f32_e32 v44, v20, v43
	v_fma_f32 v43, v17, v41, -v47
	v_dual_add_f32 v11, v45, v11 :: v_dual_add_f32 v12, v12, v48
	s_delay_alu instid0(VALU_DEP_1) | instskip(NEXT) | instid1(VALU_DEP_1)
	v_dual_add_f32 v11, v43, v11 :: v_dual_add_f32 v12, v46, v12
	v_add_f32_e32 v12, v44, v12
	s_delay_alu instid0(VALU_DEP_1)
	v_add_f32_e32 v12, v42, v12
.LBB108_19:                             ;   in Loop: Header=BB108_22 Depth=2
	s_or_b32 exec_lo, exec_lo, s55
	s_wait_loadcnt 0x3
	v_mul_f32_e32 v41, v30, v40
	s_wait_loadcnt 0x1
	v_dual_mul_f32 v42, v26, v38 :: v_dual_mul_f32 v43, v20, v36
	v_mul_f32_e32 v38, v25, v38
	v_mul_f32_e32 v40, v29, v40
	v_fma_f32 v41, v29, v39, -v41
	v_mul_f32_e32 v36, v19, v36
	v_fma_f32 v42, v25, v37, -v42
	v_fmac_f32_e32 v38, v26, v37
	v_fma_f32 v37, v19, v35, -v43
	s_delay_alu instid0(VALU_DEP_4) | instskip(NEXT) | instid1(VALU_DEP_1)
	v_dual_add_f32 v13, v13, v41 :: v_dual_fmac_f32 v36, v20, v35
	v_add_f32_e32 v13, v42, v13
	v_fmac_f32_e32 v40, v30, v39
	s_wait_loadcnt 0x0
	v_mul_f32_e32 v39, v18, v34
	v_mul_f32_e32 v34, v17, v34
	v_add_f32_e32 v13, v37, v13
	s_delay_alu instid0(VALU_DEP_3) | instskip(SKIP_1) | instid1(VALU_DEP_4)
	v_fma_f32 v35, v17, v33, -v39
	v_add_f32_e32 v14, v14, v40
	v_fmac_f32_e32 v34, v18, v33
	s_delay_alu instid0(VALU_DEP_2) | instskip(NEXT) | instid1(VALU_DEP_1)
	v_dual_add_f32 v13, v35, v13 :: v_dual_add_f32 v14, v38, v14
	v_add_f32_e32 v14, v36, v14
	s_delay_alu instid0(VALU_DEP_1)
	v_add_f32_e32 v14, v34, v14
.LBB108_20:                             ;   in Loop: Header=BB108_22 Depth=2
	s_or_b32 exec_lo, exec_lo, s54
	s_wait_loadcnt 0x3
	v_mul_f32_e32 v33, v30, v32
	v_mul_f32_e32 v32, v29, v32
	s_wait_loadcnt 0x1
	s_delay_alu instid0(VALU_DEP_1)
	v_dual_mul_f32 v35, v20, v24 :: v_dual_fmac_f32 v32, v30, v31
	s_wait_loadcnt 0x0
	v_mul_f32_e32 v30, v18, v22
	v_mul_f32_e32 v22, v17, v22
	v_fma_f32 v29, v29, v31, -v33
	v_add_f32_e32 v16, v16, v32
	s_delay_alu instid0(VALU_DEP_4) | instskip(SKIP_1) | instid1(VALU_DEP_4)
	v_fma_f32 v17, v17, v21, -v30
	v_mul_f32_e32 v24, v19, v24
	v_dual_add_f32 v15, v15, v29 :: v_dual_mul_f32 v34, v26, v28
	v_fma_f32 v19, v19, v23, -v35
	v_mul_f32_e32 v28, v25, v28
	v_fmac_f32_e32 v22, v18, v21
	s_delay_alu instid0(VALU_DEP_4) | instskip(NEXT) | instid1(VALU_DEP_1)
	v_fma_f32 v25, v25, v27, -v34
	v_add_f32_e32 v15, v25, v15
	s_delay_alu instid0(VALU_DEP_1) | instskip(SKIP_1) | instid1(VALU_DEP_2)
	v_add_f32_e32 v15, v19, v15
	v_fmac_f32_e32 v28, v26, v27
	v_add_f32_e32 v15, v17, v15
	v_fmac_f32_e32 v24, v20, v23
	s_delay_alu instid0(VALU_DEP_3) | instskip(NEXT) | instid1(VALU_DEP_1)
	v_add_f32_e32 v16, v28, v16
	v_add_f32_e32 v16, v24, v16
	s_delay_alu instid0(VALU_DEP_1)
	v_add_f32_e32 v16, v22, v16
.LBB108_21:                             ;   in Loop: Header=BB108_22 Depth=2
	s_wait_alu 0xfffe
	s_or_b32 exec_lo, exec_lo, s53
	v_add_nc_u32_e32 v65, 64, v65
	v_add_nc_u32_e32 v69, s45, v69
	;; [unrolled: 1-line block ×5, first 2 shown]
	v_cmp_le_i32_e32 vcc_lo, s43, v65
	s_add_co_i32 s52, s52, s46
	s_or_b32 s51, vcc_lo, s51
	s_wait_alu 0xfffe
	s_and_not1_b32 exec_lo, exec_lo, s51
	s_cbranch_execz .LBB108_27
.LBB108_22:                             ;   Parent Loop BB108_6 Depth=1
                                        ; =>  This Inner Loop Header: Depth=2
	s_and_saveexec_b32 s53, s0
	s_cbranch_execz .LBB108_21
; %bb.23:                               ;   in Loop: Header=BB108_22 Depth=2
	s_wait_alu 0xfffe
	v_add_nc_u32_e32 v17, s52, v64
	v_add_nc_u32_e32 v19, s52, v4
	;; [unrolled: 1-line block ×5, first 2 shown]
	v_ashrrev_i32_e32 v18, 31, v17
	v_ashrrev_i32_e32 v20, 31, v19
	;; [unrolled: 1-line block ×3, first 2 shown]
	v_add_nc_u32_e32 v27, s42, v69
	v_ashrrev_i32_e32 v24, 31, v23
	v_lshlrev_b64_e32 v[17:18], 3, v[17:18]
	v_lshlrev_b64_e32 v[19:20], 3, v[19:20]
	v_ashrrev_i32_e32 v26, 31, v25
	v_lshlrev_b64_e32 v[21:22], 3, v[21:22]
	v_ashrrev_i32_e32 v28, 31, v27
	v_lshlrev_b64_e32 v[23:24], 3, v[23:24]
	v_add_co_u32 v17, vcc_lo, s40, v17
	v_add_nc_u32_e32 v29, s42, v68
	s_wait_alu 0xfffd
	v_add_co_ci_u32_e64 v18, null, s41, v18, vcc_lo
	v_add_co_u32 v19, vcc_lo, s40, v19
	v_lshlrev_b64_e32 v[25:26], 3, v[25:26]
	v_add_nc_u32_e32 v31, s42, v67
	s_wait_alu 0xfffd
	v_add_co_ci_u32_e64 v20, null, s41, v20, vcc_lo
	v_add_co_u32 v21, vcc_lo, s40, v21
	v_lshlrev_b64_e32 v[27:28], 3, v[27:28]
	v_ashrrev_i32_e32 v30, 31, v29
	s_wait_alu 0xfffd
	v_add_co_ci_u32_e64 v22, null, s41, v22, vcc_lo
	v_add_co_u32 v23, vcc_lo, s40, v23
	v_ashrrev_i32_e32 v32, 31, v31
	s_wait_alu 0xfffd
	v_add_co_ci_u32_e64 v24, null, s41, v24, vcc_lo
	v_add_co_u32 v55, vcc_lo, s28, v25
	s_wait_alu 0xfffd
	v_add_co_ci_u32_e64 v56, null, s29, v26, vcc_lo
	v_lshlrev_b64_e32 v[25:26], 3, v[29:30]
	v_add_co_u32 v53, vcc_lo, s28, v27
	s_wait_alu 0xfffd
	v_add_co_ci_u32_e64 v54, null, s29, v28, vcc_lo
	v_lshlrev_b64_e32 v[27:28], 3, v[31:32]
	s_delay_alu instid0(VALU_DEP_4) | instskip(SKIP_2) | instid1(VALU_DEP_3)
	v_add_co_u32 v51, vcc_lo, s28, v25
	s_wait_alu 0xfffd
	v_add_co_ci_u32_e64 v52, null, s29, v26, vcc_lo
	v_add_co_u32 v49, vcc_lo, s28, v27
	s_wait_alu 0xfffd
	v_add_co_ci_u32_e64 v50, null, s29, v28, vcc_lo
	s_clause 0x3
	global_load_b64 v[29:30], v[17:18], off
	global_load_b64 v[25:26], v[19:20], off
	;; [unrolled: 1-line block ×4, first 2 shown]
	s_clause 0x3
	global_load_b64 v[31:32], v[55:56], off
	global_load_b64 v[27:28], v[53:54], off
	;; [unrolled: 1-line block ×4, first 2 shown]
	s_and_saveexec_b32 s54, s2
	s_cbranch_execz .LBB108_20
; %bb.24:                               ;   in Loop: Header=BB108_22 Depth=2
	s_clause 0x3
	global_load_b64 v[39:40], v[55:56], off offset:256
	global_load_b64 v[37:38], v[53:54], off offset:256
	global_load_b64 v[35:36], v[51:52], off offset:256
	global_load_b64 v[33:34], v[49:50], off offset:256
	s_and_saveexec_b32 s55, s3
	s_cbranch_execz .LBB108_19
; %bb.25:                               ;   in Loop: Header=BB108_22 Depth=2
	s_clause 0x3
	global_load_b64 v[47:48], v[55:56], off offset:512
	global_load_b64 v[45:46], v[53:54], off offset:512
	global_load_b64 v[43:44], v[51:52], off offset:512
	global_load_b64 v[41:42], v[49:50], off offset:512
	;; [unrolled: 8-line block ×3, first 2 shown]
	s_wait_loadcnt 0x1
	v_dual_mul_f32 v71, v26, v54 :: v_dual_mul_f32 v72, v20, v52
	v_mul_f32_e32 v54, v25, v54
	s_delay_alu instid0(VALU_DEP_2) | instskip(SKIP_2) | instid1(VALU_DEP_4)
	v_fma_f32 v71, v25, v53, -v71
	v_mul_f32_e32 v70, v30, v56
	v_mul_f32_e32 v56, v29, v56
	v_fmac_f32_e32 v54, v26, v53
	v_fma_f32 v53, v19, v51, -v72
	s_delay_alu instid0(VALU_DEP_4) | instskip(NEXT) | instid1(VALU_DEP_1)
	v_fma_f32 v70, v29, v55, -v70
	v_dual_mul_f32 v52, v19, v52 :: v_dual_add_f32 v9, v9, v70
	s_delay_alu instid0(VALU_DEP_1) | instskip(SKIP_4) | instid1(VALU_DEP_3)
	v_dual_fmac_f32 v52, v20, v51 :: v_dual_add_f32 v9, v71, v9
	v_fmac_f32_e32 v56, v30, v55
	s_wait_loadcnt 0x0
	v_mul_f32_e32 v55, v18, v50
	v_mul_f32_e32 v50, v17, v50
	v_dual_add_f32 v9, v53, v9 :: v_dual_add_f32 v10, v10, v56
	s_delay_alu instid0(VALU_DEP_3) | instskip(NEXT) | instid1(VALU_DEP_3)
	v_fma_f32 v51, v17, v49, -v55
	v_fmac_f32_e32 v50, v18, v49
	s_delay_alu instid0(VALU_DEP_2) | instskip(NEXT) | instid1(VALU_DEP_1)
	v_dual_add_f32 v10, v54, v10 :: v_dual_add_f32 v9, v51, v9
	v_add_f32_e32 v10, v52, v10
	s_delay_alu instid0(VALU_DEP_1)
	v_add_f32_e32 v10, v50, v10
	s_branch .LBB108_18
.LBB108_27:                             ;   in Loop: Header=BB108_6 Depth=1
	s_or_b32 exec_lo, exec_lo, s51
.LBB108_28:                             ;   in Loop: Header=BB108_6 Depth=1
	s_wait_alu 0xfffe
	s_or_b32 exec_lo, exec_lo, s7
	s_delay_alu instid0(SALU_CYCLE_1)
	s_and_not1_b32 vcc_lo, exec_lo, s36
	s_wait_alu 0xfffe
	s_cbranch_vccnz .LBB108_46
; %bb.29:                               ;   in Loop: Header=BB108_6 Depth=1
	v_cmp_gt_i32_e32 vcc_lo, s37, v65
	v_dual_mov_b32 v17, 0 :: v_dual_mov_b32 v18, 0
	v_or_b32_e32 v25, 1, v65
	v_dual_mov_b32 v19, 0 :: v_dual_mov_b32 v20, 0
	v_dual_mov_b32 v21, 0 :: v_dual_mov_b32 v22, 0
	;; [unrolled: 1-line block ×3, first 2 shown]
	s_and_saveexec_b32 s51, vcc_lo
	s_cbranch_execz .LBB108_37
; %bb.30:                               ;   in Loop: Header=BB108_6 Depth=1
	v_mul_lo_u32 v17, v65, s30
	v_dual_mov_b32 v24, 0 :: v_dual_mov_b32 v23, 0
	v_dual_mov_b32 v22, 0 :: v_dual_mov_b32 v21, 0
	;; [unrolled: 1-line block ×3, first 2 shown]
	s_mov_b32 s52, exec_lo
	s_delay_alu instid0(VALU_DEP_4) | instskip(NEXT) | instid1(VALU_DEP_1)
	v_ashrrev_i32_e32 v18, 31, v17
	v_lshlrev_b64_e32 v[17:18], 3, v[17:18]
	s_delay_alu instid0(VALU_DEP_1) | instskip(SKIP_1) | instid1(VALU_DEP_2)
	v_add_co_u32 v17, s7, s40, v17
	s_wait_alu 0xf1ff
	v_add_co_ci_u32_e64 v18, null, s41, v18, s7
	global_load_b64 v[17:18], v[17:18], off
	v_cmpx_gt_i32_e64 s37, v25
	s_cbranch_execz .LBB108_36
; %bb.31:                               ;   in Loop: Header=BB108_6 Depth=1
	v_mul_lo_u32 v19, v25, s30
	v_or_b32_e32 v26, 2, v65
	v_dual_mov_b32 v24, 0 :: v_dual_mov_b32 v23, 0
	v_dual_mov_b32 v22, 0 :: v_dual_mov_b32 v21, 0
	s_mov_b32 s53, exec_lo
	s_delay_alu instid0(VALU_DEP_4) | instskip(NEXT) | instid1(VALU_DEP_1)
	v_ashrrev_i32_e32 v20, 31, v19
	v_lshlrev_b64_e32 v[19:20], 3, v[19:20]
	s_delay_alu instid0(VALU_DEP_1) | instskip(SKIP_1) | instid1(VALU_DEP_2)
	v_add_co_u32 v19, s7, s40, v19
	s_wait_alu 0xf1ff
	v_add_co_ci_u32_e64 v20, null, s41, v20, s7
	global_load_b64 v[19:20], v[19:20], off
	v_cmpx_gt_i32_e64 s37, v26
	s_cbranch_execz .LBB108_35
; %bb.32:                               ;   in Loop: Header=BB108_6 Depth=1
	v_mul_lo_u32 v21, v26, s30
	v_or_b32_e32 v26, 3, v65
	v_dual_mov_b32 v24, 0 :: v_dual_mov_b32 v23, 0
	s_mov_b32 s54, exec_lo
	s_delay_alu instid0(VALU_DEP_3) | instskip(NEXT) | instid1(VALU_DEP_1)
	v_ashrrev_i32_e32 v22, 31, v21
	v_lshlrev_b64_e32 v[21:22], 3, v[21:22]
	s_delay_alu instid0(VALU_DEP_1) | instskip(SKIP_1) | instid1(VALU_DEP_2)
	v_add_co_u32 v21, s7, s40, v21
	s_wait_alu 0xf1ff
	v_add_co_ci_u32_e64 v22, null, s41, v22, s7
	global_load_b64 v[21:22], v[21:22], off
	v_cmpx_gt_i32_e64 s37, v26
	s_cbranch_execz .LBB108_34
; %bb.33:                               ;   in Loop: Header=BB108_6 Depth=1
	v_mul_lo_u32 v23, v26, s30
	s_delay_alu instid0(VALU_DEP_1) | instskip(NEXT) | instid1(VALU_DEP_1)
	v_ashrrev_i32_e32 v24, 31, v23
	v_lshlrev_b64_e32 v[23:24], 3, v[23:24]
	s_delay_alu instid0(VALU_DEP_1) | instskip(SKIP_1) | instid1(VALU_DEP_2)
	v_add_co_u32 v23, s7, s40, v23
	s_wait_alu 0xf1ff
	v_add_co_ci_u32_e64 v24, null, s41, v24, s7
	global_load_b64 v[23:24], v[23:24], off
.LBB108_34:                             ;   in Loop: Header=BB108_6 Depth=1
	s_or_b32 exec_lo, exec_lo, s54
.LBB108_35:                             ;   in Loop: Header=BB108_6 Depth=1
	s_wait_alu 0xfffe
	s_or_b32 exec_lo, exec_lo, s53
.LBB108_36:                             ;   in Loop: Header=BB108_6 Depth=1
	s_wait_alu 0xfffe
	s_or_b32 exec_lo, exec_lo, s52
.LBB108_37:                             ;   in Loop: Header=BB108_6 Depth=1
	s_wait_alu 0xfffe
	s_or_b32 exec_lo, exec_lo, s51
	s_and_saveexec_b32 s7, s0
	s_cbranch_execz .LBB108_45
; %bb.38:                               ;   in Loop: Header=BB108_6 Depth=1
	v_mul_lo_u32 v27, v65, s33
	v_or_b32_e32 v26, 2, v65
	v_mul_lo_u32 v29, v25, s33
	v_or_b32_e32 v28, 3, v65
	s_delay_alu instid0(VALU_DEP_3) | instskip(NEXT) | instid1(VALU_DEP_2)
	v_mul_lo_u32 v30, v26, s33
	v_mul_lo_u32 v31, v28, s33
	v_cndmask_b32_e32 v27, 0, v27, vcc_lo
	v_cmp_gt_i32_e32 vcc_lo, s37, v25
	s_wait_alu 0xfffd
	v_cndmask_b32_e32 v29, 0, v29, vcc_lo
	v_cmp_gt_i32_e32 vcc_lo, s37, v26
	s_wait_alu 0xfffd
	;; [unrolled: 3-line block ×3, first 2 shown]
	v_dual_cndmask_b32 v28, 0, v31 :: v_dual_add_nc_u32 v25, v27, v57
	v_add_nc_u32_e32 v27, v29, v57
	v_add_nc_u32_e32 v29, v26, v57
	s_delay_alu instid0(VALU_DEP_3) | instskip(NEXT) | instid1(VALU_DEP_4)
	v_ashrrev_i32_e32 v26, 31, v25
	v_add_nc_u32_e32 v31, v28, v57
	s_delay_alu instid0(VALU_DEP_4) | instskip(NEXT) | instid1(VALU_DEP_4)
	v_ashrrev_i32_e32 v28, 31, v27
	v_ashrrev_i32_e32 v30, 31, v29
	s_delay_alu instid0(VALU_DEP_4) | instskip(NEXT) | instid1(VALU_DEP_4)
	v_lshlrev_b64_e32 v[25:26], 3, v[25:26]
	v_ashrrev_i32_e32 v32, 31, v31
	s_delay_alu instid0(VALU_DEP_4) | instskip(NEXT) | instid1(VALU_DEP_4)
	v_lshlrev_b64_e32 v[27:28], 3, v[27:28]
	v_lshlrev_b64_e32 v[29:30], 3, v[29:30]
	s_delay_alu instid0(VALU_DEP_4) | instskip(NEXT) | instid1(VALU_DEP_4)
	v_add_co_u32 v55, vcc_lo, s28, v25
	v_lshlrev_b64_e32 v[31:32], 3, v[31:32]
	s_wait_alu 0xfffd
	v_add_co_ci_u32_e64 v56, null, s29, v26, vcc_lo
	v_add_co_u32 v53, vcc_lo, s28, v27
	s_wait_alu 0xfffd
	v_add_co_ci_u32_e64 v54, null, s29, v28, vcc_lo
	v_add_co_u32 v51, vcc_lo, s28, v29
	;; [unrolled: 3-line block ×3, first 2 shown]
	s_wait_alu 0xfffd
	v_add_co_ci_u32_e64 v50, null, s29, v32, vcc_lo
	s_clause 0x3
	global_load_b64 v[31:32], v[55:56], off
	global_load_b64 v[29:30], v[53:54], off
	;; [unrolled: 1-line block ×4, first 2 shown]
	s_and_saveexec_b32 s28, s2
	s_cbranch_execz .LBB108_44
; %bb.39:                               ;   in Loop: Header=BB108_6 Depth=1
	s_clause 0x3
	global_load_b64 v[39:40], v[55:56], off offset:256
	global_load_b64 v[37:38], v[53:54], off offset:256
	global_load_b64 v[35:36], v[51:52], off offset:256
	global_load_b64 v[33:34], v[49:50], off offset:256
	s_and_saveexec_b32 s29, s3
	s_cbranch_execz .LBB108_43
; %bb.40:                               ;   in Loop: Header=BB108_6 Depth=1
	s_clause 0x3
	global_load_b64 v[47:48], v[55:56], off offset:512
	global_load_b64 v[45:46], v[53:54], off offset:512
	global_load_b64 v[43:44], v[51:52], off offset:512
	global_load_b64 v[41:42], v[49:50], off offset:512
	;; [unrolled: 8-line block ×3, first 2 shown]
	s_wait_loadcnt 0x2
	v_dual_mul_f32 v65, v18, v56 :: v_dual_mul_f32 v66, v20, v54
	v_mul_f32_e32 v56, v17, v56
	s_wait_loadcnt 0x1
	v_dual_mul_f32 v54, v19, v54 :: v_dual_mul_f32 v67, v22, v52
	s_delay_alu instid0(VALU_DEP_3)
	v_fma_f32 v65, v17, v55, -v65
	v_fma_f32 v66, v19, v53, -v66
	s_wait_loadcnt 0x0
	v_dual_fmac_f32 v56, v18, v55 :: v_dual_mul_f32 v55, v24, v50
	v_fmac_f32_e32 v54, v20, v53
	v_add_f32_e32 v9, v9, v65
	v_mul_f32_e32 v52, v21, v52
	v_fma_f32 v53, v21, v51, -v67
	s_delay_alu instid0(VALU_DEP_3) | instskip(SKIP_1) | instid1(VALU_DEP_2)
	v_dual_mul_f32 v50, v23, v50 :: v_dual_add_f32 v9, v66, v9
	v_add_f32_e32 v10, v10, v56
	v_fmac_f32_e32 v50, v24, v49
	s_delay_alu instid0(VALU_DEP_3) | instskip(NEXT) | instid1(VALU_DEP_3)
	v_dual_add_f32 v9, v53, v9 :: v_dual_fmac_f32 v52, v22, v51
	v_add_f32_e32 v10, v54, v10
	v_fma_f32 v51, v23, v49, -v55
	s_delay_alu instid0(VALU_DEP_1) | instskip(NEXT) | instid1(VALU_DEP_1)
	v_dual_add_f32 v9, v51, v9 :: v_dual_add_f32 v10, v52, v10
	v_add_f32_e32 v10, v50, v10
.LBB108_42:                             ;   in Loop: Header=BB108_6 Depth=1
	s_wait_alu 0xfffe
	s_or_b32 exec_lo, exec_lo, s40
	s_wait_loadcnt 0x2
	v_dual_mul_f32 v49, v18, v48 :: v_dual_mul_f32 v50, v20, v46
	v_mul_f32_e32 v48, v17, v48
	s_wait_loadcnt 0x1
	v_dual_mul_f32 v46, v19, v46 :: v_dual_mul_f32 v51, v22, v44
	s_delay_alu instid0(VALU_DEP_3)
	v_fma_f32 v49, v17, v47, -v49
	v_mul_f32_e32 v44, v21, v44
	v_fmac_f32_e32 v48, v18, v47
	v_fma_f32 v50, v19, v45, -v50
	s_wait_loadcnt 0x0
	v_mul_f32_e32 v47, v24, v42
	v_add_f32_e32 v11, v11, v49
	v_fmac_f32_e32 v46, v20, v45
	v_fma_f32 v45, v21, v43, -v51
	v_mul_f32_e32 v42, v23, v42
	v_fmac_f32_e32 v44, v22, v43
	v_dual_add_f32 v11, v50, v11 :: v_dual_add_f32 v12, v12, v48
	v_fma_f32 v43, v23, v41, -v47
	s_delay_alu instid0(VALU_DEP_2) | instskip(NEXT) | instid1(VALU_DEP_1)
	v_dual_fmac_f32 v42, v24, v41 :: v_dual_add_f32 v11, v45, v11
	v_dual_add_f32 v12, v46, v12 :: v_dual_add_f32 v11, v43, v11
	s_delay_alu instid0(VALU_DEP_1) | instskip(NEXT) | instid1(VALU_DEP_1)
	v_add_f32_e32 v12, v44, v12
	v_add_f32_e32 v12, v42, v12
.LBB108_43:                             ;   in Loop: Header=BB108_6 Depth=1
	s_wait_alu 0xfffe
	s_or_b32 exec_lo, exec_lo, s29
	s_wait_loadcnt 0x2
	v_dual_mul_f32 v41, v18, v40 :: v_dual_mul_f32 v42, v20, v38
	v_mul_f32_e32 v40, v17, v40
	s_wait_loadcnt 0x1
	v_dual_mul_f32 v38, v19, v38 :: v_dual_mul_f32 v43, v22, v36
	s_delay_alu instid0(VALU_DEP_3)
	v_fma_f32 v41, v17, v39, -v41
	v_fma_f32 v42, v19, v37, -v42
	s_wait_loadcnt 0x0
	v_dual_fmac_f32 v40, v18, v39 :: v_dual_mul_f32 v39, v24, v34
	v_fmac_f32_e32 v38, v20, v37
	v_add_f32_e32 v13, v13, v41
	v_mul_f32_e32 v36, v21, v36
	v_fma_f32 v37, v21, v35, -v43
	s_delay_alu instid0(VALU_DEP_3) | instskip(SKIP_1) | instid1(VALU_DEP_2)
	v_dual_mul_f32 v34, v23, v34 :: v_dual_add_f32 v13, v42, v13
	v_add_f32_e32 v14, v14, v40
	v_fmac_f32_e32 v34, v24, v33
	s_delay_alu instid0(VALU_DEP_3) | instskip(NEXT) | instid1(VALU_DEP_3)
	v_dual_add_f32 v13, v37, v13 :: v_dual_fmac_f32 v36, v22, v35
	v_add_f32_e32 v14, v38, v14
	v_fma_f32 v35, v23, v33, -v39
	s_delay_alu instid0(VALU_DEP_1) | instskip(NEXT) | instid1(VALU_DEP_1)
	v_dual_add_f32 v13, v35, v13 :: v_dual_add_f32 v14, v36, v14
	v_add_f32_e32 v14, v34, v14
.LBB108_44:                             ;   in Loop: Header=BB108_6 Depth=1
	s_wait_alu 0xfffe
	s_or_b32 exec_lo, exec_lo, s28
	s_wait_loadcnt 0x2
	v_dual_mul_f32 v33, v18, v32 :: v_dual_mul_f32 v34, v20, v30
	v_mul_f32_e32 v32, v17, v32
	s_wait_loadcnt 0x1
	v_dual_mul_f32 v30, v19, v30 :: v_dual_mul_f32 v35, v22, v28
	s_delay_alu instid0(VALU_DEP_3) | instskip(SKIP_2) | instid1(VALU_DEP_3)
	v_fma_f32 v17, v17, v31, -v33
	v_mul_f32_e32 v28, v21, v28
	v_fma_f32 v19, v19, v29, -v34
	v_add_f32_e32 v15, v15, v17
	s_wait_loadcnt 0x0
	v_dual_mul_f32 v17, v23, v26 :: v_dual_fmac_f32 v32, v18, v31
	v_mul_f32_e32 v18, v24, v26
	v_fmac_f32_e32 v28, v22, v27
	v_add_f32_e32 v15, v19, v15
	s_delay_alu instid0(VALU_DEP_4) | instskip(SKIP_4) | instid1(VALU_DEP_1)
	v_fmac_f32_e32 v17, v24, v25
	v_add_f32_e32 v16, v16, v32
	v_fma_f32 v18, v23, v25, -v18
	v_fmac_f32_e32 v30, v20, v29
	v_fma_f32 v20, v21, v27, -v35
	v_add_f32_e32 v15, v20, v15
	s_delay_alu instid0(VALU_DEP_1) | instskip(NEXT) | instid1(VALU_DEP_4)
	v_add_f32_e32 v15, v18, v15
	v_add_f32_e32 v16, v30, v16
	s_delay_alu instid0(VALU_DEP_1) | instskip(NEXT) | instid1(VALU_DEP_1)
	v_add_f32_e32 v16, v28, v16
	v_add_f32_e32 v16, v17, v16
.LBB108_45:                             ;   in Loop: Header=BB108_6 Depth=1
	s_wait_alu 0xfffe
	s_or_b32 exec_lo, exec_lo, s7
.LBB108_46:                             ;   in Loop: Header=BB108_6 Depth=1
	ds_store_2addr_b64 v0, v[15:16], v[13:14] offset1:32
	ds_store_2addr_b64 v0, v[11:12], v[9:10] offset0:64 offset1:96
	s_wait_storecnt 0x0
	s_wait_loadcnt_dscnt 0x0
	s_barrier_signal -1
	s_barrier_wait -1
	global_inv scope:SCOPE_SE
	s_and_saveexec_b32 s7, s5
	s_cbranch_execz .LBB108_4
; %bb.47:                               ;   in Loop: Header=BB108_6 Depth=1
	ds_load_2addr_stride64_b64 v[9:12], v59 offset1:2
	ds_load_2addr_stride64_b64 v[13:16], v59 offset0:4 offset1:6
	ds_load_2addr_stride64_b64 v[17:20], v59 offset0:8 offset1:10
	s_wait_dscnt 0x2
	v_dual_add_f32 v21, v9, v11 :: v_dual_add_f32 v22, v10, v12
	ds_load_2addr_stride64_b64 v[9:12], v59 offset0:12 offset1:14
	s_wait_dscnt 0x2
	v_dual_add_f32 v13, v21, v13 :: v_dual_add_f32 v14, v22, v14
	s_delay_alu instid0(VALU_DEP_1) | instskip(SKIP_3) | instid1(VALU_DEP_1)
	v_dual_add_f32 v21, v13, v15 :: v_dual_add_f32 v22, v14, v16
	ds_load_2addr_stride64_b64 v[13:16], v59 offset0:16 offset1:18
	s_wait_dscnt 0x2
	v_dual_add_f32 v17, v21, v17 :: v_dual_add_f32 v18, v22, v18
	v_dual_add_f32 v21, v17, v19 :: v_dual_add_f32 v22, v18, v20
	ds_load_2addr_stride64_b64 v[17:20], v59 offset0:20 offset1:22
	s_wait_dscnt 0x2
	v_dual_add_f32 v9, v21, v9 :: v_dual_add_f32 v10, v22, v10
	s_delay_alu instid0(VALU_DEP_1) | instskip(SKIP_3) | instid1(VALU_DEP_1)
	v_dual_add_f32 v21, v9, v11 :: v_dual_add_f32 v22, v10, v12
	ds_load_2addr_stride64_b64 v[9:12], v59 offset0:24 offset1:26
	s_wait_dscnt 0x2
	v_dual_add_f32 v13, v21, v13 :: v_dual_add_f32 v14, v22, v14
	v_dual_add_f32 v21, v13, v15 :: v_dual_add_f32 v22, v14, v16
	ds_load_2addr_stride64_b64 v[13:16], v59 offset0:28 offset1:30
	s_wait_dscnt 0x2
	v_dual_add_f32 v17, v21, v17 :: v_dual_add_f32 v18, v22, v18
	s_delay_alu instid0(VALU_DEP_1) | instskip(SKIP_1) | instid1(VALU_DEP_1)
	v_dual_add_f32 v17, v17, v19 :: v_dual_add_f32 v18, v18, v20
	s_wait_dscnt 0x1
	v_dual_add_f32 v9, v17, v9 :: v_dual_add_f32 v10, v18, v10
	s_delay_alu instid0(VALU_DEP_1) | instskip(SKIP_1) | instid1(VALU_DEP_1)
	v_dual_add_f32 v9, v9, v11 :: v_dual_add_f32 v10, v10, v12
	s_wait_dscnt 0x0
	v_dual_add_f32 v9, v9, v13 :: v_dual_add_f32 v10, v10, v14
	s_delay_alu instid0(VALU_DEP_1)
	v_dual_add_f32 v11, v9, v15 :: v_dual_add_f32 v12, v10, v16
	ds_store_b64 v59, v[11:12]
	s_and_b32 exec_lo, exec_lo, s6
	s_cbranch_execz .LBB108_4
; %bb.48:                               ;   in Loop: Header=BB108_6 Depth=1
	s_cmp_neq_f32 s47, 0
	v_mul_f32_e32 v10, s49, v12
	v_mul_f32_e32 v9, s50, v12
	s_cselect_b32 s28, -1, 0
	s_cmp_neq_f32 s48, 0
	s_delay_alu instid0(VALU_DEP_2) | instskip(NEXT) | instid1(VALU_DEP_2)
	v_fmac_f32_e32 v10, s50, v11
	v_fma_f32 v9, v11, s49, -v9
	s_cselect_b32 s29, -1, 0
	s_wait_alu 0xfffe
	s_or_b32 s28, s28, s29
	s_wait_alu 0xfffe
	s_and_not1_b32 vcc_lo, exec_lo, s28
	s_wait_alu 0xfffe
	s_cbranch_vccnz .LBB108_3
; %bb.49:                               ;   in Loop: Header=BB108_6 Depth=1
	v_add_co_u32 v11, vcc_lo, s26, v7
	s_wait_alu 0xfffd
	v_add_co_ci_u32_e64 v12, null, s27, v8, vcc_lo
	global_load_b64 v[11:12], v[11:12], off
	s_wait_loadcnt 0x0
	v_mul_f32_e32 v13, s48, v12
	v_mul_f32_e32 v12, s47, v12
	s_delay_alu instid0(VALU_DEP_1) | instskip(NEXT) | instid1(VALU_DEP_3)
	v_fmac_f32_e32 v12, s48, v11
	v_fma_f32 v13, s47, v11, -v13
	s_delay_alu instid0(VALU_DEP_1)
	v_dual_add_f32 v10, v10, v12 :: v_dual_add_f32 v9, v9, v13
	s_branch .LBB108_3
.LBB108_50:
	s_endpgm
	.section	.rodata,"a",@progbits
	.p2align	6, 0x0
	.amdhsa_kernel _ZL20rocblas_gemvn_kernelILi32ELi16Ei19rocblas_complex_numIfEPKS1_S1_EviiT3_lPKT2_lT1_lS7_lS8_lS4_lPT4_lS8_li
		.amdhsa_group_segment_fixed_size 16384
		.amdhsa_private_segment_fixed_size 0
		.amdhsa_kernarg_size 400
		.amdhsa_user_sgpr_count 2
		.amdhsa_user_sgpr_dispatch_ptr 0
		.amdhsa_user_sgpr_queue_ptr 0
		.amdhsa_user_sgpr_kernarg_segment_ptr 1
		.amdhsa_user_sgpr_dispatch_id 0
		.amdhsa_user_sgpr_private_segment_size 0
		.amdhsa_wavefront_size32 1
		.amdhsa_uses_dynamic_stack 0
		.amdhsa_enable_private_segment 0
		.amdhsa_system_sgpr_workgroup_id_x 1
		.amdhsa_system_sgpr_workgroup_id_y 0
		.amdhsa_system_sgpr_workgroup_id_z 1
		.amdhsa_system_sgpr_workgroup_info 0
		.amdhsa_system_vgpr_workitem_id 1
		.amdhsa_next_free_vgpr 73
		.amdhsa_next_free_sgpr 57
		.amdhsa_reserve_vcc 1
		.amdhsa_float_round_mode_32 0
		.amdhsa_float_round_mode_16_64 0
		.amdhsa_float_denorm_mode_32 3
		.amdhsa_float_denorm_mode_16_64 3
		.amdhsa_fp16_overflow 0
		.amdhsa_workgroup_processor_mode 1
		.amdhsa_memory_ordered 1
		.amdhsa_forward_progress 1
		.amdhsa_inst_pref_size 34
		.amdhsa_round_robin_scheduling 0
		.amdhsa_exception_fp_ieee_invalid_op 0
		.amdhsa_exception_fp_denorm_src 0
		.amdhsa_exception_fp_ieee_div_zero 0
		.amdhsa_exception_fp_ieee_overflow 0
		.amdhsa_exception_fp_ieee_underflow 0
		.amdhsa_exception_fp_ieee_inexact 0
		.amdhsa_exception_int_div_zero 0
	.end_amdhsa_kernel
	.section	.text._ZL20rocblas_gemvn_kernelILi32ELi16Ei19rocblas_complex_numIfEPKS1_S1_EviiT3_lPKT2_lT1_lS7_lS8_lS4_lPT4_lS8_li,"axG",@progbits,_ZL20rocblas_gemvn_kernelILi32ELi16Ei19rocblas_complex_numIfEPKS1_S1_EviiT3_lPKT2_lT1_lS7_lS8_lS4_lPT4_lS8_li,comdat
.Lfunc_end108:
	.size	_ZL20rocblas_gemvn_kernelILi32ELi16Ei19rocblas_complex_numIfEPKS1_S1_EviiT3_lPKT2_lT1_lS7_lS8_lS4_lPT4_lS8_li, .Lfunc_end108-_ZL20rocblas_gemvn_kernelILi32ELi16Ei19rocblas_complex_numIfEPKS1_S1_EviiT3_lPKT2_lT1_lS7_lS8_lS4_lPT4_lS8_li
                                        ; -- End function
	.set _ZL20rocblas_gemvn_kernelILi32ELi16Ei19rocblas_complex_numIfEPKS1_S1_EviiT3_lPKT2_lT1_lS7_lS8_lS4_lPT4_lS8_li.num_vgpr, 73
	.set _ZL20rocblas_gemvn_kernelILi32ELi16Ei19rocblas_complex_numIfEPKS1_S1_EviiT3_lPKT2_lT1_lS7_lS8_lS4_lPT4_lS8_li.num_agpr, 0
	.set _ZL20rocblas_gemvn_kernelILi32ELi16Ei19rocblas_complex_numIfEPKS1_S1_EviiT3_lPKT2_lT1_lS7_lS8_lS4_lPT4_lS8_li.numbered_sgpr, 57
	.set _ZL20rocblas_gemvn_kernelILi32ELi16Ei19rocblas_complex_numIfEPKS1_S1_EviiT3_lPKT2_lT1_lS7_lS8_lS4_lPT4_lS8_li.num_named_barrier, 0
	.set _ZL20rocblas_gemvn_kernelILi32ELi16Ei19rocblas_complex_numIfEPKS1_S1_EviiT3_lPKT2_lT1_lS7_lS8_lS4_lPT4_lS8_li.private_seg_size, 0
	.set _ZL20rocblas_gemvn_kernelILi32ELi16Ei19rocblas_complex_numIfEPKS1_S1_EviiT3_lPKT2_lT1_lS7_lS8_lS4_lPT4_lS8_li.uses_vcc, 1
	.set _ZL20rocblas_gemvn_kernelILi32ELi16Ei19rocblas_complex_numIfEPKS1_S1_EviiT3_lPKT2_lT1_lS7_lS8_lS4_lPT4_lS8_li.uses_flat_scratch, 0
	.set _ZL20rocblas_gemvn_kernelILi32ELi16Ei19rocblas_complex_numIfEPKS1_S1_EviiT3_lPKT2_lT1_lS7_lS8_lS4_lPT4_lS8_li.has_dyn_sized_stack, 0
	.set _ZL20rocblas_gemvn_kernelILi32ELi16Ei19rocblas_complex_numIfEPKS1_S1_EviiT3_lPKT2_lT1_lS7_lS8_lS4_lPT4_lS8_li.has_recursion, 0
	.set _ZL20rocblas_gemvn_kernelILi32ELi16Ei19rocblas_complex_numIfEPKS1_S1_EviiT3_lPKT2_lT1_lS7_lS8_lS4_lPT4_lS8_li.has_indirect_call, 0
	.section	.AMDGPU.csdata,"",@progbits
; Kernel info:
; codeLenInByte = 4272
; TotalNumSgprs: 59
; NumVgprs: 73
; ScratchSize: 0
; MemoryBound: 0
; FloatMode: 240
; IeeeMode: 1
; LDSByteSize: 16384 bytes/workgroup (compile time only)
; SGPRBlocks: 0
; VGPRBlocks: 9
; NumSGPRsForWavesPerEU: 59
; NumVGPRsForWavesPerEU: 73
; Occupancy: 16
; WaveLimiterHint : 1
; COMPUTE_PGM_RSRC2:SCRATCH_EN: 0
; COMPUTE_PGM_RSRC2:USER_SGPR: 2
; COMPUTE_PGM_RSRC2:TRAP_HANDLER: 0
; COMPUTE_PGM_RSRC2:TGID_X_EN: 1
; COMPUTE_PGM_RSRC2:TGID_Y_EN: 0
; COMPUTE_PGM_RSRC2:TGID_Z_EN: 1
; COMPUTE_PGM_RSRC2:TIDIG_COMP_CNT: 1
	.section	.text._ZL20rocblas_gemvn_kernelILi32ELi16El19rocblas_complex_numIfEPKS1_S1_EviiT3_lPKT2_lT1_lS7_lS8_lS4_lPT4_lS8_li,"axG",@progbits,_ZL20rocblas_gemvn_kernelILi32ELi16El19rocblas_complex_numIfEPKS1_S1_EviiT3_lPKT2_lT1_lS7_lS8_lS4_lPT4_lS8_li,comdat
	.globl	_ZL20rocblas_gemvn_kernelILi32ELi16El19rocblas_complex_numIfEPKS1_S1_EviiT3_lPKT2_lT1_lS7_lS8_lS4_lPT4_lS8_li ; -- Begin function _ZL20rocblas_gemvn_kernelILi32ELi16El19rocblas_complex_numIfEPKS1_S1_EviiT3_lPKT2_lT1_lS7_lS8_lS4_lPT4_lS8_li
	.p2align	8
	.type	_ZL20rocblas_gemvn_kernelILi32ELi16El19rocblas_complex_numIfEPKS1_S1_EviiT3_lPKT2_lT1_lS7_lS8_lS4_lPT4_lS8_li,@function
_ZL20rocblas_gemvn_kernelILi32ELi16El19rocblas_complex_numIfEPKS1_S1_EviiT3_lPKT2_lT1_lS7_lS8_lS4_lPT4_lS8_li: ; @_ZL20rocblas_gemvn_kernelILi32ELi16El19rocblas_complex_numIfEPKS1_S1_EviiT3_lPKT2_lT1_lS7_lS8_lS4_lPT4_lS8_li
; %bb.0:
	s_load_b64 s[2:3], s[0:1], 0x9c
	s_wait_kmcnt 0x0
	s_lshr_b32 s4, s2, 16
	s_and_b32 s2, s2, 0xffff
	s_and_b32 s3, s3, 0xffff
	s_mul_i32 s2, s4, s2
	s_delay_alu instid0(SALU_CYCLE_1) | instskip(NEXT) | instid1(SALU_CYCLE_1)
	s_mul_i32 s2, s2, s3
	s_cmp_lg_u32 s2, 0x200
	s_cbranch_scc1 .LBB109_50
; %bb.1:
	s_load_b32 s33, s[0:1], 0x88
	s_lshr_b32 s10, ttmp7, 16
	s_wait_kmcnt 0x0
	s_cmp_ge_u32 s10, s33
	s_cbranch_scc1 .LBB109_50
; %bb.2:
	s_clause 0x2
	s_load_b512 s[12:27], s[0:1], 0x8
	s_load_b512 s[36:51], s[0:1], 0x48
	s_load_b64 s[8:9], s[0:1], 0x0
	v_dual_mov_b32 v1, 0 :: v_dual_and_b32 v10, 0x3ff, v0
	v_bfe_u32 v19, v0, 10, 10
	s_lshl_b32 s30, ttmp9, 7
	s_delay_alu instid0(VALU_DEP_2) | instid1(SALU_CYCLE_1)
	v_add_nc_u32_e32 v4, s30, v10
	s_delay_alu instid0(VALU_DEP_2) | instskip(NEXT) | instid1(VALU_DEP_2)
	v_lshl_add_u32 v12, v19, 5, v10
	v_add_nc_u32_e32 v2, 32, v4
	s_delay_alu instid0(VALU_DEP_2) | instskip(SKIP_2) | instid1(VALU_DEP_1)
	v_add_nc_u32_e32 v0, s30, v12
	s_wait_kmcnt 0x0
	s_lshl_b64 s[4:5], s[18:19], 3
	v_mad_co_u64_u32 v[6:7], null, s48, v0, 0
	v_add_nc_u32_e32 v3, 64, v4
	v_cmp_gt_i32_e64 s1, s8, v2
	s_ashr_i32 s11, s9, 31
	s_add_nc_u64 s[16:17], s[16:17], s[4:5]
	s_lshr_b32 s4, s11, 26
	s_lshl_b64 s[6:7], s[26:27], 3
	v_mov_b32_e32 v2, v7
	v_cmp_gt_i32_e64 s2, s8, v3
	s_add_co_i32 s52, s9, s4
	s_lshl_b64 s[26:27], s[46:47], 3
	s_and_not1_b32 s52, s52, 63
	v_mad_co_u64_u32 v[2:3], null, s49, v0, v[2:3]
	s_sub_co_i32 s5, s9, s52
	s_ashr_i32 s29, s8, 31
	s_cmp_gt_i32 s5, 0
	s_add_nc_u64 s[18:19], s[24:25], s[6:7]
	s_cselect_b32 s53, -1, 0
	s_ashr_i32 s7, s30, 31
	v_dual_mov_b32 v7, v2 :: v_dual_add_nc_u32 v8, 0x60, v4
	s_mul_i32 s7, s48, s7
	s_mov_b32 s28, s8
	v_cmp_gt_u32_e64 s5, 0x80, v12
	v_cmp_gt_i64_e32 vcc_lo, s[28:29], v[0:1]
	v_cmp_gt_i32_e64 s3, s8, v8
	v_mad_co_u64_u32 v[8:9], null, s36, v19, 0
	v_lshlrev_b32_e32 v13, 3, v10
	v_ashrrev_i32_e32 v5, 31, v4
	s_and_b32 s54, s5, vcc_lo
	v_cmp_gt_i32_e64 s0, s8, v4
	v_lshlrev_b64_e32 v[6:7], 3, v[6:7]
	s_add_nc_u64 s[24:25], s[44:45], s[26:27]
	v_mov_b32_e32 v2, v9
	v_or_b32_e32 v9, s30, v12
	v_lshl_add_u32 v0, v19, 10, v13
	v_lshl_add_u32 v61, v19, 8, v13
	v_mad_co_u64_u32 v[12:13], null, s20, v19, 0
	v_mad_co_u64_u32 v[2:3], null, s37, v19, v[2:3]
	v_lshlrev_b32_e32 v60, 2, v19
	v_mul_lo_u32 v3, s49, v9
	v_mad_co_u64_u32 v[10:11], null, s48, v9, 0
	v_cmp_gt_i32_e64 s6, s8, v9
	v_lshlrev_b64_e32 v[4:5], 3, v[4:5]
	v_mov_b32_e32 v9, v2
	v_or_b32_e32 v16, 3, v60
	v_or_b32_e32 v21, 2, v60
	v_cmp_gt_i32_e64 s4, s52, v60
	v_add3_u32 v11, v11, s7, v3
	v_lshlrev_b64_e32 v[2:3], 5, v[8:9]
	v_mad_co_u64_u32 v[8:9], null, s20, v16, 0
	v_mad_co_u64_u32 v[14:15], null, s20, v21, 0
	s_mov_b32 s11, 0
	v_add_co_u32 v2, vcc_lo, s18, v2
	s_delay_alu instid0(VALU_DEP_1)
	v_add_co_ci_u32_e64 v3, null, s19, v3, vcc_lo
	v_mad_co_u64_u32 v[16:17], null, s21, v16, v[9:10]
	v_mad_co_u64_u32 v[17:18], null, s20, v60, s[20:21]
	;; [unrolled: 1-line block ×3, first 2 shown]
	v_mov_b32_e32 v13, v15
	s_lshl_b64 s[26:27], s[38:39], 3
	s_delay_alu instid0(VALU_DEP_4) | instskip(SKIP_3) | instid1(VALU_DEP_4)
	v_mov_b32_e32 v9, v16
	s_lshl_b64 s[28:29], s[36:37], 9
	s_lshl_b64 s[30:31], s[22:23], 3
	v_mad_co_u64_u32 v[15:16], null, s21, v21, v[13:14]
	v_dual_mov_b32 v16, v18 :: v_dual_mov_b32 v13, v19
	v_lshlrev_b64_e32 v[8:9], 3, v[8:9]
	s_lshl_b64 s[34:35], s[20:21], 9
	s_lshl_b64 s[44:45], s[36:37], 3
	s_delay_alu instid0(VALU_DEP_2) | instskip(SKIP_1) | instid1(VALU_DEP_3)
	v_mad_co_u64_u32 v[18:19], null, s21, v60, v[16:17]
	v_lshlrev_b64_e32 v[12:13], 5, v[12:13]
	v_add_co_u32 v62, vcc_lo, s16, v8
	s_wait_alu 0xfffd
	v_add_co_ci_u32_e64 v63, null, s17, v9, vcc_lo
	v_lshlrev_b64_e32 v[8:9], 3, v[14:15]
	s_delay_alu instid0(VALU_DEP_4) | instskip(SKIP_3) | instid1(VALU_DEP_4)
	v_add_co_u32 v64, vcc_lo, s16, v12
	s_wait_alu 0xfffd
	v_add_co_ci_u32_e64 v65, null, s17, v13, vcc_lo
	v_lshlrev_b64_e32 v[12:13], 3, v[17:18]
	v_add_co_u32 v66, vcc_lo, s16, v8
	s_wait_alu 0xfffd
	v_add_co_ci_u32_e64 v67, null, s17, v9, vcc_lo
	v_lshlrev_b64_e32 v[8:9], 3, v[10:11]
	s_delay_alu instid0(VALU_DEP_4)
	v_add_co_u32 v68, vcc_lo, s16, v12
	s_wait_alu 0xfffd
	v_add_co_ci_u32_e64 v69, null, s17, v13, vcc_lo
	s_branch .LBB109_6
.LBB109_3:                              ;   in Loop: Header=BB109_6 Depth=1
	v_add_co_u32 v12, vcc_lo, s46, v8
	s_wait_alu 0xfffd
	v_add_co_ci_u32_e64 v13, null, s47, v9, vcc_lo
	global_store_b64 v[12:13], v[10:11], off
.LBB109_4:                              ;   in Loop: Header=BB109_6 Depth=1
	s_wait_alu 0xfffe
	s_or_b32 exec_lo, exec_lo, s7
.LBB109_5:                              ;   in Loop: Header=BB109_6 Depth=1
	s_add_co_i32 s10, s10, 0x10000
	s_wait_alu 0xfffe
	s_cmp_lt_u32 s10, s33
	s_cbranch_scc0 .LBB109_50
.LBB109_6:                              ; =>This Loop Header: Depth=1
                                        ;     Child Loop BB109_22 Depth 2
	s_mul_u64 s[46:47], s[14:15], s[10:11]
	s_wait_alu 0xfffe
	s_lshl_b64 s[46:47], s[46:47], 3
	s_wait_alu 0xfffe
	s_add_nc_u64 s[46:47], s[12:13], s[46:47]
	global_load_b64 v[10:11], v1, s[46:47]
	s_mul_u64 s[46:47], s[42:43], s[10:11]
	s_wait_alu 0xfffe
	s_lshl_b64 s[46:47], s[46:47], 3
	s_wait_alu 0xfffe
	s_add_nc_u64 s[46:47], s[40:41], s[46:47]
	global_load_b64 v[12:13], v1, s[46:47]
	s_wait_loadcnt 0x1
	v_readfirstlane_b32 s57, v10
	v_readfirstlane_b32 s58, v11
	s_cmp_neq_f32 s57, 0
	s_wait_loadcnt 0x0
	v_readfirstlane_b32 s55, v12
	v_readfirstlane_b32 s56, v13
	s_cselect_b32 s7, -1, 0
	s_cmp_neq_f32 s58, 0
	s_cselect_b32 s8, -1, 0
	s_wait_alu 0xfffe
	s_or_b32 s7, s7, s8
	s_wait_alu 0xfffe
	s_and_b32 vcc_lo, exec_lo, s7
	s_mov_b32 s7, -1
	s_wait_alu 0xfffe
	s_cbranch_vccnz .LBB109_8
; %bb.7:                                ;   in Loop: Header=BB109_6 Depth=1
	s_cmp_neq_f32 s55, 1.0
	s_cselect_b32 s7, -1, 0
	s_cmp_neq_f32 s56, 0
	s_cselect_b32 s8, -1, 0
	s_wait_alu 0xfffe
	s_or_b32 s7, s7, s8
.LBB109_8:                              ;   in Loop: Header=BB109_6 Depth=1
	s_wait_alu 0xfffe
	s_and_not1_b32 vcc_lo, exec_lo, s7
	s_wait_alu 0xfffe
	s_cbranch_vccnz .LBB109_5
; %bb.9:                                ;   in Loop: Header=BB109_6 Depth=1
	s_mul_u64 s[46:47], s[50:51], s[10:11]
	s_or_b32 s7, s57, s58
	s_wait_alu 0xfffe
	s_lshl_b64 s[46:47], s[46:47], 3
	s_bitset0_b32 s7, 31
	s_wait_alu 0xfffe
	s_add_nc_u64 s[46:47], s[24:25], s[46:47]
	s_cmp_lg_u32 s7, 0
	s_mov_b32 s7, -1
	s_cbranch_scc1 .LBB109_15
; %bb.10:                               ;   in Loop: Header=BB109_6 Depth=1
	s_and_saveexec_b32 s7, s54
	s_cbranch_execz .LBB109_14
; %bb.11:                               ;   in Loop: Header=BB109_6 Depth=1
	s_cmp_neq_f32 s55, 0
	v_dual_mov_b32 v10, 0 :: v_dual_mov_b32 v11, 0
	s_cselect_b32 s8, -1, 0
	s_cmp_neq_f32 s56, 0
	s_cselect_b32 s48, -1, 0
	s_wait_alu 0xfffe
	s_or_b32 s8, s8, s48
	s_wait_alu 0xfffe
	s_and_not1_b32 vcc_lo, exec_lo, s8
	s_wait_alu 0xfffe
	s_cbranch_vccnz .LBB109_13
; %bb.12:                               ;   in Loop: Header=BB109_6 Depth=1
	v_add_co_u32 v10, vcc_lo, s46, v6
	s_wait_alu 0xfffd
	v_add_co_ci_u32_e64 v11, null, s47, v7, vcc_lo
	global_load_b64 v[12:13], v[10:11], off
	s_wait_loadcnt 0x0
	v_mul_f32_e32 v11, s55, v13
	s_delay_alu instid0(VALU_DEP_1) | instskip(NEXT) | instid1(VALU_DEP_1)
	v_dual_mul_f32 v10, s56, v13 :: v_dual_fmac_f32 v11, s56, v12
	v_fma_f32 v10, s55, v12, -v10
.LBB109_13:                             ;   in Loop: Header=BB109_6 Depth=1
	v_add_co_u32 v12, vcc_lo, s46, v6
	s_wait_alu 0xfffd
	v_add_co_ci_u32_e64 v13, null, s47, v7, vcc_lo
	global_store_b64 v[12:13], v[10:11], off
.LBB109_14:                             ;   in Loop: Header=BB109_6 Depth=1
	s_wait_alu 0xfffe
	s_or_b32 exec_lo, exec_lo, s7
	s_mov_b32 s7, 0
.LBB109_15:                             ;   in Loop: Header=BB109_6 Depth=1
	s_wait_alu 0xfffe
	s_and_not1_b32 vcc_lo, exec_lo, s7
	s_wait_alu 0xfffe
	s_cbranch_vccnz .LBB109_5
; %bb.16:                               ;   in Loop: Header=BB109_6 Depth=1
	v_dual_mov_b32 v11, 0 :: v_dual_mov_b32 v70, v60
	v_dual_mov_b32 v10, 0 :: v_dual_mov_b32 v13, 0
	;; [unrolled: 1-line block ×4, first 2 shown]
	v_mov_b32_e32 v16, 0
	s_and_saveexec_b32 s8, s4
	s_cbranch_execz .LBB109_28
; %bb.17:                               ;   in Loop: Header=BB109_6 Depth=1
	v_mad_co_u64_u32 v[18:19], null, s26, s10, v[2:3]
	v_mov_b32_e32 v11, 0
	s_mul_u64 s[48:49], s[30:31], s[10:11]
	v_mov_b32_e32 v70, v60
	s_wait_alu 0xfffe
	v_add_co_u32 v71, vcc_lo, v62, s48
	s_wait_alu 0xfffd
	v_add_co_ci_u32_e64 v72, null, s49, v63, vcc_lo
	v_mov_b32_e32 v10, v19
	v_add_co_u32 v73, vcc_lo, v64, s48
	s_wait_alu 0xfffd
	v_add_co_ci_u32_e64 v74, null, s49, v65, vcc_lo
	s_delay_alu instid0(VALU_DEP_3) | instskip(SKIP_4) | instid1(VALU_DEP_4)
	v_mad_co_u64_u32 v[12:13], null, s27, s10, v[10:11]
	v_add_co_u32 v75, vcc_lo, v66, s48
	s_wait_alu 0xfffd
	v_add_co_ci_u32_e64 v76, null, s49, v67, vcc_lo
	v_add_co_u32 v77, vcc_lo, v68, s48
	v_mov_b32_e32 v19, v12
	s_wait_alu 0xfffd
	v_add_co_ci_u32_e64 v78, null, s49, v69, vcc_lo
	v_dual_mov_b32 v10, v11 :: v_dual_mov_b32 v13, v11
	v_dual_mov_b32 v12, v11 :: v_dual_mov_b32 v15, v11
	v_dual_mov_b32 v14, v11 :: v_dual_mov_b32 v17, v11
	v_mov_b32_e32 v16, v11
	s_mov_b32 s48, 0
	s_branch .LBB109_22
.LBB109_18:                             ;   in Loop: Header=BB109_22 Depth=2
	s_wait_alu 0xfffe
	s_or_b32 exec_lo, exec_lo, s60
	s_wait_loadcnt 0x3
	v_mul_f32_e32 v52, v33, v51
	s_wait_loadcnt 0x1
	v_dual_mul_f32 v53, v29, v49 :: v_dual_mul_f32 v54, v23, v47
	v_mul_f32_e32 v49, v28, v49
	v_mul_f32_e32 v51, v32, v51
	v_fma_f32 v52, v32, v50, -v52
	v_mul_f32_e32 v47, v22, v47
	v_fma_f32 v53, v28, v48, -v53
	v_fmac_f32_e32 v49, v29, v48
	v_fma_f32 v48, v22, v46, -v54
	s_delay_alu instid0(VALU_DEP_4) | instskip(NEXT) | instid1(VALU_DEP_1)
	v_dual_add_f32 v12, v12, v52 :: v_dual_fmac_f32 v47, v23, v46
	v_add_f32_e32 v12, v53, v12
	v_fmac_f32_e32 v51, v33, v50
	s_wait_loadcnt 0x0
	v_mul_f32_e32 v50, v21, v45
	v_mul_f32_e32 v45, v20, v45
	v_add_f32_e32 v12, v48, v12
	s_delay_alu instid0(VALU_DEP_3) | instskip(SKIP_1) | instid1(VALU_DEP_4)
	v_fma_f32 v46, v20, v44, -v50
	v_add_f32_e32 v13, v13, v51
	v_fmac_f32_e32 v45, v21, v44
	s_delay_alu instid0(VALU_DEP_2) | instskip(NEXT) | instid1(VALU_DEP_1)
	v_dual_add_f32 v12, v46, v12 :: v_dual_add_f32 v13, v49, v13
	v_add_f32_e32 v13, v47, v13
	s_delay_alu instid0(VALU_DEP_1)
	v_add_f32_e32 v13, v45, v13
.LBB109_19:                             ;   in Loop: Header=BB109_22 Depth=2
	s_wait_alu 0xfffe
	s_or_b32 exec_lo, exec_lo, s59
	s_wait_loadcnt 0x3
	v_mul_f32_e32 v44, v33, v43
	v_mul_f32_e32 v43, v32, v43
	s_wait_loadcnt 0x1
	v_dual_mul_f32 v45, v29, v41 :: v_dual_mul_f32 v46, v23, v39
	v_mul_f32_e32 v41, v28, v41
	v_fma_f32 v44, v32, v42, -v44
	v_fmac_f32_e32 v43, v33, v42
	s_delay_alu instid0(VALU_DEP_4) | instskip(SKIP_4) | instid1(VALU_DEP_2)
	v_fma_f32 v45, v28, v40, -v45
	s_wait_loadcnt 0x0
	v_mul_f32_e32 v42, v21, v37
	v_dual_mul_f32 v37, v20, v37 :: v_dual_add_f32 v14, v14, v44
	v_mul_f32_e32 v39, v22, v39
	v_fmac_f32_e32 v37, v21, v36
	s_delay_alu instid0(VALU_DEP_3) | instskip(SKIP_4) | instid1(VALU_DEP_3)
	v_add_f32_e32 v14, v45, v14
	v_fmac_f32_e32 v41, v29, v40
	v_fma_f32 v40, v22, v38, -v46
	v_fmac_f32_e32 v39, v23, v38
	v_fma_f32 v38, v20, v36, -v42
	v_dual_add_f32 v14, v40, v14 :: v_dual_add_f32 v15, v15, v43
	s_delay_alu instid0(VALU_DEP_1) | instskip(NEXT) | instid1(VALU_DEP_1)
	v_dual_add_f32 v14, v38, v14 :: v_dual_add_f32 v15, v41, v15
	v_add_f32_e32 v15, v39, v15
	s_delay_alu instid0(VALU_DEP_1)
	v_add_f32_e32 v15, v37, v15
.LBB109_20:                             ;   in Loop: Header=BB109_22 Depth=2
	s_wait_alu 0xfffe
	s_or_b32 exec_lo, exec_lo, s49
	s_wait_loadcnt 0x1
	v_mul_f32_e32 v38, v23, v27
	v_mul_f32_e32 v36, v33, v35
	;; [unrolled: 1-line block ×3, first 2 shown]
	s_delay_alu instid0(VALU_DEP_3) | instskip(SKIP_1) | instid1(VALU_DEP_1)
	v_fma_f32 v22, v22, v26, -v38
	v_mul_f32_e32 v35, v32, v35
	v_fmac_f32_e32 v35, v33, v34
	s_wait_loadcnt 0x0
	v_mul_f32_e32 v33, v21, v25
	v_mul_f32_e32 v25, v20, v25
	v_fma_f32 v32, v32, v34, -v36
	v_mul_f32_e32 v37, v29, v31
	v_mul_f32_e32 v31, v28, v31
	v_add_f32_e32 v17, v17, v35
	v_fma_f32 v20, v20, v24, -v33
	v_add_f32_e32 v16, v16, v32
	v_fma_f32 v28, v28, v30, -v37
	v_fmac_f32_e32 v31, v29, v30
	v_fmac_f32_e32 v25, v21, v24
	s_delay_alu instid0(VALU_DEP_3) | instskip(NEXT) | instid1(VALU_DEP_1)
	v_dual_add_f32 v16, v28, v16 :: v_dual_fmac_f32 v27, v23, v26
	v_dual_add_f32 v17, v31, v17 :: v_dual_add_f32 v16, v22, v16
	s_delay_alu instid0(VALU_DEP_1) | instskip(NEXT) | instid1(VALU_DEP_1)
	v_dual_add_f32 v17, v27, v17 :: v_dual_add_f32 v16, v20, v16
	v_add_f32_e32 v17, v25, v17
.LBB109_21:                             ;   in Loop: Header=BB109_22 Depth=2
	s_wait_alu 0xfffe
	s_or_b32 exec_lo, exec_lo, s7
	v_add_co_u32 v18, vcc_lo, v18, s28
	s_wait_alu 0xfffd
	v_add_co_ci_u32_e64 v19, null, s29, v19, vcc_lo
	v_add_co_u32 v71, vcc_lo, v71, s34
	v_add_nc_u32_e32 v70, 64, v70
	s_wait_alu 0xfffd
	v_add_co_ci_u32_e64 v72, null, s35, v72, vcc_lo
	v_add_co_u32 v73, vcc_lo, v73, s34
	s_wait_alu 0xfffd
	v_add_co_ci_u32_e64 v74, null, s35, v74, vcc_lo
	v_add_co_u32 v75, vcc_lo, v75, s34
	s_wait_alu 0xfffd
	v_add_co_ci_u32_e64 v76, null, s35, v76, vcc_lo
	v_cmp_le_i32_e32 vcc_lo, s52, v70
	v_add_co_u32 v77, s7, v77, s34
	s_wait_alu 0xf1ff
	v_add_co_ci_u32_e64 v78, null, s35, v78, s7
	s_or_b32 s48, vcc_lo, s48
	s_wait_alu 0xfffe
	s_and_not1_b32 exec_lo, exec_lo, s48
	s_cbranch_execz .LBB109_27
.LBB109_22:                             ;   Parent Loop BB109_6 Depth=1
                                        ; =>  This Inner Loop Header: Depth=2
	s_and_saveexec_b32 s7, s0
	s_cbranch_execz .LBB109_21
; %bb.23:                               ;   in Loop: Header=BB109_22 Depth=2
	v_add_co_u32 v20, vcc_lo, v18, s44
	s_wait_alu 0xfffd
	v_add_co_ci_u32_e64 v21, null, s45, v19, vcc_lo
	s_delay_alu instid0(VALU_DEP_2) | instskip(SKIP_1) | instid1(VALU_DEP_2)
	v_add_co_u32 v22, vcc_lo, v20, s44
	s_wait_alu 0xfffd
	v_add_co_ci_u32_e64 v23, null, s45, v21, vcc_lo
	s_delay_alu instid0(VALU_DEP_2) | instskip(SKIP_1) | instid1(VALU_DEP_2)
	v_add_co_u32 v24, vcc_lo, v22, s44
	s_wait_alu 0xfffd
	v_add_co_ci_u32_e64 v25, null, s45, v23, vcc_lo
	v_add_co_u32 v58, vcc_lo, v73, v4
	s_wait_alu 0xfffd
	v_add_co_ci_u32_e64 v59, null, v74, v5, vcc_lo
	;; [unrolled: 3-line block ×5, first 2 shown]
	s_clause 0x3
	global_load_b64 v[32:33], v[18:19], off
	global_load_b64 v[28:29], v[20:21], off
	;; [unrolled: 1-line block ×8, first 2 shown]
	s_and_saveexec_b32 s49, s1
	s_cbranch_execz .LBB109_20
; %bb.24:                               ;   in Loop: Header=BB109_22 Depth=2
	global_load_b64 v[42:43], v[58:59], off offset:256
	global_load_b64 v[40:41], v[56:57], off offset:256
	global_load_b64 v[38:39], v[54:55], off offset:256
	global_load_b64 v[36:37], v[52:53], off offset:256
	s_and_saveexec_b32 s59, s2
	s_cbranch_execz .LBB109_19
; %bb.25:                               ;   in Loop: Header=BB109_22 Depth=2
	global_load_b64 v[50:51], v[58:59], off offset:512
	global_load_b64 v[48:49], v[56:57], off offset:512
	global_load_b64 v[46:47], v[54:55], off offset:512
	global_load_b64 v[44:45], v[52:53], off offset:512
	;; [unrolled: 7-line block ×3, first 2 shown]
	s_wait_loadcnt 0x1
	v_dual_mul_f32 v80, v29, v57 :: v_dual_mul_f32 v81, v23, v55
	s_delay_alu instid0(VALU_DEP_1) | instskip(SKIP_2) | instid1(VALU_DEP_2)
	v_fma_f32 v80, v28, v56, -v80
	v_mul_f32_e32 v79, v33, v59
	v_mul_f32_e32 v59, v32, v59
	v_fma_f32 v79, v32, v58, -v79
	v_mul_f32_e32 v57, v28, v57
	s_delay_alu instid0(VALU_DEP_3)
	v_fmac_f32_e32 v59, v33, v58
	s_wait_loadcnt 0x0
	v_mul_f32_e32 v58, v21, v53
	v_dual_mul_f32 v53, v20, v53 :: v_dual_add_f32 v10, v10, v79
	v_fmac_f32_e32 v57, v29, v56
	v_fma_f32 v56, v22, v54, -v81
	v_add_f32_e32 v11, v11, v59
	s_delay_alu instid0(VALU_DEP_4) | instskip(NEXT) | instid1(VALU_DEP_1)
	v_dual_fmac_f32 v53, v21, v52 :: v_dual_add_f32 v10, v80, v10
	v_dual_mul_f32 v55, v22, v55 :: v_dual_add_f32 v10, v56, v10
	s_delay_alu instid0(VALU_DEP_1) | instskip(SKIP_1) | instid1(VALU_DEP_1)
	v_fmac_f32_e32 v55, v23, v54
	v_fma_f32 v54, v20, v52, -v58
	v_dual_add_f32 v10, v54, v10 :: v_dual_add_f32 v11, v57, v11
	s_delay_alu instid0(VALU_DEP_1) | instskip(NEXT) | instid1(VALU_DEP_1)
	v_add_f32_e32 v11, v55, v11
	v_add_f32_e32 v11, v53, v11
	s_branch .LBB109_18
.LBB109_27:                             ;   in Loop: Header=BB109_6 Depth=1
	s_or_b32 exec_lo, exec_lo, s48
.LBB109_28:                             ;   in Loop: Header=BB109_6 Depth=1
	s_wait_alu 0xfffe
	s_or_b32 exec_lo, exec_lo, s8
	s_delay_alu instid0(SALU_CYCLE_1)
	s_and_not1_b32 vcc_lo, exec_lo, s53
	s_wait_alu 0xfffe
	s_cbranch_vccnz .LBB109_46
; %bb.29:                               ;   in Loop: Header=BB109_6 Depth=1
	v_cmp_gt_i32_e32 vcc_lo, s9, v70
	v_dual_mov_b32 v18, 0 :: v_dual_mov_b32 v19, 0
	v_or_b32_e32 v26, 1, v70
	v_dual_mov_b32 v20, 0 :: v_dual_mov_b32 v21, 0
	v_dual_mov_b32 v22, 0 :: v_dual_mov_b32 v23, 0
	;; [unrolled: 1-line block ×3, first 2 shown]
	s_and_saveexec_b32 s8, vcc_lo
	s_cbranch_execz .LBB109_37
; %bb.30:                               ;   in Loop: Header=BB109_6 Depth=1
	v_mad_co_u64_u32 v[18:19], null, s36, v70, 0
	s_mul_u64 s[48:49], s[38:39], s[10:11]
	v_dual_mov_b32 v25, 0 :: v_dual_mov_b32 v24, 0
	s_wait_alu 0xfffe
	s_lshl_b64 s[48:49], s[48:49], 3
	v_dual_mov_b32 v23, 0 :: v_dual_mov_b32 v22, 0
	v_mad_co_u64_u32 v[19:20], null, s37, v70, v[19:20]
	s_wait_alu 0xfffe
	s_add_nc_u64 s[48:49], s[18:19], s[48:49]
	v_dual_mov_b32 v21, 0 :: v_dual_mov_b32 v20, 0
	s_mov_b32 s59, exec_lo
	s_delay_alu instid0(VALU_DEP_2) | instskip(SKIP_1) | instid1(VALU_DEP_1)
	v_lshlrev_b64_e32 v[18:19], 3, v[18:19]
	s_wait_alu 0xfffe
	v_add_co_u32 v18, s7, s48, v18
	s_wait_alu 0xf1ff
	s_delay_alu instid0(VALU_DEP_2)
	v_add_co_ci_u32_e64 v19, null, s49, v19, s7
	global_load_b64 v[18:19], v[18:19], off
	v_cmpx_gt_i32_e64 s9, v26
	s_cbranch_execz .LBB109_36
; %bb.31:                               ;   in Loop: Header=BB109_6 Depth=1
	v_mad_co_u64_u32 v[20:21], null, s36, v26, 0
	v_or_b32_e32 v27, 2, v70
	v_dual_mov_b32 v25, 0 :: v_dual_mov_b32 v24, 0
	v_mov_b32_e32 v23, 0
	s_mov_b32 s60, exec_lo
	s_delay_alu instid0(VALU_DEP_4) | instskip(SKIP_1) | instid1(VALU_DEP_2)
	v_mad_co_u64_u32 v[21:22], null, s37, v26, v[21:22]
	v_mov_b32_e32 v22, 0
	v_lshlrev_b64_e32 v[20:21], 3, v[20:21]
	s_delay_alu instid0(VALU_DEP_1) | instskip(SKIP_1) | instid1(VALU_DEP_2)
	v_add_co_u32 v20, s7, s48, v20
	s_wait_alu 0xf1ff
	v_add_co_ci_u32_e64 v21, null, s49, v21, s7
	global_load_b64 v[20:21], v[20:21], off
	v_cmpx_gt_i32_e64 s9, v27
	s_cbranch_execz .LBB109_35
; %bb.32:                               ;   in Loop: Header=BB109_6 Depth=1
	v_mad_co_u64_u32 v[22:23], null, s36, v27, 0
	v_mov_b32_e32 v25, 0
	s_mov_b32 s61, exec_lo
	s_delay_alu instid0(VALU_DEP_2) | instskip(SKIP_2) | instid1(VALU_DEP_3)
	v_mad_co_u64_u32 v[23:24], null, s37, v27, v[23:24]
	v_or_b32_e32 v27, 3, v70
	v_mov_b32_e32 v24, 0
	v_lshlrev_b64_e32 v[22:23], 3, v[22:23]
	s_delay_alu instid0(VALU_DEP_1) | instskip(SKIP_1) | instid1(VALU_DEP_2)
	v_add_co_u32 v22, s7, s48, v22
	s_wait_alu 0xf1ff
	v_add_co_ci_u32_e64 v23, null, s49, v23, s7
	global_load_b64 v[22:23], v[22:23], off
	v_cmpx_gt_i32_e64 s9, v27
	s_cbranch_execz .LBB109_34
; %bb.33:                               ;   in Loop: Header=BB109_6 Depth=1
	v_mad_co_u64_u32 v[24:25], null, s36, v27, 0
	s_delay_alu instid0(VALU_DEP_1) | instskip(NEXT) | instid1(VALU_DEP_1)
	v_mad_co_u64_u32 v[27:28], null, s37, v27, v[25:26]
	v_mov_b32_e32 v25, v27
	s_delay_alu instid0(VALU_DEP_1) | instskip(NEXT) | instid1(VALU_DEP_1)
	v_lshlrev_b64_e32 v[24:25], 3, v[24:25]
	v_add_co_u32 v24, s7, s48, v24
	s_wait_alu 0xf1ff
	s_delay_alu instid0(VALU_DEP_2)
	v_add_co_ci_u32_e64 v25, null, s49, v25, s7
	global_load_b64 v[24:25], v[24:25], off
.LBB109_34:                             ;   in Loop: Header=BB109_6 Depth=1
	s_wait_alu 0xfffe
	s_or_b32 exec_lo, exec_lo, s61
.LBB109_35:                             ;   in Loop: Header=BB109_6 Depth=1
	s_wait_alu 0xfffe
	s_or_b32 exec_lo, exec_lo, s60
.LBB109_36:                             ;   in Loop: Header=BB109_6 Depth=1
	s_delay_alu instid0(SALU_CYCLE_1)
	s_or_b32 exec_lo, exec_lo, s59
.LBB109_37:                             ;   in Loop: Header=BB109_6 Depth=1
	s_wait_alu 0xfffe
	s_or_b32 exec_lo, exec_lo, s8
	s_and_saveexec_b32 s48, s0
	s_cbranch_execz .LBB109_45
; %bb.38:                               ;   in Loop: Header=BB109_6 Depth=1
	v_mad_co_u64_u32 v[27:28], null, s20, v70, 0
	v_mad_co_u64_u32 v[29:30], null, s20, v26, 0
	v_or_b32_e32 v38, 2, v70
	v_or_b32_e32 v39, 3, v70
	s_mul_u64 s[60:61], s[22:23], s[10:11]
	s_wait_alu 0xfffe
	s_lshl_b64 s[60:61], s[60:61], 3
	v_cmp_gt_i32_e64 s7, s9, v38
	s_delay_alu instid0(VALU_DEP_4)
	v_mad_co_u64_u32 v[31:32], null, s21, v70, v[28:29]
	v_mad_co_u64_u32 v[32:33], null, s20, v38, 0
	;; [unrolled: 1-line block ×3, first 2 shown]
	v_cndmask_b32_e32 v27, 0, v27, vcc_lo
	s_wait_alu 0xfffe
	s_add_nc_u64 s[60:61], s[16:17], s[60:61]
	s_delay_alu instid0(VALU_DEP_4) | instskip(SKIP_4) | instid1(VALU_DEP_2)
	v_cndmask_b32_e32 v28, 0, v31, vcc_lo
	v_cmp_gt_i32_e32 vcc_lo, s9, v26
	v_mov_b32_e32 v31, v33
	s_wait_alu 0xfffd
	v_cndmask_b32_e32 v29, 0, v29, vcc_lo
	v_mad_co_u64_u32 v[36:37], null, s21, v26, v[30:31]
	v_mov_b32_e32 v26, v35
	v_lshlrev_b64_e32 v[27:28], 3, v[27:28]
	s_delay_alu instid0(VALU_DEP_3) | instskip(SKIP_1) | instid1(VALU_DEP_2)
	v_cndmask_b32_e32 v30, 0, v36, vcc_lo
	s_wait_alu 0xfffe
	v_add_co_u32 v27, s8, s60, v27
	s_wait_alu 0xf1ff
	s_delay_alu instid0(VALU_DEP_3) | instskip(SKIP_1) | instid1(VALU_DEP_3)
	v_add_co_ci_u32_e64 v28, null, s61, v28, s8
	v_mad_co_u64_u32 v[37:38], null, s21, v38, v[31:32]
	v_add_co_u32 v52, vcc_lo, v27, v4
	s_wait_alu 0xfffd
	s_delay_alu instid0(VALU_DEP_3) | instskip(SKIP_4) | instid1(VALU_DEP_4)
	v_add_co_ci_u32_e64 v53, null, v28, v5, vcc_lo
	v_lshlrev_b64_e32 v[27:28], 3, v[29:30]
	v_cndmask_b32_e64 v29, 0, v32, s7
	v_cndmask_b32_e64 v30, 0, v37, s7
	v_cmp_gt_i32_e32 vcc_lo, s9, v39
	v_mad_co_u64_u32 v[31:32], null, s21, v39, v[26:27]
	v_add_co_u32 v32, s7, s60, v27
	s_wait_alu 0xf1ff
	v_add_co_ci_u32_e64 v33, null, s61, v28, s7
	v_lshlrev_b64_e32 v[26:27], 3, v[29:30]
	s_wait_alu 0xfffd
	s_delay_alu instid0(VALU_DEP_4) | instskip(SKIP_3) | instid1(VALU_DEP_3)
	v_dual_cndmask_b32 v28, 0, v34 :: v_dual_cndmask_b32 v29, 0, v31
	v_add_co_u32 v54, vcc_lo, v32, v4
	s_wait_alu 0xfffd
	v_add_co_ci_u32_e64 v55, null, v33, v5, vcc_lo
	v_lshlrev_b64_e32 v[28:29], 3, v[28:29]
	v_add_co_u32 v26, vcc_lo, s60, v26
	s_wait_alu 0xfffd
	v_add_co_ci_u32_e64 v27, null, s61, v27, vcc_lo
	s_delay_alu instid0(VALU_DEP_3)
	v_add_co_u32 v28, vcc_lo, s60, v28
	s_wait_alu 0xfffd
	v_add_co_ci_u32_e64 v29, null, s61, v29, vcc_lo
	v_add_co_u32 v56, vcc_lo, v26, v4
	s_wait_alu 0xfffd
	v_add_co_ci_u32_e64 v57, null, v27, v5, vcc_lo
	;; [unrolled: 3-line block ×3, first 2 shown]
	s_clause 0x3
	global_load_b64 v[32:33], v[52:53], off
	global_load_b64 v[30:31], v[54:55], off
	;; [unrolled: 1-line block ×4, first 2 shown]
	s_and_saveexec_b32 s7, s1
	s_cbranch_execz .LBB109_44
; %bb.39:                               ;   in Loop: Header=BB109_6 Depth=1
	s_clause 0x3
	global_load_b64 v[40:41], v[52:53], off offset:256
	global_load_b64 v[38:39], v[54:55], off offset:256
	global_load_b64 v[36:37], v[56:57], off offset:256
	global_load_b64 v[34:35], v[50:51], off offset:256
	s_and_saveexec_b32 s8, s2
	s_cbranch_execz .LBB109_43
; %bb.40:                               ;   in Loop: Header=BB109_6 Depth=1
	s_clause 0x3
	global_load_b64 v[48:49], v[52:53], off offset:512
	global_load_b64 v[46:47], v[54:55], off offset:512
	global_load_b64 v[44:45], v[56:57], off offset:512
	global_load_b64 v[42:43], v[50:51], off offset:512
	;; [unrolled: 8-line block ×3, first 2 shown]
	s_wait_loadcnt 0x2
	v_dual_mul_f32 v58, v19, v53 :: v_dual_mul_f32 v59, v21, v55
	v_mul_f32_e32 v53, v18, v53
	s_wait_loadcnt 0x1
	v_dual_mul_f32 v55, v20, v55 :: v_dual_mul_f32 v70, v23, v57
	s_delay_alu instid0(VALU_DEP_3)
	v_fma_f32 v58, v18, v52, -v58
	v_fma_f32 v59, v20, v54, -v59
	s_wait_loadcnt 0x0
	v_dual_fmac_f32 v53, v19, v52 :: v_dual_mul_f32 v52, v25, v51
	v_fmac_f32_e32 v55, v21, v54
	v_add_f32_e32 v10, v10, v58
	v_mul_f32_e32 v57, v22, v57
	v_mul_f32_e32 v51, v24, v51
	v_fma_f32 v52, v24, v50, -v52
	s_delay_alu instid0(VALU_DEP_4) | instskip(SKIP_3) | instid1(VALU_DEP_2)
	v_add_f32_e32 v10, v59, v10
	v_add_f32_e32 v11, v11, v53
	v_fma_f32 v53, v22, v56, -v70
	v_fmac_f32_e32 v51, v25, v50
	v_dual_add_f32 v10, v53, v10 :: v_dual_fmac_f32 v57, v23, v56
	s_delay_alu instid0(VALU_DEP_1) | instskip(NEXT) | instid1(VALU_DEP_1)
	v_dual_add_f32 v11, v55, v11 :: v_dual_add_f32 v10, v52, v10
	v_add_f32_e32 v11, v57, v11
	s_delay_alu instid0(VALU_DEP_1)
	v_add_f32_e32 v11, v51, v11
.LBB109_42:                             ;   in Loop: Header=BB109_6 Depth=1
	s_wait_alu 0xfffe
	s_or_b32 exec_lo, exec_lo, s49
	s_wait_loadcnt 0x2
	v_dual_mul_f32 v50, v19, v49 :: v_dual_mul_f32 v51, v21, v47
	v_mul_f32_e32 v49, v18, v49
	s_wait_loadcnt 0x1
	v_dual_mul_f32 v47, v20, v47 :: v_dual_mul_f32 v52, v23, v45
	s_delay_alu instid0(VALU_DEP_3)
	v_fma_f32 v50, v18, v48, -v50
	v_mul_f32_e32 v45, v22, v45
	v_fmac_f32_e32 v49, v19, v48
	v_fma_f32 v51, v20, v46, -v51
	s_wait_loadcnt 0x0
	v_mul_f32_e32 v48, v25, v43
	v_add_f32_e32 v12, v12, v50
	v_fmac_f32_e32 v47, v21, v46
	v_fma_f32 v46, v22, v44, -v52
	v_mul_f32_e32 v43, v24, v43
	v_fmac_f32_e32 v45, v23, v44
	v_dual_add_f32 v12, v51, v12 :: v_dual_add_f32 v13, v13, v49
	v_fma_f32 v44, v24, v42, -v48
	s_delay_alu instid0(VALU_DEP_2) | instskip(NEXT) | instid1(VALU_DEP_1)
	v_dual_fmac_f32 v43, v25, v42 :: v_dual_add_f32 v12, v46, v12
	v_dual_add_f32 v13, v47, v13 :: v_dual_add_f32 v12, v44, v12
	s_delay_alu instid0(VALU_DEP_1) | instskip(NEXT) | instid1(VALU_DEP_1)
	v_add_f32_e32 v13, v45, v13
	v_add_f32_e32 v13, v43, v13
.LBB109_43:                             ;   in Loop: Header=BB109_6 Depth=1
	s_wait_alu 0xfffe
	s_or_b32 exec_lo, exec_lo, s8
	s_wait_loadcnt 0x2
	v_dual_mul_f32 v42, v19, v41 :: v_dual_mul_f32 v43, v21, v39
	v_mul_f32_e32 v41, v18, v41
	s_wait_loadcnt 0x1
	v_dual_mul_f32 v39, v20, v39 :: v_dual_mul_f32 v44, v23, v37
	s_delay_alu instid0(VALU_DEP_3)
	v_fma_f32 v42, v18, v40, -v42
	v_fma_f32 v43, v20, v38, -v43
	s_wait_loadcnt 0x0
	v_dual_fmac_f32 v41, v19, v40 :: v_dual_mul_f32 v40, v25, v35
	v_fmac_f32_e32 v39, v21, v38
	v_add_f32_e32 v14, v14, v42
	v_mul_f32_e32 v37, v22, v37
	v_fma_f32 v38, v22, v36, -v44
	s_delay_alu instid0(VALU_DEP_3) | instskip(SKIP_1) | instid1(VALU_DEP_2)
	v_dual_mul_f32 v35, v24, v35 :: v_dual_add_f32 v14, v43, v14
	v_add_f32_e32 v15, v15, v41
	v_fmac_f32_e32 v35, v25, v34
	s_delay_alu instid0(VALU_DEP_3) | instskip(NEXT) | instid1(VALU_DEP_3)
	v_dual_add_f32 v14, v38, v14 :: v_dual_fmac_f32 v37, v23, v36
	v_add_f32_e32 v15, v39, v15
	v_fma_f32 v36, v24, v34, -v40
	s_delay_alu instid0(VALU_DEP_1) | instskip(NEXT) | instid1(VALU_DEP_1)
	v_dual_add_f32 v14, v36, v14 :: v_dual_add_f32 v15, v37, v15
	v_add_f32_e32 v15, v35, v15
.LBB109_44:                             ;   in Loop: Header=BB109_6 Depth=1
	s_wait_alu 0xfffe
	s_or_b32 exec_lo, exec_lo, s7
	s_wait_loadcnt 0x2
	v_dual_mul_f32 v34, v19, v33 :: v_dual_mul_f32 v35, v21, v31
	v_mul_f32_e32 v33, v18, v33
	s_wait_loadcnt 0x1
	v_dual_mul_f32 v31, v20, v31 :: v_dual_mul_f32 v36, v23, v29
	s_delay_alu instid0(VALU_DEP_3) | instskip(SKIP_2) | instid1(VALU_DEP_3)
	v_fma_f32 v18, v18, v32, -v34
	v_mul_f32_e32 v29, v22, v29
	v_fma_f32 v20, v20, v30, -v35
	v_add_f32_e32 v16, v16, v18
	s_wait_loadcnt 0x0
	v_dual_mul_f32 v18, v24, v27 :: v_dual_fmac_f32 v33, v19, v32
	v_mul_f32_e32 v19, v25, v27
	v_fmac_f32_e32 v29, v23, v28
	v_add_f32_e32 v16, v20, v16
	s_delay_alu instid0(VALU_DEP_4) | instskip(SKIP_4) | instid1(VALU_DEP_1)
	v_fmac_f32_e32 v18, v25, v26
	v_add_f32_e32 v17, v17, v33
	v_fma_f32 v19, v24, v26, -v19
	v_fmac_f32_e32 v31, v21, v30
	v_fma_f32 v21, v22, v28, -v36
	v_add_f32_e32 v16, v21, v16
	s_delay_alu instid0(VALU_DEP_1) | instskip(NEXT) | instid1(VALU_DEP_4)
	v_add_f32_e32 v16, v19, v16
	v_add_f32_e32 v17, v31, v17
	s_delay_alu instid0(VALU_DEP_1) | instskip(NEXT) | instid1(VALU_DEP_1)
	v_add_f32_e32 v17, v29, v17
	v_add_f32_e32 v17, v18, v17
.LBB109_45:                             ;   in Loop: Header=BB109_6 Depth=1
	s_wait_alu 0xfffe
	s_or_b32 exec_lo, exec_lo, s48
.LBB109_46:                             ;   in Loop: Header=BB109_6 Depth=1
	ds_store_2addr_b64 v0, v[16:17], v[14:15] offset1:32
	ds_store_2addr_b64 v0, v[12:13], v[10:11] offset0:64 offset1:96
	s_wait_storecnt 0x0
	s_wait_loadcnt_dscnt 0x0
	s_barrier_signal -1
	s_barrier_wait -1
	global_inv scope:SCOPE_SE
	s_and_saveexec_b32 s7, s5
	s_cbranch_execz .LBB109_4
; %bb.47:                               ;   in Loop: Header=BB109_6 Depth=1
	ds_load_2addr_stride64_b64 v[10:13], v61 offset1:2
	ds_load_2addr_stride64_b64 v[14:17], v61 offset0:4 offset1:6
	ds_load_2addr_stride64_b64 v[18:21], v61 offset0:8 offset1:10
	s_wait_dscnt 0x2
	v_dual_add_f32 v22, v10, v12 :: v_dual_add_f32 v23, v11, v13
	ds_load_2addr_stride64_b64 v[10:13], v61 offset0:12 offset1:14
	s_wait_dscnt 0x2
	v_dual_add_f32 v14, v22, v14 :: v_dual_add_f32 v15, v23, v15
	s_delay_alu instid0(VALU_DEP_1) | instskip(SKIP_3) | instid1(VALU_DEP_1)
	v_dual_add_f32 v22, v14, v16 :: v_dual_add_f32 v23, v15, v17
	ds_load_2addr_stride64_b64 v[14:17], v61 offset0:16 offset1:18
	s_wait_dscnt 0x2
	v_dual_add_f32 v18, v22, v18 :: v_dual_add_f32 v19, v23, v19
	v_dual_add_f32 v22, v18, v20 :: v_dual_add_f32 v23, v19, v21
	ds_load_2addr_stride64_b64 v[18:21], v61 offset0:20 offset1:22
	s_wait_dscnt 0x2
	v_dual_add_f32 v10, v22, v10 :: v_dual_add_f32 v11, v23, v11
	s_delay_alu instid0(VALU_DEP_1) | instskip(SKIP_3) | instid1(VALU_DEP_1)
	v_dual_add_f32 v22, v10, v12 :: v_dual_add_f32 v23, v11, v13
	ds_load_2addr_stride64_b64 v[10:13], v61 offset0:24 offset1:26
	s_wait_dscnt 0x2
	v_dual_add_f32 v14, v22, v14 :: v_dual_add_f32 v15, v23, v15
	v_dual_add_f32 v22, v14, v16 :: v_dual_add_f32 v23, v15, v17
	ds_load_2addr_stride64_b64 v[14:17], v61 offset0:28 offset1:30
	s_wait_dscnt 0x2
	v_dual_add_f32 v18, v22, v18 :: v_dual_add_f32 v19, v23, v19
	s_delay_alu instid0(VALU_DEP_1) | instskip(SKIP_1) | instid1(VALU_DEP_1)
	v_dual_add_f32 v18, v18, v20 :: v_dual_add_f32 v19, v19, v21
	s_wait_dscnt 0x1
	v_dual_add_f32 v10, v18, v10 :: v_dual_add_f32 v11, v19, v11
	s_delay_alu instid0(VALU_DEP_1) | instskip(SKIP_1) | instid1(VALU_DEP_1)
	v_dual_add_f32 v10, v10, v12 :: v_dual_add_f32 v11, v11, v13
	s_wait_dscnt 0x0
	v_dual_add_f32 v10, v10, v14 :: v_dual_add_f32 v11, v11, v15
	s_delay_alu instid0(VALU_DEP_1)
	v_dual_add_f32 v12, v10, v16 :: v_dual_add_f32 v13, v11, v17
	ds_store_b64 v61, v[12:13]
	s_and_b32 exec_lo, exec_lo, s6
	s_cbranch_execz .LBB109_4
; %bb.48:                               ;   in Loop: Header=BB109_6 Depth=1
	s_cmp_neq_f32 s55, 0
	v_mul_f32_e32 v11, s57, v13
	v_mul_f32_e32 v10, s58, v13
	s_cselect_b32 s8, -1, 0
	s_cmp_neq_f32 s56, 0
	s_delay_alu instid0(VALU_DEP_2) | instskip(NEXT) | instid1(VALU_DEP_2)
	v_fmac_f32_e32 v11, s58, v12
	v_fma_f32 v10, v12, s57, -v10
	s_cselect_b32 s48, -1, 0
	s_wait_alu 0xfffe
	s_or_b32 s8, s8, s48
	s_wait_alu 0xfffe
	s_and_not1_b32 vcc_lo, exec_lo, s8
	s_wait_alu 0xfffe
	s_cbranch_vccnz .LBB109_3
; %bb.49:                               ;   in Loop: Header=BB109_6 Depth=1
	v_add_co_u32 v12, vcc_lo, s46, v8
	s_wait_alu 0xfffd
	v_add_co_ci_u32_e64 v13, null, s47, v9, vcc_lo
	global_load_b64 v[12:13], v[12:13], off
	s_wait_loadcnt 0x0
	v_mul_f32_e32 v14, s56, v13
	v_mul_f32_e32 v13, s55, v13
	s_delay_alu instid0(VALU_DEP_1) | instskip(NEXT) | instid1(VALU_DEP_3)
	v_fmac_f32_e32 v13, s56, v12
	v_fma_f32 v14, s55, v12, -v14
	s_delay_alu instid0(VALU_DEP_1)
	v_dual_add_f32 v11, v11, v13 :: v_dual_add_f32 v10, v10, v14
	s_branch .LBB109_3
.LBB109_50:
	s_endpgm
	.section	.rodata,"a",@progbits
	.p2align	6, 0x0
	.amdhsa_kernel _ZL20rocblas_gemvn_kernelILi32ELi16El19rocblas_complex_numIfEPKS1_S1_EviiT3_lPKT2_lT1_lS7_lS8_lS4_lPT4_lS8_li
		.amdhsa_group_segment_fixed_size 16384
		.amdhsa_private_segment_fixed_size 0
		.amdhsa_kernarg_size 400
		.amdhsa_user_sgpr_count 2
		.amdhsa_user_sgpr_dispatch_ptr 0
		.amdhsa_user_sgpr_queue_ptr 0
		.amdhsa_user_sgpr_kernarg_segment_ptr 1
		.amdhsa_user_sgpr_dispatch_id 0
		.amdhsa_user_sgpr_private_segment_size 0
		.amdhsa_wavefront_size32 1
		.amdhsa_uses_dynamic_stack 0
		.amdhsa_enable_private_segment 0
		.amdhsa_system_sgpr_workgroup_id_x 1
		.amdhsa_system_sgpr_workgroup_id_y 0
		.amdhsa_system_sgpr_workgroup_id_z 1
		.amdhsa_system_sgpr_workgroup_info 0
		.amdhsa_system_vgpr_workitem_id 1
		.amdhsa_next_free_vgpr 82
		.amdhsa_next_free_sgpr 62
		.amdhsa_reserve_vcc 1
		.amdhsa_float_round_mode_32 0
		.amdhsa_float_round_mode_16_64 0
		.amdhsa_float_denorm_mode_32 3
		.amdhsa_float_denorm_mode_16_64 3
		.amdhsa_fp16_overflow 0
		.amdhsa_workgroup_processor_mode 1
		.amdhsa_memory_ordered 1
		.amdhsa_forward_progress 1
		.amdhsa_inst_pref_size 36
		.amdhsa_round_robin_scheduling 0
		.amdhsa_exception_fp_ieee_invalid_op 0
		.amdhsa_exception_fp_denorm_src 0
		.amdhsa_exception_fp_ieee_div_zero 0
		.amdhsa_exception_fp_ieee_overflow 0
		.amdhsa_exception_fp_ieee_underflow 0
		.amdhsa_exception_fp_ieee_inexact 0
		.amdhsa_exception_int_div_zero 0
	.end_amdhsa_kernel
	.section	.text._ZL20rocblas_gemvn_kernelILi32ELi16El19rocblas_complex_numIfEPKS1_S1_EviiT3_lPKT2_lT1_lS7_lS8_lS4_lPT4_lS8_li,"axG",@progbits,_ZL20rocblas_gemvn_kernelILi32ELi16El19rocblas_complex_numIfEPKS1_S1_EviiT3_lPKT2_lT1_lS7_lS8_lS4_lPT4_lS8_li,comdat
.Lfunc_end109:
	.size	_ZL20rocblas_gemvn_kernelILi32ELi16El19rocblas_complex_numIfEPKS1_S1_EviiT3_lPKT2_lT1_lS7_lS8_lS4_lPT4_lS8_li, .Lfunc_end109-_ZL20rocblas_gemvn_kernelILi32ELi16El19rocblas_complex_numIfEPKS1_S1_EviiT3_lPKT2_lT1_lS7_lS8_lS4_lPT4_lS8_li
                                        ; -- End function
	.set _ZL20rocblas_gemvn_kernelILi32ELi16El19rocblas_complex_numIfEPKS1_S1_EviiT3_lPKT2_lT1_lS7_lS8_lS4_lPT4_lS8_li.num_vgpr, 82
	.set _ZL20rocblas_gemvn_kernelILi32ELi16El19rocblas_complex_numIfEPKS1_S1_EviiT3_lPKT2_lT1_lS7_lS8_lS4_lPT4_lS8_li.num_agpr, 0
	.set _ZL20rocblas_gemvn_kernelILi32ELi16El19rocblas_complex_numIfEPKS1_S1_EviiT3_lPKT2_lT1_lS7_lS8_lS4_lPT4_lS8_li.numbered_sgpr, 62
	.set _ZL20rocblas_gemvn_kernelILi32ELi16El19rocblas_complex_numIfEPKS1_S1_EviiT3_lPKT2_lT1_lS7_lS8_lS4_lPT4_lS8_li.num_named_barrier, 0
	.set _ZL20rocblas_gemvn_kernelILi32ELi16El19rocblas_complex_numIfEPKS1_S1_EviiT3_lPKT2_lT1_lS7_lS8_lS4_lPT4_lS8_li.private_seg_size, 0
	.set _ZL20rocblas_gemvn_kernelILi32ELi16El19rocblas_complex_numIfEPKS1_S1_EviiT3_lPKT2_lT1_lS7_lS8_lS4_lPT4_lS8_li.uses_vcc, 1
	.set _ZL20rocblas_gemvn_kernelILi32ELi16El19rocblas_complex_numIfEPKS1_S1_EviiT3_lPKT2_lT1_lS7_lS8_lS4_lPT4_lS8_li.uses_flat_scratch, 0
	.set _ZL20rocblas_gemvn_kernelILi32ELi16El19rocblas_complex_numIfEPKS1_S1_EviiT3_lPKT2_lT1_lS7_lS8_lS4_lPT4_lS8_li.has_dyn_sized_stack, 0
	.set _ZL20rocblas_gemvn_kernelILi32ELi16El19rocblas_complex_numIfEPKS1_S1_EviiT3_lPKT2_lT1_lS7_lS8_lS4_lPT4_lS8_li.has_recursion, 0
	.set _ZL20rocblas_gemvn_kernelILi32ELi16El19rocblas_complex_numIfEPKS1_S1_EviiT3_lPKT2_lT1_lS7_lS8_lS4_lPT4_lS8_li.has_indirect_call, 0
	.section	.AMDGPU.csdata,"",@progbits
; Kernel info:
; codeLenInByte = 4604
; TotalNumSgprs: 64
; NumVgprs: 82
; ScratchSize: 0
; MemoryBound: 0
; FloatMode: 240
; IeeeMode: 1
; LDSByteSize: 16384 bytes/workgroup (compile time only)
; SGPRBlocks: 0
; VGPRBlocks: 10
; NumSGPRsForWavesPerEU: 64
; NumVGPRsForWavesPerEU: 82
; Occupancy: 16
; WaveLimiterHint : 1
; COMPUTE_PGM_RSRC2:SCRATCH_EN: 0
; COMPUTE_PGM_RSRC2:USER_SGPR: 2
; COMPUTE_PGM_RSRC2:TRAP_HANDLER: 0
; COMPUTE_PGM_RSRC2:TGID_X_EN: 1
; COMPUTE_PGM_RSRC2:TGID_Y_EN: 0
; COMPUTE_PGM_RSRC2:TGID_Z_EN: 1
; COMPUTE_PGM_RSRC2:TIDIG_COMP_CNT: 1
	.section	.text._ZL20rocblas_gemvn_kernelILi32ELi16Ei19rocblas_complex_numIfES1_S1_EviiT3_lPKT2_lT1_lS5_lS6_lS2_lPT4_lS6_li,"axG",@progbits,_ZL20rocblas_gemvn_kernelILi32ELi16Ei19rocblas_complex_numIfES1_S1_EviiT3_lPKT2_lT1_lS5_lS6_lS2_lPT4_lS6_li,comdat
	.globl	_ZL20rocblas_gemvn_kernelILi32ELi16Ei19rocblas_complex_numIfES1_S1_EviiT3_lPKT2_lT1_lS5_lS6_lS2_lPT4_lS6_li ; -- Begin function _ZL20rocblas_gemvn_kernelILi32ELi16Ei19rocblas_complex_numIfES1_S1_EviiT3_lPKT2_lT1_lS5_lS6_lS2_lPT4_lS6_li
	.p2align	8
	.type	_ZL20rocblas_gemvn_kernelILi32ELi16Ei19rocblas_complex_numIfES1_S1_EviiT3_lPKT2_lT1_lS5_lS6_lS2_lPT4_lS6_li,@function
_ZL20rocblas_gemvn_kernelILi32ELi16Ei19rocblas_complex_numIfES1_S1_EviiT3_lPKT2_lT1_lS5_lS6_lS2_lPT4_lS6_li: ; @_ZL20rocblas_gemvn_kernelILi32ELi16Ei19rocblas_complex_numIfES1_S1_EviiT3_lPKT2_lT1_lS5_lS6_lS2_lPT4_lS6_li
; %bb.0:
	s_load_b64 s[2:3], s[0:1], 0x9c
	s_wait_kmcnt 0x0
	s_lshr_b32 s4, s2, 16
	s_and_b32 s2, s2, 0xffff
	s_and_b32 s3, s3, 0xffff
	s_mul_i32 s2, s4, s2
	s_delay_alu instid0(SALU_CYCLE_1) | instskip(NEXT) | instid1(SALU_CYCLE_1)
	s_mul_i32 s2, s2, s3
	s_cmp_lg_u32 s2, 0x200
	s_cbranch_scc1 .LBB110_48
; %bb.1:
	s_load_b32 s27, s[0:1], 0x88
	s_lshr_b32 s28, ttmp7, 16
	s_wait_kmcnt 0x0
	s_cmp_ge_u32 s28, s27
	s_cbranch_scc1 .LBB110_48
; %bb.2:
	s_clause 0x7
	s_load_b128 s[4:7], s[0:1], 0x18
	s_load_b96 s[24:26], s[0:1], 0x40
	s_load_b128 s[20:23], s[0:1], 0x68
	s_load_b32 s36, s[0:1], 0x78
	s_load_b128 s[8:11], s[0:1], 0x0
	s_load_b128 s[12:15], s[0:1], 0x50
	s_load_b32 s33, s[0:1], 0x28
	s_load_b128 s[16:19], s[0:1], 0x30
	v_and_b32_e32 v3, 0x3ff, v0
	v_bfe_u32 v2, v0, 10, 10
	v_mov_b32_e32 v1, 0
	s_mov_b32 s29, 0
	s_delay_alu instid0(VALU_DEP_3) | instskip(NEXT) | instid1(VALU_DEP_3)
	v_lshlrev_b32_e32 v0, 3, v3
	v_lshl_add_u32 v4, v2, 5, v3
	v_lshlrev_b32_e32 v55, 2, v2
	s_delay_alu instid0(VALU_DEP_3)
	v_lshl_add_u32 v56, v2, 10, v0
	v_lshl_add_u32 v57, v2, 8, v0
	s_wait_kmcnt 0x0
	s_lshl_b64 s[2:3], s[6:7], 3
	s_lshl_b64 s[6:7], s[24:25], 3
	;; [unrolled: 1-line block ×3, first 2 shown]
	s_ashr_i32 s37, s36, 31
	s_cmp_neq_f32 s10, 0
	s_load_b64 s[22:23], s[0:1], 0x80
	s_mov_b32 s34, s8
	v_mul_lo_u32 v8, s33, v55
	s_cselect_b32 s0, -1, 0
	s_cmp_neq_f32 s11, 0
	s_add_nc_u64 s[24:25], s[4:5], s[2:3]
	v_mul_lo_u32 v11, v2, s26
	s_add_nc_u64 s[20:21], s[20:21], s[30:31]
	s_cselect_b32 s1, -1, 0
	s_mov_b32 s30, s26
	s_or_b32 s42, s0, s1
	s_cmp_neq_f32 s14, 1.0
	v_cmp_gt_u32_e64 s0, 0x80, v4
	v_add3_u32 v59, v8, s33, v3
	v_or_b32_e32 v8, 3, v55
	s_cselect_b32 s43, -1, 0
	s_cmp_neq_f32 s15, 0
	s_add_nc_u64 s[18:19], s[18:19], s[6:7]
	v_lshlrev_b32_e32 v63, 2, v11
	v_mul_lo_u32 v62, s26, v8
	s_cselect_b32 s44, -1, 0
	s_or_b32 s1, s10, s11
	s_delay_alu instid0(SALU_CYCLE_1) | instskip(NEXT) | instid1(SALU_CYCLE_1)
	s_bitset0_b32 s1, 31
	s_cmp_eq_u32 s1, 0
	s_cselect_b32 s38, -1, 0
	s_lshl_b32 s39, ttmp9, 7
	s_ashr_i32 s35, s8, 31
	v_add_nc_u32_e32 v0, s39, v4
	v_or_b32_e32 v6, s39, v4
	s_cmp_neq_f32 s14, 0
	s_delay_alu instid0(VALU_DEP_2)
	v_mad_co_u64_u32 v[4:5], null, s36, v0, 0
	v_cmp_gt_i64_e32 vcc_lo, s[34:35], v[0:1]
	s_cselect_b32 s1, -1, 0
	s_ashr_i32 s2, s9, 31
	s_or_b32 s40, s1, s44
	s_lshr_b32 s3, s2, 26
	v_cmp_gt_i32_e64 s2, s8, v6
	s_delay_alu instid0(VALU_DEP_3) | instskip(SKIP_2) | instid1(SALU_CYCLE_1)
	v_mov_b32_e32 v1, v5
	v_mul_lo_u32 v6, s36, v6
	s_add_co_i32 s41, s9, s3
	s_and_not1_b32 s41, s41, 63
	s_delay_alu instid0(VALU_DEP_2)
	v_mad_co_u64_u32 v[0:1], null, s37, v0, v[1:2]
	v_add_nc_u32_e32 v58, s39, v3
	s_sub_co_i32 s7, s9, s41
	v_cmp_gt_i32_e64 s6, s41, v55
	s_cmp_gt_i32 s7, 0
	v_dual_mov_b32 v5, v0 :: v_dual_add_nc_u32 v10, 0x60, v58
	v_add_nc_u32_e32 v9, 64, v58
	v_add_nc_u32_e32 v7, 32, v58
	v_cmp_gt_i32_e64 s1, s8, v58
	s_delay_alu instid0(VALU_DEP_4)
	v_cmp_gt_i32_e64 s5, s8, v10
	v_mul_lo_u32 v10, v2, s33
	v_cmp_gt_i32_e64 s4, s8, v9
	v_or_b32_e32 v9, 2, v55
	v_cmp_gt_i32_e64 s3, s8, v7
	v_ashrrev_i32_e32 v7, 31, v6
	s_cselect_b32 s8, -1, 0
	s_or_b32 s7, s42, s43
	v_mad_co_u64_u32 v[0:1], null, s33, v9, v[3:4]
	v_mad_co_u64_u32 v[1:2], null, s33, v8, v[3:4]
	v_lshl_add_u32 v60, v10, 2, v3
	v_mad_co_u64_u32 v[2:3], null, s26, v55, s[30:31]
	v_mul_lo_u32 v61, s26, v9
	v_lshlrev_b64_e32 v[3:4], 3, v[4:5]
	v_lshlrev_b64_e32 v[5:6], 3, v[6:7]
	s_or_b32 s42, s7, s44
	s_and_b32 s43, s0, vcc_lo
	s_lshl_b32 s44, s33, 6
	s_lshl_b32 s45, s26, 6
	s_branch .LBB110_6
.LBB110_3:                              ;   in Loop: Header=BB110_6 Depth=1
	v_add_co_u32 v9, vcc_lo, s30, v5
	s_wait_alu 0xfffd
	v_add_co_ci_u32_e64 v10, null, s31, v6, vcc_lo
	global_store_b64 v[9:10], v[7:8], off
.LBB110_4:                              ;   in Loop: Header=BB110_6 Depth=1
	s_wait_alu 0xfffe
	s_or_b32 exec_lo, exec_lo, s7
.LBB110_5:                              ;   in Loop: Header=BB110_6 Depth=1
	s_add_co_i32 s28, s28, 0x10000
	s_delay_alu instid0(SALU_CYCLE_1)
	s_cmp_lt_u32 s28, s27
	s_cbranch_scc0 .LBB110_48
.LBB110_6:                              ; =>This Loop Header: Depth=1
                                        ;     Child Loop BB110_20 Depth 2
	s_and_not1_b32 vcc_lo, exec_lo, s42
	s_wait_alu 0xfffe
	s_cbranch_vccnz .LBB110_5
; %bb.7:                                ;   in Loop: Header=BB110_6 Depth=1
	s_wait_kmcnt 0x0
	s_mul_u64 s[30:31], s[22:23], s[28:29]
	s_and_not1_b32 vcc_lo, exec_lo, s38
	s_wait_alu 0xfffe
	s_lshl_b64 s[30:31], s[30:31], 3
	s_mov_b32 s7, -1
	s_wait_alu 0xfffe
	s_add_nc_u64 s[30:31], s[20:21], s[30:31]
	s_cbranch_vccnz .LBB110_13
; %bb.8:                                ;   in Loop: Header=BB110_6 Depth=1
	s_and_saveexec_b32 s7, s43
	s_cbranch_execz .LBB110_12
; %bb.9:                                ;   in Loop: Header=BB110_6 Depth=1
	v_dual_mov_b32 v7, 0 :: v_dual_mov_b32 v8, 0
	s_and_not1_b32 vcc_lo, exec_lo, s40
	s_wait_alu 0xfffe
	s_cbranch_vccnz .LBB110_11
; %bb.10:                               ;   in Loop: Header=BB110_6 Depth=1
	v_add_co_u32 v7, vcc_lo, s30, v3
	s_wait_alu 0xfffd
	v_add_co_ci_u32_e64 v8, null, s31, v4, vcc_lo
	global_load_b64 v[9:10], v[7:8], off
	s_wait_loadcnt 0x0
	v_mul_f32_e32 v8, s14, v10
	s_delay_alu instid0(VALU_DEP_1) | instskip(NEXT) | instid1(VALU_DEP_1)
	v_dual_mul_f32 v7, s15, v10 :: v_dual_fmac_f32 v8, s15, v9
	v_fma_f32 v7, s14, v9, -v7
.LBB110_11:                             ;   in Loop: Header=BB110_6 Depth=1
	v_add_co_u32 v9, vcc_lo, s30, v3
	s_wait_alu 0xfffd
	v_add_co_ci_u32_e64 v10, null, s31, v4, vcc_lo
	global_store_b64 v[9:10], v[7:8], off
.LBB110_12:                             ;   in Loop: Header=BB110_6 Depth=1
	s_wait_alu 0xfffe
	s_or_b32 exec_lo, exec_lo, s7
	s_mov_b32 s7, 0
.LBB110_13:                             ;   in Loop: Header=BB110_6 Depth=1
	s_wait_alu 0xfffe
	s_and_not1_b32 vcc_lo, exec_lo, s7
	s_wait_alu 0xfffe
	s_cbranch_vccnz .LBB110_5
; %bb.14:                               ;   in Loop: Header=BB110_6 Depth=1
	s_mul_u64 s[34:35], s[16:17], s[28:29]
	s_mul_u64 s[36:37], s[12:13], s[28:29]
	v_dual_mov_b32 v8, 0 :: v_dual_mov_b32 v7, 0
	v_dual_mov_b32 v64, v55 :: v_dual_mov_b32 v9, 0
	;; [unrolled: 1-line block ×4, first 2 shown]
	v_mov_b32_e32 v14, 0
	s_wait_alu 0xfffe
	s_lshl_b64 s[34:35], s[34:35], 3
	s_lshl_b64 s[36:37], s[36:37], 3
	s_wait_alu 0xfffe
	s_add_nc_u64 s[34:35], s[24:25], s[34:35]
	s_add_nc_u64 s[36:37], s[18:19], s[36:37]
	s_and_saveexec_b32 s7, s6
	s_cbranch_execz .LBB110_26
; %bb.15:                               ;   in Loop: Header=BB110_6 Depth=1
	v_dual_mov_b32 v8, 0 :: v_dual_mov_b32 v65, v60
	v_dual_mov_b32 v66, v1 :: v_dual_mov_b32 v67, v0
	s_delay_alu instid0(VALU_DEP_2)
	v_dual_mov_b32 v68, v59 :: v_dual_mov_b32 v7, v8
	v_dual_mov_b32 v64, v55 :: v_dual_mov_b32 v9, v8
	;; [unrolled: 1-line block ×4, first 2 shown]
	v_mov_b32_e32 v14, v8
	s_mov_b32 s46, 0
	s_mov_b32 s47, 0
	s_branch .LBB110_20
.LBB110_16:                             ;   in Loop: Header=BB110_20 Depth=2
	s_or_b32 exec_lo, exec_lo, s51
	s_wait_loadcnt 0x3
	v_mul_f32_e32 v47, v28, v46
	v_mul_f32_e32 v46, v27, v46
	s_wait_loadcnt 0x1
	v_dual_mul_f32 v48, v24, v44 :: v_dual_mul_f32 v49, v18, v42
	v_mul_f32_e32 v44, v23, v44
	v_fma_f32 v47, v27, v45, -v47
	v_fmac_f32_e32 v46, v28, v45
	s_delay_alu instid0(VALU_DEP_4) | instskip(SKIP_4) | instid1(VALU_DEP_2)
	v_fma_f32 v48, v23, v43, -v48
	s_wait_loadcnt 0x0
	v_mul_f32_e32 v45, v16, v40
	v_dual_mul_f32 v40, v15, v40 :: v_dual_add_f32 v9, v9, v47
	v_mul_f32_e32 v42, v17, v42
	v_fmac_f32_e32 v40, v16, v39
	s_delay_alu instid0(VALU_DEP_3) | instskip(SKIP_4) | instid1(VALU_DEP_3)
	v_add_f32_e32 v9, v48, v9
	v_fmac_f32_e32 v44, v24, v43
	v_fma_f32 v43, v17, v41, -v49
	v_fmac_f32_e32 v42, v18, v41
	v_fma_f32 v41, v15, v39, -v45
	v_dual_add_f32 v9, v43, v9 :: v_dual_add_f32 v10, v10, v46
	s_delay_alu instid0(VALU_DEP_1) | instskip(NEXT) | instid1(VALU_DEP_1)
	v_dual_add_f32 v9, v41, v9 :: v_dual_add_f32 v10, v44, v10
	v_add_f32_e32 v10, v42, v10
	s_delay_alu instid0(VALU_DEP_1)
	v_add_f32_e32 v10, v40, v10
.LBB110_17:                             ;   in Loop: Header=BB110_20 Depth=2
	s_or_b32 exec_lo, exec_lo, s50
	s_wait_loadcnt 0x3
	v_mul_f32_e32 v39, v28, v38
	s_wait_loadcnt 0x1
	v_dual_mul_f32 v40, v24, v36 :: v_dual_mul_f32 v41, v18, v34
	v_mul_f32_e32 v36, v23, v36
	v_mul_f32_e32 v38, v27, v38
	v_fma_f32 v39, v27, v37, -v39
	v_mul_f32_e32 v34, v17, v34
	v_fma_f32 v40, v23, v35, -v40
	v_fmac_f32_e32 v36, v24, v35
	v_fma_f32 v35, v17, v33, -v41
	s_delay_alu instid0(VALU_DEP_4) | instskip(NEXT) | instid1(VALU_DEP_1)
	v_dual_add_f32 v11, v11, v39 :: v_dual_fmac_f32 v34, v18, v33
	v_add_f32_e32 v11, v40, v11
	v_fmac_f32_e32 v38, v28, v37
	s_wait_loadcnt 0x0
	v_mul_f32_e32 v37, v16, v32
	v_mul_f32_e32 v32, v15, v32
	v_add_f32_e32 v11, v35, v11
	s_delay_alu instid0(VALU_DEP_3) | instskip(SKIP_1) | instid1(VALU_DEP_4)
	v_fma_f32 v33, v15, v31, -v37
	v_add_f32_e32 v12, v12, v38
	v_fmac_f32_e32 v32, v16, v31
	s_delay_alu instid0(VALU_DEP_2) | instskip(NEXT) | instid1(VALU_DEP_1)
	v_dual_add_f32 v11, v33, v11 :: v_dual_add_f32 v12, v36, v12
	v_add_f32_e32 v12, v34, v12
	s_delay_alu instid0(VALU_DEP_1)
	v_add_f32_e32 v12, v32, v12
.LBB110_18:                             ;   in Loop: Header=BB110_20 Depth=2
	s_or_b32 exec_lo, exec_lo, s49
	s_wait_loadcnt 0x3
	v_mul_f32_e32 v31, v28, v30
	v_mul_f32_e32 v30, v27, v30
	s_wait_loadcnt 0x1
	s_delay_alu instid0(VALU_DEP_1)
	v_dual_mul_f32 v33, v18, v22 :: v_dual_fmac_f32 v30, v28, v29
	s_wait_loadcnt 0x0
	v_mul_f32_e32 v28, v16, v20
	v_mul_f32_e32 v20, v15, v20
	v_fma_f32 v27, v27, v29, -v31
	v_add_f32_e32 v14, v14, v30
	s_delay_alu instid0(VALU_DEP_4) | instskip(SKIP_1) | instid1(VALU_DEP_4)
	v_fma_f32 v15, v15, v19, -v28
	v_mul_f32_e32 v22, v17, v22
	v_dual_add_f32 v13, v13, v27 :: v_dual_mul_f32 v32, v24, v26
	v_fma_f32 v17, v17, v21, -v33
	v_mul_f32_e32 v26, v23, v26
	v_fmac_f32_e32 v20, v16, v19
	s_delay_alu instid0(VALU_DEP_4) | instskip(NEXT) | instid1(VALU_DEP_1)
	v_fma_f32 v23, v23, v25, -v32
	v_add_f32_e32 v13, v23, v13
	s_delay_alu instid0(VALU_DEP_1) | instskip(SKIP_1) | instid1(VALU_DEP_2)
	v_add_f32_e32 v13, v17, v13
	v_fmac_f32_e32 v26, v24, v25
	v_add_f32_e32 v13, v15, v13
	v_fmac_f32_e32 v22, v18, v21
	s_delay_alu instid0(VALU_DEP_3) | instskip(NEXT) | instid1(VALU_DEP_1)
	v_add_f32_e32 v14, v26, v14
	v_add_f32_e32 v14, v22, v14
	s_delay_alu instid0(VALU_DEP_1)
	v_add_f32_e32 v14, v20, v14
.LBB110_19:                             ;   in Loop: Header=BB110_20 Depth=2
	s_or_b32 exec_lo, exec_lo, s48
	v_add_nc_u32_e32 v64, 64, v64
	v_add_nc_u32_e32 v68, s44, v68
	;; [unrolled: 1-line block ×5, first 2 shown]
	v_cmp_le_i32_e32 vcc_lo, s41, v64
	s_wait_alu 0xfffe
	s_add_co_i32 s47, s47, s45
	s_or_b32 s46, vcc_lo, s46
	s_wait_alu 0xfffe
	s_and_not1_b32 exec_lo, exec_lo, s46
	s_cbranch_execz .LBB110_25
.LBB110_20:                             ;   Parent Loop BB110_6 Depth=1
                                        ; =>  This Inner Loop Header: Depth=2
	s_and_saveexec_b32 s48, s1
	s_cbranch_execz .LBB110_19
; %bb.21:                               ;   in Loop: Header=BB110_20 Depth=2
	s_wait_alu 0xfffe
	v_add_nc_u32_e32 v15, s47, v63
	v_add_nc_u32_e32 v17, s47, v2
	;; [unrolled: 1-line block ×5, first 2 shown]
	v_ashrrev_i32_e32 v16, 31, v15
	v_ashrrev_i32_e32 v18, 31, v17
	;; [unrolled: 1-line block ×3, first 2 shown]
	v_add_nc_u32_e32 v25, s39, v68
	v_ashrrev_i32_e32 v22, 31, v21
	v_lshlrev_b64_e32 v[15:16], 3, v[15:16]
	v_lshlrev_b64_e32 v[17:18], 3, v[17:18]
	v_ashrrev_i32_e32 v24, 31, v23
	v_lshlrev_b64_e32 v[19:20], 3, v[19:20]
	v_ashrrev_i32_e32 v26, 31, v25
	v_lshlrev_b64_e32 v[21:22], 3, v[21:22]
	v_add_co_u32 v15, vcc_lo, s36, v15
	v_add_nc_u32_e32 v27, s39, v67
	s_wait_alu 0xfffd
	v_add_co_ci_u32_e64 v16, null, s37, v16, vcc_lo
	v_add_co_u32 v17, vcc_lo, s36, v17
	v_lshlrev_b64_e32 v[23:24], 3, v[23:24]
	v_add_nc_u32_e32 v29, s39, v66
	s_wait_alu 0xfffd
	v_add_co_ci_u32_e64 v18, null, s37, v18, vcc_lo
	v_add_co_u32 v19, vcc_lo, s36, v19
	v_lshlrev_b64_e32 v[25:26], 3, v[25:26]
	v_ashrrev_i32_e32 v28, 31, v27
	s_wait_alu 0xfffd
	v_add_co_ci_u32_e64 v20, null, s37, v20, vcc_lo
	v_add_co_u32 v21, vcc_lo, s36, v21
	v_ashrrev_i32_e32 v30, 31, v29
	s_wait_alu 0xfffd
	v_add_co_ci_u32_e64 v22, null, s37, v22, vcc_lo
	v_add_co_u32 v53, vcc_lo, s34, v23
	s_wait_alu 0xfffd
	v_add_co_ci_u32_e64 v54, null, s35, v24, vcc_lo
	v_lshlrev_b64_e32 v[23:24], 3, v[27:28]
	v_add_co_u32 v51, vcc_lo, s34, v25
	s_wait_alu 0xfffd
	v_add_co_ci_u32_e64 v52, null, s35, v26, vcc_lo
	v_lshlrev_b64_e32 v[25:26], 3, v[29:30]
	s_delay_alu instid0(VALU_DEP_4) | instskip(SKIP_2) | instid1(VALU_DEP_3)
	v_add_co_u32 v49, vcc_lo, s34, v23
	s_wait_alu 0xfffd
	v_add_co_ci_u32_e64 v50, null, s35, v24, vcc_lo
	v_add_co_u32 v47, vcc_lo, s34, v25
	s_wait_alu 0xfffd
	v_add_co_ci_u32_e64 v48, null, s35, v26, vcc_lo
	s_clause 0x3
	global_load_b64 v[27:28], v[15:16], off
	global_load_b64 v[23:24], v[17:18], off
	;; [unrolled: 1-line block ×4, first 2 shown]
	s_clause 0x3
	global_load_b64 v[29:30], v[53:54], off
	global_load_b64 v[25:26], v[51:52], off
	;; [unrolled: 1-line block ×4, first 2 shown]
	s_and_saveexec_b32 s49, s3
	s_cbranch_execz .LBB110_18
; %bb.22:                               ;   in Loop: Header=BB110_20 Depth=2
	s_clause 0x3
	global_load_b64 v[37:38], v[53:54], off offset:256
	global_load_b64 v[35:36], v[51:52], off offset:256
	global_load_b64 v[33:34], v[49:50], off offset:256
	global_load_b64 v[31:32], v[47:48], off offset:256
	s_and_saveexec_b32 s50, s4
	s_cbranch_execz .LBB110_17
; %bb.23:                               ;   in Loop: Header=BB110_20 Depth=2
	s_clause 0x3
	global_load_b64 v[45:46], v[53:54], off offset:512
	global_load_b64 v[43:44], v[51:52], off offset:512
	global_load_b64 v[41:42], v[49:50], off offset:512
	global_load_b64 v[39:40], v[47:48], off offset:512
	;; [unrolled: 8-line block ×3, first 2 shown]
	s_wait_loadcnt 0x3
	v_mul_f32_e32 v69, v28, v54
	v_mul_f32_e32 v54, v27, v54
	s_wait_loadcnt 0x1
	v_dual_mul_f32 v70, v24, v52 :: v_dual_mul_f32 v71, v18, v50
	v_mul_f32_e32 v52, v23, v52
	v_fma_f32 v69, v27, v53, -v69
	v_mul_f32_e32 v50, v17, v50
	s_delay_alu instid0(VALU_DEP_4) | instskip(NEXT) | instid1(VALU_DEP_3)
	v_fma_f32 v70, v23, v51, -v70
	v_dual_fmac_f32 v52, v24, v51 :: v_dual_add_f32 v7, v7, v69
	v_fmac_f32_e32 v54, v28, v53
	s_wait_loadcnt 0x0
	v_mul_f32_e32 v53, v16, v48
	v_fma_f32 v51, v17, v49, -v71
	v_fmac_f32_e32 v50, v18, v49
	v_dual_add_f32 v7, v70, v7 :: v_dual_add_f32 v8, v8, v54
	s_delay_alu instid0(VALU_DEP_4) | instskip(NEXT) | instid1(VALU_DEP_2)
	v_fma_f32 v49, v15, v47, -v53
	v_add_f32_e32 v7, v51, v7
	v_mul_f32_e32 v48, v15, v48
	s_delay_alu instid0(VALU_DEP_2) | instskip(NEXT) | instid1(VALU_DEP_2)
	v_dual_add_f32 v8, v52, v8 :: v_dual_add_f32 v7, v49, v7
	v_fmac_f32_e32 v48, v16, v47
	s_delay_alu instid0(VALU_DEP_2) | instskip(NEXT) | instid1(VALU_DEP_1)
	v_add_f32_e32 v8, v50, v8
	v_add_f32_e32 v8, v48, v8
	s_branch .LBB110_16
.LBB110_25:                             ;   in Loop: Header=BB110_6 Depth=1
	s_or_b32 exec_lo, exec_lo, s46
.LBB110_26:                             ;   in Loop: Header=BB110_6 Depth=1
	s_wait_alu 0xfffe
	s_or_b32 exec_lo, exec_lo, s7
	s_delay_alu instid0(SALU_CYCLE_1)
	s_and_not1_b32 vcc_lo, exec_lo, s8
	s_wait_alu 0xfffe
	s_cbranch_vccnz .LBB110_44
; %bb.27:                               ;   in Loop: Header=BB110_6 Depth=1
	v_cmp_gt_i32_e32 vcc_lo, s9, v64
	v_dual_mov_b32 v15, 0 :: v_dual_mov_b32 v16, 0
	v_or_b32_e32 v23, 1, v64
	v_dual_mov_b32 v17, 0 :: v_dual_mov_b32 v18, 0
	v_dual_mov_b32 v19, 0 :: v_dual_mov_b32 v20, 0
	;; [unrolled: 1-line block ×3, first 2 shown]
	s_and_saveexec_b32 s46, vcc_lo
	s_cbranch_execz .LBB110_35
; %bb.28:                               ;   in Loop: Header=BB110_6 Depth=1
	v_mul_lo_u32 v15, v64, s26
	v_dual_mov_b32 v22, 0 :: v_dual_mov_b32 v21, 0
	v_dual_mov_b32 v20, 0 :: v_dual_mov_b32 v19, 0
	;; [unrolled: 1-line block ×3, first 2 shown]
	s_mov_b32 s47, exec_lo
	s_delay_alu instid0(VALU_DEP_4) | instskip(NEXT) | instid1(VALU_DEP_1)
	v_ashrrev_i32_e32 v16, 31, v15
	v_lshlrev_b64_e32 v[15:16], 3, v[15:16]
	s_delay_alu instid0(VALU_DEP_1) | instskip(SKIP_1) | instid1(VALU_DEP_2)
	v_add_co_u32 v15, s7, s36, v15
	s_wait_alu 0xf1ff
	v_add_co_ci_u32_e64 v16, null, s37, v16, s7
	global_load_b64 v[15:16], v[15:16], off
	v_cmpx_gt_i32_e64 s9, v23
	s_cbranch_execz .LBB110_34
; %bb.29:                               ;   in Loop: Header=BB110_6 Depth=1
	v_mul_lo_u32 v17, v23, s26
	v_or_b32_e32 v24, 2, v64
	v_dual_mov_b32 v22, 0 :: v_dual_mov_b32 v21, 0
	v_dual_mov_b32 v20, 0 :: v_dual_mov_b32 v19, 0
	s_mov_b32 s48, exec_lo
	s_delay_alu instid0(VALU_DEP_4) | instskip(NEXT) | instid1(VALU_DEP_1)
	v_ashrrev_i32_e32 v18, 31, v17
	v_lshlrev_b64_e32 v[17:18], 3, v[17:18]
	s_delay_alu instid0(VALU_DEP_1) | instskip(SKIP_1) | instid1(VALU_DEP_2)
	v_add_co_u32 v17, s7, s36, v17
	s_wait_alu 0xf1ff
	v_add_co_ci_u32_e64 v18, null, s37, v18, s7
	global_load_b64 v[17:18], v[17:18], off
	v_cmpx_gt_i32_e64 s9, v24
	s_cbranch_execz .LBB110_33
; %bb.30:                               ;   in Loop: Header=BB110_6 Depth=1
	v_mul_lo_u32 v19, v24, s26
	v_or_b32_e32 v24, 3, v64
	v_dual_mov_b32 v22, 0 :: v_dual_mov_b32 v21, 0
	s_mov_b32 s49, exec_lo
	s_delay_alu instid0(VALU_DEP_3) | instskip(NEXT) | instid1(VALU_DEP_1)
	v_ashrrev_i32_e32 v20, 31, v19
	v_lshlrev_b64_e32 v[19:20], 3, v[19:20]
	s_delay_alu instid0(VALU_DEP_1) | instskip(SKIP_1) | instid1(VALU_DEP_2)
	v_add_co_u32 v19, s7, s36, v19
	s_wait_alu 0xf1ff
	v_add_co_ci_u32_e64 v20, null, s37, v20, s7
	global_load_b64 v[19:20], v[19:20], off
	v_cmpx_gt_i32_e64 s9, v24
	s_cbranch_execz .LBB110_32
; %bb.31:                               ;   in Loop: Header=BB110_6 Depth=1
	v_mul_lo_u32 v21, v24, s26
	s_delay_alu instid0(VALU_DEP_1) | instskip(NEXT) | instid1(VALU_DEP_1)
	v_ashrrev_i32_e32 v22, 31, v21
	v_lshlrev_b64_e32 v[21:22], 3, v[21:22]
	s_delay_alu instid0(VALU_DEP_1) | instskip(SKIP_1) | instid1(VALU_DEP_2)
	v_add_co_u32 v21, s7, s36, v21
	s_wait_alu 0xf1ff
	v_add_co_ci_u32_e64 v22, null, s37, v22, s7
	global_load_b64 v[21:22], v[21:22], off
.LBB110_32:                             ;   in Loop: Header=BB110_6 Depth=1
	s_or_b32 exec_lo, exec_lo, s49
.LBB110_33:                             ;   in Loop: Header=BB110_6 Depth=1
	s_delay_alu instid0(SALU_CYCLE_1)
	s_or_b32 exec_lo, exec_lo, s48
.LBB110_34:                             ;   in Loop: Header=BB110_6 Depth=1
	s_wait_alu 0xfffe
	s_or_b32 exec_lo, exec_lo, s47
.LBB110_35:                             ;   in Loop: Header=BB110_6 Depth=1
	s_wait_alu 0xfffe
	s_or_b32 exec_lo, exec_lo, s46
	s_and_saveexec_b32 s7, s1
	s_cbranch_execz .LBB110_43
; %bb.36:                               ;   in Loop: Header=BB110_6 Depth=1
	v_mul_lo_u32 v25, v64, s33
	v_or_b32_e32 v24, 2, v64
	v_mul_lo_u32 v27, v23, s33
	v_or_b32_e32 v26, 3, v64
	s_delay_alu instid0(VALU_DEP_3) | instskip(NEXT) | instid1(VALU_DEP_2)
	v_mul_lo_u32 v28, v24, s33
	v_mul_lo_u32 v29, v26, s33
	v_cndmask_b32_e32 v25, 0, v25, vcc_lo
	v_cmp_gt_i32_e32 vcc_lo, s9, v23
	s_wait_alu 0xfffd
	v_cndmask_b32_e32 v27, 0, v27, vcc_lo
	v_cmp_gt_i32_e32 vcc_lo, s9, v24
	s_wait_alu 0xfffd
	;; [unrolled: 3-line block ×3, first 2 shown]
	v_dual_cndmask_b32 v26, 0, v29 :: v_dual_add_nc_u32 v23, v25, v58
	v_add_nc_u32_e32 v25, v27, v58
	v_add_nc_u32_e32 v27, v24, v58
	s_delay_alu instid0(VALU_DEP_3) | instskip(NEXT) | instid1(VALU_DEP_4)
	v_ashrrev_i32_e32 v24, 31, v23
	v_add_nc_u32_e32 v29, v26, v58
	s_delay_alu instid0(VALU_DEP_4) | instskip(NEXT) | instid1(VALU_DEP_4)
	v_ashrrev_i32_e32 v26, 31, v25
	v_ashrrev_i32_e32 v28, 31, v27
	s_delay_alu instid0(VALU_DEP_4) | instskip(NEXT) | instid1(VALU_DEP_4)
	v_lshlrev_b64_e32 v[23:24], 3, v[23:24]
	v_ashrrev_i32_e32 v30, 31, v29
	s_delay_alu instid0(VALU_DEP_4) | instskip(NEXT) | instid1(VALU_DEP_4)
	v_lshlrev_b64_e32 v[25:26], 3, v[25:26]
	v_lshlrev_b64_e32 v[27:28], 3, v[27:28]
	s_delay_alu instid0(VALU_DEP_4) | instskip(NEXT) | instid1(VALU_DEP_4)
	v_add_co_u32 v53, vcc_lo, s34, v23
	v_lshlrev_b64_e32 v[29:30], 3, v[29:30]
	s_wait_alu 0xfffd
	v_add_co_ci_u32_e64 v54, null, s35, v24, vcc_lo
	v_add_co_u32 v51, vcc_lo, s34, v25
	s_wait_alu 0xfffd
	v_add_co_ci_u32_e64 v52, null, s35, v26, vcc_lo
	v_add_co_u32 v49, vcc_lo, s34, v27
	;; [unrolled: 3-line block ×3, first 2 shown]
	s_wait_alu 0xfffd
	v_add_co_ci_u32_e64 v48, null, s35, v30, vcc_lo
	s_clause 0x3
	global_load_b64 v[29:30], v[53:54], off
	global_load_b64 v[27:28], v[51:52], off
	global_load_b64 v[25:26], v[49:50], off
	global_load_b64 v[23:24], v[47:48], off
	s_and_saveexec_b32 s34, s3
	s_cbranch_execz .LBB110_42
; %bb.37:                               ;   in Loop: Header=BB110_6 Depth=1
	s_clause 0x3
	global_load_b64 v[37:38], v[53:54], off offset:256
	global_load_b64 v[35:36], v[51:52], off offset:256
	global_load_b64 v[33:34], v[49:50], off offset:256
	global_load_b64 v[31:32], v[47:48], off offset:256
	s_and_saveexec_b32 s35, s4
	s_cbranch_execz .LBB110_41
; %bb.38:                               ;   in Loop: Header=BB110_6 Depth=1
	s_clause 0x3
	global_load_b64 v[45:46], v[53:54], off offset:512
	global_load_b64 v[43:44], v[51:52], off offset:512
	global_load_b64 v[41:42], v[49:50], off offset:512
	global_load_b64 v[39:40], v[47:48], off offset:512
	;; [unrolled: 8-line block ×3, first 2 shown]
	s_wait_loadcnt 0x2
	v_dual_mul_f32 v64, v16, v54 :: v_dual_mul_f32 v65, v18, v52
	v_mul_f32_e32 v54, v15, v54
	s_delay_alu instid0(VALU_DEP_2) | instskip(SKIP_3) | instid1(VALU_DEP_3)
	v_fma_f32 v64, v15, v53, -v64
	s_wait_loadcnt 0x1
	v_mul_f32_e32 v66, v20, v50
	v_fma_f32 v65, v17, v51, -v65
	v_add_f32_e32 v7, v7, v64
	s_delay_alu instid0(VALU_DEP_1) | instskip(SKIP_1) | instid1(VALU_DEP_2)
	v_dual_mul_f32 v50, v19, v50 :: v_dual_add_f32 v7, v65, v7
	v_mul_f32_e32 v52, v17, v52
	v_fmac_f32_e32 v50, v20, v49
	s_delay_alu instid0(VALU_DEP_2) | instskip(SKIP_1) | instid1(VALU_DEP_1)
	v_fmac_f32_e32 v52, v18, v51
	v_fma_f32 v51, v19, v49, -v66
	v_dual_add_f32 v7, v51, v7 :: v_dual_fmac_f32 v54, v16, v53
	s_wait_loadcnt 0x0
	v_mul_f32_e32 v53, v22, v48
	v_mul_f32_e32 v48, v21, v48
	s_delay_alu instid0(VALU_DEP_2) | instskip(NEXT) | instid1(VALU_DEP_2)
	v_fma_f32 v49, v21, v47, -v53
	v_fmac_f32_e32 v48, v22, v47
	s_delay_alu instid0(VALU_DEP_2) | instskip(NEXT) | instid1(VALU_DEP_1)
	v_dual_add_f32 v7, v49, v7 :: v_dual_add_f32 v8, v8, v54
	v_add_f32_e32 v8, v52, v8
	s_delay_alu instid0(VALU_DEP_1) | instskip(NEXT) | instid1(VALU_DEP_1)
	v_add_f32_e32 v8, v50, v8
	v_add_f32_e32 v8, v48, v8
.LBB110_40:                             ;   in Loop: Header=BB110_6 Depth=1
	s_wait_alu 0xfffe
	s_or_b32 exec_lo, exec_lo, s36
	s_wait_loadcnt 0x2
	v_dual_mul_f32 v47, v16, v46 :: v_dual_mul_f32 v48, v18, v44
	v_mul_f32_e32 v46, v15, v46
	s_wait_loadcnt 0x1
	v_dual_mul_f32 v44, v17, v44 :: v_dual_mul_f32 v49, v20, v42
	s_delay_alu instid0(VALU_DEP_3)
	v_fma_f32 v47, v15, v45, -v47
	v_mul_f32_e32 v42, v19, v42
	v_fmac_f32_e32 v46, v16, v45
	v_fma_f32 v48, v17, v43, -v48
	s_wait_loadcnt 0x0
	v_mul_f32_e32 v45, v22, v40
	v_add_f32_e32 v9, v9, v47
	v_fmac_f32_e32 v44, v18, v43
	v_fma_f32 v43, v19, v41, -v49
	v_mul_f32_e32 v40, v21, v40
	v_fmac_f32_e32 v42, v20, v41
	v_dual_add_f32 v9, v48, v9 :: v_dual_add_f32 v10, v10, v46
	v_fma_f32 v41, v21, v39, -v45
	s_delay_alu instid0(VALU_DEP_2) | instskip(NEXT) | instid1(VALU_DEP_1)
	v_dual_fmac_f32 v40, v22, v39 :: v_dual_add_f32 v9, v43, v9
	v_dual_add_f32 v10, v44, v10 :: v_dual_add_f32 v9, v41, v9
	s_delay_alu instid0(VALU_DEP_1) | instskip(NEXT) | instid1(VALU_DEP_1)
	v_add_f32_e32 v10, v42, v10
	v_add_f32_e32 v10, v40, v10
.LBB110_41:                             ;   in Loop: Header=BB110_6 Depth=1
	s_wait_alu 0xfffe
	s_or_b32 exec_lo, exec_lo, s35
	s_wait_loadcnt 0x2
	v_dual_mul_f32 v39, v16, v38 :: v_dual_mul_f32 v40, v18, v36
	v_mul_f32_e32 v38, v15, v38
	s_wait_loadcnt 0x1
	v_dual_mul_f32 v36, v17, v36 :: v_dual_mul_f32 v41, v20, v34
	s_delay_alu instid0(VALU_DEP_3)
	v_fma_f32 v39, v15, v37, -v39
	v_fma_f32 v40, v17, v35, -v40
	s_wait_loadcnt 0x0
	v_dual_fmac_f32 v38, v16, v37 :: v_dual_mul_f32 v37, v22, v32
	v_fmac_f32_e32 v36, v18, v35
	v_add_f32_e32 v11, v11, v39
	v_mul_f32_e32 v34, v19, v34
	v_fma_f32 v35, v19, v33, -v41
	s_delay_alu instid0(VALU_DEP_3) | instskip(SKIP_1) | instid1(VALU_DEP_2)
	v_dual_mul_f32 v32, v21, v32 :: v_dual_add_f32 v11, v40, v11
	v_add_f32_e32 v12, v12, v38
	v_fmac_f32_e32 v32, v22, v31
	s_delay_alu instid0(VALU_DEP_3) | instskip(NEXT) | instid1(VALU_DEP_3)
	v_dual_add_f32 v11, v35, v11 :: v_dual_fmac_f32 v34, v20, v33
	v_add_f32_e32 v12, v36, v12
	v_fma_f32 v33, v21, v31, -v37
	s_delay_alu instid0(VALU_DEP_1) | instskip(NEXT) | instid1(VALU_DEP_1)
	v_dual_add_f32 v11, v33, v11 :: v_dual_add_f32 v12, v34, v12
	v_add_f32_e32 v12, v32, v12
.LBB110_42:                             ;   in Loop: Header=BB110_6 Depth=1
	s_wait_alu 0xfffe
	s_or_b32 exec_lo, exec_lo, s34
	s_wait_loadcnt 0x2
	v_dual_mul_f32 v31, v16, v30 :: v_dual_mul_f32 v32, v18, v28
	v_mul_f32_e32 v30, v15, v30
	s_wait_loadcnt 0x1
	v_dual_mul_f32 v28, v17, v28 :: v_dual_mul_f32 v33, v20, v26
	s_delay_alu instid0(VALU_DEP_3) | instskip(SKIP_2) | instid1(VALU_DEP_3)
	v_fma_f32 v15, v15, v29, -v31
	v_mul_f32_e32 v26, v19, v26
	v_fma_f32 v17, v17, v27, -v32
	v_add_f32_e32 v13, v13, v15
	s_wait_loadcnt 0x0
	v_dual_mul_f32 v15, v21, v24 :: v_dual_fmac_f32 v30, v16, v29
	v_mul_f32_e32 v16, v22, v24
	v_fmac_f32_e32 v26, v20, v25
	v_add_f32_e32 v13, v17, v13
	s_delay_alu instid0(VALU_DEP_4) | instskip(SKIP_4) | instid1(VALU_DEP_1)
	v_fmac_f32_e32 v15, v22, v23
	v_add_f32_e32 v14, v14, v30
	v_fma_f32 v16, v21, v23, -v16
	v_fmac_f32_e32 v28, v18, v27
	v_fma_f32 v18, v19, v25, -v33
	v_add_f32_e32 v13, v18, v13
	s_delay_alu instid0(VALU_DEP_1) | instskip(NEXT) | instid1(VALU_DEP_4)
	v_add_f32_e32 v13, v16, v13
	v_add_f32_e32 v14, v28, v14
	s_delay_alu instid0(VALU_DEP_1) | instskip(NEXT) | instid1(VALU_DEP_1)
	v_add_f32_e32 v14, v26, v14
	v_add_f32_e32 v14, v15, v14
.LBB110_43:                             ;   in Loop: Header=BB110_6 Depth=1
	s_wait_alu 0xfffe
	s_or_b32 exec_lo, exec_lo, s7
.LBB110_44:                             ;   in Loop: Header=BB110_6 Depth=1
	ds_store_2addr_b64 v56, v[13:14], v[11:12] offset1:32
	ds_store_2addr_b64 v56, v[9:10], v[7:8] offset0:64 offset1:96
	s_wait_storecnt 0x0
	s_wait_loadcnt_dscnt 0x0
	s_barrier_signal -1
	s_barrier_wait -1
	global_inv scope:SCOPE_SE
	s_and_saveexec_b32 s7, s0
	s_cbranch_execz .LBB110_4
; %bb.45:                               ;   in Loop: Header=BB110_6 Depth=1
	ds_load_2addr_stride64_b64 v[7:10], v57 offset1:2
	ds_load_2addr_stride64_b64 v[11:14], v57 offset0:4 offset1:6
	ds_load_2addr_stride64_b64 v[15:18], v57 offset0:8 offset1:10
	s_wait_dscnt 0x2
	v_dual_add_f32 v19, v7, v9 :: v_dual_add_f32 v20, v8, v10
	ds_load_2addr_stride64_b64 v[7:10], v57 offset0:12 offset1:14
	s_wait_dscnt 0x2
	v_dual_add_f32 v11, v19, v11 :: v_dual_add_f32 v12, v20, v12
	s_delay_alu instid0(VALU_DEP_1) | instskip(SKIP_3) | instid1(VALU_DEP_1)
	v_dual_add_f32 v19, v11, v13 :: v_dual_add_f32 v20, v12, v14
	ds_load_2addr_stride64_b64 v[11:14], v57 offset0:16 offset1:18
	s_wait_dscnt 0x2
	v_dual_add_f32 v15, v19, v15 :: v_dual_add_f32 v16, v20, v16
	v_dual_add_f32 v19, v15, v17 :: v_dual_add_f32 v20, v16, v18
	ds_load_2addr_stride64_b64 v[15:18], v57 offset0:20 offset1:22
	s_wait_dscnt 0x2
	v_dual_add_f32 v7, v19, v7 :: v_dual_add_f32 v8, v20, v8
	s_delay_alu instid0(VALU_DEP_1) | instskip(SKIP_3) | instid1(VALU_DEP_1)
	v_dual_add_f32 v19, v7, v9 :: v_dual_add_f32 v20, v8, v10
	ds_load_2addr_stride64_b64 v[7:10], v57 offset0:24 offset1:26
	s_wait_dscnt 0x2
	v_dual_add_f32 v11, v19, v11 :: v_dual_add_f32 v12, v20, v12
	v_dual_add_f32 v19, v11, v13 :: v_dual_add_f32 v20, v12, v14
	ds_load_2addr_stride64_b64 v[11:14], v57 offset0:28 offset1:30
	s_wait_dscnt 0x2
	v_dual_add_f32 v15, v19, v15 :: v_dual_add_f32 v16, v20, v16
	s_delay_alu instid0(VALU_DEP_1) | instskip(SKIP_1) | instid1(VALU_DEP_1)
	v_dual_add_f32 v15, v15, v17 :: v_dual_add_f32 v16, v16, v18
	s_wait_dscnt 0x1
	v_dual_add_f32 v7, v15, v7 :: v_dual_add_f32 v8, v16, v8
	s_delay_alu instid0(VALU_DEP_1) | instskip(SKIP_1) | instid1(VALU_DEP_1)
	v_dual_add_f32 v7, v7, v9 :: v_dual_add_f32 v8, v8, v10
	s_wait_dscnt 0x0
	v_dual_add_f32 v7, v7, v11 :: v_dual_add_f32 v8, v8, v12
	s_delay_alu instid0(VALU_DEP_1)
	v_dual_add_f32 v9, v7, v13 :: v_dual_add_f32 v10, v8, v14
	ds_store_b64 v57, v[9:10]
	s_and_b32 exec_lo, exec_lo, s2
	s_cbranch_execz .LBB110_4
; %bb.46:                               ;   in Loop: Header=BB110_6 Depth=1
	v_mul_f32_e32 v8, s10, v10
	v_mul_f32_e32 v7, s11, v10
	s_and_not1_b32 vcc_lo, exec_lo, s40
	s_delay_alu instid0(VALU_DEP_2) | instskip(NEXT) | instid1(VALU_DEP_2)
	v_fmac_f32_e32 v8, s11, v9
	v_fma_f32 v7, v9, s10, -v7
	s_wait_alu 0xfffe
	s_cbranch_vccnz .LBB110_3
; %bb.47:                               ;   in Loop: Header=BB110_6 Depth=1
	v_add_co_u32 v9, vcc_lo, s30, v5
	s_wait_alu 0xfffd
	v_add_co_ci_u32_e64 v10, null, s31, v6, vcc_lo
	global_load_b64 v[9:10], v[9:10], off
	s_wait_loadcnt 0x0
	v_mul_f32_e32 v11, s15, v10
	v_mul_f32_e32 v10, s14, v10
	s_delay_alu instid0(VALU_DEP_1) | instskip(NEXT) | instid1(VALU_DEP_3)
	v_fmac_f32_e32 v10, s15, v9
	v_fma_f32 v11, s14, v9, -v11
	s_delay_alu instid0(VALU_DEP_1)
	v_dual_add_f32 v8, v8, v10 :: v_dual_add_f32 v7, v7, v11
	s_branch .LBB110_3
.LBB110_48:
	s_endpgm
	.section	.rodata,"a",@progbits
	.p2align	6, 0x0
	.amdhsa_kernel _ZL20rocblas_gemvn_kernelILi32ELi16Ei19rocblas_complex_numIfES1_S1_EviiT3_lPKT2_lT1_lS5_lS6_lS2_lPT4_lS6_li
		.amdhsa_group_segment_fixed_size 16384
		.amdhsa_private_segment_fixed_size 0
		.amdhsa_kernarg_size 400
		.amdhsa_user_sgpr_count 2
		.amdhsa_user_sgpr_dispatch_ptr 0
		.amdhsa_user_sgpr_queue_ptr 0
		.amdhsa_user_sgpr_kernarg_segment_ptr 1
		.amdhsa_user_sgpr_dispatch_id 0
		.amdhsa_user_sgpr_private_segment_size 0
		.amdhsa_wavefront_size32 1
		.amdhsa_uses_dynamic_stack 0
		.amdhsa_enable_private_segment 0
		.amdhsa_system_sgpr_workgroup_id_x 1
		.amdhsa_system_sgpr_workgroup_id_y 0
		.amdhsa_system_sgpr_workgroup_id_z 1
		.amdhsa_system_sgpr_workgroup_info 0
		.amdhsa_system_vgpr_workitem_id 1
		.amdhsa_next_free_vgpr 72
		.amdhsa_next_free_sgpr 52
		.amdhsa_reserve_vcc 1
		.amdhsa_float_round_mode_32 0
		.amdhsa_float_round_mode_16_64 0
		.amdhsa_float_denorm_mode_32 3
		.amdhsa_float_denorm_mode_16_64 3
		.amdhsa_fp16_overflow 0
		.amdhsa_workgroup_processor_mode 1
		.amdhsa_memory_ordered 1
		.amdhsa_forward_progress 1
		.amdhsa_inst_pref_size 33
		.amdhsa_round_robin_scheduling 0
		.amdhsa_exception_fp_ieee_invalid_op 0
		.amdhsa_exception_fp_denorm_src 0
		.amdhsa_exception_fp_ieee_div_zero 0
		.amdhsa_exception_fp_ieee_overflow 0
		.amdhsa_exception_fp_ieee_underflow 0
		.amdhsa_exception_fp_ieee_inexact 0
		.amdhsa_exception_int_div_zero 0
	.end_amdhsa_kernel
	.section	.text._ZL20rocblas_gemvn_kernelILi32ELi16Ei19rocblas_complex_numIfES1_S1_EviiT3_lPKT2_lT1_lS5_lS6_lS2_lPT4_lS6_li,"axG",@progbits,_ZL20rocblas_gemvn_kernelILi32ELi16Ei19rocblas_complex_numIfES1_S1_EviiT3_lPKT2_lT1_lS5_lS6_lS2_lPT4_lS6_li,comdat
.Lfunc_end110:
	.size	_ZL20rocblas_gemvn_kernelILi32ELi16Ei19rocblas_complex_numIfES1_S1_EviiT3_lPKT2_lT1_lS5_lS6_lS2_lPT4_lS6_li, .Lfunc_end110-_ZL20rocblas_gemvn_kernelILi32ELi16Ei19rocblas_complex_numIfES1_S1_EviiT3_lPKT2_lT1_lS5_lS6_lS2_lPT4_lS6_li
                                        ; -- End function
	.set _ZL20rocblas_gemvn_kernelILi32ELi16Ei19rocblas_complex_numIfES1_S1_EviiT3_lPKT2_lT1_lS5_lS6_lS2_lPT4_lS6_li.num_vgpr, 72
	.set _ZL20rocblas_gemvn_kernelILi32ELi16Ei19rocblas_complex_numIfES1_S1_EviiT3_lPKT2_lT1_lS5_lS6_lS2_lPT4_lS6_li.num_agpr, 0
	.set _ZL20rocblas_gemvn_kernelILi32ELi16Ei19rocblas_complex_numIfES1_S1_EviiT3_lPKT2_lT1_lS5_lS6_lS2_lPT4_lS6_li.numbered_sgpr, 52
	.set _ZL20rocblas_gemvn_kernelILi32ELi16Ei19rocblas_complex_numIfES1_S1_EviiT3_lPKT2_lT1_lS5_lS6_lS2_lPT4_lS6_li.num_named_barrier, 0
	.set _ZL20rocblas_gemvn_kernelILi32ELi16Ei19rocblas_complex_numIfES1_S1_EviiT3_lPKT2_lT1_lS5_lS6_lS2_lPT4_lS6_li.private_seg_size, 0
	.set _ZL20rocblas_gemvn_kernelILi32ELi16Ei19rocblas_complex_numIfES1_S1_EviiT3_lPKT2_lT1_lS5_lS6_lS2_lPT4_lS6_li.uses_vcc, 1
	.set _ZL20rocblas_gemvn_kernelILi32ELi16Ei19rocblas_complex_numIfES1_S1_EviiT3_lPKT2_lT1_lS5_lS6_lS2_lPT4_lS6_li.uses_flat_scratch, 0
	.set _ZL20rocblas_gemvn_kernelILi32ELi16Ei19rocblas_complex_numIfES1_S1_EviiT3_lPKT2_lT1_lS5_lS6_lS2_lPT4_lS6_li.has_dyn_sized_stack, 0
	.set _ZL20rocblas_gemvn_kernelILi32ELi16Ei19rocblas_complex_numIfES1_S1_EviiT3_lPKT2_lT1_lS5_lS6_lS2_lPT4_lS6_li.has_recursion, 0
	.set _ZL20rocblas_gemvn_kernelILi32ELi16Ei19rocblas_complex_numIfES1_S1_EviiT3_lPKT2_lT1_lS5_lS6_lS2_lPT4_lS6_li.has_indirect_call, 0
	.section	.AMDGPU.csdata,"",@progbits
; Kernel info:
; codeLenInByte = 4144
; TotalNumSgprs: 54
; NumVgprs: 72
; ScratchSize: 0
; MemoryBound: 0
; FloatMode: 240
; IeeeMode: 1
; LDSByteSize: 16384 bytes/workgroup (compile time only)
; SGPRBlocks: 0
; VGPRBlocks: 8
; NumSGPRsForWavesPerEU: 54
; NumVGPRsForWavesPerEU: 72
; Occupancy: 16
; WaveLimiterHint : 0
; COMPUTE_PGM_RSRC2:SCRATCH_EN: 0
; COMPUTE_PGM_RSRC2:USER_SGPR: 2
; COMPUTE_PGM_RSRC2:TRAP_HANDLER: 0
; COMPUTE_PGM_RSRC2:TGID_X_EN: 1
; COMPUTE_PGM_RSRC2:TGID_Y_EN: 0
; COMPUTE_PGM_RSRC2:TGID_Z_EN: 1
; COMPUTE_PGM_RSRC2:TIDIG_COMP_CNT: 1
	.section	.text._ZL20rocblas_gemvn_kernelILi32ELi16El19rocblas_complex_numIfES1_S1_EviiT3_lPKT2_lT1_lS5_lS6_lS2_lPT4_lS6_li,"axG",@progbits,_ZL20rocblas_gemvn_kernelILi32ELi16El19rocblas_complex_numIfES1_S1_EviiT3_lPKT2_lT1_lS5_lS6_lS2_lPT4_lS6_li,comdat
	.globl	_ZL20rocblas_gemvn_kernelILi32ELi16El19rocblas_complex_numIfES1_S1_EviiT3_lPKT2_lT1_lS5_lS6_lS2_lPT4_lS6_li ; -- Begin function _ZL20rocblas_gemvn_kernelILi32ELi16El19rocblas_complex_numIfES1_S1_EviiT3_lPKT2_lT1_lS5_lS6_lS2_lPT4_lS6_li
	.p2align	8
	.type	_ZL20rocblas_gemvn_kernelILi32ELi16El19rocblas_complex_numIfES1_S1_EviiT3_lPKT2_lT1_lS5_lS6_lS2_lPT4_lS6_li,@function
_ZL20rocblas_gemvn_kernelILi32ELi16El19rocblas_complex_numIfES1_S1_EviiT3_lPKT2_lT1_lS5_lS6_lS2_lPT4_lS6_li: ; @_ZL20rocblas_gemvn_kernelILi32ELi16El19rocblas_complex_numIfES1_S1_EviiT3_lPKT2_lT1_lS5_lS6_lS2_lPT4_lS6_li
; %bb.0:
	s_load_b64 s[2:3], s[0:1], 0x9c
	s_wait_kmcnt 0x0
	s_lshr_b32 s4, s2, 16
	s_and_b32 s2, s2, 0xffff
	s_and_b32 s3, s3, 0xffff
	s_mul_i32 s2, s4, s2
	s_delay_alu instid0(SALU_CYCLE_1) | instskip(NEXT) | instid1(SALU_CYCLE_1)
	s_mul_i32 s2, s2, s3
	s_cmp_lg_u32 s2, 0x200
	s_cbranch_scc1 .LBB111_48
; %bb.1:
	s_load_b32 s33, s[0:1], 0x88
	s_lshr_b32 s34, ttmp7, 16
	s_wait_kmcnt 0x0
	s_cmp_ge_u32 s34, s33
	s_cbranch_scc1 .LBB111_48
; %bb.2:
	s_clause 0x3
	s_load_b512 s[8:23], s[0:1], 0x18
	s_load_b256 s[24:31], s[0:1], 0x68
	s_load_b128 s[36:39], s[0:1], 0x0
	s_load_b64 s[40:41], s[0:1], 0x58
	v_bfe_u32 v19, v0, 10, 10
	s_mov_b32 s35, 0
	v_mov_b32_e32 v1, 0
	s_wait_kmcnt 0x0
	s_lshl_b64 s[2:3], s[10:11], 3
	s_lshl_b64 s[4:5], s[18:19], 3
	;; [unrolled: 1-line block ×3, first 2 shown]
	s_cmp_neq_f32 s38, 0
	v_mad_co_u64_u32 v[2:3], null, s20, v19, 0
	v_and_b32_e32 v5, 0x3ff, v0
	s_cselect_b32 s1, -1, 0
	s_cmp_neq_f32 s39, 0
	s_add_nc_u64 s[18:19], s[24:25], s[6:7]
	s_mov_b32 s26, s36
	v_lshlrev_b32_e32 v0, 3, v5
	s_cselect_b32 s10, -1, 0
	s_add_nc_u64 s[16:17], s[16:17], s[4:5]
	s_or_b32 s42, s1, s10
	s_cmp_neq_f32 s40, 1.0
	s_add_nc_u64 s[10:11], s[8:9], s[2:3]
	v_lshl_add_u32 v59, v19, 10, v0
	v_lshl_add_u32 v60, v19, 8, v0
	s_cselect_b32 s43, -1, 0
	s_cmp_neq_f32 s41, 0
	v_mov_b32_e32 v0, v3
	v_lshl_add_u32 v6, v19, 5, v5
	s_cselect_b32 s8, -1, 0
	s_or_b32 s1, s38, s39
	s_delay_alu instid0(VALU_DEP_2)
	v_mad_co_u64_u32 v[3:4], null, s21, v19, v[0:1]
	s_bitset0_b32 s1, 31
	v_cmp_gt_u32_e64 s0, 0x80, v6
	s_cmp_eq_u32 s1, 0
	s_cselect_b32 s48, -1, 0
	s_lshl_b32 s7, ttmp9, 7
	s_ashr_i32 s27, s36, 31
	v_add_nc_u32_e32 v0, s7, v6
	v_or_b32_e32 v8, s7, v6
	s_cmp_neq_f32 s40, 0
	s_delay_alu instid0(VALU_DEP_2)
	v_mad_co_u64_u32 v[6:7], null, s28, v0, 0
	v_lshlrev_b32_e32 v58, 2, v19
	v_cmp_gt_i64_e32 vcc_lo, s[26:27], v[0:1]
	s_cselect_b32 s1, -1, 0
	s_ashr_i32 s2, s37, 31
	v_mul_lo_u32 v13, s29, v8
	s_lshr_b32 s3, s2, 26
	s_delay_alu instid0(VALU_DEP_4)
	v_mov_b32_e32 v1, v7
	v_or_b32_e32 v20, 2, v58
	s_add_co_i32 s50, s37, s3
	v_cmp_gt_i32_e64 s2, s36, v8
	s_and_not1_b32 s50, s50, 63
	v_mad_co_u64_u32 v[0:1], null, s29, v0, v[1:2]
	v_add_nc_u32_e32 v4, s7, v5
	v_mad_co_u64_u32 v[14:15], null, s12, v20, 0
	v_mad_co_u64_u32 v[8:9], null, s28, v8, 0
	s_sub_co_i32 s6, s37, s50
	v_dual_mov_b32 v7, v0 :: v_dual_add_nc_u32 v10, 32, v4
	v_add_nc_u32_e32 v11, 64, v4
	v_add_nc_u32_e32 v12, 0x60, v4
	s_or_b32 s49, s1, s8
	s_wait_alu 0xfffe
	s_cmp_gt_i32 s6, 0
	v_or_b32_e32 v16, 3, v58
	v_cmp_gt_i32_e64 s1, s36, v4
	v_cmp_gt_i32_e64 s3, s36, v10
	v_cmp_gt_i32_e64 s4, s36, v11
	v_cmp_gt_i32_e64 s5, s36, v12
	s_cselect_b32 s36, -1, 0
	s_ashr_i32 s7, s7, 31
	v_mad_co_u64_u32 v[10:11], null, s12, v16, 0
	s_wait_alu 0xfffe
	s_mul_i32 s7, s28, s7
	v_lshlrev_b64_e32 v[0:1], 5, v[2:3]
	s_wait_alu 0xfffe
	v_add3_u32 v9, v9, s7, v13
	v_mad_co_u64_u32 v[12:13], null, s12, v19, 0
	v_ashrrev_i32_e32 v5, 31, v4
	v_mov_b32_e32 v2, v11
	s_and_b32 s51, s0, vcc_lo
	v_add_co_u32 v0, vcc_lo, s16, v0
	s_delay_alu instid0(VALU_DEP_1)
	v_add_co_ci_u32_e64 v1, null, s17, v1, vcc_lo
	v_mov_b32_e32 v3, v13
	v_cmp_gt_i32_e64 s6, s50, v58
	s_or_b32 s7, s42, s43
	s_lshl_b64 s[24:25], s[22:23], 3
	s_lshl_b64 s[26:27], s[20:21], 9
	v_mad_co_u64_u32 v[16:17], null, s13, v16, v[2:3]
	v_mad_co_u64_u32 v[17:18], null, s12, v58, s[12:13]
	v_mad_co_u64_u32 v[2:3], null, s13, v19, v[3:4]
	v_mov_b32_e32 v3, v15
	s_wait_alu 0xfffe
	s_or_b32 s52, s7, s8
	s_delay_alu instid0(VALU_DEP_4)
	v_mov_b32_e32 v11, v16
	s_lshl_b64 s[28:29], s[14:15], 3
	s_lshl_b64 s[42:43], s[12:13], 9
	v_mad_co_u64_u32 v[15:16], null, s13, v20, v[3:4]
	v_dual_mov_b32 v16, v18 :: v_dual_mov_b32 v13, v2
	v_lshlrev_b64_e32 v[2:3], 3, v[4:5]
	v_lshlrev_b64_e32 v[4:5], 3, v[10:11]
	s_lshl_b64 s[44:45], s[20:21], 3
	s_delay_alu instid0(VALU_DEP_3) | instskip(NEXT) | instid1(VALU_DEP_2)
	v_mad_co_u64_u32 v[10:11], null, s13, v58, v[16:17]
	v_add_co_u32 v61, vcc_lo, s10, v4
	s_wait_alu 0xfffd
	s_delay_alu instid0(VALU_DEP_3) | instskip(NEXT) | instid1(VALU_DEP_3)
	v_add_co_ci_u32_e64 v62, null, s11, v5, vcc_lo
	v_mov_b32_e32 v18, v10
	v_lshlrev_b64_e32 v[11:12], 5, v[12:13]
	v_lshlrev_b64_e32 v[4:5], 3, v[14:15]
	s_delay_alu instid0(VALU_DEP_2) | instskip(NEXT) | instid1(VALU_DEP_4)
	v_add_co_u32 v63, vcc_lo, s10, v11
	v_lshlrev_b64_e32 v[10:11], 3, v[17:18]
	s_wait_alu 0xfffd
	s_delay_alu instid0(VALU_DEP_4) | instskip(NEXT) | instid1(VALU_DEP_4)
	v_add_co_ci_u32_e64 v64, null, s11, v12, vcc_lo
	v_add_co_u32 v65, vcc_lo, s10, v4
	s_wait_alu 0xfffd
	v_add_co_ci_u32_e64 v66, null, s11, v5, vcc_lo
	v_add_co_u32 v67, vcc_lo, s10, v10
	v_lshlrev_b64_e32 v[4:5], 3, v[6:7]
	v_lshlrev_b64_e32 v[6:7], 3, v[8:9]
	s_wait_alu 0xfffd
	v_add_co_ci_u32_e64 v68, null, s11, v11, vcc_lo
	s_branch .LBB111_6
.LBB111_3:                              ;   in Loop: Header=BB111_6 Depth=1
	v_add_co_u32 v10, vcc_lo, s46, v6
	s_wait_alu 0xfffd
	v_add_co_ci_u32_e64 v11, null, s47, v7, vcc_lo
	global_store_b64 v[10:11], v[8:9], off
.LBB111_4:                              ;   in Loop: Header=BB111_6 Depth=1
	s_wait_alu 0xfffe
	s_or_b32 exec_lo, exec_lo, s7
.LBB111_5:                              ;   in Loop: Header=BB111_6 Depth=1
	s_add_co_i32 s34, s34, 0x10000
	s_wait_alu 0xfffe
	s_cmp_lt_u32 s34, s33
	s_cbranch_scc0 .LBB111_48
.LBB111_6:                              ; =>This Loop Header: Depth=1
                                        ;     Child Loop BB111_20 Depth 2
	s_and_not1_b32 vcc_lo, exec_lo, s52
	s_wait_alu 0xfffe
	s_cbranch_vccnz .LBB111_5
; %bb.7:                                ;   in Loop: Header=BB111_6 Depth=1
	s_mul_u64 s[8:9], s[30:31], s[34:35]
	s_and_not1_b32 vcc_lo, exec_lo, s48
	s_wait_alu 0xfffe
	s_lshl_b64 s[8:9], s[8:9], 3
	s_mov_b32 s7, -1
	s_wait_alu 0xfffe
	s_add_nc_u64 s[46:47], s[18:19], s[8:9]
	s_cbranch_vccnz .LBB111_13
; %bb.8:                                ;   in Loop: Header=BB111_6 Depth=1
	s_and_saveexec_b32 s7, s51
	s_cbranch_execz .LBB111_12
; %bb.9:                                ;   in Loop: Header=BB111_6 Depth=1
	v_dual_mov_b32 v8, 0 :: v_dual_mov_b32 v9, 0
	s_and_not1_b32 vcc_lo, exec_lo, s49
	s_wait_alu 0xfffe
	s_cbranch_vccnz .LBB111_11
; %bb.10:                               ;   in Loop: Header=BB111_6 Depth=1
	v_add_co_u32 v8, vcc_lo, s46, v4
	s_wait_alu 0xfffd
	v_add_co_ci_u32_e64 v9, null, s47, v5, vcc_lo
	global_load_b64 v[10:11], v[8:9], off
	s_wait_loadcnt 0x0
	v_mul_f32_e32 v9, s40, v11
	s_delay_alu instid0(VALU_DEP_1) | instskip(NEXT) | instid1(VALU_DEP_1)
	v_dual_mul_f32 v8, s41, v11 :: v_dual_fmac_f32 v9, s41, v10
	v_fma_f32 v8, s40, v10, -v8
.LBB111_11:                             ;   in Loop: Header=BB111_6 Depth=1
	v_add_co_u32 v10, vcc_lo, s46, v4
	s_wait_alu 0xfffd
	v_add_co_ci_u32_e64 v11, null, s47, v5, vcc_lo
	global_store_b64 v[10:11], v[8:9], off
.LBB111_12:                             ;   in Loop: Header=BB111_6 Depth=1
	s_wait_alu 0xfffe
	s_or_b32 exec_lo, exec_lo, s7
	s_mov_b32 s7, 0
.LBB111_13:                             ;   in Loop: Header=BB111_6 Depth=1
	s_wait_alu 0xfffe
	s_and_not1_b32 vcc_lo, exec_lo, s7
	s_wait_alu 0xfffe
	s_cbranch_vccnz .LBB111_5
; %bb.14:                               ;   in Loop: Header=BB111_6 Depth=1
	v_dual_mov_b32 v9, 0 :: v_dual_mov_b32 v8, 0
	v_dual_mov_b32 v69, v58 :: v_dual_mov_b32 v10, 0
	;; [unrolled: 1-line block ×4, first 2 shown]
	v_mov_b32_e32 v15, 0
	s_and_saveexec_b32 s8, s6
	s_cbranch_execz .LBB111_26
; %bb.15:                               ;   in Loop: Header=BB111_6 Depth=1
	v_mad_co_u64_u32 v[16:17], null, s24, s34, v[0:1]
	v_mov_b32_e32 v9, 0
	s_mul_u64 s[54:55], s[28:29], s[34:35]
	s_mov_b32 s9, 0
	s_wait_alu 0xfffe
	v_add_co_u32 v70, vcc_lo, v61, s54
	s_wait_alu 0xfffd
	v_add_co_ci_u32_e64 v71, null, s55, v62, vcc_lo
	v_mov_b32_e32 v8, v17
	v_add_co_u32 v72, vcc_lo, v63, s54
	s_wait_alu 0xfffd
	v_add_co_ci_u32_e64 v73, null, s55, v64, vcc_lo
	s_delay_alu instid0(VALU_DEP_3) | instskip(SKIP_4) | instid1(VALU_DEP_4)
	v_mad_co_u64_u32 v[10:11], null, s25, s34, v[8:9]
	v_add_co_u32 v74, vcc_lo, v65, s54
	s_wait_alu 0xfffd
	v_add_co_ci_u32_e64 v75, null, s55, v66, vcc_lo
	v_add_co_u32 v76, vcc_lo, v67, s54
	v_dual_mov_b32 v17, v10 :: v_dual_mov_b32 v8, v9
	s_wait_alu 0xfffd
	v_add_co_ci_u32_e64 v77, null, s55, v68, vcc_lo
	v_dual_mov_b32 v69, v58 :: v_dual_mov_b32 v10, v9
	v_dual_mov_b32 v11, v9 :: v_dual_mov_b32 v12, v9
	;; [unrolled: 1-line block ×3, first 2 shown]
	v_mov_b32_e32 v15, v9
	s_branch .LBB111_20
.LBB111_16:                             ;   in Loop: Header=BB111_20 Depth=2
	s_wait_alu 0xfffe
	s_or_b32 exec_lo, exec_lo, s55
	s_wait_loadcnt 0x3
	v_mul_f32_e32 v50, v31, v49
	s_wait_loadcnt 0x1
	v_dual_mul_f32 v51, v27, v47 :: v_dual_mul_f32 v52, v21, v45
	v_mul_f32_e32 v47, v26, v47
	v_mul_f32_e32 v49, v30, v49
	v_fma_f32 v50, v30, v48, -v50
	v_mul_f32_e32 v45, v20, v45
	v_fma_f32 v51, v26, v46, -v51
	v_fmac_f32_e32 v47, v27, v46
	v_fma_f32 v46, v20, v44, -v52
	s_delay_alu instid0(VALU_DEP_4) | instskip(NEXT) | instid1(VALU_DEP_1)
	v_dual_add_f32 v10, v10, v50 :: v_dual_fmac_f32 v45, v21, v44
	v_add_f32_e32 v10, v51, v10
	v_fmac_f32_e32 v49, v31, v48
	s_wait_loadcnt 0x0
	v_mul_f32_e32 v48, v19, v43
	v_mul_f32_e32 v43, v18, v43
	v_add_f32_e32 v10, v46, v10
	s_delay_alu instid0(VALU_DEP_3) | instskip(SKIP_1) | instid1(VALU_DEP_4)
	v_fma_f32 v44, v18, v42, -v48
	v_add_f32_e32 v11, v11, v49
	v_fmac_f32_e32 v43, v19, v42
	s_delay_alu instid0(VALU_DEP_2) | instskip(NEXT) | instid1(VALU_DEP_1)
	v_dual_add_f32 v10, v44, v10 :: v_dual_add_f32 v11, v47, v11
	v_add_f32_e32 v11, v45, v11
	s_delay_alu instid0(VALU_DEP_1)
	v_add_f32_e32 v11, v43, v11
.LBB111_17:                             ;   in Loop: Header=BB111_20 Depth=2
	s_wait_alu 0xfffe
	s_or_b32 exec_lo, exec_lo, s54
	s_wait_loadcnt 0x3
	v_mul_f32_e32 v42, v31, v41
	v_mul_f32_e32 v41, v30, v41
	s_wait_loadcnt 0x1
	v_dual_mul_f32 v43, v27, v39 :: v_dual_mul_f32 v44, v21, v37
	v_mul_f32_e32 v39, v26, v39
	v_fma_f32 v42, v30, v40, -v42
	v_fmac_f32_e32 v41, v31, v40
	s_delay_alu instid0(VALU_DEP_4) | instskip(SKIP_4) | instid1(VALU_DEP_2)
	v_fma_f32 v43, v26, v38, -v43
	s_wait_loadcnt 0x0
	v_mul_f32_e32 v40, v19, v35
	v_dual_mul_f32 v35, v18, v35 :: v_dual_add_f32 v12, v12, v42
	v_mul_f32_e32 v37, v20, v37
	v_fmac_f32_e32 v35, v19, v34
	s_delay_alu instid0(VALU_DEP_3) | instskip(SKIP_4) | instid1(VALU_DEP_3)
	v_add_f32_e32 v12, v43, v12
	v_fmac_f32_e32 v39, v27, v38
	v_fma_f32 v38, v20, v36, -v44
	v_fmac_f32_e32 v37, v21, v36
	v_fma_f32 v36, v18, v34, -v40
	v_dual_add_f32 v12, v38, v12 :: v_dual_add_f32 v13, v13, v41
	s_delay_alu instid0(VALU_DEP_1) | instskip(NEXT) | instid1(VALU_DEP_1)
	v_dual_add_f32 v12, v36, v12 :: v_dual_add_f32 v13, v39, v13
	v_add_f32_e32 v13, v37, v13
	s_delay_alu instid0(VALU_DEP_1)
	v_add_f32_e32 v13, v35, v13
.LBB111_18:                             ;   in Loop: Header=BB111_20 Depth=2
	s_or_b32 exec_lo, exec_lo, s53
	s_wait_loadcnt 0x1
	v_mul_f32_e32 v36, v21, v25
	v_mul_f32_e32 v34, v31, v33
	;; [unrolled: 1-line block ×3, first 2 shown]
	s_delay_alu instid0(VALU_DEP_3) | instskip(SKIP_1) | instid1(VALU_DEP_1)
	v_fma_f32 v20, v20, v24, -v36
	v_mul_f32_e32 v33, v30, v33
	v_fmac_f32_e32 v33, v31, v32
	s_wait_loadcnt 0x0
	v_mul_f32_e32 v31, v19, v23
	v_mul_f32_e32 v23, v18, v23
	v_fma_f32 v30, v30, v32, -v34
	v_mul_f32_e32 v35, v27, v29
	v_mul_f32_e32 v29, v26, v29
	v_add_f32_e32 v15, v15, v33
	v_fma_f32 v18, v18, v22, -v31
	v_add_f32_e32 v14, v14, v30
	v_fma_f32 v26, v26, v28, -v35
	v_fmac_f32_e32 v29, v27, v28
	v_fmac_f32_e32 v23, v19, v22
	s_delay_alu instid0(VALU_DEP_3) | instskip(NEXT) | instid1(VALU_DEP_1)
	v_dual_add_f32 v14, v26, v14 :: v_dual_fmac_f32 v25, v21, v24
	v_dual_add_f32 v15, v29, v15 :: v_dual_add_f32 v14, v20, v14
	s_delay_alu instid0(VALU_DEP_1) | instskip(NEXT) | instid1(VALU_DEP_1)
	v_dual_add_f32 v15, v25, v15 :: v_dual_add_f32 v14, v18, v14
	v_add_f32_e32 v15, v23, v15
.LBB111_19:                             ;   in Loop: Header=BB111_20 Depth=2
	s_wait_alu 0xfffe
	s_or_b32 exec_lo, exec_lo, s7
	v_add_co_u32 v16, vcc_lo, v16, s26
	s_wait_alu 0xfffd
	v_add_co_ci_u32_e64 v17, null, s27, v17, vcc_lo
	v_add_co_u32 v70, vcc_lo, v70, s42
	v_add_nc_u32_e32 v69, 64, v69
	s_wait_alu 0xfffd
	v_add_co_ci_u32_e64 v71, null, s43, v71, vcc_lo
	v_add_co_u32 v72, vcc_lo, v72, s42
	s_wait_alu 0xfffd
	v_add_co_ci_u32_e64 v73, null, s43, v73, vcc_lo
	v_add_co_u32 v74, vcc_lo, v74, s42
	s_wait_alu 0xfffd
	v_add_co_ci_u32_e64 v75, null, s43, v75, vcc_lo
	v_cmp_le_i32_e32 vcc_lo, s50, v69
	v_add_co_u32 v76, s7, v76, s42
	s_wait_alu 0xf1ff
	v_add_co_ci_u32_e64 v77, null, s43, v77, s7
	s_or_b32 s9, vcc_lo, s9
	s_wait_alu 0xfffe
	s_and_not1_b32 exec_lo, exec_lo, s9
	s_cbranch_execz .LBB111_25
.LBB111_20:                             ;   Parent Loop BB111_6 Depth=1
                                        ; =>  This Inner Loop Header: Depth=2
	s_and_saveexec_b32 s7, s1
	s_cbranch_execz .LBB111_19
; %bb.21:                               ;   in Loop: Header=BB111_20 Depth=2
	v_add_co_u32 v18, vcc_lo, v16, s44
	s_wait_alu 0xfffd
	v_add_co_ci_u32_e64 v19, null, s45, v17, vcc_lo
	s_delay_alu instid0(VALU_DEP_2) | instskip(SKIP_1) | instid1(VALU_DEP_2)
	v_add_co_u32 v20, vcc_lo, v18, s44
	s_wait_alu 0xfffd
	v_add_co_ci_u32_e64 v21, null, s45, v19, vcc_lo
	s_delay_alu instid0(VALU_DEP_2) | instskip(SKIP_1) | instid1(VALU_DEP_2)
	v_add_co_u32 v22, vcc_lo, v20, s44
	s_wait_alu 0xfffd
	v_add_co_ci_u32_e64 v23, null, s45, v21, vcc_lo
	v_add_co_u32 v56, vcc_lo, v72, v2
	s_wait_alu 0xfffd
	v_add_co_ci_u32_e64 v57, null, v73, v3, vcc_lo
	;; [unrolled: 3-line block ×5, first 2 shown]
	s_clause 0x3
	global_load_b64 v[30:31], v[16:17], off
	global_load_b64 v[26:27], v[18:19], off
	;; [unrolled: 1-line block ×8, first 2 shown]
	s_and_saveexec_b32 s53, s3
	s_cbranch_execz .LBB111_18
; %bb.22:                               ;   in Loop: Header=BB111_20 Depth=2
	global_load_b64 v[40:41], v[56:57], off offset:256
	global_load_b64 v[38:39], v[54:55], off offset:256
	global_load_b64 v[36:37], v[52:53], off offset:256
	global_load_b64 v[34:35], v[50:51], off offset:256
	s_and_saveexec_b32 s54, s4
	s_cbranch_execz .LBB111_17
; %bb.23:                               ;   in Loop: Header=BB111_20 Depth=2
	global_load_b64 v[48:49], v[56:57], off offset:512
	global_load_b64 v[46:47], v[54:55], off offset:512
	global_load_b64 v[44:45], v[52:53], off offset:512
	global_load_b64 v[42:43], v[50:51], off offset:512
	;; [unrolled: 7-line block ×3, first 2 shown]
	s_wait_loadcnt 0x3
	v_mul_f32_e32 v78, v31, v57
	v_mul_f32_e32 v57, v30, v57
	s_wait_loadcnt 0x1
	v_dual_mul_f32 v79, v27, v55 :: v_dual_mul_f32 v80, v21, v53
	v_mul_f32_e32 v55, v26, v55
	v_fma_f32 v78, v30, v56, -v78
	v_fmac_f32_e32 v57, v31, v56
	s_delay_alu instid0(VALU_DEP_4) | instskip(SKIP_4) | instid1(VALU_DEP_2)
	v_fma_f32 v79, v26, v54, -v79
	s_wait_loadcnt 0x0
	v_mul_f32_e32 v56, v19, v51
	v_dual_mul_f32 v51, v18, v51 :: v_dual_add_f32 v8, v8, v78
	v_mul_f32_e32 v53, v20, v53
	v_fmac_f32_e32 v51, v19, v50
	s_delay_alu instid0(VALU_DEP_3) | instskip(SKIP_4) | instid1(VALU_DEP_3)
	v_add_f32_e32 v8, v79, v8
	v_fmac_f32_e32 v55, v27, v54
	v_fma_f32 v54, v20, v52, -v80
	v_fmac_f32_e32 v53, v21, v52
	v_fma_f32 v52, v18, v50, -v56
	v_dual_add_f32 v8, v54, v8 :: v_dual_add_f32 v9, v9, v57
	s_delay_alu instid0(VALU_DEP_1) | instskip(NEXT) | instid1(VALU_DEP_1)
	v_dual_add_f32 v8, v52, v8 :: v_dual_add_f32 v9, v55, v9
	v_add_f32_e32 v9, v53, v9
	s_delay_alu instid0(VALU_DEP_1)
	v_add_f32_e32 v9, v51, v9
	s_branch .LBB111_16
.LBB111_25:                             ;   in Loop: Header=BB111_6 Depth=1
	s_or_b32 exec_lo, exec_lo, s9
.LBB111_26:                             ;   in Loop: Header=BB111_6 Depth=1
	s_wait_alu 0xfffe
	s_or_b32 exec_lo, exec_lo, s8
	s_delay_alu instid0(SALU_CYCLE_1)
	s_and_not1_b32 vcc_lo, exec_lo, s36
	s_wait_alu 0xfffe
	s_cbranch_vccnz .LBB111_44
; %bb.27:                               ;   in Loop: Header=BB111_6 Depth=1
	v_cmp_gt_i32_e32 vcc_lo, s37, v69
	v_dual_mov_b32 v16, 0 :: v_dual_mov_b32 v17, 0
	v_or_b32_e32 v24, 1, v69
	v_dual_mov_b32 v18, 0 :: v_dual_mov_b32 v19, 0
	v_dual_mov_b32 v20, 0 :: v_dual_mov_b32 v21, 0
	;; [unrolled: 1-line block ×3, first 2 shown]
	s_and_saveexec_b32 s53, vcc_lo
	s_cbranch_execz .LBB111_35
; %bb.28:                               ;   in Loop: Header=BB111_6 Depth=1
	v_mad_co_u64_u32 v[16:17], null, s20, v69, 0
	s_mul_u64 s[8:9], s[22:23], s[34:35]
	v_dual_mov_b32 v23, 0 :: v_dual_mov_b32 v22, 0
	s_wait_alu 0xfffe
	s_lshl_b64 s[8:9], s[8:9], 3
	v_dual_mov_b32 v21, 0 :: v_dual_mov_b32 v20, 0
	v_mad_co_u64_u32 v[17:18], null, s21, v69, v[17:18]
	s_wait_alu 0xfffe
	s_add_nc_u64 s[8:9], s[16:17], s[8:9]
	v_dual_mov_b32 v19, 0 :: v_dual_mov_b32 v18, 0
	s_mov_b32 s54, exec_lo
	s_delay_alu instid0(VALU_DEP_2) | instskip(SKIP_1) | instid1(VALU_DEP_1)
	v_lshlrev_b64_e32 v[16:17], 3, v[16:17]
	s_wait_alu 0xfffe
	v_add_co_u32 v16, s7, s8, v16
	s_wait_alu 0xf1ff
	s_delay_alu instid0(VALU_DEP_2)
	v_add_co_ci_u32_e64 v17, null, s9, v17, s7
	global_load_b64 v[16:17], v[16:17], off
	v_cmpx_gt_i32_e64 s37, v24
	s_cbranch_execz .LBB111_34
; %bb.29:                               ;   in Loop: Header=BB111_6 Depth=1
	v_mad_co_u64_u32 v[18:19], null, s20, v24, 0
	v_or_b32_e32 v25, 2, v69
	v_dual_mov_b32 v23, 0 :: v_dual_mov_b32 v22, 0
	v_mov_b32_e32 v21, 0
	s_mov_b32 s55, exec_lo
	s_delay_alu instid0(VALU_DEP_4) | instskip(SKIP_1) | instid1(VALU_DEP_2)
	v_mad_co_u64_u32 v[19:20], null, s21, v24, v[19:20]
	v_mov_b32_e32 v20, 0
	v_lshlrev_b64_e32 v[18:19], 3, v[18:19]
	s_delay_alu instid0(VALU_DEP_1) | instskip(SKIP_1) | instid1(VALU_DEP_2)
	v_add_co_u32 v18, s7, s8, v18
	s_wait_alu 0xf1ff
	v_add_co_ci_u32_e64 v19, null, s9, v19, s7
	global_load_b64 v[18:19], v[18:19], off
	v_cmpx_gt_i32_e64 s37, v25
	s_cbranch_execz .LBB111_33
; %bb.30:                               ;   in Loop: Header=BB111_6 Depth=1
	v_mad_co_u64_u32 v[20:21], null, s20, v25, 0
	v_mov_b32_e32 v23, 0
	s_mov_b32 s56, exec_lo
	s_delay_alu instid0(VALU_DEP_2) | instskip(SKIP_2) | instid1(VALU_DEP_3)
	v_mad_co_u64_u32 v[21:22], null, s21, v25, v[21:22]
	v_or_b32_e32 v25, 3, v69
	v_mov_b32_e32 v22, 0
	v_lshlrev_b64_e32 v[20:21], 3, v[20:21]
	s_delay_alu instid0(VALU_DEP_1) | instskip(SKIP_1) | instid1(VALU_DEP_2)
	v_add_co_u32 v20, s7, s8, v20
	s_wait_alu 0xf1ff
	v_add_co_ci_u32_e64 v21, null, s9, v21, s7
	global_load_b64 v[20:21], v[20:21], off
	v_cmpx_gt_i32_e64 s37, v25
	s_cbranch_execz .LBB111_32
; %bb.31:                               ;   in Loop: Header=BB111_6 Depth=1
	v_mad_co_u64_u32 v[22:23], null, s20, v25, 0
	s_delay_alu instid0(VALU_DEP_1) | instskip(NEXT) | instid1(VALU_DEP_1)
	v_mad_co_u64_u32 v[25:26], null, s21, v25, v[23:24]
	v_mov_b32_e32 v23, v25
	s_delay_alu instid0(VALU_DEP_1) | instskip(NEXT) | instid1(VALU_DEP_1)
	v_lshlrev_b64_e32 v[22:23], 3, v[22:23]
	v_add_co_u32 v22, s7, s8, v22
	s_wait_alu 0xf1ff
	s_delay_alu instid0(VALU_DEP_2)
	v_add_co_ci_u32_e64 v23, null, s9, v23, s7
	global_load_b64 v[22:23], v[22:23], off
.LBB111_32:                             ;   in Loop: Header=BB111_6 Depth=1
	s_or_b32 exec_lo, exec_lo, s56
.LBB111_33:                             ;   in Loop: Header=BB111_6 Depth=1
	s_wait_alu 0xfffe
	s_or_b32 exec_lo, exec_lo, s55
.LBB111_34:                             ;   in Loop: Header=BB111_6 Depth=1
	s_wait_alu 0xfffe
	s_or_b32 exec_lo, exec_lo, s54
.LBB111_35:                             ;   in Loop: Header=BB111_6 Depth=1
	s_delay_alu instid0(SALU_CYCLE_1)
	s_or_b32 exec_lo, exec_lo, s53
	s_and_saveexec_b32 s9, s1
	s_cbranch_execz .LBB111_43
; %bb.36:                               ;   in Loop: Header=BB111_6 Depth=1
	v_mad_co_u64_u32 v[25:26], null, s12, v69, 0
	v_mad_co_u64_u32 v[27:28], null, s12, v24, 0
	v_or_b32_e32 v36, 2, v69
	v_or_b32_e32 v37, 3, v69
	s_mul_u64 s[54:55], s[14:15], s[34:35]
	s_wait_alu 0xfffe
	s_lshl_b64 s[54:55], s[54:55], 3
	v_cmp_gt_i32_e64 s7, s37, v36
	s_delay_alu instid0(VALU_DEP_4)
	v_mad_co_u64_u32 v[29:30], null, s13, v69, v[26:27]
	v_mad_co_u64_u32 v[30:31], null, s12, v36, 0
	;; [unrolled: 1-line block ×3, first 2 shown]
	v_cndmask_b32_e32 v25, 0, v25, vcc_lo
	s_wait_alu 0xfffe
	s_add_nc_u64 s[54:55], s[10:11], s[54:55]
	s_delay_alu instid0(VALU_DEP_4) | instskip(SKIP_4) | instid1(VALU_DEP_2)
	v_cndmask_b32_e32 v26, 0, v29, vcc_lo
	v_cmp_gt_i32_e32 vcc_lo, s37, v24
	v_mov_b32_e32 v29, v31
	s_wait_alu 0xfffd
	v_cndmask_b32_e32 v27, 0, v27, vcc_lo
	v_mad_co_u64_u32 v[34:35], null, s13, v24, v[28:29]
	v_mov_b32_e32 v24, v33
	v_lshlrev_b64_e32 v[25:26], 3, v[25:26]
	s_delay_alu instid0(VALU_DEP_3) | instskip(SKIP_1) | instid1(VALU_DEP_2)
	v_cndmask_b32_e32 v28, 0, v34, vcc_lo
	s_wait_alu 0xfffe
	v_add_co_u32 v25, s8, s54, v25
	s_wait_alu 0xf1ff
	s_delay_alu instid0(VALU_DEP_3) | instskip(SKIP_1) | instid1(VALU_DEP_3)
	v_add_co_ci_u32_e64 v26, null, s55, v26, s8
	v_mad_co_u64_u32 v[35:36], null, s13, v36, v[29:30]
	v_add_co_u32 v50, vcc_lo, v25, v2
	s_wait_alu 0xfffd
	s_delay_alu instid0(VALU_DEP_3) | instskip(SKIP_4) | instid1(VALU_DEP_4)
	v_add_co_ci_u32_e64 v51, null, v26, v3, vcc_lo
	v_lshlrev_b64_e32 v[25:26], 3, v[27:28]
	v_cndmask_b32_e64 v27, 0, v30, s7
	v_cndmask_b32_e64 v28, 0, v35, s7
	v_cmp_gt_i32_e32 vcc_lo, s37, v37
	v_mad_co_u64_u32 v[29:30], null, s13, v37, v[24:25]
	v_add_co_u32 v30, s7, s54, v25
	s_wait_alu 0xf1ff
	v_add_co_ci_u32_e64 v31, null, s55, v26, s7
	v_lshlrev_b64_e32 v[24:25], 3, v[27:28]
	s_wait_alu 0xfffd
	s_delay_alu instid0(VALU_DEP_4) | instskip(SKIP_3) | instid1(VALU_DEP_3)
	v_dual_cndmask_b32 v26, 0, v32 :: v_dual_cndmask_b32 v27, 0, v29
	v_add_co_u32 v52, vcc_lo, v30, v2
	s_wait_alu 0xfffd
	v_add_co_ci_u32_e64 v53, null, v31, v3, vcc_lo
	v_lshlrev_b64_e32 v[26:27], 3, v[26:27]
	v_add_co_u32 v24, vcc_lo, s54, v24
	s_wait_alu 0xfffd
	v_add_co_ci_u32_e64 v25, null, s55, v25, vcc_lo
	s_delay_alu instid0(VALU_DEP_3)
	v_add_co_u32 v26, vcc_lo, s54, v26
	s_wait_alu 0xfffd
	v_add_co_ci_u32_e64 v27, null, s55, v27, vcc_lo
	v_add_co_u32 v54, vcc_lo, v24, v2
	s_wait_alu 0xfffd
	v_add_co_ci_u32_e64 v55, null, v25, v3, vcc_lo
	;; [unrolled: 3-line block ×3, first 2 shown]
	s_clause 0x3
	global_load_b64 v[30:31], v[50:51], off
	global_load_b64 v[28:29], v[52:53], off
	;; [unrolled: 1-line block ×4, first 2 shown]
	s_and_saveexec_b32 s7, s3
	s_cbranch_execz .LBB111_42
; %bb.37:                               ;   in Loop: Header=BB111_6 Depth=1
	s_clause 0x3
	global_load_b64 v[38:39], v[50:51], off offset:256
	global_load_b64 v[36:37], v[52:53], off offset:256
	global_load_b64 v[34:35], v[54:55], off offset:256
	global_load_b64 v[32:33], v[48:49], off offset:256
	s_and_saveexec_b32 s8, s4
	s_cbranch_execz .LBB111_41
; %bb.38:                               ;   in Loop: Header=BB111_6 Depth=1
	s_clause 0x3
	global_load_b64 v[46:47], v[50:51], off offset:512
	global_load_b64 v[44:45], v[52:53], off offset:512
	global_load_b64 v[42:43], v[54:55], off offset:512
	global_load_b64 v[40:41], v[48:49], off offset:512
	;; [unrolled: 8-line block ×3, first 2 shown]
	s_wait_loadcnt 0x2
	v_dual_mul_f32 v56, v17, v51 :: v_dual_mul_f32 v57, v19, v53
	v_mul_f32_e32 v51, v16, v51
	s_delay_alu instid0(VALU_DEP_2) | instskip(SKIP_1) | instid1(VALU_DEP_4)
	v_fma_f32 v56, v16, v50, -v56
	v_mul_f32_e32 v53, v18, v53
	v_fma_f32 v57, v18, v52, -v57
	s_wait_loadcnt 0x0
	v_dual_fmac_f32 v51, v17, v50 :: v_dual_mul_f32 v50, v23, v49
	v_dual_add_f32 v8, v8, v56 :: v_dual_mul_f32 v49, v22, v49
	v_fmac_f32_e32 v53, v19, v52
	s_delay_alu instid0(VALU_DEP_3) | instskip(NEXT) | instid1(VALU_DEP_4)
	v_add_f32_e32 v9, v9, v51
	v_fma_f32 v50, v22, v48, -v50
	s_delay_alu instid0(VALU_DEP_4) | instskip(SKIP_3) | instid1(VALU_DEP_3)
	v_add_f32_e32 v8, v57, v8
	v_mul_f32_e32 v69, v21, v55
	v_fmac_f32_e32 v49, v23, v48
	v_add_f32_e32 v9, v53, v9
	v_fma_f32 v51, v20, v54, -v69
	s_delay_alu instid0(VALU_DEP_1) | instskip(NEXT) | instid1(VALU_DEP_1)
	v_dual_add_f32 v8, v51, v8 :: v_dual_mul_f32 v55, v20, v55
	v_dual_add_f32 v8, v50, v8 :: v_dual_fmac_f32 v55, v21, v54
	s_delay_alu instid0(VALU_DEP_1) | instskip(NEXT) | instid1(VALU_DEP_1)
	v_add_f32_e32 v9, v55, v9
	v_add_f32_e32 v9, v49, v9
.LBB111_40:                             ;   in Loop: Header=BB111_6 Depth=1
	s_or_b32 exec_lo, exec_lo, s53
	s_wait_loadcnt 0x2
	v_dual_mul_f32 v48, v17, v47 :: v_dual_mul_f32 v49, v19, v45
	v_mul_f32_e32 v47, v16, v47
	s_wait_loadcnt 0x1
	v_dual_mul_f32 v45, v18, v45 :: v_dual_mul_f32 v50, v21, v43
	s_delay_alu instid0(VALU_DEP_3)
	v_fma_f32 v48, v16, v46, -v48
	v_mul_f32_e32 v43, v20, v43
	v_fmac_f32_e32 v47, v17, v46
	v_fma_f32 v49, v18, v44, -v49
	s_wait_loadcnt 0x0
	v_mul_f32_e32 v46, v23, v41
	v_add_f32_e32 v10, v10, v48
	v_fmac_f32_e32 v45, v19, v44
	v_fma_f32 v44, v20, v42, -v50
	v_mul_f32_e32 v41, v22, v41
	v_fmac_f32_e32 v43, v21, v42
	v_dual_add_f32 v10, v49, v10 :: v_dual_add_f32 v11, v11, v47
	v_fma_f32 v42, v22, v40, -v46
	s_delay_alu instid0(VALU_DEP_2) | instskip(NEXT) | instid1(VALU_DEP_1)
	v_dual_fmac_f32 v41, v23, v40 :: v_dual_add_f32 v10, v44, v10
	v_dual_add_f32 v11, v45, v11 :: v_dual_add_f32 v10, v42, v10
	s_delay_alu instid0(VALU_DEP_1) | instskip(NEXT) | instid1(VALU_DEP_1)
	v_add_f32_e32 v11, v43, v11
	v_add_f32_e32 v11, v41, v11
.LBB111_41:                             ;   in Loop: Header=BB111_6 Depth=1
	s_wait_alu 0xfffe
	s_or_b32 exec_lo, exec_lo, s8
	s_wait_loadcnt 0x2
	v_dual_mul_f32 v40, v17, v39 :: v_dual_mul_f32 v41, v19, v37
	v_mul_f32_e32 v39, v16, v39
	s_wait_loadcnt 0x1
	v_dual_mul_f32 v37, v18, v37 :: v_dual_mul_f32 v42, v21, v35
	s_delay_alu instid0(VALU_DEP_3)
	v_fma_f32 v40, v16, v38, -v40
	v_fma_f32 v41, v18, v36, -v41
	s_wait_loadcnt 0x0
	v_dual_fmac_f32 v39, v17, v38 :: v_dual_mul_f32 v38, v23, v33
	v_fmac_f32_e32 v37, v19, v36
	v_add_f32_e32 v12, v12, v40
	v_mul_f32_e32 v35, v20, v35
	v_fma_f32 v36, v20, v34, -v42
	s_delay_alu instid0(VALU_DEP_3) | instskip(SKIP_1) | instid1(VALU_DEP_2)
	v_dual_mul_f32 v33, v22, v33 :: v_dual_add_f32 v12, v41, v12
	v_add_f32_e32 v13, v13, v39
	v_fmac_f32_e32 v33, v23, v32
	s_delay_alu instid0(VALU_DEP_3) | instskip(NEXT) | instid1(VALU_DEP_3)
	v_dual_add_f32 v12, v36, v12 :: v_dual_fmac_f32 v35, v21, v34
	v_add_f32_e32 v13, v37, v13
	v_fma_f32 v34, v22, v32, -v38
	s_delay_alu instid0(VALU_DEP_1) | instskip(NEXT) | instid1(VALU_DEP_1)
	v_dual_add_f32 v12, v34, v12 :: v_dual_add_f32 v13, v35, v13
	v_add_f32_e32 v13, v33, v13
.LBB111_42:                             ;   in Loop: Header=BB111_6 Depth=1
	s_wait_alu 0xfffe
	s_or_b32 exec_lo, exec_lo, s7
	s_wait_loadcnt 0x2
	v_dual_mul_f32 v32, v17, v31 :: v_dual_mul_f32 v33, v19, v29
	v_mul_f32_e32 v31, v16, v31
	s_wait_loadcnt 0x1
	v_dual_mul_f32 v29, v18, v29 :: v_dual_mul_f32 v34, v21, v27
	s_delay_alu instid0(VALU_DEP_3) | instskip(SKIP_2) | instid1(VALU_DEP_3)
	v_fma_f32 v16, v16, v30, -v32
	v_mul_f32_e32 v27, v20, v27
	v_fma_f32 v18, v18, v28, -v33
	v_add_f32_e32 v14, v14, v16
	s_wait_loadcnt 0x0
	v_dual_mul_f32 v16, v22, v25 :: v_dual_fmac_f32 v31, v17, v30
	v_mul_f32_e32 v17, v23, v25
	v_fmac_f32_e32 v27, v21, v26
	v_add_f32_e32 v14, v18, v14
	s_delay_alu instid0(VALU_DEP_4) | instskip(SKIP_4) | instid1(VALU_DEP_1)
	v_fmac_f32_e32 v16, v23, v24
	v_add_f32_e32 v15, v15, v31
	v_fma_f32 v17, v22, v24, -v17
	v_fmac_f32_e32 v29, v19, v28
	v_fma_f32 v19, v20, v26, -v34
	v_add_f32_e32 v14, v19, v14
	s_delay_alu instid0(VALU_DEP_1) | instskip(NEXT) | instid1(VALU_DEP_4)
	v_add_f32_e32 v14, v17, v14
	v_add_f32_e32 v15, v29, v15
	s_delay_alu instid0(VALU_DEP_1) | instskip(NEXT) | instid1(VALU_DEP_1)
	v_add_f32_e32 v15, v27, v15
	v_add_f32_e32 v15, v16, v15
.LBB111_43:                             ;   in Loop: Header=BB111_6 Depth=1
	s_wait_alu 0xfffe
	s_or_b32 exec_lo, exec_lo, s9
.LBB111_44:                             ;   in Loop: Header=BB111_6 Depth=1
	ds_store_2addr_b64 v59, v[14:15], v[12:13] offset1:32
	ds_store_2addr_b64 v59, v[10:11], v[8:9] offset0:64 offset1:96
	s_wait_storecnt 0x0
	s_wait_loadcnt_dscnt 0x0
	s_barrier_signal -1
	s_barrier_wait -1
	global_inv scope:SCOPE_SE
	s_and_saveexec_b32 s7, s0
	s_cbranch_execz .LBB111_4
; %bb.45:                               ;   in Loop: Header=BB111_6 Depth=1
	ds_load_2addr_stride64_b64 v[8:11], v60 offset1:2
	ds_load_2addr_stride64_b64 v[12:15], v60 offset0:4 offset1:6
	ds_load_2addr_stride64_b64 v[16:19], v60 offset0:8 offset1:10
	s_wait_dscnt 0x2
	v_dual_add_f32 v20, v8, v10 :: v_dual_add_f32 v21, v9, v11
	ds_load_2addr_stride64_b64 v[8:11], v60 offset0:12 offset1:14
	s_wait_dscnt 0x2
	v_dual_add_f32 v12, v20, v12 :: v_dual_add_f32 v13, v21, v13
	s_delay_alu instid0(VALU_DEP_1) | instskip(SKIP_3) | instid1(VALU_DEP_1)
	v_dual_add_f32 v20, v12, v14 :: v_dual_add_f32 v21, v13, v15
	ds_load_2addr_stride64_b64 v[12:15], v60 offset0:16 offset1:18
	s_wait_dscnt 0x2
	v_dual_add_f32 v16, v20, v16 :: v_dual_add_f32 v17, v21, v17
	v_dual_add_f32 v20, v16, v18 :: v_dual_add_f32 v21, v17, v19
	ds_load_2addr_stride64_b64 v[16:19], v60 offset0:20 offset1:22
	s_wait_dscnt 0x2
	v_dual_add_f32 v8, v20, v8 :: v_dual_add_f32 v9, v21, v9
	s_delay_alu instid0(VALU_DEP_1) | instskip(SKIP_3) | instid1(VALU_DEP_1)
	v_dual_add_f32 v20, v8, v10 :: v_dual_add_f32 v21, v9, v11
	ds_load_2addr_stride64_b64 v[8:11], v60 offset0:24 offset1:26
	s_wait_dscnt 0x2
	v_dual_add_f32 v12, v20, v12 :: v_dual_add_f32 v13, v21, v13
	v_dual_add_f32 v20, v12, v14 :: v_dual_add_f32 v21, v13, v15
	ds_load_2addr_stride64_b64 v[12:15], v60 offset0:28 offset1:30
	s_wait_dscnt 0x2
	v_dual_add_f32 v16, v20, v16 :: v_dual_add_f32 v17, v21, v17
	s_delay_alu instid0(VALU_DEP_1) | instskip(SKIP_1) | instid1(VALU_DEP_1)
	v_dual_add_f32 v16, v16, v18 :: v_dual_add_f32 v17, v17, v19
	s_wait_dscnt 0x1
	v_dual_add_f32 v8, v16, v8 :: v_dual_add_f32 v9, v17, v9
	s_delay_alu instid0(VALU_DEP_1) | instskip(SKIP_1) | instid1(VALU_DEP_1)
	v_dual_add_f32 v8, v8, v10 :: v_dual_add_f32 v9, v9, v11
	s_wait_dscnt 0x0
	v_dual_add_f32 v8, v8, v12 :: v_dual_add_f32 v9, v9, v13
	s_delay_alu instid0(VALU_DEP_1)
	v_dual_add_f32 v10, v8, v14 :: v_dual_add_f32 v11, v9, v15
	ds_store_b64 v60, v[10:11]
	s_and_b32 exec_lo, exec_lo, s2
	s_cbranch_execz .LBB111_4
; %bb.46:                               ;   in Loop: Header=BB111_6 Depth=1
	v_mul_f32_e32 v9, s38, v11
	v_mul_f32_e32 v8, s39, v11
	s_and_not1_b32 vcc_lo, exec_lo, s49
	s_delay_alu instid0(VALU_DEP_2) | instskip(NEXT) | instid1(VALU_DEP_2)
	v_fmac_f32_e32 v9, s39, v10
	v_fma_f32 v8, v10, s38, -v8
	s_wait_alu 0xfffe
	s_cbranch_vccnz .LBB111_3
; %bb.47:                               ;   in Loop: Header=BB111_6 Depth=1
	v_add_co_u32 v10, vcc_lo, s46, v6
	s_wait_alu 0xfffd
	v_add_co_ci_u32_e64 v11, null, s47, v7, vcc_lo
	global_load_b64 v[10:11], v[10:11], off
	s_wait_loadcnt 0x0
	v_mul_f32_e32 v12, s41, v11
	v_mul_f32_e32 v11, s40, v11
	s_delay_alu instid0(VALU_DEP_1) | instskip(NEXT) | instid1(VALU_DEP_3)
	v_fmac_f32_e32 v11, s41, v10
	v_fma_f32 v12, s40, v10, -v12
	s_delay_alu instid0(VALU_DEP_1)
	v_dual_add_f32 v9, v9, v11 :: v_dual_add_f32 v8, v8, v12
	s_branch .LBB111_3
.LBB111_48:
	s_endpgm
	.section	.rodata,"a",@progbits
	.p2align	6, 0x0
	.amdhsa_kernel _ZL20rocblas_gemvn_kernelILi32ELi16El19rocblas_complex_numIfES1_S1_EviiT3_lPKT2_lT1_lS5_lS6_lS2_lPT4_lS6_li
		.amdhsa_group_segment_fixed_size 16384
		.amdhsa_private_segment_fixed_size 0
		.amdhsa_kernarg_size 400
		.amdhsa_user_sgpr_count 2
		.amdhsa_user_sgpr_dispatch_ptr 0
		.amdhsa_user_sgpr_queue_ptr 0
		.amdhsa_user_sgpr_kernarg_segment_ptr 1
		.amdhsa_user_sgpr_dispatch_id 0
		.amdhsa_user_sgpr_private_segment_size 0
		.amdhsa_wavefront_size32 1
		.amdhsa_uses_dynamic_stack 0
		.amdhsa_enable_private_segment 0
		.amdhsa_system_sgpr_workgroup_id_x 1
		.amdhsa_system_sgpr_workgroup_id_y 0
		.amdhsa_system_sgpr_workgroup_id_z 1
		.amdhsa_system_sgpr_workgroup_info 0
		.amdhsa_system_vgpr_workitem_id 1
		.amdhsa_next_free_vgpr 81
		.amdhsa_next_free_sgpr 57
		.amdhsa_reserve_vcc 1
		.amdhsa_float_round_mode_32 0
		.amdhsa_float_round_mode_16_64 0
		.amdhsa_float_denorm_mode_32 3
		.amdhsa_float_denorm_mode_16_64 3
		.amdhsa_fp16_overflow 0
		.amdhsa_workgroup_processor_mode 1
		.amdhsa_memory_ordered 1
		.amdhsa_forward_progress 1
		.amdhsa_inst_pref_size 35
		.amdhsa_round_robin_scheduling 0
		.amdhsa_exception_fp_ieee_invalid_op 0
		.amdhsa_exception_fp_denorm_src 0
		.amdhsa_exception_fp_ieee_div_zero 0
		.amdhsa_exception_fp_ieee_overflow 0
		.amdhsa_exception_fp_ieee_underflow 0
		.amdhsa_exception_fp_ieee_inexact 0
		.amdhsa_exception_int_div_zero 0
	.end_amdhsa_kernel
	.section	.text._ZL20rocblas_gemvn_kernelILi32ELi16El19rocblas_complex_numIfES1_S1_EviiT3_lPKT2_lT1_lS5_lS6_lS2_lPT4_lS6_li,"axG",@progbits,_ZL20rocblas_gemvn_kernelILi32ELi16El19rocblas_complex_numIfES1_S1_EviiT3_lPKT2_lT1_lS5_lS6_lS2_lPT4_lS6_li,comdat
.Lfunc_end111:
	.size	_ZL20rocblas_gemvn_kernelILi32ELi16El19rocblas_complex_numIfES1_S1_EviiT3_lPKT2_lT1_lS5_lS6_lS2_lPT4_lS6_li, .Lfunc_end111-_ZL20rocblas_gemvn_kernelILi32ELi16El19rocblas_complex_numIfES1_S1_EviiT3_lPKT2_lT1_lS5_lS6_lS2_lPT4_lS6_li
                                        ; -- End function
	.set _ZL20rocblas_gemvn_kernelILi32ELi16El19rocblas_complex_numIfES1_S1_EviiT3_lPKT2_lT1_lS5_lS6_lS2_lPT4_lS6_li.num_vgpr, 81
	.set _ZL20rocblas_gemvn_kernelILi32ELi16El19rocblas_complex_numIfES1_S1_EviiT3_lPKT2_lT1_lS5_lS6_lS2_lPT4_lS6_li.num_agpr, 0
	.set _ZL20rocblas_gemvn_kernelILi32ELi16El19rocblas_complex_numIfES1_S1_EviiT3_lPKT2_lT1_lS5_lS6_lS2_lPT4_lS6_li.numbered_sgpr, 57
	.set _ZL20rocblas_gemvn_kernelILi32ELi16El19rocblas_complex_numIfES1_S1_EviiT3_lPKT2_lT1_lS5_lS6_lS2_lPT4_lS6_li.num_named_barrier, 0
	.set _ZL20rocblas_gemvn_kernelILi32ELi16El19rocblas_complex_numIfES1_S1_EviiT3_lPKT2_lT1_lS5_lS6_lS2_lPT4_lS6_li.private_seg_size, 0
	.set _ZL20rocblas_gemvn_kernelILi32ELi16El19rocblas_complex_numIfES1_S1_EviiT3_lPKT2_lT1_lS5_lS6_lS2_lPT4_lS6_li.uses_vcc, 1
	.set _ZL20rocblas_gemvn_kernelILi32ELi16El19rocblas_complex_numIfES1_S1_EviiT3_lPKT2_lT1_lS5_lS6_lS2_lPT4_lS6_li.uses_flat_scratch, 0
	.set _ZL20rocblas_gemvn_kernelILi32ELi16El19rocblas_complex_numIfES1_S1_EviiT3_lPKT2_lT1_lS5_lS6_lS2_lPT4_lS6_li.has_dyn_sized_stack, 0
	.set _ZL20rocblas_gemvn_kernelILi32ELi16El19rocblas_complex_numIfES1_S1_EviiT3_lPKT2_lT1_lS5_lS6_lS2_lPT4_lS6_li.has_recursion, 0
	.set _ZL20rocblas_gemvn_kernelILi32ELi16El19rocblas_complex_numIfES1_S1_EviiT3_lPKT2_lT1_lS5_lS6_lS2_lPT4_lS6_li.has_indirect_call, 0
	.section	.AMDGPU.csdata,"",@progbits
; Kernel info:
; codeLenInByte = 4476
; TotalNumSgprs: 59
; NumVgprs: 81
; ScratchSize: 0
; MemoryBound: 0
; FloatMode: 240
; IeeeMode: 1
; LDSByteSize: 16384 bytes/workgroup (compile time only)
; SGPRBlocks: 0
; VGPRBlocks: 10
; NumSGPRsForWavesPerEU: 59
; NumVGPRsForWavesPerEU: 81
; Occupancy: 16
; WaveLimiterHint : 1
; COMPUTE_PGM_RSRC2:SCRATCH_EN: 0
; COMPUTE_PGM_RSRC2:USER_SGPR: 2
; COMPUTE_PGM_RSRC2:TRAP_HANDLER: 0
; COMPUTE_PGM_RSRC2:TGID_X_EN: 1
; COMPUTE_PGM_RSRC2:TGID_Y_EN: 0
; COMPUTE_PGM_RSRC2:TGID_Z_EN: 1
; COMPUTE_PGM_RSRC2:TIDIG_COMP_CNT: 1
	.section	.text._ZL20rocblas_gemvn_kernelILi64ELi16Ei19rocblas_complex_numIfEPKS1_S1_EviiT3_lPKT2_lT1_lS7_lS8_lS4_lPT4_lS8_li,"axG",@progbits,_ZL20rocblas_gemvn_kernelILi64ELi16Ei19rocblas_complex_numIfEPKS1_S1_EviiT3_lPKT2_lT1_lS7_lS8_lS4_lPT4_lS8_li,comdat
	.globl	_ZL20rocblas_gemvn_kernelILi64ELi16Ei19rocblas_complex_numIfEPKS1_S1_EviiT3_lPKT2_lT1_lS7_lS8_lS4_lPT4_lS8_li ; -- Begin function _ZL20rocblas_gemvn_kernelILi64ELi16Ei19rocblas_complex_numIfEPKS1_S1_EviiT3_lPKT2_lT1_lS7_lS8_lS4_lPT4_lS8_li
	.p2align	8
	.type	_ZL20rocblas_gemvn_kernelILi64ELi16Ei19rocblas_complex_numIfEPKS1_S1_EviiT3_lPKT2_lT1_lS7_lS8_lS4_lPT4_lS8_li,@function
_ZL20rocblas_gemvn_kernelILi64ELi16Ei19rocblas_complex_numIfEPKS1_S1_EviiT3_lPKT2_lT1_lS7_lS8_lS4_lPT4_lS8_li: ; @_ZL20rocblas_gemvn_kernelILi64ELi16Ei19rocblas_complex_numIfEPKS1_S1_EviiT3_lPKT2_lT1_lS7_lS8_lS4_lPT4_lS8_li
; %bb.0:
	s_load_b64 s[2:3], s[0:1], 0x9c
	s_wait_kmcnt 0x0
	s_lshr_b32 s4, s2, 16
	s_and_b32 s2, s2, 0xffff
	s_and_b32 s3, s3, 0xffff
	s_mul_i32 s2, s4, s2
	s_delay_alu instid0(SALU_CYCLE_1) | instskip(NEXT) | instid1(SALU_CYCLE_1)
	s_mul_i32 s2, s2, s3
	s_cmp_lg_u32 s2, 0x400
	s_cbranch_scc1 .LBB112_50
; %bb.1:
	s_load_b32 s31, s[0:1], 0x88
	s_lshr_b32 s34, ttmp7, 16
	s_wait_kmcnt 0x0
	s_cmp_ge_u32 s34, s31
	s_cbranch_scc1 .LBB112_50
; %bb.2:
	s_clause 0x3
	s_load_b96 s[4:6], s[0:1], 0x70
	s_load_b256 s[8:15], s[0:1], 0x8
	s_load_b96 s[28:30], s[0:1], 0x40
	s_load_b64 s[36:37], s[0:1], 0x0
	v_and_b32_e32 v5, 0x3ff, v0
	v_bfe_u32 v10, v0, 10, 10
	s_lshl_b32 s42, ttmp9, 8
	s_clause 0x3
	s_load_b32 s33, s[0:1], 0x28
	s_load_b128 s[24:27], s[0:1], 0x30
	s_load_b256 s[16:23], s[0:1], 0x50
	s_load_b64 s[38:39], s[0:1], 0x80
	v_dual_mov_b32 v1, 0 :: v_dual_lshlrev_b32 v58, 2, v10
	v_lshl_add_u32 v4, v10, 6, v5
	s_mov_b32 s35, 0
	s_delay_alu instid0(VALU_DEP_2) | instskip(NEXT) | instid1(VALU_DEP_2)
	v_or_b32_e32 v12, 2, v58
	v_add_nc_u32_e32 v0, s42, v4
	v_or_b32_e32 v14, 3, v58
	s_wait_kmcnt 0x0
	s_ashr_i32 s1, s6, 31
	s_delay_alu instid0(VALU_DEP_2)
	v_mad_co_u64_u32 v[6:7], null, s6, v0, 0
	s_lshl_b64 s[2:3], s[14:15], 3
	s_ashr_i32 s7, s37, 31
	s_add_nc_u64 s[12:13], s[12:13], s[2:3]
	s_wait_alu 0xfffe
	s_lshr_b32 s2, s7, 26
	s_lshl_b64 s[4:5], s[4:5], 3
	s_add_co_i32 s43, s37, s2
	v_dual_mov_b32 v2, v7 :: v_dual_add_nc_u32 v57, s42, v5
	s_add_nc_u64 s[22:23], s[22:23], s[4:5]
	v_mul_lo_u32 v13, v10, s33
	s_lshl_b64 s[14:15], s[28:29], 3
	s_delay_alu instid0(VALU_DEP_2)
	v_mad_co_u64_u32 v[2:3], null, s1, v0, v[2:3]
	v_add_nc_u32_e32 v8, 64, v57
	v_add_nc_u32_e32 v11, 0xc0, v57
	v_lshlrev_b32_e32 v3, 3, v5
	v_add_nc_u32_e32 v9, 0x80, v57
	s_ashr_i32 s29, s36, 31
	v_cmp_gt_i32_e64 s2, s36, v8
	v_mov_b32_e32 v7, v2
	v_or_b32_e32 v2, s42, v4
	v_cmp_gt_i32_e64 s4, s36, v11
	v_mul_lo_u32 v11, s33, v58
	s_mov_b32 s28, s36
	s_wait_alu 0xfffe
	s_and_not1_b32 s43, s43, 63
	v_mul_lo_u32 v8, s6, v2
	v_cmp_gt_i64_e32 vcc_lo, s[28:29], v[0:1]
	v_lshl_add_u32 v0, v10, 11, v3
	v_lshl_add_u32 v59, v10, 9, v3
	v_mul_lo_u32 v10, v10, s30
	s_wait_alu 0xfffe
	s_sub_co_i32 s5, s37, s43
	v_cmp_gt_i32_e64 s3, s36, v9
	s_add_nc_u64 s[14:15], s[26:27], s[14:15]
	v_ashrrev_i32_e32 v9, 31, v8
	v_cmp_gt_i32_e64 s6, s36, v2
	v_mad_co_u64_u32 v[2:3], null, s33, v12, v[5:6]
	s_mov_b32 s26, s30
	s_cmp_gt_i32 s5, 0
	v_cmp_gt_u32_e64 s5, 0x100, v4
	v_mad_co_u64_u32 v[3:4], null, s33, v14, v[5:6]
	v_add3_u32 v60, v11, s33, v5
	v_lshl_add_u32 v61, v13, 2, v5
	v_mad_co_u64_u32 v[4:5], null, s30, v58, s[26:27]
	v_mul_lo_u32 v62, s30, v12
	v_mul_lo_u32 v63, s30, v14
	v_lshlrev_b64_e32 v[5:6], 3, v[6:7]
	v_lshlrev_b64_e32 v[7:8], 3, v[8:9]
	v_cmp_gt_i32_e64 s0, s36, v57
	v_cmp_gt_i32_e64 s1, s43, v58
	v_lshlrev_b32_e32 v64, 2, v10
	s_cselect_b32 s44, -1, 0
	s_and_b32 s36, s5, vcc_lo
	s_lshl_b32 s45, s33, 6
	s_lshl_b32 s46, s30, 6
	s_branch .LBB112_6
.LBB112_3:                              ;   in Loop: Header=BB112_6 Depth=1
	v_add_co_u32 v11, vcc_lo, s26, v7
	s_wait_alu 0xfffd
	v_add_co_ci_u32_e64 v12, null, s27, v8, vcc_lo
	global_store_b64 v[11:12], v[9:10], off
.LBB112_4:                              ;   in Loop: Header=BB112_6 Depth=1
	s_wait_alu 0xfffe
	s_or_b32 exec_lo, exec_lo, s7
.LBB112_5:                              ;   in Loop: Header=BB112_6 Depth=1
	s_add_co_i32 s34, s34, 0x10000
	s_delay_alu instid0(SALU_CYCLE_1)
	s_cmp_lt_u32 s34, s31
	s_cbranch_scc0 .LBB112_50
.LBB112_6:                              ; =>This Loop Header: Depth=1
                                        ;     Child Loop BB112_22 Depth 2
	s_mul_u64 s[26:27], s[10:11], s[34:35]
	s_wait_alu 0xfffe
	s_lshl_b64 s[26:27], s[26:27], 3
	s_wait_alu 0xfffe
	s_add_nc_u64 s[26:27], s[8:9], s[26:27]
	global_load_b64 v[9:10], v1, s[26:27]
	s_mul_u64 s[26:27], s[20:21], s[34:35]
	s_wait_alu 0xfffe
	s_lshl_b64 s[26:27], s[26:27], 3
	s_wait_alu 0xfffe
	s_add_nc_u64 s[26:27], s[18:19], s[26:27]
	global_load_b64 v[11:12], v1, s[26:27]
	s_wait_loadcnt 0x1
	v_readfirstlane_b32 s49, v9
	v_readfirstlane_b32 s50, v10
	s_cmp_neq_f32 s49, 0
	s_wait_loadcnt 0x0
	v_readfirstlane_b32 s47, v11
	v_readfirstlane_b32 s48, v12
	s_cselect_b32 s7, -1, 0
	s_cmp_neq_f32 s50, 0
	s_cselect_b32 s26, -1, 0
	s_wait_alu 0xfffe
	s_or_b32 s7, s7, s26
	s_wait_alu 0xfffe
	s_and_b32 vcc_lo, exec_lo, s7
	s_mov_b32 s7, -1
	s_wait_alu 0xfffe
	s_cbranch_vccnz .LBB112_8
; %bb.7:                                ;   in Loop: Header=BB112_6 Depth=1
	s_cmp_neq_f32 s47, 1.0
	s_cselect_b32 s7, -1, 0
	s_cmp_neq_f32 s48, 0
	s_cselect_b32 s26, -1, 0
	s_wait_alu 0xfffe
	s_or_b32 s7, s7, s26
.LBB112_8:                              ;   in Loop: Header=BB112_6 Depth=1
	s_wait_alu 0xfffe
	s_and_not1_b32 vcc_lo, exec_lo, s7
	s_wait_alu 0xfffe
	s_cbranch_vccnz .LBB112_5
; %bb.9:                                ;   in Loop: Header=BB112_6 Depth=1
	s_mul_u64 s[26:27], s[38:39], s[34:35]
	s_or_b32 s7, s49, s50
	s_wait_alu 0xfffe
	s_lshl_b64 s[26:27], s[26:27], 3
	s_bitset0_b32 s7, 31
	s_wait_alu 0xfffe
	s_add_nc_u64 s[26:27], s[22:23], s[26:27]
	s_cmp_lg_u32 s7, 0
	s_mov_b32 s7, -1
	s_cbranch_scc1 .LBB112_15
; %bb.10:                               ;   in Loop: Header=BB112_6 Depth=1
	s_and_saveexec_b32 s7, s36
	s_cbranch_execz .LBB112_14
; %bb.11:                               ;   in Loop: Header=BB112_6 Depth=1
	s_cmp_neq_f32 s47, 0
	v_dual_mov_b32 v9, 0 :: v_dual_mov_b32 v10, 0
	s_cselect_b32 s28, -1, 0
	s_cmp_neq_f32 s48, 0
	s_cselect_b32 s29, -1, 0
	s_wait_alu 0xfffe
	s_or_b32 s28, s28, s29
	s_wait_alu 0xfffe
	s_and_not1_b32 vcc_lo, exec_lo, s28
	s_wait_alu 0xfffe
	s_cbranch_vccnz .LBB112_13
; %bb.12:                               ;   in Loop: Header=BB112_6 Depth=1
	v_add_co_u32 v9, vcc_lo, s26, v5
	s_wait_alu 0xfffd
	v_add_co_ci_u32_e64 v10, null, s27, v6, vcc_lo
	global_load_b64 v[11:12], v[9:10], off
	s_wait_loadcnt 0x0
	v_mul_f32_e32 v10, s47, v12
	s_delay_alu instid0(VALU_DEP_1) | instskip(NEXT) | instid1(VALU_DEP_1)
	v_dual_mul_f32 v9, s48, v12 :: v_dual_fmac_f32 v10, s48, v11
	v_fma_f32 v9, s47, v11, -v9
.LBB112_13:                             ;   in Loop: Header=BB112_6 Depth=1
	v_add_co_u32 v11, vcc_lo, s26, v5
	s_wait_alu 0xfffd
	v_add_co_ci_u32_e64 v12, null, s27, v6, vcc_lo
	global_store_b64 v[11:12], v[9:10], off
.LBB112_14:                             ;   in Loop: Header=BB112_6 Depth=1
	s_wait_alu 0xfffe
	s_or_b32 exec_lo, exec_lo, s7
	s_mov_b32 s7, 0
.LBB112_15:                             ;   in Loop: Header=BB112_6 Depth=1
	s_wait_alu 0xfffe
	s_and_not1_b32 vcc_lo, exec_lo, s7
	s_wait_alu 0xfffe
	s_cbranch_vccnz .LBB112_5
; %bb.16:                               ;   in Loop: Header=BB112_6 Depth=1
	s_mul_u64 s[28:29], s[24:25], s[34:35]
	s_mul_u64 s[40:41], s[16:17], s[34:35]
	v_dual_mov_b32 v10, 0 :: v_dual_mov_b32 v65, v58
	v_dual_mov_b32 v9, 0 :: v_dual_mov_b32 v12, 0
	;; [unrolled: 1-line block ×4, first 2 shown]
	v_mov_b32_e32 v15, 0
	s_wait_alu 0xfffe
	s_lshl_b64 s[28:29], s[28:29], 3
	s_lshl_b64 s[40:41], s[40:41], 3
	s_wait_alu 0xfffe
	s_add_nc_u64 s[28:29], s[12:13], s[28:29]
	s_add_nc_u64 s[40:41], s[14:15], s[40:41]
	s_and_saveexec_b32 s7, s1
	s_cbranch_execz .LBB112_28
; %bb.17:                               ;   in Loop: Header=BB112_6 Depth=1
	v_dual_mov_b32 v10, 0 :: v_dual_mov_b32 v67, v3
	v_dual_mov_b32 v66, v61 :: v_dual_mov_b32 v69, v60
	;; [unrolled: 1-line block ×3, first 2 shown]
	s_delay_alu instid0(VALU_DEP_3)
	v_dual_mov_b32 v9, v10 :: v_dual_mov_b32 v12, v10
	v_dual_mov_b32 v11, v10 :: v_dual_mov_b32 v14, v10
	;; [unrolled: 1-line block ×3, first 2 shown]
	v_mov_b32_e32 v15, v10
	s_mov_b32 s51, 0
	s_mov_b32 s52, 0
	s_branch .LBB112_22
.LBB112_18:                             ;   in Loop: Header=BB112_22 Depth=2
	s_or_b32 exec_lo, exec_lo, s56
	s_wait_loadcnt 0x3
	v_mul_f32_e32 v49, v30, v48
	v_mul_f32_e32 v48, v29, v48
	s_wait_loadcnt 0x1
	v_dual_mul_f32 v50, v26, v46 :: v_dual_mul_f32 v51, v20, v44
	v_mul_f32_e32 v46, v25, v46
	v_fma_f32 v49, v29, v47, -v49
	v_fmac_f32_e32 v48, v30, v47
	s_delay_alu instid0(VALU_DEP_4) | instskip(SKIP_4) | instid1(VALU_DEP_2)
	v_fma_f32 v50, v25, v45, -v50
	s_wait_loadcnt 0x0
	v_mul_f32_e32 v47, v18, v42
	v_dual_mul_f32 v42, v17, v42 :: v_dual_add_f32 v11, v11, v49
	v_mul_f32_e32 v44, v19, v44
	v_fmac_f32_e32 v42, v18, v41
	s_delay_alu instid0(VALU_DEP_3) | instskip(SKIP_4) | instid1(VALU_DEP_3)
	v_add_f32_e32 v11, v50, v11
	v_fmac_f32_e32 v46, v26, v45
	v_fma_f32 v45, v19, v43, -v51
	v_fmac_f32_e32 v44, v20, v43
	v_fma_f32 v43, v17, v41, -v47
	v_dual_add_f32 v11, v45, v11 :: v_dual_add_f32 v12, v12, v48
	s_delay_alu instid0(VALU_DEP_1) | instskip(NEXT) | instid1(VALU_DEP_1)
	v_dual_add_f32 v11, v43, v11 :: v_dual_add_f32 v12, v46, v12
	v_add_f32_e32 v12, v44, v12
	s_delay_alu instid0(VALU_DEP_1)
	v_add_f32_e32 v12, v42, v12
.LBB112_19:                             ;   in Loop: Header=BB112_22 Depth=2
	s_or_b32 exec_lo, exec_lo, s55
	s_wait_loadcnt 0x3
	v_mul_f32_e32 v41, v30, v40
	s_wait_loadcnt 0x1
	v_dual_mul_f32 v42, v26, v38 :: v_dual_mul_f32 v43, v20, v36
	v_mul_f32_e32 v38, v25, v38
	v_mul_f32_e32 v40, v29, v40
	v_fma_f32 v41, v29, v39, -v41
	v_mul_f32_e32 v36, v19, v36
	v_fma_f32 v42, v25, v37, -v42
	v_fmac_f32_e32 v38, v26, v37
	v_fma_f32 v37, v19, v35, -v43
	s_delay_alu instid0(VALU_DEP_4) | instskip(NEXT) | instid1(VALU_DEP_1)
	v_dual_add_f32 v13, v13, v41 :: v_dual_fmac_f32 v36, v20, v35
	v_add_f32_e32 v13, v42, v13
	v_fmac_f32_e32 v40, v30, v39
	s_wait_loadcnt 0x0
	v_mul_f32_e32 v39, v18, v34
	v_mul_f32_e32 v34, v17, v34
	v_add_f32_e32 v13, v37, v13
	s_delay_alu instid0(VALU_DEP_3) | instskip(SKIP_1) | instid1(VALU_DEP_4)
	v_fma_f32 v35, v17, v33, -v39
	v_add_f32_e32 v14, v14, v40
	v_fmac_f32_e32 v34, v18, v33
	s_delay_alu instid0(VALU_DEP_2) | instskip(NEXT) | instid1(VALU_DEP_1)
	v_dual_add_f32 v13, v35, v13 :: v_dual_add_f32 v14, v38, v14
	v_add_f32_e32 v14, v36, v14
	s_delay_alu instid0(VALU_DEP_1)
	v_add_f32_e32 v14, v34, v14
.LBB112_20:                             ;   in Loop: Header=BB112_22 Depth=2
	s_or_b32 exec_lo, exec_lo, s54
	s_wait_loadcnt 0x3
	v_mul_f32_e32 v33, v30, v32
	v_mul_f32_e32 v32, v29, v32
	s_wait_loadcnt 0x1
	s_delay_alu instid0(VALU_DEP_1)
	v_dual_mul_f32 v35, v20, v24 :: v_dual_fmac_f32 v32, v30, v31
	s_wait_loadcnt 0x0
	v_mul_f32_e32 v30, v18, v22
	v_mul_f32_e32 v22, v17, v22
	v_fma_f32 v29, v29, v31, -v33
	v_add_f32_e32 v16, v16, v32
	s_delay_alu instid0(VALU_DEP_4) | instskip(SKIP_1) | instid1(VALU_DEP_4)
	v_fma_f32 v17, v17, v21, -v30
	v_mul_f32_e32 v24, v19, v24
	v_dual_add_f32 v15, v15, v29 :: v_dual_mul_f32 v34, v26, v28
	v_fma_f32 v19, v19, v23, -v35
	v_mul_f32_e32 v28, v25, v28
	v_fmac_f32_e32 v22, v18, v21
	s_delay_alu instid0(VALU_DEP_4) | instskip(NEXT) | instid1(VALU_DEP_1)
	v_fma_f32 v25, v25, v27, -v34
	v_add_f32_e32 v15, v25, v15
	s_delay_alu instid0(VALU_DEP_1) | instskip(SKIP_1) | instid1(VALU_DEP_2)
	v_add_f32_e32 v15, v19, v15
	v_fmac_f32_e32 v28, v26, v27
	v_add_f32_e32 v15, v17, v15
	v_fmac_f32_e32 v24, v20, v23
	s_delay_alu instid0(VALU_DEP_3) | instskip(NEXT) | instid1(VALU_DEP_1)
	v_add_f32_e32 v16, v28, v16
	v_add_f32_e32 v16, v24, v16
	s_delay_alu instid0(VALU_DEP_1)
	v_add_f32_e32 v16, v22, v16
.LBB112_21:                             ;   in Loop: Header=BB112_22 Depth=2
	s_wait_alu 0xfffe
	s_or_b32 exec_lo, exec_lo, s53
	v_add_nc_u32_e32 v65, 64, v65
	v_add_nc_u32_e32 v69, s45, v69
	;; [unrolled: 1-line block ×5, first 2 shown]
	v_cmp_le_i32_e32 vcc_lo, s43, v65
	s_add_co_i32 s52, s52, s46
	s_or_b32 s51, vcc_lo, s51
	s_wait_alu 0xfffe
	s_and_not1_b32 exec_lo, exec_lo, s51
	s_cbranch_execz .LBB112_27
.LBB112_22:                             ;   Parent Loop BB112_6 Depth=1
                                        ; =>  This Inner Loop Header: Depth=2
	s_and_saveexec_b32 s53, s0
	s_cbranch_execz .LBB112_21
; %bb.23:                               ;   in Loop: Header=BB112_22 Depth=2
	s_wait_alu 0xfffe
	v_add_nc_u32_e32 v17, s52, v64
	v_add_nc_u32_e32 v19, s52, v4
	;; [unrolled: 1-line block ×5, first 2 shown]
	v_ashrrev_i32_e32 v18, 31, v17
	v_ashrrev_i32_e32 v20, 31, v19
	;; [unrolled: 1-line block ×3, first 2 shown]
	v_add_nc_u32_e32 v27, s42, v69
	v_ashrrev_i32_e32 v24, 31, v23
	v_lshlrev_b64_e32 v[17:18], 3, v[17:18]
	v_lshlrev_b64_e32 v[19:20], 3, v[19:20]
	v_ashrrev_i32_e32 v26, 31, v25
	v_lshlrev_b64_e32 v[21:22], 3, v[21:22]
	v_ashrrev_i32_e32 v28, 31, v27
	v_lshlrev_b64_e32 v[23:24], 3, v[23:24]
	v_add_co_u32 v17, vcc_lo, s40, v17
	v_add_nc_u32_e32 v29, s42, v68
	s_wait_alu 0xfffd
	v_add_co_ci_u32_e64 v18, null, s41, v18, vcc_lo
	v_add_co_u32 v19, vcc_lo, s40, v19
	v_lshlrev_b64_e32 v[25:26], 3, v[25:26]
	v_add_nc_u32_e32 v31, s42, v67
	s_wait_alu 0xfffd
	v_add_co_ci_u32_e64 v20, null, s41, v20, vcc_lo
	v_add_co_u32 v21, vcc_lo, s40, v21
	v_lshlrev_b64_e32 v[27:28], 3, v[27:28]
	v_ashrrev_i32_e32 v30, 31, v29
	s_wait_alu 0xfffd
	v_add_co_ci_u32_e64 v22, null, s41, v22, vcc_lo
	v_add_co_u32 v23, vcc_lo, s40, v23
	v_ashrrev_i32_e32 v32, 31, v31
	s_wait_alu 0xfffd
	v_add_co_ci_u32_e64 v24, null, s41, v24, vcc_lo
	v_add_co_u32 v55, vcc_lo, s28, v25
	s_wait_alu 0xfffd
	v_add_co_ci_u32_e64 v56, null, s29, v26, vcc_lo
	v_lshlrev_b64_e32 v[25:26], 3, v[29:30]
	v_add_co_u32 v53, vcc_lo, s28, v27
	s_wait_alu 0xfffd
	v_add_co_ci_u32_e64 v54, null, s29, v28, vcc_lo
	v_lshlrev_b64_e32 v[27:28], 3, v[31:32]
	s_delay_alu instid0(VALU_DEP_4) | instskip(SKIP_2) | instid1(VALU_DEP_3)
	v_add_co_u32 v51, vcc_lo, s28, v25
	s_wait_alu 0xfffd
	v_add_co_ci_u32_e64 v52, null, s29, v26, vcc_lo
	v_add_co_u32 v49, vcc_lo, s28, v27
	s_wait_alu 0xfffd
	v_add_co_ci_u32_e64 v50, null, s29, v28, vcc_lo
	s_clause 0x3
	global_load_b64 v[29:30], v[17:18], off
	global_load_b64 v[25:26], v[19:20], off
	global_load_b64 v[19:20], v[21:22], off
	global_load_b64 v[17:18], v[23:24], off
	s_clause 0x3
	global_load_b64 v[31:32], v[55:56], off
	global_load_b64 v[27:28], v[53:54], off
	global_load_b64 v[23:24], v[51:52], off
	global_load_b64 v[21:22], v[49:50], off
	s_and_saveexec_b32 s54, s2
	s_cbranch_execz .LBB112_20
; %bb.24:                               ;   in Loop: Header=BB112_22 Depth=2
	s_clause 0x3
	global_load_b64 v[39:40], v[55:56], off offset:512
	global_load_b64 v[37:38], v[53:54], off offset:512
	global_load_b64 v[35:36], v[51:52], off offset:512
	global_load_b64 v[33:34], v[49:50], off offset:512
	s_and_saveexec_b32 s55, s3
	s_cbranch_execz .LBB112_19
; %bb.25:                               ;   in Loop: Header=BB112_22 Depth=2
	s_clause 0x3
	global_load_b64 v[47:48], v[55:56], off offset:1024
	global_load_b64 v[45:46], v[53:54], off offset:1024
	global_load_b64 v[43:44], v[51:52], off offset:1024
	global_load_b64 v[41:42], v[49:50], off offset:1024
	;; [unrolled: 8-line block ×3, first 2 shown]
	s_wait_loadcnt 0x1
	v_dual_mul_f32 v71, v26, v54 :: v_dual_mul_f32 v72, v20, v52
	v_mul_f32_e32 v54, v25, v54
	s_delay_alu instid0(VALU_DEP_2) | instskip(SKIP_2) | instid1(VALU_DEP_4)
	v_fma_f32 v71, v25, v53, -v71
	v_mul_f32_e32 v70, v30, v56
	v_mul_f32_e32 v56, v29, v56
	v_fmac_f32_e32 v54, v26, v53
	v_fma_f32 v53, v19, v51, -v72
	s_delay_alu instid0(VALU_DEP_4) | instskip(NEXT) | instid1(VALU_DEP_1)
	v_fma_f32 v70, v29, v55, -v70
	v_dual_mul_f32 v52, v19, v52 :: v_dual_add_f32 v9, v9, v70
	s_delay_alu instid0(VALU_DEP_1) | instskip(SKIP_4) | instid1(VALU_DEP_3)
	v_dual_fmac_f32 v52, v20, v51 :: v_dual_add_f32 v9, v71, v9
	v_fmac_f32_e32 v56, v30, v55
	s_wait_loadcnt 0x0
	v_mul_f32_e32 v55, v18, v50
	v_mul_f32_e32 v50, v17, v50
	v_dual_add_f32 v9, v53, v9 :: v_dual_add_f32 v10, v10, v56
	s_delay_alu instid0(VALU_DEP_3) | instskip(NEXT) | instid1(VALU_DEP_3)
	v_fma_f32 v51, v17, v49, -v55
	v_fmac_f32_e32 v50, v18, v49
	s_delay_alu instid0(VALU_DEP_2) | instskip(NEXT) | instid1(VALU_DEP_1)
	v_dual_add_f32 v10, v54, v10 :: v_dual_add_f32 v9, v51, v9
	v_add_f32_e32 v10, v52, v10
	s_delay_alu instid0(VALU_DEP_1)
	v_add_f32_e32 v10, v50, v10
	s_branch .LBB112_18
.LBB112_27:                             ;   in Loop: Header=BB112_6 Depth=1
	s_or_b32 exec_lo, exec_lo, s51
.LBB112_28:                             ;   in Loop: Header=BB112_6 Depth=1
	s_wait_alu 0xfffe
	s_or_b32 exec_lo, exec_lo, s7
	s_delay_alu instid0(SALU_CYCLE_1)
	s_and_not1_b32 vcc_lo, exec_lo, s44
	s_wait_alu 0xfffe
	s_cbranch_vccnz .LBB112_46
; %bb.29:                               ;   in Loop: Header=BB112_6 Depth=1
	v_cmp_gt_i32_e32 vcc_lo, s37, v65
	v_dual_mov_b32 v17, 0 :: v_dual_mov_b32 v18, 0
	v_or_b32_e32 v25, 1, v65
	v_dual_mov_b32 v19, 0 :: v_dual_mov_b32 v20, 0
	v_dual_mov_b32 v21, 0 :: v_dual_mov_b32 v22, 0
	;; [unrolled: 1-line block ×3, first 2 shown]
	s_and_saveexec_b32 s51, vcc_lo
	s_cbranch_execz .LBB112_37
; %bb.30:                               ;   in Loop: Header=BB112_6 Depth=1
	v_mul_lo_u32 v17, v65, s30
	v_dual_mov_b32 v24, 0 :: v_dual_mov_b32 v23, 0
	v_dual_mov_b32 v22, 0 :: v_dual_mov_b32 v21, 0
	v_dual_mov_b32 v20, 0 :: v_dual_mov_b32 v19, 0
	s_mov_b32 s52, exec_lo
	s_delay_alu instid0(VALU_DEP_4) | instskip(NEXT) | instid1(VALU_DEP_1)
	v_ashrrev_i32_e32 v18, 31, v17
	v_lshlrev_b64_e32 v[17:18], 3, v[17:18]
	s_delay_alu instid0(VALU_DEP_1) | instskip(SKIP_1) | instid1(VALU_DEP_2)
	v_add_co_u32 v17, s7, s40, v17
	s_wait_alu 0xf1ff
	v_add_co_ci_u32_e64 v18, null, s41, v18, s7
	global_load_b64 v[17:18], v[17:18], off
	v_cmpx_gt_i32_e64 s37, v25
	s_cbranch_execz .LBB112_36
; %bb.31:                               ;   in Loop: Header=BB112_6 Depth=1
	v_mul_lo_u32 v19, v25, s30
	v_or_b32_e32 v26, 2, v65
	v_dual_mov_b32 v24, 0 :: v_dual_mov_b32 v23, 0
	v_dual_mov_b32 v22, 0 :: v_dual_mov_b32 v21, 0
	s_mov_b32 s53, exec_lo
	s_delay_alu instid0(VALU_DEP_4) | instskip(NEXT) | instid1(VALU_DEP_1)
	v_ashrrev_i32_e32 v20, 31, v19
	v_lshlrev_b64_e32 v[19:20], 3, v[19:20]
	s_delay_alu instid0(VALU_DEP_1) | instskip(SKIP_1) | instid1(VALU_DEP_2)
	v_add_co_u32 v19, s7, s40, v19
	s_wait_alu 0xf1ff
	v_add_co_ci_u32_e64 v20, null, s41, v20, s7
	global_load_b64 v[19:20], v[19:20], off
	v_cmpx_gt_i32_e64 s37, v26
	s_cbranch_execz .LBB112_35
; %bb.32:                               ;   in Loop: Header=BB112_6 Depth=1
	v_mul_lo_u32 v21, v26, s30
	v_or_b32_e32 v26, 3, v65
	v_dual_mov_b32 v24, 0 :: v_dual_mov_b32 v23, 0
	s_mov_b32 s54, exec_lo
	s_delay_alu instid0(VALU_DEP_3) | instskip(NEXT) | instid1(VALU_DEP_1)
	v_ashrrev_i32_e32 v22, 31, v21
	v_lshlrev_b64_e32 v[21:22], 3, v[21:22]
	s_delay_alu instid0(VALU_DEP_1) | instskip(SKIP_1) | instid1(VALU_DEP_2)
	v_add_co_u32 v21, s7, s40, v21
	s_wait_alu 0xf1ff
	v_add_co_ci_u32_e64 v22, null, s41, v22, s7
	global_load_b64 v[21:22], v[21:22], off
	v_cmpx_gt_i32_e64 s37, v26
	s_cbranch_execz .LBB112_34
; %bb.33:                               ;   in Loop: Header=BB112_6 Depth=1
	v_mul_lo_u32 v23, v26, s30
	s_delay_alu instid0(VALU_DEP_1) | instskip(NEXT) | instid1(VALU_DEP_1)
	v_ashrrev_i32_e32 v24, 31, v23
	v_lshlrev_b64_e32 v[23:24], 3, v[23:24]
	s_delay_alu instid0(VALU_DEP_1) | instskip(SKIP_1) | instid1(VALU_DEP_2)
	v_add_co_u32 v23, s7, s40, v23
	s_wait_alu 0xf1ff
	v_add_co_ci_u32_e64 v24, null, s41, v24, s7
	global_load_b64 v[23:24], v[23:24], off
.LBB112_34:                             ;   in Loop: Header=BB112_6 Depth=1
	s_or_b32 exec_lo, exec_lo, s54
.LBB112_35:                             ;   in Loop: Header=BB112_6 Depth=1
	s_wait_alu 0xfffe
	s_or_b32 exec_lo, exec_lo, s53
.LBB112_36:                             ;   in Loop: Header=BB112_6 Depth=1
	s_wait_alu 0xfffe
	s_or_b32 exec_lo, exec_lo, s52
.LBB112_37:                             ;   in Loop: Header=BB112_6 Depth=1
	s_wait_alu 0xfffe
	s_or_b32 exec_lo, exec_lo, s51
	s_and_saveexec_b32 s7, s0
	s_cbranch_execz .LBB112_45
; %bb.38:                               ;   in Loop: Header=BB112_6 Depth=1
	v_mul_lo_u32 v27, v65, s33
	v_or_b32_e32 v26, 2, v65
	v_mul_lo_u32 v29, v25, s33
	v_or_b32_e32 v28, 3, v65
	s_delay_alu instid0(VALU_DEP_3) | instskip(NEXT) | instid1(VALU_DEP_2)
	v_mul_lo_u32 v30, v26, s33
	v_mul_lo_u32 v31, v28, s33
	v_cndmask_b32_e32 v27, 0, v27, vcc_lo
	v_cmp_gt_i32_e32 vcc_lo, s37, v25
	s_wait_alu 0xfffd
	v_cndmask_b32_e32 v29, 0, v29, vcc_lo
	v_cmp_gt_i32_e32 vcc_lo, s37, v26
	s_wait_alu 0xfffd
	;; [unrolled: 3-line block ×3, first 2 shown]
	v_dual_cndmask_b32 v28, 0, v31 :: v_dual_add_nc_u32 v25, v27, v57
	v_add_nc_u32_e32 v27, v29, v57
	v_add_nc_u32_e32 v29, v26, v57
	s_delay_alu instid0(VALU_DEP_3) | instskip(NEXT) | instid1(VALU_DEP_4)
	v_ashrrev_i32_e32 v26, 31, v25
	v_add_nc_u32_e32 v31, v28, v57
	s_delay_alu instid0(VALU_DEP_4) | instskip(NEXT) | instid1(VALU_DEP_4)
	v_ashrrev_i32_e32 v28, 31, v27
	v_ashrrev_i32_e32 v30, 31, v29
	s_delay_alu instid0(VALU_DEP_4) | instskip(NEXT) | instid1(VALU_DEP_4)
	v_lshlrev_b64_e32 v[25:26], 3, v[25:26]
	v_ashrrev_i32_e32 v32, 31, v31
	s_delay_alu instid0(VALU_DEP_4) | instskip(NEXT) | instid1(VALU_DEP_4)
	v_lshlrev_b64_e32 v[27:28], 3, v[27:28]
	v_lshlrev_b64_e32 v[29:30], 3, v[29:30]
	s_delay_alu instid0(VALU_DEP_4) | instskip(NEXT) | instid1(VALU_DEP_4)
	v_add_co_u32 v55, vcc_lo, s28, v25
	v_lshlrev_b64_e32 v[31:32], 3, v[31:32]
	s_wait_alu 0xfffd
	v_add_co_ci_u32_e64 v56, null, s29, v26, vcc_lo
	v_add_co_u32 v53, vcc_lo, s28, v27
	s_wait_alu 0xfffd
	v_add_co_ci_u32_e64 v54, null, s29, v28, vcc_lo
	v_add_co_u32 v51, vcc_lo, s28, v29
	;; [unrolled: 3-line block ×3, first 2 shown]
	s_wait_alu 0xfffd
	v_add_co_ci_u32_e64 v50, null, s29, v32, vcc_lo
	s_clause 0x3
	global_load_b64 v[31:32], v[55:56], off
	global_load_b64 v[29:30], v[53:54], off
	;; [unrolled: 1-line block ×4, first 2 shown]
	s_and_saveexec_b32 s28, s2
	s_cbranch_execz .LBB112_44
; %bb.39:                               ;   in Loop: Header=BB112_6 Depth=1
	s_clause 0x3
	global_load_b64 v[39:40], v[55:56], off offset:512
	global_load_b64 v[37:38], v[53:54], off offset:512
	global_load_b64 v[35:36], v[51:52], off offset:512
	global_load_b64 v[33:34], v[49:50], off offset:512
	s_and_saveexec_b32 s29, s3
	s_cbranch_execz .LBB112_43
; %bb.40:                               ;   in Loop: Header=BB112_6 Depth=1
	s_clause 0x3
	global_load_b64 v[47:48], v[55:56], off offset:1024
	global_load_b64 v[45:46], v[53:54], off offset:1024
	global_load_b64 v[43:44], v[51:52], off offset:1024
	global_load_b64 v[41:42], v[49:50], off offset:1024
	s_and_saveexec_b32 s40, s4
	s_cbranch_execz .LBB112_42
; %bb.41:                               ;   in Loop: Header=BB112_6 Depth=1
	s_clause 0x3
	global_load_b64 v[55:56], v[55:56], off offset:1536
	global_load_b64 v[53:54], v[53:54], off offset:1536
	global_load_b64 v[51:52], v[51:52], off offset:1536
	global_load_b64 v[49:50], v[49:50], off offset:1536
	s_wait_loadcnt 0x2
	v_dual_mul_f32 v65, v18, v56 :: v_dual_mul_f32 v66, v20, v54
	v_mul_f32_e32 v56, v17, v56
	s_wait_loadcnt 0x1
	v_dual_mul_f32 v54, v19, v54 :: v_dual_mul_f32 v67, v22, v52
	s_delay_alu instid0(VALU_DEP_3)
	v_fma_f32 v65, v17, v55, -v65
	v_fma_f32 v66, v19, v53, -v66
	s_wait_loadcnt 0x0
	v_dual_fmac_f32 v56, v18, v55 :: v_dual_mul_f32 v55, v24, v50
	v_fmac_f32_e32 v54, v20, v53
	v_add_f32_e32 v9, v9, v65
	v_mul_f32_e32 v52, v21, v52
	v_fma_f32 v53, v21, v51, -v67
	s_delay_alu instid0(VALU_DEP_3) | instskip(SKIP_1) | instid1(VALU_DEP_2)
	v_dual_mul_f32 v50, v23, v50 :: v_dual_add_f32 v9, v66, v9
	v_add_f32_e32 v10, v10, v56
	v_fmac_f32_e32 v50, v24, v49
	s_delay_alu instid0(VALU_DEP_3) | instskip(NEXT) | instid1(VALU_DEP_3)
	v_dual_add_f32 v9, v53, v9 :: v_dual_fmac_f32 v52, v22, v51
	v_add_f32_e32 v10, v54, v10
	v_fma_f32 v51, v23, v49, -v55
	s_delay_alu instid0(VALU_DEP_1) | instskip(NEXT) | instid1(VALU_DEP_1)
	v_dual_add_f32 v9, v51, v9 :: v_dual_add_f32 v10, v52, v10
	v_add_f32_e32 v10, v50, v10
.LBB112_42:                             ;   in Loop: Header=BB112_6 Depth=1
	s_wait_alu 0xfffe
	s_or_b32 exec_lo, exec_lo, s40
	s_wait_loadcnt 0x2
	v_dual_mul_f32 v49, v18, v48 :: v_dual_mul_f32 v50, v20, v46
	v_mul_f32_e32 v48, v17, v48
	s_wait_loadcnt 0x1
	v_dual_mul_f32 v46, v19, v46 :: v_dual_mul_f32 v51, v22, v44
	s_delay_alu instid0(VALU_DEP_3)
	v_fma_f32 v49, v17, v47, -v49
	v_mul_f32_e32 v44, v21, v44
	v_fmac_f32_e32 v48, v18, v47
	v_fma_f32 v50, v19, v45, -v50
	s_wait_loadcnt 0x0
	v_mul_f32_e32 v47, v24, v42
	v_add_f32_e32 v11, v11, v49
	v_fmac_f32_e32 v46, v20, v45
	v_fma_f32 v45, v21, v43, -v51
	v_mul_f32_e32 v42, v23, v42
	v_fmac_f32_e32 v44, v22, v43
	v_dual_add_f32 v11, v50, v11 :: v_dual_add_f32 v12, v12, v48
	v_fma_f32 v43, v23, v41, -v47
	s_delay_alu instid0(VALU_DEP_2) | instskip(NEXT) | instid1(VALU_DEP_1)
	v_dual_fmac_f32 v42, v24, v41 :: v_dual_add_f32 v11, v45, v11
	v_dual_add_f32 v12, v46, v12 :: v_dual_add_f32 v11, v43, v11
	s_delay_alu instid0(VALU_DEP_1) | instskip(NEXT) | instid1(VALU_DEP_1)
	v_add_f32_e32 v12, v44, v12
	v_add_f32_e32 v12, v42, v12
.LBB112_43:                             ;   in Loop: Header=BB112_6 Depth=1
	s_wait_alu 0xfffe
	s_or_b32 exec_lo, exec_lo, s29
	s_wait_loadcnt 0x2
	v_dual_mul_f32 v41, v18, v40 :: v_dual_mul_f32 v42, v20, v38
	v_mul_f32_e32 v40, v17, v40
	s_wait_loadcnt 0x1
	v_dual_mul_f32 v38, v19, v38 :: v_dual_mul_f32 v43, v22, v36
	s_delay_alu instid0(VALU_DEP_3)
	v_fma_f32 v41, v17, v39, -v41
	v_fma_f32 v42, v19, v37, -v42
	s_wait_loadcnt 0x0
	v_dual_fmac_f32 v40, v18, v39 :: v_dual_mul_f32 v39, v24, v34
	v_fmac_f32_e32 v38, v20, v37
	v_add_f32_e32 v13, v13, v41
	v_mul_f32_e32 v36, v21, v36
	v_fma_f32 v37, v21, v35, -v43
	s_delay_alu instid0(VALU_DEP_3) | instskip(SKIP_1) | instid1(VALU_DEP_2)
	v_dual_mul_f32 v34, v23, v34 :: v_dual_add_f32 v13, v42, v13
	v_add_f32_e32 v14, v14, v40
	v_fmac_f32_e32 v34, v24, v33
	s_delay_alu instid0(VALU_DEP_3) | instskip(NEXT) | instid1(VALU_DEP_3)
	v_dual_add_f32 v13, v37, v13 :: v_dual_fmac_f32 v36, v22, v35
	v_add_f32_e32 v14, v38, v14
	v_fma_f32 v35, v23, v33, -v39
	s_delay_alu instid0(VALU_DEP_1) | instskip(NEXT) | instid1(VALU_DEP_1)
	v_dual_add_f32 v13, v35, v13 :: v_dual_add_f32 v14, v36, v14
	v_add_f32_e32 v14, v34, v14
.LBB112_44:                             ;   in Loop: Header=BB112_6 Depth=1
	s_wait_alu 0xfffe
	s_or_b32 exec_lo, exec_lo, s28
	s_wait_loadcnt 0x2
	v_dual_mul_f32 v33, v18, v32 :: v_dual_mul_f32 v34, v20, v30
	v_mul_f32_e32 v32, v17, v32
	s_wait_loadcnt 0x1
	v_dual_mul_f32 v30, v19, v30 :: v_dual_mul_f32 v35, v22, v28
	s_delay_alu instid0(VALU_DEP_3) | instskip(SKIP_2) | instid1(VALU_DEP_3)
	v_fma_f32 v17, v17, v31, -v33
	v_mul_f32_e32 v28, v21, v28
	v_fma_f32 v19, v19, v29, -v34
	v_add_f32_e32 v15, v15, v17
	s_wait_loadcnt 0x0
	v_dual_mul_f32 v17, v23, v26 :: v_dual_fmac_f32 v32, v18, v31
	v_mul_f32_e32 v18, v24, v26
	v_fmac_f32_e32 v28, v22, v27
	v_add_f32_e32 v15, v19, v15
	s_delay_alu instid0(VALU_DEP_4) | instskip(SKIP_4) | instid1(VALU_DEP_1)
	v_fmac_f32_e32 v17, v24, v25
	v_add_f32_e32 v16, v16, v32
	v_fma_f32 v18, v23, v25, -v18
	v_fmac_f32_e32 v30, v20, v29
	v_fma_f32 v20, v21, v27, -v35
	v_add_f32_e32 v15, v20, v15
	s_delay_alu instid0(VALU_DEP_1) | instskip(NEXT) | instid1(VALU_DEP_4)
	v_add_f32_e32 v15, v18, v15
	v_add_f32_e32 v16, v30, v16
	s_delay_alu instid0(VALU_DEP_1) | instskip(NEXT) | instid1(VALU_DEP_1)
	v_add_f32_e32 v16, v28, v16
	v_add_f32_e32 v16, v17, v16
.LBB112_45:                             ;   in Loop: Header=BB112_6 Depth=1
	s_wait_alu 0xfffe
	s_or_b32 exec_lo, exec_lo, s7
.LBB112_46:                             ;   in Loop: Header=BB112_6 Depth=1
	ds_store_2addr_stride64_b64 v0, v[15:16], v[13:14] offset1:1
	ds_store_2addr_stride64_b64 v0, v[11:12], v[9:10] offset0:2 offset1:3
	s_wait_storecnt 0x0
	s_wait_loadcnt_dscnt 0x0
	s_barrier_signal -1
	s_barrier_wait -1
	global_inv scope:SCOPE_SE
	s_and_saveexec_b32 s7, s5
	s_cbranch_execz .LBB112_4
; %bb.47:                               ;   in Loop: Header=BB112_6 Depth=1
	ds_load_2addr_stride64_b64 v[9:12], v59 offset1:4
	ds_load_2addr_stride64_b64 v[13:16], v59 offset0:8 offset1:12
	ds_load_2addr_stride64_b64 v[17:20], v59 offset0:16 offset1:20
	s_wait_dscnt 0x2
	v_dual_add_f32 v21, v9, v11 :: v_dual_add_f32 v22, v10, v12
	ds_load_2addr_stride64_b64 v[9:12], v59 offset0:24 offset1:28
	s_wait_dscnt 0x2
	v_dual_add_f32 v13, v21, v13 :: v_dual_add_f32 v14, v22, v14
	s_delay_alu instid0(VALU_DEP_1) | instskip(SKIP_3) | instid1(VALU_DEP_1)
	v_dual_add_f32 v21, v13, v15 :: v_dual_add_f32 v22, v14, v16
	ds_load_2addr_stride64_b64 v[13:16], v59 offset0:32 offset1:36
	s_wait_dscnt 0x2
	v_dual_add_f32 v17, v21, v17 :: v_dual_add_f32 v18, v22, v18
	v_dual_add_f32 v21, v17, v19 :: v_dual_add_f32 v22, v18, v20
	ds_load_2addr_stride64_b64 v[17:20], v59 offset0:40 offset1:44
	s_wait_dscnt 0x2
	v_dual_add_f32 v9, v21, v9 :: v_dual_add_f32 v10, v22, v10
	s_delay_alu instid0(VALU_DEP_1) | instskip(SKIP_3) | instid1(VALU_DEP_1)
	v_dual_add_f32 v21, v9, v11 :: v_dual_add_f32 v22, v10, v12
	ds_load_2addr_stride64_b64 v[9:12], v59 offset0:48 offset1:52
	s_wait_dscnt 0x2
	v_dual_add_f32 v13, v21, v13 :: v_dual_add_f32 v14, v22, v14
	v_dual_add_f32 v21, v13, v15 :: v_dual_add_f32 v22, v14, v16
	ds_load_2addr_stride64_b64 v[13:16], v59 offset0:56 offset1:60
	s_wait_dscnt 0x2
	v_dual_add_f32 v17, v21, v17 :: v_dual_add_f32 v18, v22, v18
	s_delay_alu instid0(VALU_DEP_1) | instskip(SKIP_1) | instid1(VALU_DEP_1)
	v_dual_add_f32 v17, v17, v19 :: v_dual_add_f32 v18, v18, v20
	s_wait_dscnt 0x1
	v_dual_add_f32 v9, v17, v9 :: v_dual_add_f32 v10, v18, v10
	s_delay_alu instid0(VALU_DEP_1) | instskip(SKIP_1) | instid1(VALU_DEP_1)
	v_dual_add_f32 v9, v9, v11 :: v_dual_add_f32 v10, v10, v12
	s_wait_dscnt 0x0
	v_dual_add_f32 v9, v9, v13 :: v_dual_add_f32 v10, v10, v14
	s_delay_alu instid0(VALU_DEP_1)
	v_dual_add_f32 v11, v9, v15 :: v_dual_add_f32 v12, v10, v16
	ds_store_b64 v59, v[11:12]
	s_and_b32 exec_lo, exec_lo, s6
	s_cbranch_execz .LBB112_4
; %bb.48:                               ;   in Loop: Header=BB112_6 Depth=1
	s_cmp_neq_f32 s47, 0
	v_mul_f32_e32 v10, s49, v12
	v_mul_f32_e32 v9, s50, v12
	s_cselect_b32 s28, -1, 0
	s_cmp_neq_f32 s48, 0
	s_delay_alu instid0(VALU_DEP_2) | instskip(NEXT) | instid1(VALU_DEP_2)
	v_fmac_f32_e32 v10, s50, v11
	v_fma_f32 v9, v11, s49, -v9
	s_cselect_b32 s29, -1, 0
	s_wait_alu 0xfffe
	s_or_b32 s28, s28, s29
	s_wait_alu 0xfffe
	s_and_not1_b32 vcc_lo, exec_lo, s28
	s_wait_alu 0xfffe
	s_cbranch_vccnz .LBB112_3
; %bb.49:                               ;   in Loop: Header=BB112_6 Depth=1
	v_add_co_u32 v11, vcc_lo, s26, v7
	s_wait_alu 0xfffd
	v_add_co_ci_u32_e64 v12, null, s27, v8, vcc_lo
	global_load_b64 v[11:12], v[11:12], off
	s_wait_loadcnt 0x0
	v_mul_f32_e32 v13, s48, v12
	v_mul_f32_e32 v12, s47, v12
	s_delay_alu instid0(VALU_DEP_1) | instskip(NEXT) | instid1(VALU_DEP_3)
	v_fmac_f32_e32 v12, s48, v11
	v_fma_f32 v13, s47, v11, -v13
	s_delay_alu instid0(VALU_DEP_1)
	v_dual_add_f32 v10, v10, v12 :: v_dual_add_f32 v9, v9, v13
	s_branch .LBB112_3
.LBB112_50:
	s_endpgm
	.section	.rodata,"a",@progbits
	.p2align	6, 0x0
	.amdhsa_kernel _ZL20rocblas_gemvn_kernelILi64ELi16Ei19rocblas_complex_numIfEPKS1_S1_EviiT3_lPKT2_lT1_lS7_lS8_lS4_lPT4_lS8_li
		.amdhsa_group_segment_fixed_size 32768
		.amdhsa_private_segment_fixed_size 0
		.amdhsa_kernarg_size 400
		.amdhsa_user_sgpr_count 2
		.amdhsa_user_sgpr_dispatch_ptr 0
		.amdhsa_user_sgpr_queue_ptr 0
		.amdhsa_user_sgpr_kernarg_segment_ptr 1
		.amdhsa_user_sgpr_dispatch_id 0
		.amdhsa_user_sgpr_private_segment_size 0
		.amdhsa_wavefront_size32 1
		.amdhsa_uses_dynamic_stack 0
		.amdhsa_enable_private_segment 0
		.amdhsa_system_sgpr_workgroup_id_x 1
		.amdhsa_system_sgpr_workgroup_id_y 0
		.amdhsa_system_sgpr_workgroup_id_z 1
		.amdhsa_system_sgpr_workgroup_info 0
		.amdhsa_system_vgpr_workitem_id 1
		.amdhsa_next_free_vgpr 73
		.amdhsa_next_free_sgpr 57
		.amdhsa_reserve_vcc 1
		.amdhsa_float_round_mode_32 0
		.amdhsa_float_round_mode_16_64 0
		.amdhsa_float_denorm_mode_32 3
		.amdhsa_float_denorm_mode_16_64 3
		.amdhsa_fp16_overflow 0
		.amdhsa_workgroup_processor_mode 1
		.amdhsa_memory_ordered 1
		.amdhsa_forward_progress 1
		.amdhsa_inst_pref_size 34
		.amdhsa_round_robin_scheduling 0
		.amdhsa_exception_fp_ieee_invalid_op 0
		.amdhsa_exception_fp_denorm_src 0
		.amdhsa_exception_fp_ieee_div_zero 0
		.amdhsa_exception_fp_ieee_overflow 0
		.amdhsa_exception_fp_ieee_underflow 0
		.amdhsa_exception_fp_ieee_inexact 0
		.amdhsa_exception_int_div_zero 0
	.end_amdhsa_kernel
	.section	.text._ZL20rocblas_gemvn_kernelILi64ELi16Ei19rocblas_complex_numIfEPKS1_S1_EviiT3_lPKT2_lT1_lS7_lS8_lS4_lPT4_lS8_li,"axG",@progbits,_ZL20rocblas_gemvn_kernelILi64ELi16Ei19rocblas_complex_numIfEPKS1_S1_EviiT3_lPKT2_lT1_lS7_lS8_lS4_lPT4_lS8_li,comdat
.Lfunc_end112:
	.size	_ZL20rocblas_gemvn_kernelILi64ELi16Ei19rocblas_complex_numIfEPKS1_S1_EviiT3_lPKT2_lT1_lS7_lS8_lS4_lPT4_lS8_li, .Lfunc_end112-_ZL20rocblas_gemvn_kernelILi64ELi16Ei19rocblas_complex_numIfEPKS1_S1_EviiT3_lPKT2_lT1_lS7_lS8_lS4_lPT4_lS8_li
                                        ; -- End function
	.set _ZL20rocblas_gemvn_kernelILi64ELi16Ei19rocblas_complex_numIfEPKS1_S1_EviiT3_lPKT2_lT1_lS7_lS8_lS4_lPT4_lS8_li.num_vgpr, 73
	.set _ZL20rocblas_gemvn_kernelILi64ELi16Ei19rocblas_complex_numIfEPKS1_S1_EviiT3_lPKT2_lT1_lS7_lS8_lS4_lPT4_lS8_li.num_agpr, 0
	.set _ZL20rocblas_gemvn_kernelILi64ELi16Ei19rocblas_complex_numIfEPKS1_S1_EviiT3_lPKT2_lT1_lS7_lS8_lS4_lPT4_lS8_li.numbered_sgpr, 57
	.set _ZL20rocblas_gemvn_kernelILi64ELi16Ei19rocblas_complex_numIfEPKS1_S1_EviiT3_lPKT2_lT1_lS7_lS8_lS4_lPT4_lS8_li.num_named_barrier, 0
	.set _ZL20rocblas_gemvn_kernelILi64ELi16Ei19rocblas_complex_numIfEPKS1_S1_EviiT3_lPKT2_lT1_lS7_lS8_lS4_lPT4_lS8_li.private_seg_size, 0
	.set _ZL20rocblas_gemvn_kernelILi64ELi16Ei19rocblas_complex_numIfEPKS1_S1_EviiT3_lPKT2_lT1_lS7_lS8_lS4_lPT4_lS8_li.uses_vcc, 1
	.set _ZL20rocblas_gemvn_kernelILi64ELi16Ei19rocblas_complex_numIfEPKS1_S1_EviiT3_lPKT2_lT1_lS7_lS8_lS4_lPT4_lS8_li.uses_flat_scratch, 0
	.set _ZL20rocblas_gemvn_kernelILi64ELi16Ei19rocblas_complex_numIfEPKS1_S1_EviiT3_lPKT2_lT1_lS7_lS8_lS4_lPT4_lS8_li.has_dyn_sized_stack, 0
	.set _ZL20rocblas_gemvn_kernelILi64ELi16Ei19rocblas_complex_numIfEPKS1_S1_EviiT3_lPKT2_lT1_lS7_lS8_lS4_lPT4_lS8_li.has_recursion, 0
	.set _ZL20rocblas_gemvn_kernelILi64ELi16Ei19rocblas_complex_numIfEPKS1_S1_EviiT3_lPKT2_lT1_lS7_lS8_lS4_lPT4_lS8_li.has_indirect_call, 0
	.section	.AMDGPU.csdata,"",@progbits
; Kernel info:
; codeLenInByte = 4284
; TotalNumSgprs: 59
; NumVgprs: 73
; ScratchSize: 0
; MemoryBound: 0
; FloatMode: 240
; IeeeMode: 1
; LDSByteSize: 32768 bytes/workgroup (compile time only)
; SGPRBlocks: 0
; VGPRBlocks: 9
; NumSGPRsForWavesPerEU: 59
; NumVGPRsForWavesPerEU: 73
; Occupancy: 16
; WaveLimiterHint : 1
; COMPUTE_PGM_RSRC2:SCRATCH_EN: 0
; COMPUTE_PGM_RSRC2:USER_SGPR: 2
; COMPUTE_PGM_RSRC2:TRAP_HANDLER: 0
; COMPUTE_PGM_RSRC2:TGID_X_EN: 1
; COMPUTE_PGM_RSRC2:TGID_Y_EN: 0
; COMPUTE_PGM_RSRC2:TGID_Z_EN: 1
; COMPUTE_PGM_RSRC2:TIDIG_COMP_CNT: 1
	.section	.text._ZL20rocblas_gemvn_kernelILi64ELi16El19rocblas_complex_numIfEPKS1_S1_EviiT3_lPKT2_lT1_lS7_lS8_lS4_lPT4_lS8_li,"axG",@progbits,_ZL20rocblas_gemvn_kernelILi64ELi16El19rocblas_complex_numIfEPKS1_S1_EviiT3_lPKT2_lT1_lS7_lS8_lS4_lPT4_lS8_li,comdat
	.globl	_ZL20rocblas_gemvn_kernelILi64ELi16El19rocblas_complex_numIfEPKS1_S1_EviiT3_lPKT2_lT1_lS7_lS8_lS4_lPT4_lS8_li ; -- Begin function _ZL20rocblas_gemvn_kernelILi64ELi16El19rocblas_complex_numIfEPKS1_S1_EviiT3_lPKT2_lT1_lS7_lS8_lS4_lPT4_lS8_li
	.p2align	8
	.type	_ZL20rocblas_gemvn_kernelILi64ELi16El19rocblas_complex_numIfEPKS1_S1_EviiT3_lPKT2_lT1_lS7_lS8_lS4_lPT4_lS8_li,@function
_ZL20rocblas_gemvn_kernelILi64ELi16El19rocblas_complex_numIfEPKS1_S1_EviiT3_lPKT2_lT1_lS7_lS8_lS4_lPT4_lS8_li: ; @_ZL20rocblas_gemvn_kernelILi64ELi16El19rocblas_complex_numIfEPKS1_S1_EviiT3_lPKT2_lT1_lS7_lS8_lS4_lPT4_lS8_li
; %bb.0:
	s_load_b64 s[2:3], s[0:1], 0x9c
	s_wait_kmcnt 0x0
	s_lshr_b32 s4, s2, 16
	s_and_b32 s2, s2, 0xffff
	s_and_b32 s3, s3, 0xffff
	s_mul_i32 s2, s4, s2
	s_delay_alu instid0(SALU_CYCLE_1) | instskip(NEXT) | instid1(SALU_CYCLE_1)
	s_mul_i32 s2, s2, s3
	s_cmp_lg_u32 s2, 0x400
	s_cbranch_scc1 .LBB113_50
; %bb.1:
	s_load_b32 s33, s[0:1], 0x88
	s_lshr_b32 s10, ttmp7, 16
	s_wait_kmcnt 0x0
	s_cmp_ge_u32 s10, s33
	s_cbranch_scc1 .LBB113_50
; %bb.2:
	s_clause 0x2
	s_load_b512 s[12:27], s[0:1], 0x8
	s_load_b512 s[36:51], s[0:1], 0x48
	s_load_b64 s[8:9], s[0:1], 0x0
	v_dual_mov_b32 v1, 0 :: v_dual_and_b32 v10, 0x3ff, v0
	v_bfe_u32 v19, v0, 10, 10
	s_lshl_b32 s30, ttmp9, 8
	s_delay_alu instid0(VALU_DEP_2) | instid1(SALU_CYCLE_1)
	v_add_nc_u32_e32 v4, s30, v10
	s_delay_alu instid0(VALU_DEP_2) | instskip(NEXT) | instid1(VALU_DEP_2)
	v_lshl_add_u32 v12, v19, 6, v10
	v_add_nc_u32_e32 v2, 64, v4
	s_delay_alu instid0(VALU_DEP_2) | instskip(SKIP_2) | instid1(VALU_DEP_1)
	v_add_nc_u32_e32 v0, s30, v12
	s_wait_kmcnt 0x0
	s_lshl_b64 s[4:5], s[18:19], 3
	v_mad_co_u64_u32 v[6:7], null, s48, v0, 0
	v_add_nc_u32_e32 v3, 0x80, v4
	v_cmp_gt_i32_e64 s1, s8, v2
	s_ashr_i32 s11, s9, 31
	s_add_nc_u64 s[16:17], s[16:17], s[4:5]
	s_lshr_b32 s4, s11, 26
	s_lshl_b64 s[6:7], s[26:27], 3
	v_mov_b32_e32 v2, v7
	v_cmp_gt_i32_e64 s2, s8, v3
	s_add_co_i32 s52, s9, s4
	s_lshl_b64 s[26:27], s[46:47], 3
	s_and_not1_b32 s52, s52, 63
	v_mad_co_u64_u32 v[2:3], null, s49, v0, v[2:3]
	s_sub_co_i32 s5, s9, s52
	s_ashr_i32 s29, s8, 31
	s_cmp_gt_i32 s5, 0
	s_add_nc_u64 s[18:19], s[24:25], s[6:7]
	s_cselect_b32 s53, -1, 0
	s_ashr_i32 s7, s30, 31
	v_dual_mov_b32 v7, v2 :: v_dual_add_nc_u32 v8, 0xc0, v4
	s_mul_i32 s7, s48, s7
	s_mov_b32 s28, s8
	v_cmp_gt_u32_e64 s5, 0x100, v12
	v_cmp_gt_i64_e32 vcc_lo, s[28:29], v[0:1]
	v_cmp_gt_i32_e64 s3, s8, v8
	v_mad_co_u64_u32 v[8:9], null, s36, v19, 0
	v_lshlrev_b32_e32 v13, 3, v10
	v_ashrrev_i32_e32 v5, 31, v4
	s_and_b32 s54, s5, vcc_lo
	v_cmp_gt_i32_e64 s0, s8, v4
	v_lshlrev_b64_e32 v[6:7], 3, v[6:7]
	s_add_nc_u64 s[24:25], s[44:45], s[26:27]
	v_mov_b32_e32 v2, v9
	v_or_b32_e32 v9, s30, v12
	v_lshl_add_u32 v0, v19, 11, v13
	v_lshl_add_u32 v61, v19, 9, v13
	v_mad_co_u64_u32 v[12:13], null, s20, v19, 0
	v_mad_co_u64_u32 v[2:3], null, s37, v19, v[2:3]
	v_lshlrev_b32_e32 v60, 2, v19
	v_mul_lo_u32 v3, s49, v9
	v_mad_co_u64_u32 v[10:11], null, s48, v9, 0
	v_cmp_gt_i32_e64 s6, s8, v9
	v_lshlrev_b64_e32 v[4:5], 3, v[4:5]
	v_mov_b32_e32 v9, v2
	v_or_b32_e32 v16, 3, v60
	v_or_b32_e32 v21, 2, v60
	v_cmp_gt_i32_e64 s4, s52, v60
	v_add3_u32 v11, v11, s7, v3
	v_lshlrev_b64_e32 v[2:3], 5, v[8:9]
	v_mad_co_u64_u32 v[8:9], null, s20, v16, 0
	v_mad_co_u64_u32 v[14:15], null, s20, v21, 0
	s_mov_b32 s11, 0
	v_add_co_u32 v2, vcc_lo, s18, v2
	s_delay_alu instid0(VALU_DEP_1)
	v_add_co_ci_u32_e64 v3, null, s19, v3, vcc_lo
	v_mad_co_u64_u32 v[16:17], null, s21, v16, v[9:10]
	v_mad_co_u64_u32 v[17:18], null, s20, v60, s[20:21]
	;; [unrolled: 1-line block ×3, first 2 shown]
	v_mov_b32_e32 v13, v15
	s_lshl_b64 s[26:27], s[38:39], 3
	s_delay_alu instid0(VALU_DEP_4) | instskip(SKIP_3) | instid1(VALU_DEP_4)
	v_mov_b32_e32 v9, v16
	s_lshl_b64 s[28:29], s[36:37], 9
	s_lshl_b64 s[30:31], s[22:23], 3
	v_mad_co_u64_u32 v[15:16], null, s21, v21, v[13:14]
	v_dual_mov_b32 v16, v18 :: v_dual_mov_b32 v13, v19
	v_lshlrev_b64_e32 v[8:9], 3, v[8:9]
	s_lshl_b64 s[34:35], s[20:21], 9
	s_lshl_b64 s[44:45], s[36:37], 3
	s_delay_alu instid0(VALU_DEP_2) | instskip(SKIP_1) | instid1(VALU_DEP_3)
	v_mad_co_u64_u32 v[18:19], null, s21, v60, v[16:17]
	v_lshlrev_b64_e32 v[12:13], 5, v[12:13]
	v_add_co_u32 v62, vcc_lo, s16, v8
	s_wait_alu 0xfffd
	v_add_co_ci_u32_e64 v63, null, s17, v9, vcc_lo
	v_lshlrev_b64_e32 v[8:9], 3, v[14:15]
	s_delay_alu instid0(VALU_DEP_4) | instskip(SKIP_3) | instid1(VALU_DEP_4)
	v_add_co_u32 v64, vcc_lo, s16, v12
	s_wait_alu 0xfffd
	v_add_co_ci_u32_e64 v65, null, s17, v13, vcc_lo
	v_lshlrev_b64_e32 v[12:13], 3, v[17:18]
	v_add_co_u32 v66, vcc_lo, s16, v8
	s_wait_alu 0xfffd
	v_add_co_ci_u32_e64 v67, null, s17, v9, vcc_lo
	v_lshlrev_b64_e32 v[8:9], 3, v[10:11]
	s_delay_alu instid0(VALU_DEP_4)
	v_add_co_u32 v68, vcc_lo, s16, v12
	s_wait_alu 0xfffd
	v_add_co_ci_u32_e64 v69, null, s17, v13, vcc_lo
	s_branch .LBB113_6
.LBB113_3:                              ;   in Loop: Header=BB113_6 Depth=1
	v_add_co_u32 v12, vcc_lo, s46, v8
	s_wait_alu 0xfffd
	v_add_co_ci_u32_e64 v13, null, s47, v9, vcc_lo
	global_store_b64 v[12:13], v[10:11], off
.LBB113_4:                              ;   in Loop: Header=BB113_6 Depth=1
	s_wait_alu 0xfffe
	s_or_b32 exec_lo, exec_lo, s7
.LBB113_5:                              ;   in Loop: Header=BB113_6 Depth=1
	s_add_co_i32 s10, s10, 0x10000
	s_wait_alu 0xfffe
	s_cmp_lt_u32 s10, s33
	s_cbranch_scc0 .LBB113_50
.LBB113_6:                              ; =>This Loop Header: Depth=1
                                        ;     Child Loop BB113_22 Depth 2
	s_mul_u64 s[46:47], s[14:15], s[10:11]
	s_wait_alu 0xfffe
	s_lshl_b64 s[46:47], s[46:47], 3
	s_wait_alu 0xfffe
	s_add_nc_u64 s[46:47], s[12:13], s[46:47]
	global_load_b64 v[10:11], v1, s[46:47]
	s_mul_u64 s[46:47], s[42:43], s[10:11]
	s_wait_alu 0xfffe
	s_lshl_b64 s[46:47], s[46:47], 3
	s_wait_alu 0xfffe
	s_add_nc_u64 s[46:47], s[40:41], s[46:47]
	global_load_b64 v[12:13], v1, s[46:47]
	s_wait_loadcnt 0x1
	v_readfirstlane_b32 s57, v10
	v_readfirstlane_b32 s58, v11
	s_cmp_neq_f32 s57, 0
	s_wait_loadcnt 0x0
	v_readfirstlane_b32 s55, v12
	v_readfirstlane_b32 s56, v13
	s_cselect_b32 s7, -1, 0
	s_cmp_neq_f32 s58, 0
	s_cselect_b32 s8, -1, 0
	s_wait_alu 0xfffe
	s_or_b32 s7, s7, s8
	s_wait_alu 0xfffe
	s_and_b32 vcc_lo, exec_lo, s7
	s_mov_b32 s7, -1
	s_wait_alu 0xfffe
	s_cbranch_vccnz .LBB113_8
; %bb.7:                                ;   in Loop: Header=BB113_6 Depth=1
	s_cmp_neq_f32 s55, 1.0
	s_cselect_b32 s7, -1, 0
	s_cmp_neq_f32 s56, 0
	s_cselect_b32 s8, -1, 0
	s_wait_alu 0xfffe
	s_or_b32 s7, s7, s8
.LBB113_8:                              ;   in Loop: Header=BB113_6 Depth=1
	s_wait_alu 0xfffe
	s_and_not1_b32 vcc_lo, exec_lo, s7
	s_wait_alu 0xfffe
	s_cbranch_vccnz .LBB113_5
; %bb.9:                                ;   in Loop: Header=BB113_6 Depth=1
	s_mul_u64 s[46:47], s[50:51], s[10:11]
	s_or_b32 s7, s57, s58
	s_wait_alu 0xfffe
	s_lshl_b64 s[46:47], s[46:47], 3
	s_bitset0_b32 s7, 31
	s_wait_alu 0xfffe
	s_add_nc_u64 s[46:47], s[24:25], s[46:47]
	s_cmp_lg_u32 s7, 0
	s_mov_b32 s7, -1
	s_cbranch_scc1 .LBB113_15
; %bb.10:                               ;   in Loop: Header=BB113_6 Depth=1
	s_and_saveexec_b32 s7, s54
	s_cbranch_execz .LBB113_14
; %bb.11:                               ;   in Loop: Header=BB113_6 Depth=1
	s_cmp_neq_f32 s55, 0
	v_dual_mov_b32 v10, 0 :: v_dual_mov_b32 v11, 0
	s_cselect_b32 s8, -1, 0
	s_cmp_neq_f32 s56, 0
	s_cselect_b32 s48, -1, 0
	s_wait_alu 0xfffe
	s_or_b32 s8, s8, s48
	s_wait_alu 0xfffe
	s_and_not1_b32 vcc_lo, exec_lo, s8
	s_wait_alu 0xfffe
	s_cbranch_vccnz .LBB113_13
; %bb.12:                               ;   in Loop: Header=BB113_6 Depth=1
	v_add_co_u32 v10, vcc_lo, s46, v6
	s_wait_alu 0xfffd
	v_add_co_ci_u32_e64 v11, null, s47, v7, vcc_lo
	global_load_b64 v[12:13], v[10:11], off
	s_wait_loadcnt 0x0
	v_mul_f32_e32 v11, s55, v13
	s_delay_alu instid0(VALU_DEP_1) | instskip(NEXT) | instid1(VALU_DEP_1)
	v_dual_mul_f32 v10, s56, v13 :: v_dual_fmac_f32 v11, s56, v12
	v_fma_f32 v10, s55, v12, -v10
.LBB113_13:                             ;   in Loop: Header=BB113_6 Depth=1
	v_add_co_u32 v12, vcc_lo, s46, v6
	s_wait_alu 0xfffd
	v_add_co_ci_u32_e64 v13, null, s47, v7, vcc_lo
	global_store_b64 v[12:13], v[10:11], off
.LBB113_14:                             ;   in Loop: Header=BB113_6 Depth=1
	s_wait_alu 0xfffe
	s_or_b32 exec_lo, exec_lo, s7
	s_mov_b32 s7, 0
.LBB113_15:                             ;   in Loop: Header=BB113_6 Depth=1
	s_wait_alu 0xfffe
	s_and_not1_b32 vcc_lo, exec_lo, s7
	s_wait_alu 0xfffe
	s_cbranch_vccnz .LBB113_5
; %bb.16:                               ;   in Loop: Header=BB113_6 Depth=1
	v_dual_mov_b32 v11, 0 :: v_dual_mov_b32 v70, v60
	v_dual_mov_b32 v10, 0 :: v_dual_mov_b32 v13, 0
	;; [unrolled: 1-line block ×4, first 2 shown]
	v_mov_b32_e32 v16, 0
	s_and_saveexec_b32 s8, s4
	s_cbranch_execz .LBB113_28
; %bb.17:                               ;   in Loop: Header=BB113_6 Depth=1
	v_mad_co_u64_u32 v[18:19], null, s26, s10, v[2:3]
	v_mov_b32_e32 v11, 0
	s_mul_u64 s[48:49], s[30:31], s[10:11]
	v_mov_b32_e32 v70, v60
	s_wait_alu 0xfffe
	v_add_co_u32 v71, vcc_lo, v62, s48
	s_wait_alu 0xfffd
	v_add_co_ci_u32_e64 v72, null, s49, v63, vcc_lo
	v_mov_b32_e32 v10, v19
	v_add_co_u32 v73, vcc_lo, v64, s48
	s_wait_alu 0xfffd
	v_add_co_ci_u32_e64 v74, null, s49, v65, vcc_lo
	s_delay_alu instid0(VALU_DEP_3) | instskip(SKIP_4) | instid1(VALU_DEP_4)
	v_mad_co_u64_u32 v[12:13], null, s27, s10, v[10:11]
	v_add_co_u32 v75, vcc_lo, v66, s48
	s_wait_alu 0xfffd
	v_add_co_ci_u32_e64 v76, null, s49, v67, vcc_lo
	v_add_co_u32 v77, vcc_lo, v68, s48
	v_mov_b32_e32 v19, v12
	s_wait_alu 0xfffd
	v_add_co_ci_u32_e64 v78, null, s49, v69, vcc_lo
	v_dual_mov_b32 v10, v11 :: v_dual_mov_b32 v13, v11
	v_dual_mov_b32 v12, v11 :: v_dual_mov_b32 v15, v11
	;; [unrolled: 1-line block ×3, first 2 shown]
	v_mov_b32_e32 v16, v11
	s_mov_b32 s48, 0
	s_branch .LBB113_22
.LBB113_18:                             ;   in Loop: Header=BB113_22 Depth=2
	s_wait_alu 0xfffe
	s_or_b32 exec_lo, exec_lo, s60
	s_wait_loadcnt 0x3
	v_mul_f32_e32 v52, v33, v51
	s_wait_loadcnt 0x1
	v_dual_mul_f32 v53, v29, v49 :: v_dual_mul_f32 v54, v23, v47
	v_mul_f32_e32 v49, v28, v49
	v_mul_f32_e32 v51, v32, v51
	v_fma_f32 v52, v32, v50, -v52
	v_mul_f32_e32 v47, v22, v47
	v_fma_f32 v53, v28, v48, -v53
	v_fmac_f32_e32 v49, v29, v48
	v_fma_f32 v48, v22, v46, -v54
	s_delay_alu instid0(VALU_DEP_4) | instskip(NEXT) | instid1(VALU_DEP_1)
	v_dual_add_f32 v12, v12, v52 :: v_dual_fmac_f32 v47, v23, v46
	v_add_f32_e32 v12, v53, v12
	v_fmac_f32_e32 v51, v33, v50
	s_wait_loadcnt 0x0
	v_mul_f32_e32 v50, v21, v45
	v_mul_f32_e32 v45, v20, v45
	v_add_f32_e32 v12, v48, v12
	s_delay_alu instid0(VALU_DEP_3) | instskip(SKIP_1) | instid1(VALU_DEP_4)
	v_fma_f32 v46, v20, v44, -v50
	v_add_f32_e32 v13, v13, v51
	v_fmac_f32_e32 v45, v21, v44
	s_delay_alu instid0(VALU_DEP_2) | instskip(NEXT) | instid1(VALU_DEP_1)
	v_dual_add_f32 v12, v46, v12 :: v_dual_add_f32 v13, v49, v13
	v_add_f32_e32 v13, v47, v13
	s_delay_alu instid0(VALU_DEP_1)
	v_add_f32_e32 v13, v45, v13
.LBB113_19:                             ;   in Loop: Header=BB113_22 Depth=2
	s_wait_alu 0xfffe
	s_or_b32 exec_lo, exec_lo, s59
	s_wait_loadcnt 0x3
	v_mul_f32_e32 v44, v33, v43
	v_mul_f32_e32 v43, v32, v43
	s_wait_loadcnt 0x1
	v_dual_mul_f32 v45, v29, v41 :: v_dual_mul_f32 v46, v23, v39
	v_mul_f32_e32 v41, v28, v41
	v_fma_f32 v44, v32, v42, -v44
	v_fmac_f32_e32 v43, v33, v42
	s_delay_alu instid0(VALU_DEP_4) | instskip(SKIP_4) | instid1(VALU_DEP_2)
	v_fma_f32 v45, v28, v40, -v45
	s_wait_loadcnt 0x0
	v_mul_f32_e32 v42, v21, v37
	v_dual_mul_f32 v37, v20, v37 :: v_dual_add_f32 v14, v14, v44
	v_mul_f32_e32 v39, v22, v39
	v_fmac_f32_e32 v37, v21, v36
	s_delay_alu instid0(VALU_DEP_3) | instskip(SKIP_4) | instid1(VALU_DEP_3)
	v_add_f32_e32 v14, v45, v14
	v_fmac_f32_e32 v41, v29, v40
	v_fma_f32 v40, v22, v38, -v46
	v_fmac_f32_e32 v39, v23, v38
	v_fma_f32 v38, v20, v36, -v42
	v_dual_add_f32 v14, v40, v14 :: v_dual_add_f32 v15, v15, v43
	s_delay_alu instid0(VALU_DEP_1) | instskip(NEXT) | instid1(VALU_DEP_1)
	v_dual_add_f32 v14, v38, v14 :: v_dual_add_f32 v15, v41, v15
	v_add_f32_e32 v15, v39, v15
	s_delay_alu instid0(VALU_DEP_1)
	v_add_f32_e32 v15, v37, v15
.LBB113_20:                             ;   in Loop: Header=BB113_22 Depth=2
	s_wait_alu 0xfffe
	s_or_b32 exec_lo, exec_lo, s49
	s_wait_loadcnt 0x1
	v_mul_f32_e32 v38, v23, v27
	v_mul_f32_e32 v36, v33, v35
	;; [unrolled: 1-line block ×3, first 2 shown]
	s_delay_alu instid0(VALU_DEP_3) | instskip(SKIP_1) | instid1(VALU_DEP_1)
	v_fma_f32 v22, v22, v26, -v38
	v_mul_f32_e32 v35, v32, v35
	v_fmac_f32_e32 v35, v33, v34
	s_wait_loadcnt 0x0
	v_mul_f32_e32 v33, v21, v25
	v_mul_f32_e32 v25, v20, v25
	v_fma_f32 v32, v32, v34, -v36
	v_mul_f32_e32 v37, v29, v31
	v_mul_f32_e32 v31, v28, v31
	v_add_f32_e32 v17, v17, v35
	v_fma_f32 v20, v20, v24, -v33
	v_add_f32_e32 v16, v16, v32
	v_fma_f32 v28, v28, v30, -v37
	v_fmac_f32_e32 v31, v29, v30
	v_fmac_f32_e32 v25, v21, v24
	s_delay_alu instid0(VALU_DEP_3) | instskip(NEXT) | instid1(VALU_DEP_1)
	v_dual_add_f32 v16, v28, v16 :: v_dual_fmac_f32 v27, v23, v26
	v_dual_add_f32 v17, v31, v17 :: v_dual_add_f32 v16, v22, v16
	s_delay_alu instid0(VALU_DEP_1) | instskip(NEXT) | instid1(VALU_DEP_1)
	v_dual_add_f32 v17, v27, v17 :: v_dual_add_f32 v16, v20, v16
	v_add_f32_e32 v17, v25, v17
.LBB113_21:                             ;   in Loop: Header=BB113_22 Depth=2
	s_wait_alu 0xfffe
	s_or_b32 exec_lo, exec_lo, s7
	v_add_co_u32 v18, vcc_lo, v18, s28
	s_wait_alu 0xfffd
	v_add_co_ci_u32_e64 v19, null, s29, v19, vcc_lo
	v_add_co_u32 v71, vcc_lo, v71, s34
	v_add_nc_u32_e32 v70, 64, v70
	s_wait_alu 0xfffd
	v_add_co_ci_u32_e64 v72, null, s35, v72, vcc_lo
	v_add_co_u32 v73, vcc_lo, v73, s34
	s_wait_alu 0xfffd
	v_add_co_ci_u32_e64 v74, null, s35, v74, vcc_lo
	v_add_co_u32 v75, vcc_lo, v75, s34
	s_wait_alu 0xfffd
	v_add_co_ci_u32_e64 v76, null, s35, v76, vcc_lo
	v_cmp_le_i32_e32 vcc_lo, s52, v70
	v_add_co_u32 v77, s7, v77, s34
	s_wait_alu 0xf1ff
	v_add_co_ci_u32_e64 v78, null, s35, v78, s7
	s_or_b32 s48, vcc_lo, s48
	s_wait_alu 0xfffe
	s_and_not1_b32 exec_lo, exec_lo, s48
	s_cbranch_execz .LBB113_27
.LBB113_22:                             ;   Parent Loop BB113_6 Depth=1
                                        ; =>  This Inner Loop Header: Depth=2
	s_and_saveexec_b32 s7, s0
	s_cbranch_execz .LBB113_21
; %bb.23:                               ;   in Loop: Header=BB113_22 Depth=2
	v_add_co_u32 v20, vcc_lo, v18, s44
	s_wait_alu 0xfffd
	v_add_co_ci_u32_e64 v21, null, s45, v19, vcc_lo
	s_delay_alu instid0(VALU_DEP_2) | instskip(SKIP_1) | instid1(VALU_DEP_2)
	v_add_co_u32 v22, vcc_lo, v20, s44
	s_wait_alu 0xfffd
	v_add_co_ci_u32_e64 v23, null, s45, v21, vcc_lo
	s_delay_alu instid0(VALU_DEP_2) | instskip(SKIP_1) | instid1(VALU_DEP_2)
	v_add_co_u32 v24, vcc_lo, v22, s44
	s_wait_alu 0xfffd
	v_add_co_ci_u32_e64 v25, null, s45, v23, vcc_lo
	v_add_co_u32 v58, vcc_lo, v73, v4
	s_wait_alu 0xfffd
	v_add_co_ci_u32_e64 v59, null, v74, v5, vcc_lo
	;; [unrolled: 3-line block ×5, first 2 shown]
	s_clause 0x3
	global_load_b64 v[32:33], v[18:19], off
	global_load_b64 v[28:29], v[20:21], off
	;; [unrolled: 1-line block ×8, first 2 shown]
	s_and_saveexec_b32 s49, s1
	s_cbranch_execz .LBB113_20
; %bb.24:                               ;   in Loop: Header=BB113_22 Depth=2
	global_load_b64 v[42:43], v[58:59], off offset:512
	global_load_b64 v[40:41], v[56:57], off offset:512
	global_load_b64 v[38:39], v[54:55], off offset:512
	global_load_b64 v[36:37], v[52:53], off offset:512
	s_and_saveexec_b32 s59, s2
	s_cbranch_execz .LBB113_19
; %bb.25:                               ;   in Loop: Header=BB113_22 Depth=2
	global_load_b64 v[50:51], v[58:59], off offset:1024
	global_load_b64 v[48:49], v[56:57], off offset:1024
	global_load_b64 v[46:47], v[54:55], off offset:1024
	global_load_b64 v[44:45], v[52:53], off offset:1024
	;; [unrolled: 7-line block ×3, first 2 shown]
	s_wait_loadcnt 0x1
	v_dual_mul_f32 v80, v29, v57 :: v_dual_mul_f32 v81, v23, v55
	s_delay_alu instid0(VALU_DEP_1) | instskip(SKIP_2) | instid1(VALU_DEP_2)
	v_fma_f32 v80, v28, v56, -v80
	v_mul_f32_e32 v79, v33, v59
	v_mul_f32_e32 v59, v32, v59
	v_fma_f32 v79, v32, v58, -v79
	v_mul_f32_e32 v57, v28, v57
	s_delay_alu instid0(VALU_DEP_3)
	v_fmac_f32_e32 v59, v33, v58
	s_wait_loadcnt 0x0
	v_mul_f32_e32 v58, v21, v53
	v_dual_mul_f32 v53, v20, v53 :: v_dual_add_f32 v10, v10, v79
	v_fmac_f32_e32 v57, v29, v56
	v_fma_f32 v56, v22, v54, -v81
	v_add_f32_e32 v11, v11, v59
	s_delay_alu instid0(VALU_DEP_4) | instskip(NEXT) | instid1(VALU_DEP_1)
	v_dual_fmac_f32 v53, v21, v52 :: v_dual_add_f32 v10, v80, v10
	v_dual_mul_f32 v55, v22, v55 :: v_dual_add_f32 v10, v56, v10
	s_delay_alu instid0(VALU_DEP_1) | instskip(SKIP_1) | instid1(VALU_DEP_1)
	v_fmac_f32_e32 v55, v23, v54
	v_fma_f32 v54, v20, v52, -v58
	v_dual_add_f32 v10, v54, v10 :: v_dual_add_f32 v11, v57, v11
	s_delay_alu instid0(VALU_DEP_1) | instskip(NEXT) | instid1(VALU_DEP_1)
	v_add_f32_e32 v11, v55, v11
	v_add_f32_e32 v11, v53, v11
	s_branch .LBB113_18
.LBB113_27:                             ;   in Loop: Header=BB113_6 Depth=1
	s_or_b32 exec_lo, exec_lo, s48
.LBB113_28:                             ;   in Loop: Header=BB113_6 Depth=1
	s_wait_alu 0xfffe
	s_or_b32 exec_lo, exec_lo, s8
	s_delay_alu instid0(SALU_CYCLE_1)
	s_and_not1_b32 vcc_lo, exec_lo, s53
	s_wait_alu 0xfffe
	s_cbranch_vccnz .LBB113_46
; %bb.29:                               ;   in Loop: Header=BB113_6 Depth=1
	v_cmp_gt_i32_e32 vcc_lo, s9, v70
	v_dual_mov_b32 v18, 0 :: v_dual_mov_b32 v19, 0
	v_or_b32_e32 v26, 1, v70
	v_dual_mov_b32 v20, 0 :: v_dual_mov_b32 v21, 0
	v_dual_mov_b32 v22, 0 :: v_dual_mov_b32 v23, 0
	;; [unrolled: 1-line block ×3, first 2 shown]
	s_and_saveexec_b32 s8, vcc_lo
	s_cbranch_execz .LBB113_37
; %bb.30:                               ;   in Loop: Header=BB113_6 Depth=1
	v_mad_co_u64_u32 v[18:19], null, s36, v70, 0
	s_mul_u64 s[48:49], s[38:39], s[10:11]
	v_dual_mov_b32 v25, 0 :: v_dual_mov_b32 v24, 0
	s_wait_alu 0xfffe
	s_lshl_b64 s[48:49], s[48:49], 3
	v_dual_mov_b32 v23, 0 :: v_dual_mov_b32 v22, 0
	v_mad_co_u64_u32 v[19:20], null, s37, v70, v[19:20]
	s_wait_alu 0xfffe
	s_add_nc_u64 s[48:49], s[18:19], s[48:49]
	v_dual_mov_b32 v21, 0 :: v_dual_mov_b32 v20, 0
	s_mov_b32 s59, exec_lo
	s_delay_alu instid0(VALU_DEP_2) | instskip(SKIP_1) | instid1(VALU_DEP_1)
	v_lshlrev_b64_e32 v[18:19], 3, v[18:19]
	s_wait_alu 0xfffe
	v_add_co_u32 v18, s7, s48, v18
	s_wait_alu 0xf1ff
	s_delay_alu instid0(VALU_DEP_2)
	v_add_co_ci_u32_e64 v19, null, s49, v19, s7
	global_load_b64 v[18:19], v[18:19], off
	v_cmpx_gt_i32_e64 s9, v26
	s_cbranch_execz .LBB113_36
; %bb.31:                               ;   in Loop: Header=BB113_6 Depth=1
	v_mad_co_u64_u32 v[20:21], null, s36, v26, 0
	v_or_b32_e32 v27, 2, v70
	v_dual_mov_b32 v25, 0 :: v_dual_mov_b32 v24, 0
	v_mov_b32_e32 v23, 0
	s_mov_b32 s60, exec_lo
	s_delay_alu instid0(VALU_DEP_4) | instskip(SKIP_1) | instid1(VALU_DEP_2)
	v_mad_co_u64_u32 v[21:22], null, s37, v26, v[21:22]
	v_mov_b32_e32 v22, 0
	v_lshlrev_b64_e32 v[20:21], 3, v[20:21]
	s_delay_alu instid0(VALU_DEP_1) | instskip(SKIP_1) | instid1(VALU_DEP_2)
	v_add_co_u32 v20, s7, s48, v20
	s_wait_alu 0xf1ff
	v_add_co_ci_u32_e64 v21, null, s49, v21, s7
	global_load_b64 v[20:21], v[20:21], off
	v_cmpx_gt_i32_e64 s9, v27
	s_cbranch_execz .LBB113_35
; %bb.32:                               ;   in Loop: Header=BB113_6 Depth=1
	v_mad_co_u64_u32 v[22:23], null, s36, v27, 0
	v_mov_b32_e32 v25, 0
	s_mov_b32 s61, exec_lo
	s_delay_alu instid0(VALU_DEP_2) | instskip(SKIP_2) | instid1(VALU_DEP_3)
	v_mad_co_u64_u32 v[23:24], null, s37, v27, v[23:24]
	v_or_b32_e32 v27, 3, v70
	v_mov_b32_e32 v24, 0
	v_lshlrev_b64_e32 v[22:23], 3, v[22:23]
	s_delay_alu instid0(VALU_DEP_1) | instskip(SKIP_1) | instid1(VALU_DEP_2)
	v_add_co_u32 v22, s7, s48, v22
	s_wait_alu 0xf1ff
	v_add_co_ci_u32_e64 v23, null, s49, v23, s7
	global_load_b64 v[22:23], v[22:23], off
	v_cmpx_gt_i32_e64 s9, v27
	s_cbranch_execz .LBB113_34
; %bb.33:                               ;   in Loop: Header=BB113_6 Depth=1
	v_mad_co_u64_u32 v[24:25], null, s36, v27, 0
	s_delay_alu instid0(VALU_DEP_1) | instskip(NEXT) | instid1(VALU_DEP_1)
	v_mad_co_u64_u32 v[27:28], null, s37, v27, v[25:26]
	v_mov_b32_e32 v25, v27
	s_delay_alu instid0(VALU_DEP_1) | instskip(NEXT) | instid1(VALU_DEP_1)
	v_lshlrev_b64_e32 v[24:25], 3, v[24:25]
	v_add_co_u32 v24, s7, s48, v24
	s_wait_alu 0xf1ff
	s_delay_alu instid0(VALU_DEP_2)
	v_add_co_ci_u32_e64 v25, null, s49, v25, s7
	global_load_b64 v[24:25], v[24:25], off
.LBB113_34:                             ;   in Loop: Header=BB113_6 Depth=1
	s_wait_alu 0xfffe
	s_or_b32 exec_lo, exec_lo, s61
.LBB113_35:                             ;   in Loop: Header=BB113_6 Depth=1
	s_wait_alu 0xfffe
	s_or_b32 exec_lo, exec_lo, s60
.LBB113_36:                             ;   in Loop: Header=BB113_6 Depth=1
	s_delay_alu instid0(SALU_CYCLE_1)
	s_or_b32 exec_lo, exec_lo, s59
.LBB113_37:                             ;   in Loop: Header=BB113_6 Depth=1
	s_wait_alu 0xfffe
	s_or_b32 exec_lo, exec_lo, s8
	s_and_saveexec_b32 s48, s0
	s_cbranch_execz .LBB113_45
; %bb.38:                               ;   in Loop: Header=BB113_6 Depth=1
	v_mad_co_u64_u32 v[27:28], null, s20, v70, 0
	v_mad_co_u64_u32 v[29:30], null, s20, v26, 0
	v_or_b32_e32 v38, 2, v70
	v_or_b32_e32 v39, 3, v70
	s_mul_u64 s[60:61], s[22:23], s[10:11]
	s_wait_alu 0xfffe
	s_lshl_b64 s[60:61], s[60:61], 3
	v_cmp_gt_i32_e64 s7, s9, v38
	s_delay_alu instid0(VALU_DEP_4)
	v_mad_co_u64_u32 v[31:32], null, s21, v70, v[28:29]
	v_mad_co_u64_u32 v[32:33], null, s20, v38, 0
	;; [unrolled: 1-line block ×3, first 2 shown]
	v_cndmask_b32_e32 v27, 0, v27, vcc_lo
	s_wait_alu 0xfffe
	s_add_nc_u64 s[60:61], s[16:17], s[60:61]
	s_delay_alu instid0(VALU_DEP_4) | instskip(SKIP_4) | instid1(VALU_DEP_2)
	v_cndmask_b32_e32 v28, 0, v31, vcc_lo
	v_cmp_gt_i32_e32 vcc_lo, s9, v26
	v_mov_b32_e32 v31, v33
	s_wait_alu 0xfffd
	v_cndmask_b32_e32 v29, 0, v29, vcc_lo
	v_mad_co_u64_u32 v[36:37], null, s21, v26, v[30:31]
	v_mov_b32_e32 v26, v35
	v_lshlrev_b64_e32 v[27:28], 3, v[27:28]
	s_delay_alu instid0(VALU_DEP_3) | instskip(SKIP_1) | instid1(VALU_DEP_2)
	v_cndmask_b32_e32 v30, 0, v36, vcc_lo
	s_wait_alu 0xfffe
	v_add_co_u32 v27, s8, s60, v27
	s_wait_alu 0xf1ff
	s_delay_alu instid0(VALU_DEP_3) | instskip(SKIP_1) | instid1(VALU_DEP_3)
	v_add_co_ci_u32_e64 v28, null, s61, v28, s8
	v_mad_co_u64_u32 v[37:38], null, s21, v38, v[31:32]
	v_add_co_u32 v52, vcc_lo, v27, v4
	s_wait_alu 0xfffd
	s_delay_alu instid0(VALU_DEP_3) | instskip(SKIP_4) | instid1(VALU_DEP_4)
	v_add_co_ci_u32_e64 v53, null, v28, v5, vcc_lo
	v_lshlrev_b64_e32 v[27:28], 3, v[29:30]
	v_cndmask_b32_e64 v29, 0, v32, s7
	v_cndmask_b32_e64 v30, 0, v37, s7
	v_cmp_gt_i32_e32 vcc_lo, s9, v39
	v_mad_co_u64_u32 v[31:32], null, s21, v39, v[26:27]
	v_add_co_u32 v32, s7, s60, v27
	s_wait_alu 0xf1ff
	v_add_co_ci_u32_e64 v33, null, s61, v28, s7
	v_lshlrev_b64_e32 v[26:27], 3, v[29:30]
	s_wait_alu 0xfffd
	s_delay_alu instid0(VALU_DEP_4) | instskip(SKIP_3) | instid1(VALU_DEP_3)
	v_dual_cndmask_b32 v28, 0, v34 :: v_dual_cndmask_b32 v29, 0, v31
	v_add_co_u32 v54, vcc_lo, v32, v4
	s_wait_alu 0xfffd
	v_add_co_ci_u32_e64 v55, null, v33, v5, vcc_lo
	v_lshlrev_b64_e32 v[28:29], 3, v[28:29]
	v_add_co_u32 v26, vcc_lo, s60, v26
	s_wait_alu 0xfffd
	v_add_co_ci_u32_e64 v27, null, s61, v27, vcc_lo
	s_delay_alu instid0(VALU_DEP_3)
	v_add_co_u32 v28, vcc_lo, s60, v28
	s_wait_alu 0xfffd
	v_add_co_ci_u32_e64 v29, null, s61, v29, vcc_lo
	v_add_co_u32 v56, vcc_lo, v26, v4
	s_wait_alu 0xfffd
	v_add_co_ci_u32_e64 v57, null, v27, v5, vcc_lo
	;; [unrolled: 3-line block ×3, first 2 shown]
	s_clause 0x3
	global_load_b64 v[32:33], v[52:53], off
	global_load_b64 v[30:31], v[54:55], off
	;; [unrolled: 1-line block ×4, first 2 shown]
	s_and_saveexec_b32 s7, s1
	s_cbranch_execz .LBB113_44
; %bb.39:                               ;   in Loop: Header=BB113_6 Depth=1
	s_clause 0x3
	global_load_b64 v[40:41], v[52:53], off offset:512
	global_load_b64 v[38:39], v[54:55], off offset:512
	global_load_b64 v[36:37], v[56:57], off offset:512
	global_load_b64 v[34:35], v[50:51], off offset:512
	s_and_saveexec_b32 s8, s2
	s_cbranch_execz .LBB113_43
; %bb.40:                               ;   in Loop: Header=BB113_6 Depth=1
	s_clause 0x3
	global_load_b64 v[48:49], v[52:53], off offset:1024
	global_load_b64 v[46:47], v[54:55], off offset:1024
	global_load_b64 v[44:45], v[56:57], off offset:1024
	global_load_b64 v[42:43], v[50:51], off offset:1024
	;; [unrolled: 8-line block ×3, first 2 shown]
	s_wait_loadcnt 0x2
	v_dual_mul_f32 v58, v19, v53 :: v_dual_mul_f32 v59, v21, v55
	v_mul_f32_e32 v53, v18, v53
	s_wait_loadcnt 0x1
	v_dual_mul_f32 v55, v20, v55 :: v_dual_mul_f32 v70, v23, v57
	s_delay_alu instid0(VALU_DEP_3)
	v_fma_f32 v58, v18, v52, -v58
	v_fma_f32 v59, v20, v54, -v59
	s_wait_loadcnt 0x0
	v_dual_fmac_f32 v53, v19, v52 :: v_dual_mul_f32 v52, v25, v51
	v_fmac_f32_e32 v55, v21, v54
	v_add_f32_e32 v10, v10, v58
	v_mul_f32_e32 v57, v22, v57
	v_mul_f32_e32 v51, v24, v51
	v_fma_f32 v52, v24, v50, -v52
	s_delay_alu instid0(VALU_DEP_4) | instskip(SKIP_3) | instid1(VALU_DEP_2)
	v_add_f32_e32 v10, v59, v10
	v_add_f32_e32 v11, v11, v53
	v_fma_f32 v53, v22, v56, -v70
	v_fmac_f32_e32 v51, v25, v50
	v_dual_add_f32 v10, v53, v10 :: v_dual_fmac_f32 v57, v23, v56
	s_delay_alu instid0(VALU_DEP_1) | instskip(NEXT) | instid1(VALU_DEP_1)
	v_dual_add_f32 v11, v55, v11 :: v_dual_add_f32 v10, v52, v10
	v_add_f32_e32 v11, v57, v11
	s_delay_alu instid0(VALU_DEP_1)
	v_add_f32_e32 v11, v51, v11
.LBB113_42:                             ;   in Loop: Header=BB113_6 Depth=1
	s_wait_alu 0xfffe
	s_or_b32 exec_lo, exec_lo, s49
	s_wait_loadcnt 0x2
	v_dual_mul_f32 v50, v19, v49 :: v_dual_mul_f32 v51, v21, v47
	v_mul_f32_e32 v49, v18, v49
	s_wait_loadcnt 0x1
	v_dual_mul_f32 v47, v20, v47 :: v_dual_mul_f32 v52, v23, v45
	s_delay_alu instid0(VALU_DEP_3)
	v_fma_f32 v50, v18, v48, -v50
	v_mul_f32_e32 v45, v22, v45
	v_fmac_f32_e32 v49, v19, v48
	v_fma_f32 v51, v20, v46, -v51
	s_wait_loadcnt 0x0
	v_mul_f32_e32 v48, v25, v43
	v_add_f32_e32 v12, v12, v50
	v_fmac_f32_e32 v47, v21, v46
	v_fma_f32 v46, v22, v44, -v52
	v_mul_f32_e32 v43, v24, v43
	v_fmac_f32_e32 v45, v23, v44
	v_dual_add_f32 v12, v51, v12 :: v_dual_add_f32 v13, v13, v49
	v_fma_f32 v44, v24, v42, -v48
	s_delay_alu instid0(VALU_DEP_2) | instskip(NEXT) | instid1(VALU_DEP_1)
	v_dual_fmac_f32 v43, v25, v42 :: v_dual_add_f32 v12, v46, v12
	v_dual_add_f32 v13, v47, v13 :: v_dual_add_f32 v12, v44, v12
	s_delay_alu instid0(VALU_DEP_1) | instskip(NEXT) | instid1(VALU_DEP_1)
	v_add_f32_e32 v13, v45, v13
	v_add_f32_e32 v13, v43, v13
.LBB113_43:                             ;   in Loop: Header=BB113_6 Depth=1
	s_wait_alu 0xfffe
	s_or_b32 exec_lo, exec_lo, s8
	s_wait_loadcnt 0x2
	v_dual_mul_f32 v42, v19, v41 :: v_dual_mul_f32 v43, v21, v39
	v_mul_f32_e32 v41, v18, v41
	s_wait_loadcnt 0x1
	v_dual_mul_f32 v39, v20, v39 :: v_dual_mul_f32 v44, v23, v37
	s_delay_alu instid0(VALU_DEP_3)
	v_fma_f32 v42, v18, v40, -v42
	v_fma_f32 v43, v20, v38, -v43
	s_wait_loadcnt 0x0
	v_dual_fmac_f32 v41, v19, v40 :: v_dual_mul_f32 v40, v25, v35
	v_fmac_f32_e32 v39, v21, v38
	v_add_f32_e32 v14, v14, v42
	v_mul_f32_e32 v37, v22, v37
	v_fma_f32 v38, v22, v36, -v44
	s_delay_alu instid0(VALU_DEP_3) | instskip(SKIP_1) | instid1(VALU_DEP_2)
	v_dual_mul_f32 v35, v24, v35 :: v_dual_add_f32 v14, v43, v14
	v_add_f32_e32 v15, v15, v41
	v_fmac_f32_e32 v35, v25, v34
	s_delay_alu instid0(VALU_DEP_3) | instskip(NEXT) | instid1(VALU_DEP_3)
	v_dual_add_f32 v14, v38, v14 :: v_dual_fmac_f32 v37, v23, v36
	v_add_f32_e32 v15, v39, v15
	v_fma_f32 v36, v24, v34, -v40
	s_delay_alu instid0(VALU_DEP_1) | instskip(NEXT) | instid1(VALU_DEP_1)
	v_dual_add_f32 v14, v36, v14 :: v_dual_add_f32 v15, v37, v15
	v_add_f32_e32 v15, v35, v15
.LBB113_44:                             ;   in Loop: Header=BB113_6 Depth=1
	s_wait_alu 0xfffe
	s_or_b32 exec_lo, exec_lo, s7
	s_wait_loadcnt 0x2
	v_dual_mul_f32 v34, v19, v33 :: v_dual_mul_f32 v35, v21, v31
	v_mul_f32_e32 v33, v18, v33
	s_wait_loadcnt 0x1
	v_dual_mul_f32 v31, v20, v31 :: v_dual_mul_f32 v36, v23, v29
	s_delay_alu instid0(VALU_DEP_3) | instskip(SKIP_2) | instid1(VALU_DEP_3)
	v_fma_f32 v18, v18, v32, -v34
	v_mul_f32_e32 v29, v22, v29
	v_fma_f32 v20, v20, v30, -v35
	v_add_f32_e32 v16, v16, v18
	s_wait_loadcnt 0x0
	v_dual_mul_f32 v18, v24, v27 :: v_dual_fmac_f32 v33, v19, v32
	v_mul_f32_e32 v19, v25, v27
	v_fmac_f32_e32 v29, v23, v28
	v_add_f32_e32 v16, v20, v16
	s_delay_alu instid0(VALU_DEP_4) | instskip(SKIP_4) | instid1(VALU_DEP_1)
	v_fmac_f32_e32 v18, v25, v26
	v_add_f32_e32 v17, v17, v33
	v_fma_f32 v19, v24, v26, -v19
	v_fmac_f32_e32 v31, v21, v30
	v_fma_f32 v21, v22, v28, -v36
	v_add_f32_e32 v16, v21, v16
	s_delay_alu instid0(VALU_DEP_1) | instskip(NEXT) | instid1(VALU_DEP_4)
	v_add_f32_e32 v16, v19, v16
	v_add_f32_e32 v17, v31, v17
	s_delay_alu instid0(VALU_DEP_1) | instskip(NEXT) | instid1(VALU_DEP_1)
	v_add_f32_e32 v17, v29, v17
	v_add_f32_e32 v17, v18, v17
.LBB113_45:                             ;   in Loop: Header=BB113_6 Depth=1
	s_wait_alu 0xfffe
	s_or_b32 exec_lo, exec_lo, s48
.LBB113_46:                             ;   in Loop: Header=BB113_6 Depth=1
	ds_store_2addr_stride64_b64 v0, v[16:17], v[14:15] offset1:1
	ds_store_2addr_stride64_b64 v0, v[12:13], v[10:11] offset0:2 offset1:3
	s_wait_storecnt 0x0
	s_wait_loadcnt_dscnt 0x0
	s_barrier_signal -1
	s_barrier_wait -1
	global_inv scope:SCOPE_SE
	s_and_saveexec_b32 s7, s5
	s_cbranch_execz .LBB113_4
; %bb.47:                               ;   in Loop: Header=BB113_6 Depth=1
	ds_load_2addr_stride64_b64 v[10:13], v61 offset1:4
	ds_load_2addr_stride64_b64 v[14:17], v61 offset0:8 offset1:12
	ds_load_2addr_stride64_b64 v[18:21], v61 offset0:16 offset1:20
	s_wait_dscnt 0x2
	v_dual_add_f32 v22, v10, v12 :: v_dual_add_f32 v23, v11, v13
	ds_load_2addr_stride64_b64 v[10:13], v61 offset0:24 offset1:28
	s_wait_dscnt 0x2
	v_dual_add_f32 v14, v22, v14 :: v_dual_add_f32 v15, v23, v15
	s_delay_alu instid0(VALU_DEP_1) | instskip(SKIP_3) | instid1(VALU_DEP_1)
	v_dual_add_f32 v22, v14, v16 :: v_dual_add_f32 v23, v15, v17
	ds_load_2addr_stride64_b64 v[14:17], v61 offset0:32 offset1:36
	s_wait_dscnt 0x2
	v_dual_add_f32 v18, v22, v18 :: v_dual_add_f32 v19, v23, v19
	v_dual_add_f32 v22, v18, v20 :: v_dual_add_f32 v23, v19, v21
	ds_load_2addr_stride64_b64 v[18:21], v61 offset0:40 offset1:44
	s_wait_dscnt 0x2
	v_dual_add_f32 v10, v22, v10 :: v_dual_add_f32 v11, v23, v11
	s_delay_alu instid0(VALU_DEP_1) | instskip(SKIP_3) | instid1(VALU_DEP_1)
	v_dual_add_f32 v22, v10, v12 :: v_dual_add_f32 v23, v11, v13
	ds_load_2addr_stride64_b64 v[10:13], v61 offset0:48 offset1:52
	s_wait_dscnt 0x2
	v_dual_add_f32 v14, v22, v14 :: v_dual_add_f32 v15, v23, v15
	v_dual_add_f32 v22, v14, v16 :: v_dual_add_f32 v23, v15, v17
	ds_load_2addr_stride64_b64 v[14:17], v61 offset0:56 offset1:60
	s_wait_dscnt 0x2
	v_dual_add_f32 v18, v22, v18 :: v_dual_add_f32 v19, v23, v19
	s_delay_alu instid0(VALU_DEP_1) | instskip(SKIP_1) | instid1(VALU_DEP_1)
	v_dual_add_f32 v18, v18, v20 :: v_dual_add_f32 v19, v19, v21
	s_wait_dscnt 0x1
	v_dual_add_f32 v10, v18, v10 :: v_dual_add_f32 v11, v19, v11
	s_delay_alu instid0(VALU_DEP_1) | instskip(SKIP_1) | instid1(VALU_DEP_1)
	v_dual_add_f32 v10, v10, v12 :: v_dual_add_f32 v11, v11, v13
	s_wait_dscnt 0x0
	v_dual_add_f32 v10, v10, v14 :: v_dual_add_f32 v11, v11, v15
	s_delay_alu instid0(VALU_DEP_1)
	v_dual_add_f32 v12, v10, v16 :: v_dual_add_f32 v13, v11, v17
	ds_store_b64 v61, v[12:13]
	s_and_b32 exec_lo, exec_lo, s6
	s_cbranch_execz .LBB113_4
; %bb.48:                               ;   in Loop: Header=BB113_6 Depth=1
	s_cmp_neq_f32 s55, 0
	v_mul_f32_e32 v11, s57, v13
	v_mul_f32_e32 v10, s58, v13
	s_cselect_b32 s8, -1, 0
	s_cmp_neq_f32 s56, 0
	s_delay_alu instid0(VALU_DEP_2) | instskip(NEXT) | instid1(VALU_DEP_2)
	v_fmac_f32_e32 v11, s58, v12
	v_fma_f32 v10, v12, s57, -v10
	s_cselect_b32 s48, -1, 0
	s_wait_alu 0xfffe
	s_or_b32 s8, s8, s48
	s_wait_alu 0xfffe
	s_and_not1_b32 vcc_lo, exec_lo, s8
	s_wait_alu 0xfffe
	s_cbranch_vccnz .LBB113_3
; %bb.49:                               ;   in Loop: Header=BB113_6 Depth=1
	v_add_co_u32 v12, vcc_lo, s46, v8
	s_wait_alu 0xfffd
	v_add_co_ci_u32_e64 v13, null, s47, v9, vcc_lo
	global_load_b64 v[12:13], v[12:13], off
	s_wait_loadcnt 0x0
	v_mul_f32_e32 v14, s56, v13
	v_mul_f32_e32 v13, s55, v13
	s_delay_alu instid0(VALU_DEP_1) | instskip(NEXT) | instid1(VALU_DEP_3)
	v_fmac_f32_e32 v13, s56, v12
	v_fma_f32 v14, s55, v12, -v14
	s_delay_alu instid0(VALU_DEP_1)
	v_dual_add_f32 v11, v11, v13 :: v_dual_add_f32 v10, v10, v14
	s_branch .LBB113_3
.LBB113_50:
	s_endpgm
	.section	.rodata,"a",@progbits
	.p2align	6, 0x0
	.amdhsa_kernel _ZL20rocblas_gemvn_kernelILi64ELi16El19rocblas_complex_numIfEPKS1_S1_EviiT3_lPKT2_lT1_lS7_lS8_lS4_lPT4_lS8_li
		.amdhsa_group_segment_fixed_size 32768
		.amdhsa_private_segment_fixed_size 0
		.amdhsa_kernarg_size 400
		.amdhsa_user_sgpr_count 2
		.amdhsa_user_sgpr_dispatch_ptr 0
		.amdhsa_user_sgpr_queue_ptr 0
		.amdhsa_user_sgpr_kernarg_segment_ptr 1
		.amdhsa_user_sgpr_dispatch_id 0
		.amdhsa_user_sgpr_private_segment_size 0
		.amdhsa_wavefront_size32 1
		.amdhsa_uses_dynamic_stack 0
		.amdhsa_enable_private_segment 0
		.amdhsa_system_sgpr_workgroup_id_x 1
		.amdhsa_system_sgpr_workgroup_id_y 0
		.amdhsa_system_sgpr_workgroup_id_z 1
		.amdhsa_system_sgpr_workgroup_info 0
		.amdhsa_system_vgpr_workitem_id 1
		.amdhsa_next_free_vgpr 82
		.amdhsa_next_free_sgpr 62
		.amdhsa_reserve_vcc 1
		.amdhsa_float_round_mode_32 0
		.amdhsa_float_round_mode_16_64 0
		.amdhsa_float_denorm_mode_32 3
		.amdhsa_float_denorm_mode_16_64 3
		.amdhsa_fp16_overflow 0
		.amdhsa_workgroup_processor_mode 1
		.amdhsa_memory_ordered 1
		.amdhsa_forward_progress 1
		.amdhsa_inst_pref_size 36
		.amdhsa_round_robin_scheduling 0
		.amdhsa_exception_fp_ieee_invalid_op 0
		.amdhsa_exception_fp_denorm_src 0
		.amdhsa_exception_fp_ieee_div_zero 0
		.amdhsa_exception_fp_ieee_overflow 0
		.amdhsa_exception_fp_ieee_underflow 0
		.amdhsa_exception_fp_ieee_inexact 0
		.amdhsa_exception_int_div_zero 0
	.end_amdhsa_kernel
	.section	.text._ZL20rocblas_gemvn_kernelILi64ELi16El19rocblas_complex_numIfEPKS1_S1_EviiT3_lPKT2_lT1_lS7_lS8_lS4_lPT4_lS8_li,"axG",@progbits,_ZL20rocblas_gemvn_kernelILi64ELi16El19rocblas_complex_numIfEPKS1_S1_EviiT3_lPKT2_lT1_lS7_lS8_lS4_lPT4_lS8_li,comdat
.Lfunc_end113:
	.size	_ZL20rocblas_gemvn_kernelILi64ELi16El19rocblas_complex_numIfEPKS1_S1_EviiT3_lPKT2_lT1_lS7_lS8_lS4_lPT4_lS8_li, .Lfunc_end113-_ZL20rocblas_gemvn_kernelILi64ELi16El19rocblas_complex_numIfEPKS1_S1_EviiT3_lPKT2_lT1_lS7_lS8_lS4_lPT4_lS8_li
                                        ; -- End function
	.set _ZL20rocblas_gemvn_kernelILi64ELi16El19rocblas_complex_numIfEPKS1_S1_EviiT3_lPKT2_lT1_lS7_lS8_lS4_lPT4_lS8_li.num_vgpr, 82
	.set _ZL20rocblas_gemvn_kernelILi64ELi16El19rocblas_complex_numIfEPKS1_S1_EviiT3_lPKT2_lT1_lS7_lS8_lS4_lPT4_lS8_li.num_agpr, 0
	.set _ZL20rocblas_gemvn_kernelILi64ELi16El19rocblas_complex_numIfEPKS1_S1_EviiT3_lPKT2_lT1_lS7_lS8_lS4_lPT4_lS8_li.numbered_sgpr, 62
	.set _ZL20rocblas_gemvn_kernelILi64ELi16El19rocblas_complex_numIfEPKS1_S1_EviiT3_lPKT2_lT1_lS7_lS8_lS4_lPT4_lS8_li.num_named_barrier, 0
	.set _ZL20rocblas_gemvn_kernelILi64ELi16El19rocblas_complex_numIfEPKS1_S1_EviiT3_lPKT2_lT1_lS7_lS8_lS4_lPT4_lS8_li.private_seg_size, 0
	.set _ZL20rocblas_gemvn_kernelILi64ELi16El19rocblas_complex_numIfEPKS1_S1_EviiT3_lPKT2_lT1_lS7_lS8_lS4_lPT4_lS8_li.uses_vcc, 1
	.set _ZL20rocblas_gemvn_kernelILi64ELi16El19rocblas_complex_numIfEPKS1_S1_EviiT3_lPKT2_lT1_lS7_lS8_lS4_lPT4_lS8_li.uses_flat_scratch, 0
	.set _ZL20rocblas_gemvn_kernelILi64ELi16El19rocblas_complex_numIfEPKS1_S1_EviiT3_lPKT2_lT1_lS7_lS8_lS4_lPT4_lS8_li.has_dyn_sized_stack, 0
	.set _ZL20rocblas_gemvn_kernelILi64ELi16El19rocblas_complex_numIfEPKS1_S1_EviiT3_lPKT2_lT1_lS7_lS8_lS4_lPT4_lS8_li.has_recursion, 0
	.set _ZL20rocblas_gemvn_kernelILi64ELi16El19rocblas_complex_numIfEPKS1_S1_EviiT3_lPKT2_lT1_lS7_lS8_lS4_lPT4_lS8_li.has_indirect_call, 0
	.section	.AMDGPU.csdata,"",@progbits
; Kernel info:
; codeLenInByte = 4608
; TotalNumSgprs: 64
; NumVgprs: 82
; ScratchSize: 0
; MemoryBound: 0
; FloatMode: 240
; IeeeMode: 1
; LDSByteSize: 32768 bytes/workgroup (compile time only)
; SGPRBlocks: 0
; VGPRBlocks: 10
; NumSGPRsForWavesPerEU: 64
; NumVGPRsForWavesPerEU: 82
; Occupancy: 16
; WaveLimiterHint : 1
; COMPUTE_PGM_RSRC2:SCRATCH_EN: 0
; COMPUTE_PGM_RSRC2:USER_SGPR: 2
; COMPUTE_PGM_RSRC2:TRAP_HANDLER: 0
; COMPUTE_PGM_RSRC2:TGID_X_EN: 1
; COMPUTE_PGM_RSRC2:TGID_Y_EN: 0
; COMPUTE_PGM_RSRC2:TGID_Z_EN: 1
; COMPUTE_PGM_RSRC2:TIDIG_COMP_CNT: 1
	.section	.text._ZL20rocblas_gemvn_kernelILi64ELi16Ei19rocblas_complex_numIfES1_S1_EviiT3_lPKT2_lT1_lS5_lS6_lS2_lPT4_lS6_li,"axG",@progbits,_ZL20rocblas_gemvn_kernelILi64ELi16Ei19rocblas_complex_numIfES1_S1_EviiT3_lPKT2_lT1_lS5_lS6_lS2_lPT4_lS6_li,comdat
	.globl	_ZL20rocblas_gemvn_kernelILi64ELi16Ei19rocblas_complex_numIfES1_S1_EviiT3_lPKT2_lT1_lS5_lS6_lS2_lPT4_lS6_li ; -- Begin function _ZL20rocblas_gemvn_kernelILi64ELi16Ei19rocblas_complex_numIfES1_S1_EviiT3_lPKT2_lT1_lS5_lS6_lS2_lPT4_lS6_li
	.p2align	8
	.type	_ZL20rocblas_gemvn_kernelILi64ELi16Ei19rocblas_complex_numIfES1_S1_EviiT3_lPKT2_lT1_lS5_lS6_lS2_lPT4_lS6_li,@function
_ZL20rocblas_gemvn_kernelILi64ELi16Ei19rocblas_complex_numIfES1_S1_EviiT3_lPKT2_lT1_lS5_lS6_lS2_lPT4_lS6_li: ; @_ZL20rocblas_gemvn_kernelILi64ELi16Ei19rocblas_complex_numIfES1_S1_EviiT3_lPKT2_lT1_lS5_lS6_lS2_lPT4_lS6_li
; %bb.0:
	s_load_b64 s[2:3], s[0:1], 0x9c
	s_wait_kmcnt 0x0
	s_lshr_b32 s4, s2, 16
	s_and_b32 s2, s2, 0xffff
	s_and_b32 s3, s3, 0xffff
	s_mul_i32 s2, s4, s2
	s_delay_alu instid0(SALU_CYCLE_1) | instskip(NEXT) | instid1(SALU_CYCLE_1)
	s_mul_i32 s2, s2, s3
	s_cmp_lg_u32 s2, 0x400
	s_cbranch_scc1 .LBB114_48
; %bb.1:
	s_load_b32 s27, s[0:1], 0x88
	s_lshr_b32 s28, ttmp7, 16
	s_wait_kmcnt 0x0
	s_cmp_ge_u32 s28, s27
	s_cbranch_scc1 .LBB114_48
; %bb.2:
	s_clause 0x7
	s_load_b128 s[4:7], s[0:1], 0x18
	s_load_b96 s[24:26], s[0:1], 0x40
	s_load_b128 s[20:23], s[0:1], 0x68
	s_load_b32 s36, s[0:1], 0x78
	s_load_b128 s[8:11], s[0:1], 0x0
	s_load_b128 s[12:15], s[0:1], 0x50
	s_load_b32 s33, s[0:1], 0x28
	s_load_b128 s[16:19], s[0:1], 0x30
	v_and_b32_e32 v3, 0x3ff, v0
	v_bfe_u32 v2, v0, 10, 10
	v_mov_b32_e32 v1, 0
	s_mov_b32 s29, 0
	s_delay_alu instid0(VALU_DEP_3) | instskip(NEXT) | instid1(VALU_DEP_3)
	v_lshlrev_b32_e32 v0, 3, v3
	v_lshl_add_u32 v4, v2, 6, v3
	v_lshlrev_b32_e32 v55, 2, v2
	s_delay_alu instid0(VALU_DEP_3)
	v_lshl_add_u32 v56, v2, 11, v0
	v_lshl_add_u32 v57, v2, 9, v0
	s_wait_kmcnt 0x0
	s_lshl_b64 s[2:3], s[6:7], 3
	s_lshl_b64 s[6:7], s[24:25], 3
	;; [unrolled: 1-line block ×3, first 2 shown]
	s_ashr_i32 s37, s36, 31
	s_cmp_neq_f32 s10, 0
	s_load_b64 s[22:23], s[0:1], 0x80
	s_mov_b32 s34, s8
	v_mul_lo_u32 v8, s33, v55
	s_cselect_b32 s0, -1, 0
	s_cmp_neq_f32 s11, 0
	s_add_nc_u64 s[24:25], s[4:5], s[2:3]
	v_mul_lo_u32 v11, v2, s26
	s_add_nc_u64 s[20:21], s[20:21], s[30:31]
	s_cselect_b32 s1, -1, 0
	s_mov_b32 s30, s26
	s_or_b32 s42, s0, s1
	s_cmp_neq_f32 s14, 1.0
	v_cmp_gt_u32_e64 s0, 0x100, v4
	v_add3_u32 v59, v8, s33, v3
	v_or_b32_e32 v8, 3, v55
	s_cselect_b32 s43, -1, 0
	s_cmp_neq_f32 s15, 0
	s_add_nc_u64 s[18:19], s[18:19], s[6:7]
	v_lshlrev_b32_e32 v63, 2, v11
	v_mul_lo_u32 v62, s26, v8
	s_cselect_b32 s44, -1, 0
	s_or_b32 s1, s10, s11
	s_delay_alu instid0(SALU_CYCLE_1) | instskip(NEXT) | instid1(SALU_CYCLE_1)
	s_bitset0_b32 s1, 31
	s_cmp_eq_u32 s1, 0
	s_cselect_b32 s38, -1, 0
	s_lshl_b32 s39, ttmp9, 8
	s_ashr_i32 s35, s8, 31
	v_add_nc_u32_e32 v0, s39, v4
	v_or_b32_e32 v6, s39, v4
	s_cmp_neq_f32 s14, 0
	s_delay_alu instid0(VALU_DEP_2)
	v_mad_co_u64_u32 v[4:5], null, s36, v0, 0
	v_cmp_gt_i64_e32 vcc_lo, s[34:35], v[0:1]
	s_cselect_b32 s1, -1, 0
	s_ashr_i32 s2, s9, 31
	s_or_b32 s40, s1, s44
	s_lshr_b32 s3, s2, 26
	v_cmp_gt_i32_e64 s2, s8, v6
	s_delay_alu instid0(VALU_DEP_3) | instskip(SKIP_2) | instid1(SALU_CYCLE_1)
	v_mov_b32_e32 v1, v5
	v_mul_lo_u32 v6, s36, v6
	s_add_co_i32 s41, s9, s3
	s_and_not1_b32 s41, s41, 63
	s_delay_alu instid0(VALU_DEP_2)
	v_mad_co_u64_u32 v[0:1], null, s37, v0, v[1:2]
	v_add_nc_u32_e32 v58, s39, v3
	s_sub_co_i32 s7, s9, s41
	v_cmp_gt_i32_e64 s6, s41, v55
	s_cmp_gt_i32 s7, 0
	v_dual_mov_b32 v5, v0 :: v_dual_add_nc_u32 v10, 0xc0, v58
	v_add_nc_u32_e32 v9, 0x80, v58
	v_add_nc_u32_e32 v7, 64, v58
	v_cmp_gt_i32_e64 s1, s8, v58
	s_delay_alu instid0(VALU_DEP_4)
	v_cmp_gt_i32_e64 s5, s8, v10
	v_mul_lo_u32 v10, v2, s33
	v_cmp_gt_i32_e64 s4, s8, v9
	v_or_b32_e32 v9, 2, v55
	v_cmp_gt_i32_e64 s3, s8, v7
	v_ashrrev_i32_e32 v7, 31, v6
	s_cselect_b32 s8, -1, 0
	s_or_b32 s7, s42, s43
	v_mad_co_u64_u32 v[0:1], null, s33, v9, v[3:4]
	v_mad_co_u64_u32 v[1:2], null, s33, v8, v[3:4]
	v_lshl_add_u32 v60, v10, 2, v3
	v_mad_co_u64_u32 v[2:3], null, s26, v55, s[30:31]
	v_mul_lo_u32 v61, s26, v9
	v_lshlrev_b64_e32 v[3:4], 3, v[4:5]
	v_lshlrev_b64_e32 v[5:6], 3, v[6:7]
	s_or_b32 s42, s7, s44
	s_and_b32 s43, s0, vcc_lo
	s_lshl_b32 s44, s33, 6
	s_lshl_b32 s45, s26, 6
	s_branch .LBB114_6
.LBB114_3:                              ;   in Loop: Header=BB114_6 Depth=1
	v_add_co_u32 v9, vcc_lo, s30, v5
	s_wait_alu 0xfffd
	v_add_co_ci_u32_e64 v10, null, s31, v6, vcc_lo
	global_store_b64 v[9:10], v[7:8], off
.LBB114_4:                              ;   in Loop: Header=BB114_6 Depth=1
	s_wait_alu 0xfffe
	s_or_b32 exec_lo, exec_lo, s7
.LBB114_5:                              ;   in Loop: Header=BB114_6 Depth=1
	s_add_co_i32 s28, s28, 0x10000
	s_delay_alu instid0(SALU_CYCLE_1)
	s_cmp_lt_u32 s28, s27
	s_cbranch_scc0 .LBB114_48
.LBB114_6:                              ; =>This Loop Header: Depth=1
                                        ;     Child Loop BB114_20 Depth 2
	s_and_not1_b32 vcc_lo, exec_lo, s42
	s_wait_alu 0xfffe
	s_cbranch_vccnz .LBB114_5
; %bb.7:                                ;   in Loop: Header=BB114_6 Depth=1
	s_wait_kmcnt 0x0
	s_mul_u64 s[30:31], s[22:23], s[28:29]
	s_and_not1_b32 vcc_lo, exec_lo, s38
	s_wait_alu 0xfffe
	s_lshl_b64 s[30:31], s[30:31], 3
	s_mov_b32 s7, -1
	s_wait_alu 0xfffe
	s_add_nc_u64 s[30:31], s[20:21], s[30:31]
	s_cbranch_vccnz .LBB114_13
; %bb.8:                                ;   in Loop: Header=BB114_6 Depth=1
	s_and_saveexec_b32 s7, s43
	s_cbranch_execz .LBB114_12
; %bb.9:                                ;   in Loop: Header=BB114_6 Depth=1
	v_dual_mov_b32 v7, 0 :: v_dual_mov_b32 v8, 0
	s_and_not1_b32 vcc_lo, exec_lo, s40
	s_wait_alu 0xfffe
	s_cbranch_vccnz .LBB114_11
; %bb.10:                               ;   in Loop: Header=BB114_6 Depth=1
	v_add_co_u32 v7, vcc_lo, s30, v3
	s_wait_alu 0xfffd
	v_add_co_ci_u32_e64 v8, null, s31, v4, vcc_lo
	global_load_b64 v[9:10], v[7:8], off
	s_wait_loadcnt 0x0
	v_mul_f32_e32 v8, s14, v10
	s_delay_alu instid0(VALU_DEP_1) | instskip(NEXT) | instid1(VALU_DEP_1)
	v_dual_mul_f32 v7, s15, v10 :: v_dual_fmac_f32 v8, s15, v9
	v_fma_f32 v7, s14, v9, -v7
.LBB114_11:                             ;   in Loop: Header=BB114_6 Depth=1
	v_add_co_u32 v9, vcc_lo, s30, v3
	s_wait_alu 0xfffd
	v_add_co_ci_u32_e64 v10, null, s31, v4, vcc_lo
	global_store_b64 v[9:10], v[7:8], off
.LBB114_12:                             ;   in Loop: Header=BB114_6 Depth=1
	s_wait_alu 0xfffe
	s_or_b32 exec_lo, exec_lo, s7
	s_mov_b32 s7, 0
.LBB114_13:                             ;   in Loop: Header=BB114_6 Depth=1
	s_wait_alu 0xfffe
	s_and_not1_b32 vcc_lo, exec_lo, s7
	s_wait_alu 0xfffe
	s_cbranch_vccnz .LBB114_5
; %bb.14:                               ;   in Loop: Header=BB114_6 Depth=1
	s_mul_u64 s[34:35], s[16:17], s[28:29]
	s_mul_u64 s[36:37], s[12:13], s[28:29]
	v_dual_mov_b32 v8, 0 :: v_dual_mov_b32 v7, 0
	v_dual_mov_b32 v64, v55 :: v_dual_mov_b32 v9, 0
	;; [unrolled: 1-line block ×4, first 2 shown]
	v_mov_b32_e32 v14, 0
	s_wait_alu 0xfffe
	s_lshl_b64 s[34:35], s[34:35], 3
	s_lshl_b64 s[36:37], s[36:37], 3
	s_wait_alu 0xfffe
	s_add_nc_u64 s[34:35], s[24:25], s[34:35]
	s_add_nc_u64 s[36:37], s[18:19], s[36:37]
	s_and_saveexec_b32 s7, s6
	s_cbranch_execz .LBB114_26
; %bb.15:                               ;   in Loop: Header=BB114_6 Depth=1
	v_dual_mov_b32 v8, 0 :: v_dual_mov_b32 v65, v60
	v_dual_mov_b32 v66, v1 :: v_dual_mov_b32 v67, v0
	s_delay_alu instid0(VALU_DEP_2)
	v_dual_mov_b32 v68, v59 :: v_dual_mov_b32 v7, v8
	v_dual_mov_b32 v64, v55 :: v_dual_mov_b32 v9, v8
	v_dual_mov_b32 v10, v8 :: v_dual_mov_b32 v11, v8
	v_dual_mov_b32 v12, v8 :: v_dual_mov_b32 v13, v8
	v_mov_b32_e32 v14, v8
	s_mov_b32 s46, 0
	s_mov_b32 s47, 0
	s_branch .LBB114_20
.LBB114_16:                             ;   in Loop: Header=BB114_20 Depth=2
	s_or_b32 exec_lo, exec_lo, s51
	s_wait_loadcnt 0x3
	v_mul_f32_e32 v47, v28, v46
	v_mul_f32_e32 v46, v27, v46
	s_wait_loadcnt 0x1
	v_dual_mul_f32 v48, v24, v44 :: v_dual_mul_f32 v49, v18, v42
	v_mul_f32_e32 v44, v23, v44
	v_fma_f32 v47, v27, v45, -v47
	v_fmac_f32_e32 v46, v28, v45
	s_delay_alu instid0(VALU_DEP_4) | instskip(SKIP_4) | instid1(VALU_DEP_2)
	v_fma_f32 v48, v23, v43, -v48
	s_wait_loadcnt 0x0
	v_mul_f32_e32 v45, v16, v40
	v_dual_mul_f32 v40, v15, v40 :: v_dual_add_f32 v9, v9, v47
	v_mul_f32_e32 v42, v17, v42
	v_fmac_f32_e32 v40, v16, v39
	s_delay_alu instid0(VALU_DEP_3) | instskip(SKIP_4) | instid1(VALU_DEP_3)
	v_add_f32_e32 v9, v48, v9
	v_fmac_f32_e32 v44, v24, v43
	v_fma_f32 v43, v17, v41, -v49
	v_fmac_f32_e32 v42, v18, v41
	v_fma_f32 v41, v15, v39, -v45
	v_dual_add_f32 v9, v43, v9 :: v_dual_add_f32 v10, v10, v46
	s_delay_alu instid0(VALU_DEP_1) | instskip(NEXT) | instid1(VALU_DEP_1)
	v_dual_add_f32 v9, v41, v9 :: v_dual_add_f32 v10, v44, v10
	v_add_f32_e32 v10, v42, v10
	s_delay_alu instid0(VALU_DEP_1)
	v_add_f32_e32 v10, v40, v10
.LBB114_17:                             ;   in Loop: Header=BB114_20 Depth=2
	s_or_b32 exec_lo, exec_lo, s50
	s_wait_loadcnt 0x3
	v_mul_f32_e32 v39, v28, v38
	s_wait_loadcnt 0x1
	v_dual_mul_f32 v40, v24, v36 :: v_dual_mul_f32 v41, v18, v34
	v_mul_f32_e32 v36, v23, v36
	v_mul_f32_e32 v38, v27, v38
	v_fma_f32 v39, v27, v37, -v39
	v_mul_f32_e32 v34, v17, v34
	v_fma_f32 v40, v23, v35, -v40
	v_fmac_f32_e32 v36, v24, v35
	v_fma_f32 v35, v17, v33, -v41
	s_delay_alu instid0(VALU_DEP_4) | instskip(NEXT) | instid1(VALU_DEP_1)
	v_dual_add_f32 v11, v11, v39 :: v_dual_fmac_f32 v34, v18, v33
	v_add_f32_e32 v11, v40, v11
	v_fmac_f32_e32 v38, v28, v37
	s_wait_loadcnt 0x0
	v_mul_f32_e32 v37, v16, v32
	v_mul_f32_e32 v32, v15, v32
	v_add_f32_e32 v11, v35, v11
	s_delay_alu instid0(VALU_DEP_3) | instskip(SKIP_1) | instid1(VALU_DEP_4)
	v_fma_f32 v33, v15, v31, -v37
	v_add_f32_e32 v12, v12, v38
	v_fmac_f32_e32 v32, v16, v31
	s_delay_alu instid0(VALU_DEP_2) | instskip(NEXT) | instid1(VALU_DEP_1)
	v_dual_add_f32 v11, v33, v11 :: v_dual_add_f32 v12, v36, v12
	v_add_f32_e32 v12, v34, v12
	s_delay_alu instid0(VALU_DEP_1)
	v_add_f32_e32 v12, v32, v12
.LBB114_18:                             ;   in Loop: Header=BB114_20 Depth=2
	s_or_b32 exec_lo, exec_lo, s49
	s_wait_loadcnt 0x3
	v_mul_f32_e32 v31, v28, v30
	v_mul_f32_e32 v30, v27, v30
	s_wait_loadcnt 0x1
	s_delay_alu instid0(VALU_DEP_1)
	v_dual_mul_f32 v33, v18, v22 :: v_dual_fmac_f32 v30, v28, v29
	s_wait_loadcnt 0x0
	v_mul_f32_e32 v28, v16, v20
	v_mul_f32_e32 v20, v15, v20
	v_fma_f32 v27, v27, v29, -v31
	v_add_f32_e32 v14, v14, v30
	s_delay_alu instid0(VALU_DEP_4) | instskip(SKIP_1) | instid1(VALU_DEP_4)
	v_fma_f32 v15, v15, v19, -v28
	v_mul_f32_e32 v22, v17, v22
	v_dual_add_f32 v13, v13, v27 :: v_dual_mul_f32 v32, v24, v26
	v_fma_f32 v17, v17, v21, -v33
	v_mul_f32_e32 v26, v23, v26
	v_fmac_f32_e32 v20, v16, v19
	s_delay_alu instid0(VALU_DEP_4) | instskip(NEXT) | instid1(VALU_DEP_1)
	v_fma_f32 v23, v23, v25, -v32
	v_add_f32_e32 v13, v23, v13
	s_delay_alu instid0(VALU_DEP_1) | instskip(SKIP_1) | instid1(VALU_DEP_2)
	v_add_f32_e32 v13, v17, v13
	v_fmac_f32_e32 v26, v24, v25
	v_add_f32_e32 v13, v15, v13
	v_fmac_f32_e32 v22, v18, v21
	s_delay_alu instid0(VALU_DEP_3) | instskip(NEXT) | instid1(VALU_DEP_1)
	v_add_f32_e32 v14, v26, v14
	v_add_f32_e32 v14, v22, v14
	s_delay_alu instid0(VALU_DEP_1)
	v_add_f32_e32 v14, v20, v14
.LBB114_19:                             ;   in Loop: Header=BB114_20 Depth=2
	s_or_b32 exec_lo, exec_lo, s48
	v_add_nc_u32_e32 v64, 64, v64
	v_add_nc_u32_e32 v68, s44, v68
	;; [unrolled: 1-line block ×5, first 2 shown]
	v_cmp_le_i32_e32 vcc_lo, s41, v64
	s_wait_alu 0xfffe
	s_add_co_i32 s47, s47, s45
	s_or_b32 s46, vcc_lo, s46
	s_wait_alu 0xfffe
	s_and_not1_b32 exec_lo, exec_lo, s46
	s_cbranch_execz .LBB114_25
.LBB114_20:                             ;   Parent Loop BB114_6 Depth=1
                                        ; =>  This Inner Loop Header: Depth=2
	s_and_saveexec_b32 s48, s1
	s_cbranch_execz .LBB114_19
; %bb.21:                               ;   in Loop: Header=BB114_20 Depth=2
	s_wait_alu 0xfffe
	v_add_nc_u32_e32 v15, s47, v63
	v_add_nc_u32_e32 v17, s47, v2
	;; [unrolled: 1-line block ×5, first 2 shown]
	v_ashrrev_i32_e32 v16, 31, v15
	v_ashrrev_i32_e32 v18, 31, v17
	;; [unrolled: 1-line block ×3, first 2 shown]
	v_add_nc_u32_e32 v25, s39, v68
	v_ashrrev_i32_e32 v22, 31, v21
	v_lshlrev_b64_e32 v[15:16], 3, v[15:16]
	v_lshlrev_b64_e32 v[17:18], 3, v[17:18]
	v_ashrrev_i32_e32 v24, 31, v23
	v_lshlrev_b64_e32 v[19:20], 3, v[19:20]
	v_ashrrev_i32_e32 v26, 31, v25
	v_lshlrev_b64_e32 v[21:22], 3, v[21:22]
	v_add_co_u32 v15, vcc_lo, s36, v15
	v_add_nc_u32_e32 v27, s39, v67
	s_wait_alu 0xfffd
	v_add_co_ci_u32_e64 v16, null, s37, v16, vcc_lo
	v_add_co_u32 v17, vcc_lo, s36, v17
	v_lshlrev_b64_e32 v[23:24], 3, v[23:24]
	v_add_nc_u32_e32 v29, s39, v66
	s_wait_alu 0xfffd
	v_add_co_ci_u32_e64 v18, null, s37, v18, vcc_lo
	v_add_co_u32 v19, vcc_lo, s36, v19
	v_lshlrev_b64_e32 v[25:26], 3, v[25:26]
	v_ashrrev_i32_e32 v28, 31, v27
	s_wait_alu 0xfffd
	v_add_co_ci_u32_e64 v20, null, s37, v20, vcc_lo
	v_add_co_u32 v21, vcc_lo, s36, v21
	v_ashrrev_i32_e32 v30, 31, v29
	s_wait_alu 0xfffd
	v_add_co_ci_u32_e64 v22, null, s37, v22, vcc_lo
	v_add_co_u32 v53, vcc_lo, s34, v23
	s_wait_alu 0xfffd
	v_add_co_ci_u32_e64 v54, null, s35, v24, vcc_lo
	v_lshlrev_b64_e32 v[23:24], 3, v[27:28]
	v_add_co_u32 v51, vcc_lo, s34, v25
	s_wait_alu 0xfffd
	v_add_co_ci_u32_e64 v52, null, s35, v26, vcc_lo
	v_lshlrev_b64_e32 v[25:26], 3, v[29:30]
	s_delay_alu instid0(VALU_DEP_4) | instskip(SKIP_2) | instid1(VALU_DEP_3)
	v_add_co_u32 v49, vcc_lo, s34, v23
	s_wait_alu 0xfffd
	v_add_co_ci_u32_e64 v50, null, s35, v24, vcc_lo
	v_add_co_u32 v47, vcc_lo, s34, v25
	s_wait_alu 0xfffd
	v_add_co_ci_u32_e64 v48, null, s35, v26, vcc_lo
	s_clause 0x3
	global_load_b64 v[27:28], v[15:16], off
	global_load_b64 v[23:24], v[17:18], off
	;; [unrolled: 1-line block ×4, first 2 shown]
	s_clause 0x3
	global_load_b64 v[29:30], v[53:54], off
	global_load_b64 v[25:26], v[51:52], off
	;; [unrolled: 1-line block ×4, first 2 shown]
	s_and_saveexec_b32 s49, s3
	s_cbranch_execz .LBB114_18
; %bb.22:                               ;   in Loop: Header=BB114_20 Depth=2
	s_clause 0x3
	global_load_b64 v[37:38], v[53:54], off offset:512
	global_load_b64 v[35:36], v[51:52], off offset:512
	global_load_b64 v[33:34], v[49:50], off offset:512
	global_load_b64 v[31:32], v[47:48], off offset:512
	s_and_saveexec_b32 s50, s4
	s_cbranch_execz .LBB114_17
; %bb.23:                               ;   in Loop: Header=BB114_20 Depth=2
	s_clause 0x3
	global_load_b64 v[45:46], v[53:54], off offset:1024
	global_load_b64 v[43:44], v[51:52], off offset:1024
	global_load_b64 v[41:42], v[49:50], off offset:1024
	global_load_b64 v[39:40], v[47:48], off offset:1024
	;; [unrolled: 8-line block ×3, first 2 shown]
	s_wait_loadcnt 0x3
	v_mul_f32_e32 v69, v28, v54
	v_mul_f32_e32 v54, v27, v54
	s_wait_loadcnt 0x1
	v_dual_mul_f32 v70, v24, v52 :: v_dual_mul_f32 v71, v18, v50
	v_mul_f32_e32 v52, v23, v52
	v_fma_f32 v69, v27, v53, -v69
	v_mul_f32_e32 v50, v17, v50
	s_delay_alu instid0(VALU_DEP_4) | instskip(NEXT) | instid1(VALU_DEP_3)
	v_fma_f32 v70, v23, v51, -v70
	v_dual_fmac_f32 v52, v24, v51 :: v_dual_add_f32 v7, v7, v69
	v_fmac_f32_e32 v54, v28, v53
	s_wait_loadcnt 0x0
	v_mul_f32_e32 v53, v16, v48
	v_fma_f32 v51, v17, v49, -v71
	v_fmac_f32_e32 v50, v18, v49
	v_dual_add_f32 v7, v70, v7 :: v_dual_add_f32 v8, v8, v54
	s_delay_alu instid0(VALU_DEP_4) | instskip(NEXT) | instid1(VALU_DEP_2)
	v_fma_f32 v49, v15, v47, -v53
	v_add_f32_e32 v7, v51, v7
	v_mul_f32_e32 v48, v15, v48
	s_delay_alu instid0(VALU_DEP_2) | instskip(NEXT) | instid1(VALU_DEP_2)
	v_dual_add_f32 v8, v52, v8 :: v_dual_add_f32 v7, v49, v7
	v_fmac_f32_e32 v48, v16, v47
	s_delay_alu instid0(VALU_DEP_2) | instskip(NEXT) | instid1(VALU_DEP_1)
	v_add_f32_e32 v8, v50, v8
	v_add_f32_e32 v8, v48, v8
	s_branch .LBB114_16
.LBB114_25:                             ;   in Loop: Header=BB114_6 Depth=1
	s_or_b32 exec_lo, exec_lo, s46
.LBB114_26:                             ;   in Loop: Header=BB114_6 Depth=1
	s_wait_alu 0xfffe
	s_or_b32 exec_lo, exec_lo, s7
	s_delay_alu instid0(SALU_CYCLE_1)
	s_and_not1_b32 vcc_lo, exec_lo, s8
	s_wait_alu 0xfffe
	s_cbranch_vccnz .LBB114_44
; %bb.27:                               ;   in Loop: Header=BB114_6 Depth=1
	v_cmp_gt_i32_e32 vcc_lo, s9, v64
	v_dual_mov_b32 v15, 0 :: v_dual_mov_b32 v16, 0
	v_or_b32_e32 v23, 1, v64
	v_dual_mov_b32 v17, 0 :: v_dual_mov_b32 v18, 0
	v_dual_mov_b32 v19, 0 :: v_dual_mov_b32 v20, 0
	;; [unrolled: 1-line block ×3, first 2 shown]
	s_and_saveexec_b32 s46, vcc_lo
	s_cbranch_execz .LBB114_35
; %bb.28:                               ;   in Loop: Header=BB114_6 Depth=1
	v_mul_lo_u32 v15, v64, s26
	v_dual_mov_b32 v22, 0 :: v_dual_mov_b32 v21, 0
	v_dual_mov_b32 v20, 0 :: v_dual_mov_b32 v19, 0
	;; [unrolled: 1-line block ×3, first 2 shown]
	s_mov_b32 s47, exec_lo
	s_delay_alu instid0(VALU_DEP_4) | instskip(NEXT) | instid1(VALU_DEP_1)
	v_ashrrev_i32_e32 v16, 31, v15
	v_lshlrev_b64_e32 v[15:16], 3, v[15:16]
	s_delay_alu instid0(VALU_DEP_1) | instskip(SKIP_1) | instid1(VALU_DEP_2)
	v_add_co_u32 v15, s7, s36, v15
	s_wait_alu 0xf1ff
	v_add_co_ci_u32_e64 v16, null, s37, v16, s7
	global_load_b64 v[15:16], v[15:16], off
	v_cmpx_gt_i32_e64 s9, v23
	s_cbranch_execz .LBB114_34
; %bb.29:                               ;   in Loop: Header=BB114_6 Depth=1
	v_mul_lo_u32 v17, v23, s26
	v_or_b32_e32 v24, 2, v64
	v_dual_mov_b32 v22, 0 :: v_dual_mov_b32 v21, 0
	v_dual_mov_b32 v20, 0 :: v_dual_mov_b32 v19, 0
	s_mov_b32 s48, exec_lo
	s_delay_alu instid0(VALU_DEP_4) | instskip(NEXT) | instid1(VALU_DEP_1)
	v_ashrrev_i32_e32 v18, 31, v17
	v_lshlrev_b64_e32 v[17:18], 3, v[17:18]
	s_delay_alu instid0(VALU_DEP_1) | instskip(SKIP_1) | instid1(VALU_DEP_2)
	v_add_co_u32 v17, s7, s36, v17
	s_wait_alu 0xf1ff
	v_add_co_ci_u32_e64 v18, null, s37, v18, s7
	global_load_b64 v[17:18], v[17:18], off
	v_cmpx_gt_i32_e64 s9, v24
	s_cbranch_execz .LBB114_33
; %bb.30:                               ;   in Loop: Header=BB114_6 Depth=1
	v_mul_lo_u32 v19, v24, s26
	v_or_b32_e32 v24, 3, v64
	v_dual_mov_b32 v22, 0 :: v_dual_mov_b32 v21, 0
	s_mov_b32 s49, exec_lo
	s_delay_alu instid0(VALU_DEP_3) | instskip(NEXT) | instid1(VALU_DEP_1)
	v_ashrrev_i32_e32 v20, 31, v19
	v_lshlrev_b64_e32 v[19:20], 3, v[19:20]
	s_delay_alu instid0(VALU_DEP_1) | instskip(SKIP_1) | instid1(VALU_DEP_2)
	v_add_co_u32 v19, s7, s36, v19
	s_wait_alu 0xf1ff
	v_add_co_ci_u32_e64 v20, null, s37, v20, s7
	global_load_b64 v[19:20], v[19:20], off
	v_cmpx_gt_i32_e64 s9, v24
	s_cbranch_execz .LBB114_32
; %bb.31:                               ;   in Loop: Header=BB114_6 Depth=1
	v_mul_lo_u32 v21, v24, s26
	s_delay_alu instid0(VALU_DEP_1) | instskip(NEXT) | instid1(VALU_DEP_1)
	v_ashrrev_i32_e32 v22, 31, v21
	v_lshlrev_b64_e32 v[21:22], 3, v[21:22]
	s_delay_alu instid0(VALU_DEP_1) | instskip(SKIP_1) | instid1(VALU_DEP_2)
	v_add_co_u32 v21, s7, s36, v21
	s_wait_alu 0xf1ff
	v_add_co_ci_u32_e64 v22, null, s37, v22, s7
	global_load_b64 v[21:22], v[21:22], off
.LBB114_32:                             ;   in Loop: Header=BB114_6 Depth=1
	s_or_b32 exec_lo, exec_lo, s49
.LBB114_33:                             ;   in Loop: Header=BB114_6 Depth=1
	s_delay_alu instid0(SALU_CYCLE_1)
	s_or_b32 exec_lo, exec_lo, s48
.LBB114_34:                             ;   in Loop: Header=BB114_6 Depth=1
	s_wait_alu 0xfffe
	s_or_b32 exec_lo, exec_lo, s47
.LBB114_35:                             ;   in Loop: Header=BB114_6 Depth=1
	s_wait_alu 0xfffe
	s_or_b32 exec_lo, exec_lo, s46
	s_and_saveexec_b32 s7, s1
	s_cbranch_execz .LBB114_43
; %bb.36:                               ;   in Loop: Header=BB114_6 Depth=1
	v_mul_lo_u32 v25, v64, s33
	v_or_b32_e32 v24, 2, v64
	v_mul_lo_u32 v27, v23, s33
	v_or_b32_e32 v26, 3, v64
	s_delay_alu instid0(VALU_DEP_3) | instskip(NEXT) | instid1(VALU_DEP_2)
	v_mul_lo_u32 v28, v24, s33
	v_mul_lo_u32 v29, v26, s33
	v_cndmask_b32_e32 v25, 0, v25, vcc_lo
	v_cmp_gt_i32_e32 vcc_lo, s9, v23
	s_wait_alu 0xfffd
	v_cndmask_b32_e32 v27, 0, v27, vcc_lo
	v_cmp_gt_i32_e32 vcc_lo, s9, v24
	s_wait_alu 0xfffd
	;; [unrolled: 3-line block ×3, first 2 shown]
	v_dual_cndmask_b32 v26, 0, v29 :: v_dual_add_nc_u32 v23, v25, v58
	v_add_nc_u32_e32 v25, v27, v58
	v_add_nc_u32_e32 v27, v24, v58
	s_delay_alu instid0(VALU_DEP_3) | instskip(NEXT) | instid1(VALU_DEP_4)
	v_ashrrev_i32_e32 v24, 31, v23
	v_add_nc_u32_e32 v29, v26, v58
	s_delay_alu instid0(VALU_DEP_4) | instskip(NEXT) | instid1(VALU_DEP_4)
	v_ashrrev_i32_e32 v26, 31, v25
	v_ashrrev_i32_e32 v28, 31, v27
	s_delay_alu instid0(VALU_DEP_4) | instskip(NEXT) | instid1(VALU_DEP_4)
	v_lshlrev_b64_e32 v[23:24], 3, v[23:24]
	v_ashrrev_i32_e32 v30, 31, v29
	s_delay_alu instid0(VALU_DEP_4) | instskip(NEXT) | instid1(VALU_DEP_4)
	v_lshlrev_b64_e32 v[25:26], 3, v[25:26]
	v_lshlrev_b64_e32 v[27:28], 3, v[27:28]
	s_delay_alu instid0(VALU_DEP_4) | instskip(NEXT) | instid1(VALU_DEP_4)
	v_add_co_u32 v53, vcc_lo, s34, v23
	v_lshlrev_b64_e32 v[29:30], 3, v[29:30]
	s_wait_alu 0xfffd
	v_add_co_ci_u32_e64 v54, null, s35, v24, vcc_lo
	v_add_co_u32 v51, vcc_lo, s34, v25
	s_wait_alu 0xfffd
	v_add_co_ci_u32_e64 v52, null, s35, v26, vcc_lo
	v_add_co_u32 v49, vcc_lo, s34, v27
	s_wait_alu 0xfffd
	v_add_co_ci_u32_e64 v50, null, s35, v28, vcc_lo
	v_add_co_u32 v47, vcc_lo, s34, v29
	s_wait_alu 0xfffd
	v_add_co_ci_u32_e64 v48, null, s35, v30, vcc_lo
	s_clause 0x3
	global_load_b64 v[29:30], v[53:54], off
	global_load_b64 v[27:28], v[51:52], off
	;; [unrolled: 1-line block ×4, first 2 shown]
	s_and_saveexec_b32 s34, s3
	s_cbranch_execz .LBB114_42
; %bb.37:                               ;   in Loop: Header=BB114_6 Depth=1
	s_clause 0x3
	global_load_b64 v[37:38], v[53:54], off offset:512
	global_load_b64 v[35:36], v[51:52], off offset:512
	global_load_b64 v[33:34], v[49:50], off offset:512
	global_load_b64 v[31:32], v[47:48], off offset:512
	s_and_saveexec_b32 s35, s4
	s_cbranch_execz .LBB114_41
; %bb.38:                               ;   in Loop: Header=BB114_6 Depth=1
	s_clause 0x3
	global_load_b64 v[45:46], v[53:54], off offset:1024
	global_load_b64 v[43:44], v[51:52], off offset:1024
	global_load_b64 v[41:42], v[49:50], off offset:1024
	global_load_b64 v[39:40], v[47:48], off offset:1024
	s_and_saveexec_b32 s36, s5
	s_cbranch_execz .LBB114_40
; %bb.39:                               ;   in Loop: Header=BB114_6 Depth=1
	s_clause 0x3
	global_load_b64 v[53:54], v[53:54], off offset:1536
	global_load_b64 v[51:52], v[51:52], off offset:1536
	global_load_b64 v[49:50], v[49:50], off offset:1536
	global_load_b64 v[47:48], v[47:48], off offset:1536
	s_wait_loadcnt 0x2
	v_dual_mul_f32 v64, v16, v54 :: v_dual_mul_f32 v65, v18, v52
	v_mul_f32_e32 v54, v15, v54
	s_delay_alu instid0(VALU_DEP_2) | instskip(SKIP_3) | instid1(VALU_DEP_3)
	v_fma_f32 v64, v15, v53, -v64
	s_wait_loadcnt 0x1
	v_mul_f32_e32 v66, v20, v50
	v_fma_f32 v65, v17, v51, -v65
	v_add_f32_e32 v7, v7, v64
	s_delay_alu instid0(VALU_DEP_1) | instskip(SKIP_1) | instid1(VALU_DEP_2)
	v_dual_mul_f32 v50, v19, v50 :: v_dual_add_f32 v7, v65, v7
	v_mul_f32_e32 v52, v17, v52
	v_fmac_f32_e32 v50, v20, v49
	s_delay_alu instid0(VALU_DEP_2) | instskip(SKIP_1) | instid1(VALU_DEP_1)
	v_fmac_f32_e32 v52, v18, v51
	v_fma_f32 v51, v19, v49, -v66
	v_dual_add_f32 v7, v51, v7 :: v_dual_fmac_f32 v54, v16, v53
	s_wait_loadcnt 0x0
	v_mul_f32_e32 v53, v22, v48
	v_mul_f32_e32 v48, v21, v48
	s_delay_alu instid0(VALU_DEP_2) | instskip(NEXT) | instid1(VALU_DEP_2)
	v_fma_f32 v49, v21, v47, -v53
	v_fmac_f32_e32 v48, v22, v47
	s_delay_alu instid0(VALU_DEP_2) | instskip(NEXT) | instid1(VALU_DEP_1)
	v_dual_add_f32 v7, v49, v7 :: v_dual_add_f32 v8, v8, v54
	v_add_f32_e32 v8, v52, v8
	s_delay_alu instid0(VALU_DEP_1) | instskip(NEXT) | instid1(VALU_DEP_1)
	v_add_f32_e32 v8, v50, v8
	v_add_f32_e32 v8, v48, v8
.LBB114_40:                             ;   in Loop: Header=BB114_6 Depth=1
	s_wait_alu 0xfffe
	s_or_b32 exec_lo, exec_lo, s36
	s_wait_loadcnt 0x2
	v_dual_mul_f32 v47, v16, v46 :: v_dual_mul_f32 v48, v18, v44
	v_mul_f32_e32 v46, v15, v46
	s_wait_loadcnt 0x1
	v_dual_mul_f32 v44, v17, v44 :: v_dual_mul_f32 v49, v20, v42
	s_delay_alu instid0(VALU_DEP_3)
	v_fma_f32 v47, v15, v45, -v47
	v_mul_f32_e32 v42, v19, v42
	v_fmac_f32_e32 v46, v16, v45
	v_fma_f32 v48, v17, v43, -v48
	s_wait_loadcnt 0x0
	v_mul_f32_e32 v45, v22, v40
	v_add_f32_e32 v9, v9, v47
	v_fmac_f32_e32 v44, v18, v43
	v_fma_f32 v43, v19, v41, -v49
	v_mul_f32_e32 v40, v21, v40
	v_fmac_f32_e32 v42, v20, v41
	v_dual_add_f32 v9, v48, v9 :: v_dual_add_f32 v10, v10, v46
	v_fma_f32 v41, v21, v39, -v45
	s_delay_alu instid0(VALU_DEP_2) | instskip(NEXT) | instid1(VALU_DEP_1)
	v_dual_fmac_f32 v40, v22, v39 :: v_dual_add_f32 v9, v43, v9
	v_dual_add_f32 v10, v44, v10 :: v_dual_add_f32 v9, v41, v9
	s_delay_alu instid0(VALU_DEP_1) | instskip(NEXT) | instid1(VALU_DEP_1)
	v_add_f32_e32 v10, v42, v10
	v_add_f32_e32 v10, v40, v10
.LBB114_41:                             ;   in Loop: Header=BB114_6 Depth=1
	s_wait_alu 0xfffe
	s_or_b32 exec_lo, exec_lo, s35
	s_wait_loadcnt 0x2
	v_dual_mul_f32 v39, v16, v38 :: v_dual_mul_f32 v40, v18, v36
	v_mul_f32_e32 v38, v15, v38
	s_wait_loadcnt 0x1
	v_dual_mul_f32 v36, v17, v36 :: v_dual_mul_f32 v41, v20, v34
	s_delay_alu instid0(VALU_DEP_3)
	v_fma_f32 v39, v15, v37, -v39
	v_fma_f32 v40, v17, v35, -v40
	s_wait_loadcnt 0x0
	v_dual_fmac_f32 v38, v16, v37 :: v_dual_mul_f32 v37, v22, v32
	v_fmac_f32_e32 v36, v18, v35
	v_add_f32_e32 v11, v11, v39
	v_mul_f32_e32 v34, v19, v34
	v_fma_f32 v35, v19, v33, -v41
	s_delay_alu instid0(VALU_DEP_3) | instskip(SKIP_1) | instid1(VALU_DEP_2)
	v_dual_mul_f32 v32, v21, v32 :: v_dual_add_f32 v11, v40, v11
	v_add_f32_e32 v12, v12, v38
	v_fmac_f32_e32 v32, v22, v31
	s_delay_alu instid0(VALU_DEP_3) | instskip(NEXT) | instid1(VALU_DEP_3)
	v_dual_add_f32 v11, v35, v11 :: v_dual_fmac_f32 v34, v20, v33
	v_add_f32_e32 v12, v36, v12
	v_fma_f32 v33, v21, v31, -v37
	s_delay_alu instid0(VALU_DEP_1) | instskip(NEXT) | instid1(VALU_DEP_1)
	v_dual_add_f32 v11, v33, v11 :: v_dual_add_f32 v12, v34, v12
	v_add_f32_e32 v12, v32, v12
.LBB114_42:                             ;   in Loop: Header=BB114_6 Depth=1
	s_wait_alu 0xfffe
	s_or_b32 exec_lo, exec_lo, s34
	s_wait_loadcnt 0x2
	v_dual_mul_f32 v31, v16, v30 :: v_dual_mul_f32 v32, v18, v28
	v_mul_f32_e32 v30, v15, v30
	s_wait_loadcnt 0x1
	v_dual_mul_f32 v28, v17, v28 :: v_dual_mul_f32 v33, v20, v26
	s_delay_alu instid0(VALU_DEP_3) | instskip(SKIP_2) | instid1(VALU_DEP_3)
	v_fma_f32 v15, v15, v29, -v31
	v_mul_f32_e32 v26, v19, v26
	v_fma_f32 v17, v17, v27, -v32
	v_add_f32_e32 v13, v13, v15
	s_wait_loadcnt 0x0
	v_dual_mul_f32 v15, v21, v24 :: v_dual_fmac_f32 v30, v16, v29
	v_mul_f32_e32 v16, v22, v24
	v_fmac_f32_e32 v26, v20, v25
	v_add_f32_e32 v13, v17, v13
	s_delay_alu instid0(VALU_DEP_4) | instskip(SKIP_4) | instid1(VALU_DEP_1)
	v_fmac_f32_e32 v15, v22, v23
	v_add_f32_e32 v14, v14, v30
	v_fma_f32 v16, v21, v23, -v16
	v_fmac_f32_e32 v28, v18, v27
	v_fma_f32 v18, v19, v25, -v33
	v_add_f32_e32 v13, v18, v13
	s_delay_alu instid0(VALU_DEP_1) | instskip(NEXT) | instid1(VALU_DEP_4)
	v_add_f32_e32 v13, v16, v13
	v_add_f32_e32 v14, v28, v14
	s_delay_alu instid0(VALU_DEP_1) | instskip(NEXT) | instid1(VALU_DEP_1)
	v_add_f32_e32 v14, v26, v14
	v_add_f32_e32 v14, v15, v14
.LBB114_43:                             ;   in Loop: Header=BB114_6 Depth=1
	s_wait_alu 0xfffe
	s_or_b32 exec_lo, exec_lo, s7
.LBB114_44:                             ;   in Loop: Header=BB114_6 Depth=1
	ds_store_2addr_stride64_b64 v56, v[13:14], v[11:12] offset1:1
	ds_store_2addr_stride64_b64 v56, v[9:10], v[7:8] offset0:2 offset1:3
	s_wait_storecnt 0x0
	s_wait_loadcnt_dscnt 0x0
	s_barrier_signal -1
	s_barrier_wait -1
	global_inv scope:SCOPE_SE
	s_and_saveexec_b32 s7, s0
	s_cbranch_execz .LBB114_4
; %bb.45:                               ;   in Loop: Header=BB114_6 Depth=1
	ds_load_2addr_stride64_b64 v[7:10], v57 offset1:4
	ds_load_2addr_stride64_b64 v[11:14], v57 offset0:8 offset1:12
	ds_load_2addr_stride64_b64 v[15:18], v57 offset0:16 offset1:20
	s_wait_dscnt 0x2
	v_dual_add_f32 v19, v7, v9 :: v_dual_add_f32 v20, v8, v10
	ds_load_2addr_stride64_b64 v[7:10], v57 offset0:24 offset1:28
	s_wait_dscnt 0x2
	v_dual_add_f32 v11, v19, v11 :: v_dual_add_f32 v12, v20, v12
	s_delay_alu instid0(VALU_DEP_1) | instskip(SKIP_3) | instid1(VALU_DEP_1)
	v_dual_add_f32 v19, v11, v13 :: v_dual_add_f32 v20, v12, v14
	ds_load_2addr_stride64_b64 v[11:14], v57 offset0:32 offset1:36
	s_wait_dscnt 0x2
	v_dual_add_f32 v15, v19, v15 :: v_dual_add_f32 v16, v20, v16
	v_dual_add_f32 v19, v15, v17 :: v_dual_add_f32 v20, v16, v18
	ds_load_2addr_stride64_b64 v[15:18], v57 offset0:40 offset1:44
	s_wait_dscnt 0x2
	v_dual_add_f32 v7, v19, v7 :: v_dual_add_f32 v8, v20, v8
	s_delay_alu instid0(VALU_DEP_1) | instskip(SKIP_3) | instid1(VALU_DEP_1)
	v_dual_add_f32 v19, v7, v9 :: v_dual_add_f32 v20, v8, v10
	ds_load_2addr_stride64_b64 v[7:10], v57 offset0:48 offset1:52
	s_wait_dscnt 0x2
	v_dual_add_f32 v11, v19, v11 :: v_dual_add_f32 v12, v20, v12
	v_dual_add_f32 v19, v11, v13 :: v_dual_add_f32 v20, v12, v14
	ds_load_2addr_stride64_b64 v[11:14], v57 offset0:56 offset1:60
	s_wait_dscnt 0x2
	v_dual_add_f32 v15, v19, v15 :: v_dual_add_f32 v16, v20, v16
	s_delay_alu instid0(VALU_DEP_1) | instskip(SKIP_1) | instid1(VALU_DEP_1)
	v_dual_add_f32 v15, v15, v17 :: v_dual_add_f32 v16, v16, v18
	s_wait_dscnt 0x1
	v_dual_add_f32 v7, v15, v7 :: v_dual_add_f32 v8, v16, v8
	s_delay_alu instid0(VALU_DEP_1) | instskip(SKIP_1) | instid1(VALU_DEP_1)
	v_dual_add_f32 v7, v7, v9 :: v_dual_add_f32 v8, v8, v10
	s_wait_dscnt 0x0
	v_dual_add_f32 v7, v7, v11 :: v_dual_add_f32 v8, v8, v12
	s_delay_alu instid0(VALU_DEP_1)
	v_dual_add_f32 v9, v7, v13 :: v_dual_add_f32 v10, v8, v14
	ds_store_b64 v57, v[9:10]
	s_and_b32 exec_lo, exec_lo, s2
	s_cbranch_execz .LBB114_4
; %bb.46:                               ;   in Loop: Header=BB114_6 Depth=1
	v_mul_f32_e32 v8, s10, v10
	v_mul_f32_e32 v7, s11, v10
	s_and_not1_b32 vcc_lo, exec_lo, s40
	s_delay_alu instid0(VALU_DEP_2) | instskip(NEXT) | instid1(VALU_DEP_2)
	v_fmac_f32_e32 v8, s11, v9
	v_fma_f32 v7, v9, s10, -v7
	s_wait_alu 0xfffe
	s_cbranch_vccnz .LBB114_3
; %bb.47:                               ;   in Loop: Header=BB114_6 Depth=1
	v_add_co_u32 v9, vcc_lo, s30, v5
	s_wait_alu 0xfffd
	v_add_co_ci_u32_e64 v10, null, s31, v6, vcc_lo
	global_load_b64 v[9:10], v[9:10], off
	s_wait_loadcnt 0x0
	v_mul_f32_e32 v11, s15, v10
	v_mul_f32_e32 v10, s14, v10
	s_delay_alu instid0(VALU_DEP_1) | instskip(NEXT) | instid1(VALU_DEP_3)
	v_fmac_f32_e32 v10, s15, v9
	v_fma_f32 v11, s14, v9, -v11
	s_delay_alu instid0(VALU_DEP_1)
	v_dual_add_f32 v8, v8, v10 :: v_dual_add_f32 v7, v7, v11
	s_branch .LBB114_3
.LBB114_48:
	s_endpgm
	.section	.rodata,"a",@progbits
	.p2align	6, 0x0
	.amdhsa_kernel _ZL20rocblas_gemvn_kernelILi64ELi16Ei19rocblas_complex_numIfES1_S1_EviiT3_lPKT2_lT1_lS5_lS6_lS2_lPT4_lS6_li
		.amdhsa_group_segment_fixed_size 32768
		.amdhsa_private_segment_fixed_size 0
		.amdhsa_kernarg_size 400
		.amdhsa_user_sgpr_count 2
		.amdhsa_user_sgpr_dispatch_ptr 0
		.amdhsa_user_sgpr_queue_ptr 0
		.amdhsa_user_sgpr_kernarg_segment_ptr 1
		.amdhsa_user_sgpr_dispatch_id 0
		.amdhsa_user_sgpr_private_segment_size 0
		.amdhsa_wavefront_size32 1
		.amdhsa_uses_dynamic_stack 0
		.amdhsa_enable_private_segment 0
		.amdhsa_system_sgpr_workgroup_id_x 1
		.amdhsa_system_sgpr_workgroup_id_y 0
		.amdhsa_system_sgpr_workgroup_id_z 1
		.amdhsa_system_sgpr_workgroup_info 0
		.amdhsa_system_vgpr_workitem_id 1
		.amdhsa_next_free_vgpr 72
		.amdhsa_next_free_sgpr 52
		.amdhsa_reserve_vcc 1
		.amdhsa_float_round_mode_32 0
		.amdhsa_float_round_mode_16_64 0
		.amdhsa_float_denorm_mode_32 3
		.amdhsa_float_denorm_mode_16_64 3
		.amdhsa_fp16_overflow 0
		.amdhsa_workgroup_processor_mode 1
		.amdhsa_memory_ordered 1
		.amdhsa_forward_progress 1
		.amdhsa_inst_pref_size 33
		.amdhsa_round_robin_scheduling 0
		.amdhsa_exception_fp_ieee_invalid_op 0
		.amdhsa_exception_fp_denorm_src 0
		.amdhsa_exception_fp_ieee_div_zero 0
		.amdhsa_exception_fp_ieee_overflow 0
		.amdhsa_exception_fp_ieee_underflow 0
		.amdhsa_exception_fp_ieee_inexact 0
		.amdhsa_exception_int_div_zero 0
	.end_amdhsa_kernel
	.section	.text._ZL20rocblas_gemvn_kernelILi64ELi16Ei19rocblas_complex_numIfES1_S1_EviiT3_lPKT2_lT1_lS5_lS6_lS2_lPT4_lS6_li,"axG",@progbits,_ZL20rocblas_gemvn_kernelILi64ELi16Ei19rocblas_complex_numIfES1_S1_EviiT3_lPKT2_lT1_lS5_lS6_lS2_lPT4_lS6_li,comdat
.Lfunc_end114:
	.size	_ZL20rocblas_gemvn_kernelILi64ELi16Ei19rocblas_complex_numIfES1_S1_EviiT3_lPKT2_lT1_lS5_lS6_lS2_lPT4_lS6_li, .Lfunc_end114-_ZL20rocblas_gemvn_kernelILi64ELi16Ei19rocblas_complex_numIfES1_S1_EviiT3_lPKT2_lT1_lS5_lS6_lS2_lPT4_lS6_li
                                        ; -- End function
	.set _ZL20rocblas_gemvn_kernelILi64ELi16Ei19rocblas_complex_numIfES1_S1_EviiT3_lPKT2_lT1_lS5_lS6_lS2_lPT4_lS6_li.num_vgpr, 72
	.set _ZL20rocblas_gemvn_kernelILi64ELi16Ei19rocblas_complex_numIfES1_S1_EviiT3_lPKT2_lT1_lS5_lS6_lS2_lPT4_lS6_li.num_agpr, 0
	.set _ZL20rocblas_gemvn_kernelILi64ELi16Ei19rocblas_complex_numIfES1_S1_EviiT3_lPKT2_lT1_lS5_lS6_lS2_lPT4_lS6_li.numbered_sgpr, 52
	.set _ZL20rocblas_gemvn_kernelILi64ELi16Ei19rocblas_complex_numIfES1_S1_EviiT3_lPKT2_lT1_lS5_lS6_lS2_lPT4_lS6_li.num_named_barrier, 0
	.set _ZL20rocblas_gemvn_kernelILi64ELi16Ei19rocblas_complex_numIfES1_S1_EviiT3_lPKT2_lT1_lS5_lS6_lS2_lPT4_lS6_li.private_seg_size, 0
	.set _ZL20rocblas_gemvn_kernelILi64ELi16Ei19rocblas_complex_numIfES1_S1_EviiT3_lPKT2_lT1_lS5_lS6_lS2_lPT4_lS6_li.uses_vcc, 1
	.set _ZL20rocblas_gemvn_kernelILi64ELi16Ei19rocblas_complex_numIfES1_S1_EviiT3_lPKT2_lT1_lS5_lS6_lS2_lPT4_lS6_li.uses_flat_scratch, 0
	.set _ZL20rocblas_gemvn_kernelILi64ELi16Ei19rocblas_complex_numIfES1_S1_EviiT3_lPKT2_lT1_lS5_lS6_lS2_lPT4_lS6_li.has_dyn_sized_stack, 0
	.set _ZL20rocblas_gemvn_kernelILi64ELi16Ei19rocblas_complex_numIfES1_S1_EviiT3_lPKT2_lT1_lS5_lS6_lS2_lPT4_lS6_li.has_recursion, 0
	.set _ZL20rocblas_gemvn_kernelILi64ELi16Ei19rocblas_complex_numIfES1_S1_EviiT3_lPKT2_lT1_lS5_lS6_lS2_lPT4_lS6_li.has_indirect_call, 0
	.section	.AMDGPU.csdata,"",@progbits
; Kernel info:
; codeLenInByte = 4148
; TotalNumSgprs: 54
; NumVgprs: 72
; ScratchSize: 0
; MemoryBound: 0
; FloatMode: 240
; IeeeMode: 1
; LDSByteSize: 32768 bytes/workgroup (compile time only)
; SGPRBlocks: 0
; VGPRBlocks: 8
; NumSGPRsForWavesPerEU: 54
; NumVGPRsForWavesPerEU: 72
; Occupancy: 16
; WaveLimiterHint : 0
; COMPUTE_PGM_RSRC2:SCRATCH_EN: 0
; COMPUTE_PGM_RSRC2:USER_SGPR: 2
; COMPUTE_PGM_RSRC2:TRAP_HANDLER: 0
; COMPUTE_PGM_RSRC2:TGID_X_EN: 1
; COMPUTE_PGM_RSRC2:TGID_Y_EN: 0
; COMPUTE_PGM_RSRC2:TGID_Z_EN: 1
; COMPUTE_PGM_RSRC2:TIDIG_COMP_CNT: 1
	.section	.text._ZL20rocblas_gemvn_kernelILi64ELi16El19rocblas_complex_numIfES1_S1_EviiT3_lPKT2_lT1_lS5_lS6_lS2_lPT4_lS6_li,"axG",@progbits,_ZL20rocblas_gemvn_kernelILi64ELi16El19rocblas_complex_numIfES1_S1_EviiT3_lPKT2_lT1_lS5_lS6_lS2_lPT4_lS6_li,comdat
	.globl	_ZL20rocblas_gemvn_kernelILi64ELi16El19rocblas_complex_numIfES1_S1_EviiT3_lPKT2_lT1_lS5_lS6_lS2_lPT4_lS6_li ; -- Begin function _ZL20rocblas_gemvn_kernelILi64ELi16El19rocblas_complex_numIfES1_S1_EviiT3_lPKT2_lT1_lS5_lS6_lS2_lPT4_lS6_li
	.p2align	8
	.type	_ZL20rocblas_gemvn_kernelILi64ELi16El19rocblas_complex_numIfES1_S1_EviiT3_lPKT2_lT1_lS5_lS6_lS2_lPT4_lS6_li,@function
_ZL20rocblas_gemvn_kernelILi64ELi16El19rocblas_complex_numIfES1_S1_EviiT3_lPKT2_lT1_lS5_lS6_lS2_lPT4_lS6_li: ; @_ZL20rocblas_gemvn_kernelILi64ELi16El19rocblas_complex_numIfES1_S1_EviiT3_lPKT2_lT1_lS5_lS6_lS2_lPT4_lS6_li
; %bb.0:
	s_load_b64 s[2:3], s[0:1], 0x9c
	s_wait_kmcnt 0x0
	s_lshr_b32 s4, s2, 16
	s_and_b32 s2, s2, 0xffff
	s_and_b32 s3, s3, 0xffff
	s_mul_i32 s2, s4, s2
	s_delay_alu instid0(SALU_CYCLE_1) | instskip(NEXT) | instid1(SALU_CYCLE_1)
	s_mul_i32 s2, s2, s3
	s_cmp_lg_u32 s2, 0x400
	s_cbranch_scc1 .LBB115_48
; %bb.1:
	s_load_b32 s33, s[0:1], 0x88
	s_lshr_b32 s34, ttmp7, 16
	s_wait_kmcnt 0x0
	s_cmp_ge_u32 s34, s33
	s_cbranch_scc1 .LBB115_48
; %bb.2:
	s_clause 0x3
	s_load_b512 s[8:23], s[0:1], 0x18
	s_load_b256 s[24:31], s[0:1], 0x68
	s_load_b128 s[36:39], s[0:1], 0x0
	s_load_b64 s[40:41], s[0:1], 0x58
	v_bfe_u32 v19, v0, 10, 10
	s_mov_b32 s35, 0
	v_mov_b32_e32 v1, 0
	s_wait_kmcnt 0x0
	s_lshl_b64 s[2:3], s[10:11], 3
	s_lshl_b64 s[4:5], s[18:19], 3
	;; [unrolled: 1-line block ×3, first 2 shown]
	s_cmp_neq_f32 s38, 0
	v_mad_co_u64_u32 v[2:3], null, s20, v19, 0
	v_and_b32_e32 v5, 0x3ff, v0
	s_cselect_b32 s1, -1, 0
	s_cmp_neq_f32 s39, 0
	s_add_nc_u64 s[18:19], s[24:25], s[6:7]
	s_mov_b32 s26, s36
	v_lshlrev_b32_e32 v0, 3, v5
	s_cselect_b32 s10, -1, 0
	s_add_nc_u64 s[16:17], s[16:17], s[4:5]
	s_or_b32 s42, s1, s10
	s_cmp_neq_f32 s40, 1.0
	s_add_nc_u64 s[10:11], s[8:9], s[2:3]
	v_lshl_add_u32 v59, v19, 11, v0
	v_lshl_add_u32 v60, v19, 9, v0
	s_cselect_b32 s43, -1, 0
	s_cmp_neq_f32 s41, 0
	v_mov_b32_e32 v0, v3
	v_lshl_add_u32 v6, v19, 6, v5
	s_cselect_b32 s8, -1, 0
	s_or_b32 s1, s38, s39
	s_delay_alu instid0(VALU_DEP_2)
	v_mad_co_u64_u32 v[3:4], null, s21, v19, v[0:1]
	s_bitset0_b32 s1, 31
	v_cmp_gt_u32_e64 s0, 0x100, v6
	s_cmp_eq_u32 s1, 0
	s_cselect_b32 s48, -1, 0
	s_lshl_b32 s7, ttmp9, 8
	s_ashr_i32 s27, s36, 31
	v_add_nc_u32_e32 v0, s7, v6
	v_or_b32_e32 v8, s7, v6
	s_cmp_neq_f32 s40, 0
	s_delay_alu instid0(VALU_DEP_2)
	v_mad_co_u64_u32 v[6:7], null, s28, v0, 0
	v_lshlrev_b32_e32 v58, 2, v19
	v_cmp_gt_i64_e32 vcc_lo, s[26:27], v[0:1]
	s_cselect_b32 s1, -1, 0
	s_ashr_i32 s2, s37, 31
	v_mul_lo_u32 v13, s29, v8
	s_lshr_b32 s3, s2, 26
	s_delay_alu instid0(VALU_DEP_4)
	v_mov_b32_e32 v1, v7
	v_or_b32_e32 v20, 2, v58
	s_add_co_i32 s50, s37, s3
	v_cmp_gt_i32_e64 s2, s36, v8
	s_and_not1_b32 s50, s50, 63
	v_mad_co_u64_u32 v[0:1], null, s29, v0, v[1:2]
	v_add_nc_u32_e32 v4, s7, v5
	v_mad_co_u64_u32 v[14:15], null, s12, v20, 0
	v_mad_co_u64_u32 v[8:9], null, s28, v8, 0
	s_sub_co_i32 s6, s37, s50
	v_dual_mov_b32 v7, v0 :: v_dual_add_nc_u32 v10, 64, v4
	v_add_nc_u32_e32 v11, 0x80, v4
	v_add_nc_u32_e32 v12, 0xc0, v4
	s_or_b32 s49, s1, s8
	s_wait_alu 0xfffe
	s_cmp_gt_i32 s6, 0
	v_or_b32_e32 v16, 3, v58
	v_cmp_gt_i32_e64 s1, s36, v4
	v_cmp_gt_i32_e64 s3, s36, v10
	;; [unrolled: 1-line block ×4, first 2 shown]
	s_cselect_b32 s36, -1, 0
	s_ashr_i32 s7, s7, 31
	v_mad_co_u64_u32 v[10:11], null, s12, v16, 0
	s_wait_alu 0xfffe
	s_mul_i32 s7, s28, s7
	v_lshlrev_b64_e32 v[0:1], 5, v[2:3]
	s_wait_alu 0xfffe
	v_add3_u32 v9, v9, s7, v13
	v_mad_co_u64_u32 v[12:13], null, s12, v19, 0
	v_ashrrev_i32_e32 v5, 31, v4
	v_mov_b32_e32 v2, v11
	s_and_b32 s51, s0, vcc_lo
	v_add_co_u32 v0, vcc_lo, s16, v0
	s_delay_alu instid0(VALU_DEP_1)
	v_add_co_ci_u32_e64 v1, null, s17, v1, vcc_lo
	v_mov_b32_e32 v3, v13
	v_cmp_gt_i32_e64 s6, s50, v58
	s_or_b32 s7, s42, s43
	s_lshl_b64 s[24:25], s[22:23], 3
	s_lshl_b64 s[26:27], s[20:21], 9
	v_mad_co_u64_u32 v[16:17], null, s13, v16, v[2:3]
	v_mad_co_u64_u32 v[17:18], null, s12, v58, s[12:13]
	;; [unrolled: 1-line block ×3, first 2 shown]
	v_mov_b32_e32 v3, v15
	s_wait_alu 0xfffe
	s_or_b32 s52, s7, s8
	s_delay_alu instid0(VALU_DEP_4)
	v_mov_b32_e32 v11, v16
	s_lshl_b64 s[28:29], s[14:15], 3
	s_lshl_b64 s[42:43], s[12:13], 9
	v_mad_co_u64_u32 v[15:16], null, s13, v20, v[3:4]
	v_dual_mov_b32 v16, v18 :: v_dual_mov_b32 v13, v2
	v_lshlrev_b64_e32 v[2:3], 3, v[4:5]
	v_lshlrev_b64_e32 v[4:5], 3, v[10:11]
	s_lshl_b64 s[44:45], s[20:21], 3
	s_delay_alu instid0(VALU_DEP_3) | instskip(NEXT) | instid1(VALU_DEP_2)
	v_mad_co_u64_u32 v[10:11], null, s13, v58, v[16:17]
	v_add_co_u32 v61, vcc_lo, s10, v4
	s_wait_alu 0xfffd
	s_delay_alu instid0(VALU_DEP_3) | instskip(NEXT) | instid1(VALU_DEP_3)
	v_add_co_ci_u32_e64 v62, null, s11, v5, vcc_lo
	v_mov_b32_e32 v18, v10
	v_lshlrev_b64_e32 v[11:12], 5, v[12:13]
	v_lshlrev_b64_e32 v[4:5], 3, v[14:15]
	s_delay_alu instid0(VALU_DEP_2) | instskip(NEXT) | instid1(VALU_DEP_4)
	v_add_co_u32 v63, vcc_lo, s10, v11
	v_lshlrev_b64_e32 v[10:11], 3, v[17:18]
	s_wait_alu 0xfffd
	s_delay_alu instid0(VALU_DEP_4) | instskip(NEXT) | instid1(VALU_DEP_4)
	v_add_co_ci_u32_e64 v64, null, s11, v12, vcc_lo
	v_add_co_u32 v65, vcc_lo, s10, v4
	s_wait_alu 0xfffd
	v_add_co_ci_u32_e64 v66, null, s11, v5, vcc_lo
	v_add_co_u32 v67, vcc_lo, s10, v10
	v_lshlrev_b64_e32 v[4:5], 3, v[6:7]
	v_lshlrev_b64_e32 v[6:7], 3, v[8:9]
	s_wait_alu 0xfffd
	v_add_co_ci_u32_e64 v68, null, s11, v11, vcc_lo
	s_branch .LBB115_6
.LBB115_3:                              ;   in Loop: Header=BB115_6 Depth=1
	v_add_co_u32 v10, vcc_lo, s46, v6
	s_wait_alu 0xfffd
	v_add_co_ci_u32_e64 v11, null, s47, v7, vcc_lo
	global_store_b64 v[10:11], v[8:9], off
.LBB115_4:                              ;   in Loop: Header=BB115_6 Depth=1
	s_wait_alu 0xfffe
	s_or_b32 exec_lo, exec_lo, s7
.LBB115_5:                              ;   in Loop: Header=BB115_6 Depth=1
	s_add_co_i32 s34, s34, 0x10000
	s_wait_alu 0xfffe
	s_cmp_lt_u32 s34, s33
	s_cbranch_scc0 .LBB115_48
.LBB115_6:                              ; =>This Loop Header: Depth=1
                                        ;     Child Loop BB115_20 Depth 2
	s_and_not1_b32 vcc_lo, exec_lo, s52
	s_wait_alu 0xfffe
	s_cbranch_vccnz .LBB115_5
; %bb.7:                                ;   in Loop: Header=BB115_6 Depth=1
	s_mul_u64 s[8:9], s[30:31], s[34:35]
	s_and_not1_b32 vcc_lo, exec_lo, s48
	s_wait_alu 0xfffe
	s_lshl_b64 s[8:9], s[8:9], 3
	s_mov_b32 s7, -1
	s_wait_alu 0xfffe
	s_add_nc_u64 s[46:47], s[18:19], s[8:9]
	s_cbranch_vccnz .LBB115_13
; %bb.8:                                ;   in Loop: Header=BB115_6 Depth=1
	s_and_saveexec_b32 s7, s51
	s_cbranch_execz .LBB115_12
; %bb.9:                                ;   in Loop: Header=BB115_6 Depth=1
	v_dual_mov_b32 v8, 0 :: v_dual_mov_b32 v9, 0
	s_and_not1_b32 vcc_lo, exec_lo, s49
	s_wait_alu 0xfffe
	s_cbranch_vccnz .LBB115_11
; %bb.10:                               ;   in Loop: Header=BB115_6 Depth=1
	v_add_co_u32 v8, vcc_lo, s46, v4
	s_wait_alu 0xfffd
	v_add_co_ci_u32_e64 v9, null, s47, v5, vcc_lo
	global_load_b64 v[10:11], v[8:9], off
	s_wait_loadcnt 0x0
	v_mul_f32_e32 v9, s40, v11
	s_delay_alu instid0(VALU_DEP_1) | instskip(NEXT) | instid1(VALU_DEP_1)
	v_dual_mul_f32 v8, s41, v11 :: v_dual_fmac_f32 v9, s41, v10
	v_fma_f32 v8, s40, v10, -v8
.LBB115_11:                             ;   in Loop: Header=BB115_6 Depth=1
	v_add_co_u32 v10, vcc_lo, s46, v4
	s_wait_alu 0xfffd
	v_add_co_ci_u32_e64 v11, null, s47, v5, vcc_lo
	global_store_b64 v[10:11], v[8:9], off
.LBB115_12:                             ;   in Loop: Header=BB115_6 Depth=1
	s_wait_alu 0xfffe
	s_or_b32 exec_lo, exec_lo, s7
	s_mov_b32 s7, 0
.LBB115_13:                             ;   in Loop: Header=BB115_6 Depth=1
	s_wait_alu 0xfffe
	s_and_not1_b32 vcc_lo, exec_lo, s7
	s_wait_alu 0xfffe
	s_cbranch_vccnz .LBB115_5
; %bb.14:                               ;   in Loop: Header=BB115_6 Depth=1
	v_dual_mov_b32 v9, 0 :: v_dual_mov_b32 v8, 0
	v_dual_mov_b32 v69, v58 :: v_dual_mov_b32 v10, 0
	;; [unrolled: 1-line block ×4, first 2 shown]
	v_mov_b32_e32 v15, 0
	s_and_saveexec_b32 s8, s6
	s_cbranch_execz .LBB115_26
; %bb.15:                               ;   in Loop: Header=BB115_6 Depth=1
	v_mad_co_u64_u32 v[16:17], null, s24, s34, v[0:1]
	v_mov_b32_e32 v9, 0
	s_mul_u64 s[54:55], s[28:29], s[34:35]
	s_mov_b32 s9, 0
	s_wait_alu 0xfffe
	v_add_co_u32 v70, vcc_lo, v61, s54
	s_wait_alu 0xfffd
	v_add_co_ci_u32_e64 v71, null, s55, v62, vcc_lo
	v_mov_b32_e32 v8, v17
	v_add_co_u32 v72, vcc_lo, v63, s54
	s_wait_alu 0xfffd
	v_add_co_ci_u32_e64 v73, null, s55, v64, vcc_lo
	s_delay_alu instid0(VALU_DEP_3) | instskip(SKIP_4) | instid1(VALU_DEP_4)
	v_mad_co_u64_u32 v[10:11], null, s25, s34, v[8:9]
	v_add_co_u32 v74, vcc_lo, v65, s54
	s_wait_alu 0xfffd
	v_add_co_ci_u32_e64 v75, null, s55, v66, vcc_lo
	v_add_co_u32 v76, vcc_lo, v67, s54
	v_dual_mov_b32 v17, v10 :: v_dual_mov_b32 v8, v9
	s_wait_alu 0xfffd
	v_add_co_ci_u32_e64 v77, null, s55, v68, vcc_lo
	v_dual_mov_b32 v69, v58 :: v_dual_mov_b32 v10, v9
	v_dual_mov_b32 v11, v9 :: v_dual_mov_b32 v12, v9
	;; [unrolled: 1-line block ×3, first 2 shown]
	v_mov_b32_e32 v15, v9
	s_branch .LBB115_20
.LBB115_16:                             ;   in Loop: Header=BB115_20 Depth=2
	s_wait_alu 0xfffe
	s_or_b32 exec_lo, exec_lo, s55
	s_wait_loadcnt 0x3
	v_mul_f32_e32 v50, v31, v49
	s_wait_loadcnt 0x1
	v_dual_mul_f32 v51, v27, v47 :: v_dual_mul_f32 v52, v21, v45
	v_mul_f32_e32 v47, v26, v47
	v_mul_f32_e32 v49, v30, v49
	v_fma_f32 v50, v30, v48, -v50
	v_mul_f32_e32 v45, v20, v45
	v_fma_f32 v51, v26, v46, -v51
	v_fmac_f32_e32 v47, v27, v46
	v_fma_f32 v46, v20, v44, -v52
	s_delay_alu instid0(VALU_DEP_4) | instskip(NEXT) | instid1(VALU_DEP_1)
	v_dual_add_f32 v10, v10, v50 :: v_dual_fmac_f32 v45, v21, v44
	v_add_f32_e32 v10, v51, v10
	v_fmac_f32_e32 v49, v31, v48
	s_wait_loadcnt 0x0
	v_mul_f32_e32 v48, v19, v43
	v_mul_f32_e32 v43, v18, v43
	v_add_f32_e32 v10, v46, v10
	s_delay_alu instid0(VALU_DEP_3) | instskip(SKIP_1) | instid1(VALU_DEP_4)
	v_fma_f32 v44, v18, v42, -v48
	v_add_f32_e32 v11, v11, v49
	v_fmac_f32_e32 v43, v19, v42
	s_delay_alu instid0(VALU_DEP_2) | instskip(NEXT) | instid1(VALU_DEP_1)
	v_dual_add_f32 v10, v44, v10 :: v_dual_add_f32 v11, v47, v11
	v_add_f32_e32 v11, v45, v11
	s_delay_alu instid0(VALU_DEP_1)
	v_add_f32_e32 v11, v43, v11
.LBB115_17:                             ;   in Loop: Header=BB115_20 Depth=2
	s_wait_alu 0xfffe
	s_or_b32 exec_lo, exec_lo, s54
	s_wait_loadcnt 0x3
	v_mul_f32_e32 v42, v31, v41
	v_mul_f32_e32 v41, v30, v41
	s_wait_loadcnt 0x1
	v_dual_mul_f32 v43, v27, v39 :: v_dual_mul_f32 v44, v21, v37
	v_mul_f32_e32 v39, v26, v39
	v_fma_f32 v42, v30, v40, -v42
	v_fmac_f32_e32 v41, v31, v40
	s_delay_alu instid0(VALU_DEP_4) | instskip(SKIP_4) | instid1(VALU_DEP_2)
	v_fma_f32 v43, v26, v38, -v43
	s_wait_loadcnt 0x0
	v_mul_f32_e32 v40, v19, v35
	v_dual_mul_f32 v35, v18, v35 :: v_dual_add_f32 v12, v12, v42
	v_mul_f32_e32 v37, v20, v37
	v_fmac_f32_e32 v35, v19, v34
	s_delay_alu instid0(VALU_DEP_3) | instskip(SKIP_4) | instid1(VALU_DEP_3)
	v_add_f32_e32 v12, v43, v12
	v_fmac_f32_e32 v39, v27, v38
	v_fma_f32 v38, v20, v36, -v44
	v_fmac_f32_e32 v37, v21, v36
	v_fma_f32 v36, v18, v34, -v40
	v_dual_add_f32 v12, v38, v12 :: v_dual_add_f32 v13, v13, v41
	s_delay_alu instid0(VALU_DEP_1) | instskip(NEXT) | instid1(VALU_DEP_1)
	v_dual_add_f32 v12, v36, v12 :: v_dual_add_f32 v13, v39, v13
	v_add_f32_e32 v13, v37, v13
	s_delay_alu instid0(VALU_DEP_1)
	v_add_f32_e32 v13, v35, v13
.LBB115_18:                             ;   in Loop: Header=BB115_20 Depth=2
	s_or_b32 exec_lo, exec_lo, s53
	s_wait_loadcnt 0x1
	v_mul_f32_e32 v36, v21, v25
	v_mul_f32_e32 v34, v31, v33
	;; [unrolled: 1-line block ×3, first 2 shown]
	s_delay_alu instid0(VALU_DEP_3) | instskip(SKIP_1) | instid1(VALU_DEP_1)
	v_fma_f32 v20, v20, v24, -v36
	v_mul_f32_e32 v33, v30, v33
	v_fmac_f32_e32 v33, v31, v32
	s_wait_loadcnt 0x0
	v_mul_f32_e32 v31, v19, v23
	v_mul_f32_e32 v23, v18, v23
	v_fma_f32 v30, v30, v32, -v34
	v_mul_f32_e32 v35, v27, v29
	v_mul_f32_e32 v29, v26, v29
	v_add_f32_e32 v15, v15, v33
	v_fma_f32 v18, v18, v22, -v31
	v_add_f32_e32 v14, v14, v30
	v_fma_f32 v26, v26, v28, -v35
	v_fmac_f32_e32 v29, v27, v28
	v_fmac_f32_e32 v23, v19, v22
	s_delay_alu instid0(VALU_DEP_3) | instskip(NEXT) | instid1(VALU_DEP_1)
	v_dual_add_f32 v14, v26, v14 :: v_dual_fmac_f32 v25, v21, v24
	v_dual_add_f32 v15, v29, v15 :: v_dual_add_f32 v14, v20, v14
	s_delay_alu instid0(VALU_DEP_1) | instskip(NEXT) | instid1(VALU_DEP_1)
	v_dual_add_f32 v15, v25, v15 :: v_dual_add_f32 v14, v18, v14
	v_add_f32_e32 v15, v23, v15
.LBB115_19:                             ;   in Loop: Header=BB115_20 Depth=2
	s_wait_alu 0xfffe
	s_or_b32 exec_lo, exec_lo, s7
	v_add_co_u32 v16, vcc_lo, v16, s26
	s_wait_alu 0xfffd
	v_add_co_ci_u32_e64 v17, null, s27, v17, vcc_lo
	v_add_co_u32 v70, vcc_lo, v70, s42
	v_add_nc_u32_e32 v69, 64, v69
	s_wait_alu 0xfffd
	v_add_co_ci_u32_e64 v71, null, s43, v71, vcc_lo
	v_add_co_u32 v72, vcc_lo, v72, s42
	s_wait_alu 0xfffd
	v_add_co_ci_u32_e64 v73, null, s43, v73, vcc_lo
	v_add_co_u32 v74, vcc_lo, v74, s42
	s_wait_alu 0xfffd
	v_add_co_ci_u32_e64 v75, null, s43, v75, vcc_lo
	v_cmp_le_i32_e32 vcc_lo, s50, v69
	v_add_co_u32 v76, s7, v76, s42
	s_wait_alu 0xf1ff
	v_add_co_ci_u32_e64 v77, null, s43, v77, s7
	s_or_b32 s9, vcc_lo, s9
	s_wait_alu 0xfffe
	s_and_not1_b32 exec_lo, exec_lo, s9
	s_cbranch_execz .LBB115_25
.LBB115_20:                             ;   Parent Loop BB115_6 Depth=1
                                        ; =>  This Inner Loop Header: Depth=2
	s_and_saveexec_b32 s7, s1
	s_cbranch_execz .LBB115_19
; %bb.21:                               ;   in Loop: Header=BB115_20 Depth=2
	v_add_co_u32 v18, vcc_lo, v16, s44
	s_wait_alu 0xfffd
	v_add_co_ci_u32_e64 v19, null, s45, v17, vcc_lo
	s_delay_alu instid0(VALU_DEP_2) | instskip(SKIP_1) | instid1(VALU_DEP_2)
	v_add_co_u32 v20, vcc_lo, v18, s44
	s_wait_alu 0xfffd
	v_add_co_ci_u32_e64 v21, null, s45, v19, vcc_lo
	s_delay_alu instid0(VALU_DEP_2) | instskip(SKIP_1) | instid1(VALU_DEP_2)
	v_add_co_u32 v22, vcc_lo, v20, s44
	s_wait_alu 0xfffd
	v_add_co_ci_u32_e64 v23, null, s45, v21, vcc_lo
	v_add_co_u32 v56, vcc_lo, v72, v2
	s_wait_alu 0xfffd
	v_add_co_ci_u32_e64 v57, null, v73, v3, vcc_lo
	;; [unrolled: 3-line block ×5, first 2 shown]
	s_clause 0x3
	global_load_b64 v[30:31], v[16:17], off
	global_load_b64 v[26:27], v[18:19], off
	;; [unrolled: 1-line block ×8, first 2 shown]
	s_and_saveexec_b32 s53, s3
	s_cbranch_execz .LBB115_18
; %bb.22:                               ;   in Loop: Header=BB115_20 Depth=2
	global_load_b64 v[40:41], v[56:57], off offset:512
	global_load_b64 v[38:39], v[54:55], off offset:512
	global_load_b64 v[36:37], v[52:53], off offset:512
	global_load_b64 v[34:35], v[50:51], off offset:512
	s_and_saveexec_b32 s54, s4
	s_cbranch_execz .LBB115_17
; %bb.23:                               ;   in Loop: Header=BB115_20 Depth=2
	global_load_b64 v[48:49], v[56:57], off offset:1024
	global_load_b64 v[46:47], v[54:55], off offset:1024
	global_load_b64 v[44:45], v[52:53], off offset:1024
	global_load_b64 v[42:43], v[50:51], off offset:1024
	;; [unrolled: 7-line block ×3, first 2 shown]
	s_wait_loadcnt 0x3
	v_mul_f32_e32 v78, v31, v57
	v_mul_f32_e32 v57, v30, v57
	s_wait_loadcnt 0x1
	v_dual_mul_f32 v79, v27, v55 :: v_dual_mul_f32 v80, v21, v53
	v_mul_f32_e32 v55, v26, v55
	v_fma_f32 v78, v30, v56, -v78
	v_fmac_f32_e32 v57, v31, v56
	s_delay_alu instid0(VALU_DEP_4) | instskip(SKIP_4) | instid1(VALU_DEP_2)
	v_fma_f32 v79, v26, v54, -v79
	s_wait_loadcnt 0x0
	v_mul_f32_e32 v56, v19, v51
	v_dual_mul_f32 v51, v18, v51 :: v_dual_add_f32 v8, v8, v78
	v_mul_f32_e32 v53, v20, v53
	v_fmac_f32_e32 v51, v19, v50
	s_delay_alu instid0(VALU_DEP_3) | instskip(SKIP_4) | instid1(VALU_DEP_3)
	v_add_f32_e32 v8, v79, v8
	v_fmac_f32_e32 v55, v27, v54
	v_fma_f32 v54, v20, v52, -v80
	v_fmac_f32_e32 v53, v21, v52
	v_fma_f32 v52, v18, v50, -v56
	v_dual_add_f32 v8, v54, v8 :: v_dual_add_f32 v9, v9, v57
	s_delay_alu instid0(VALU_DEP_1) | instskip(NEXT) | instid1(VALU_DEP_1)
	v_dual_add_f32 v8, v52, v8 :: v_dual_add_f32 v9, v55, v9
	v_add_f32_e32 v9, v53, v9
	s_delay_alu instid0(VALU_DEP_1)
	v_add_f32_e32 v9, v51, v9
	s_branch .LBB115_16
.LBB115_25:                             ;   in Loop: Header=BB115_6 Depth=1
	s_or_b32 exec_lo, exec_lo, s9
.LBB115_26:                             ;   in Loop: Header=BB115_6 Depth=1
	s_wait_alu 0xfffe
	s_or_b32 exec_lo, exec_lo, s8
	s_delay_alu instid0(SALU_CYCLE_1)
	s_and_not1_b32 vcc_lo, exec_lo, s36
	s_wait_alu 0xfffe
	s_cbranch_vccnz .LBB115_44
; %bb.27:                               ;   in Loop: Header=BB115_6 Depth=1
	v_cmp_gt_i32_e32 vcc_lo, s37, v69
	v_dual_mov_b32 v16, 0 :: v_dual_mov_b32 v17, 0
	v_or_b32_e32 v24, 1, v69
	v_dual_mov_b32 v18, 0 :: v_dual_mov_b32 v19, 0
	v_dual_mov_b32 v20, 0 :: v_dual_mov_b32 v21, 0
	;; [unrolled: 1-line block ×3, first 2 shown]
	s_and_saveexec_b32 s53, vcc_lo
	s_cbranch_execz .LBB115_35
; %bb.28:                               ;   in Loop: Header=BB115_6 Depth=1
	v_mad_co_u64_u32 v[16:17], null, s20, v69, 0
	s_mul_u64 s[8:9], s[22:23], s[34:35]
	v_dual_mov_b32 v23, 0 :: v_dual_mov_b32 v22, 0
	s_wait_alu 0xfffe
	s_lshl_b64 s[8:9], s[8:9], 3
	v_dual_mov_b32 v21, 0 :: v_dual_mov_b32 v20, 0
	v_mad_co_u64_u32 v[17:18], null, s21, v69, v[17:18]
	s_wait_alu 0xfffe
	s_add_nc_u64 s[8:9], s[16:17], s[8:9]
	v_dual_mov_b32 v19, 0 :: v_dual_mov_b32 v18, 0
	s_mov_b32 s54, exec_lo
	s_delay_alu instid0(VALU_DEP_2) | instskip(SKIP_1) | instid1(VALU_DEP_1)
	v_lshlrev_b64_e32 v[16:17], 3, v[16:17]
	s_wait_alu 0xfffe
	v_add_co_u32 v16, s7, s8, v16
	s_wait_alu 0xf1ff
	s_delay_alu instid0(VALU_DEP_2)
	v_add_co_ci_u32_e64 v17, null, s9, v17, s7
	global_load_b64 v[16:17], v[16:17], off
	v_cmpx_gt_i32_e64 s37, v24
	s_cbranch_execz .LBB115_34
; %bb.29:                               ;   in Loop: Header=BB115_6 Depth=1
	v_mad_co_u64_u32 v[18:19], null, s20, v24, 0
	v_or_b32_e32 v25, 2, v69
	v_dual_mov_b32 v23, 0 :: v_dual_mov_b32 v22, 0
	v_mov_b32_e32 v21, 0
	s_mov_b32 s55, exec_lo
	s_delay_alu instid0(VALU_DEP_4) | instskip(SKIP_1) | instid1(VALU_DEP_2)
	v_mad_co_u64_u32 v[19:20], null, s21, v24, v[19:20]
	v_mov_b32_e32 v20, 0
	v_lshlrev_b64_e32 v[18:19], 3, v[18:19]
	s_delay_alu instid0(VALU_DEP_1) | instskip(SKIP_1) | instid1(VALU_DEP_2)
	v_add_co_u32 v18, s7, s8, v18
	s_wait_alu 0xf1ff
	v_add_co_ci_u32_e64 v19, null, s9, v19, s7
	global_load_b64 v[18:19], v[18:19], off
	v_cmpx_gt_i32_e64 s37, v25
	s_cbranch_execz .LBB115_33
; %bb.30:                               ;   in Loop: Header=BB115_6 Depth=1
	v_mad_co_u64_u32 v[20:21], null, s20, v25, 0
	v_mov_b32_e32 v23, 0
	s_mov_b32 s56, exec_lo
	s_delay_alu instid0(VALU_DEP_2) | instskip(SKIP_2) | instid1(VALU_DEP_3)
	v_mad_co_u64_u32 v[21:22], null, s21, v25, v[21:22]
	v_or_b32_e32 v25, 3, v69
	v_mov_b32_e32 v22, 0
	v_lshlrev_b64_e32 v[20:21], 3, v[20:21]
	s_delay_alu instid0(VALU_DEP_1) | instskip(SKIP_1) | instid1(VALU_DEP_2)
	v_add_co_u32 v20, s7, s8, v20
	s_wait_alu 0xf1ff
	v_add_co_ci_u32_e64 v21, null, s9, v21, s7
	global_load_b64 v[20:21], v[20:21], off
	v_cmpx_gt_i32_e64 s37, v25
	s_cbranch_execz .LBB115_32
; %bb.31:                               ;   in Loop: Header=BB115_6 Depth=1
	v_mad_co_u64_u32 v[22:23], null, s20, v25, 0
	s_delay_alu instid0(VALU_DEP_1) | instskip(NEXT) | instid1(VALU_DEP_1)
	v_mad_co_u64_u32 v[25:26], null, s21, v25, v[23:24]
	v_mov_b32_e32 v23, v25
	s_delay_alu instid0(VALU_DEP_1) | instskip(NEXT) | instid1(VALU_DEP_1)
	v_lshlrev_b64_e32 v[22:23], 3, v[22:23]
	v_add_co_u32 v22, s7, s8, v22
	s_wait_alu 0xf1ff
	s_delay_alu instid0(VALU_DEP_2)
	v_add_co_ci_u32_e64 v23, null, s9, v23, s7
	global_load_b64 v[22:23], v[22:23], off
.LBB115_32:                             ;   in Loop: Header=BB115_6 Depth=1
	s_or_b32 exec_lo, exec_lo, s56
.LBB115_33:                             ;   in Loop: Header=BB115_6 Depth=1
	s_wait_alu 0xfffe
	s_or_b32 exec_lo, exec_lo, s55
.LBB115_34:                             ;   in Loop: Header=BB115_6 Depth=1
	s_wait_alu 0xfffe
	s_or_b32 exec_lo, exec_lo, s54
.LBB115_35:                             ;   in Loop: Header=BB115_6 Depth=1
	s_delay_alu instid0(SALU_CYCLE_1)
	s_or_b32 exec_lo, exec_lo, s53
	s_and_saveexec_b32 s9, s1
	s_cbranch_execz .LBB115_43
; %bb.36:                               ;   in Loop: Header=BB115_6 Depth=1
	v_mad_co_u64_u32 v[25:26], null, s12, v69, 0
	v_mad_co_u64_u32 v[27:28], null, s12, v24, 0
	v_or_b32_e32 v36, 2, v69
	v_or_b32_e32 v37, 3, v69
	s_mul_u64 s[54:55], s[14:15], s[34:35]
	s_wait_alu 0xfffe
	s_lshl_b64 s[54:55], s[54:55], 3
	v_cmp_gt_i32_e64 s7, s37, v36
	s_delay_alu instid0(VALU_DEP_4)
	v_mad_co_u64_u32 v[29:30], null, s13, v69, v[26:27]
	v_mad_co_u64_u32 v[30:31], null, s12, v36, 0
	;; [unrolled: 1-line block ×3, first 2 shown]
	v_cndmask_b32_e32 v25, 0, v25, vcc_lo
	s_wait_alu 0xfffe
	s_add_nc_u64 s[54:55], s[10:11], s[54:55]
	s_delay_alu instid0(VALU_DEP_4) | instskip(SKIP_4) | instid1(VALU_DEP_2)
	v_cndmask_b32_e32 v26, 0, v29, vcc_lo
	v_cmp_gt_i32_e32 vcc_lo, s37, v24
	v_mov_b32_e32 v29, v31
	s_wait_alu 0xfffd
	v_cndmask_b32_e32 v27, 0, v27, vcc_lo
	v_mad_co_u64_u32 v[34:35], null, s13, v24, v[28:29]
	v_mov_b32_e32 v24, v33
	v_lshlrev_b64_e32 v[25:26], 3, v[25:26]
	s_delay_alu instid0(VALU_DEP_3) | instskip(SKIP_1) | instid1(VALU_DEP_2)
	v_cndmask_b32_e32 v28, 0, v34, vcc_lo
	s_wait_alu 0xfffe
	v_add_co_u32 v25, s8, s54, v25
	s_wait_alu 0xf1ff
	s_delay_alu instid0(VALU_DEP_3) | instskip(SKIP_1) | instid1(VALU_DEP_3)
	v_add_co_ci_u32_e64 v26, null, s55, v26, s8
	v_mad_co_u64_u32 v[35:36], null, s13, v36, v[29:30]
	v_add_co_u32 v50, vcc_lo, v25, v2
	s_wait_alu 0xfffd
	s_delay_alu instid0(VALU_DEP_3) | instskip(SKIP_4) | instid1(VALU_DEP_4)
	v_add_co_ci_u32_e64 v51, null, v26, v3, vcc_lo
	v_lshlrev_b64_e32 v[25:26], 3, v[27:28]
	v_cndmask_b32_e64 v27, 0, v30, s7
	v_cndmask_b32_e64 v28, 0, v35, s7
	v_cmp_gt_i32_e32 vcc_lo, s37, v37
	v_mad_co_u64_u32 v[29:30], null, s13, v37, v[24:25]
	v_add_co_u32 v30, s7, s54, v25
	s_wait_alu 0xf1ff
	v_add_co_ci_u32_e64 v31, null, s55, v26, s7
	v_lshlrev_b64_e32 v[24:25], 3, v[27:28]
	s_wait_alu 0xfffd
	s_delay_alu instid0(VALU_DEP_4) | instskip(SKIP_3) | instid1(VALU_DEP_3)
	v_dual_cndmask_b32 v26, 0, v32 :: v_dual_cndmask_b32 v27, 0, v29
	v_add_co_u32 v52, vcc_lo, v30, v2
	s_wait_alu 0xfffd
	v_add_co_ci_u32_e64 v53, null, v31, v3, vcc_lo
	v_lshlrev_b64_e32 v[26:27], 3, v[26:27]
	v_add_co_u32 v24, vcc_lo, s54, v24
	s_wait_alu 0xfffd
	v_add_co_ci_u32_e64 v25, null, s55, v25, vcc_lo
	s_delay_alu instid0(VALU_DEP_3)
	v_add_co_u32 v26, vcc_lo, s54, v26
	s_wait_alu 0xfffd
	v_add_co_ci_u32_e64 v27, null, s55, v27, vcc_lo
	v_add_co_u32 v54, vcc_lo, v24, v2
	s_wait_alu 0xfffd
	v_add_co_ci_u32_e64 v55, null, v25, v3, vcc_lo
	;; [unrolled: 3-line block ×3, first 2 shown]
	s_clause 0x3
	global_load_b64 v[30:31], v[50:51], off
	global_load_b64 v[28:29], v[52:53], off
	;; [unrolled: 1-line block ×4, first 2 shown]
	s_and_saveexec_b32 s7, s3
	s_cbranch_execz .LBB115_42
; %bb.37:                               ;   in Loop: Header=BB115_6 Depth=1
	s_clause 0x3
	global_load_b64 v[38:39], v[50:51], off offset:512
	global_load_b64 v[36:37], v[52:53], off offset:512
	global_load_b64 v[34:35], v[54:55], off offset:512
	global_load_b64 v[32:33], v[48:49], off offset:512
	s_and_saveexec_b32 s8, s4
	s_cbranch_execz .LBB115_41
; %bb.38:                               ;   in Loop: Header=BB115_6 Depth=1
	s_clause 0x3
	global_load_b64 v[46:47], v[50:51], off offset:1024
	global_load_b64 v[44:45], v[52:53], off offset:1024
	global_load_b64 v[42:43], v[54:55], off offset:1024
	global_load_b64 v[40:41], v[48:49], off offset:1024
	;; [unrolled: 8-line block ×3, first 2 shown]
	s_wait_loadcnt 0x2
	v_dual_mul_f32 v56, v17, v51 :: v_dual_mul_f32 v57, v19, v53
	v_mul_f32_e32 v51, v16, v51
	s_delay_alu instid0(VALU_DEP_2) | instskip(SKIP_1) | instid1(VALU_DEP_4)
	v_fma_f32 v56, v16, v50, -v56
	v_mul_f32_e32 v53, v18, v53
	v_fma_f32 v57, v18, v52, -v57
	s_wait_loadcnt 0x0
	v_dual_fmac_f32 v51, v17, v50 :: v_dual_mul_f32 v50, v23, v49
	v_dual_add_f32 v8, v8, v56 :: v_dual_mul_f32 v49, v22, v49
	v_fmac_f32_e32 v53, v19, v52
	s_delay_alu instid0(VALU_DEP_3) | instskip(NEXT) | instid1(VALU_DEP_4)
	v_add_f32_e32 v9, v9, v51
	v_fma_f32 v50, v22, v48, -v50
	s_delay_alu instid0(VALU_DEP_4) | instskip(SKIP_3) | instid1(VALU_DEP_3)
	v_add_f32_e32 v8, v57, v8
	v_mul_f32_e32 v69, v21, v55
	v_fmac_f32_e32 v49, v23, v48
	v_add_f32_e32 v9, v53, v9
	v_fma_f32 v51, v20, v54, -v69
	s_delay_alu instid0(VALU_DEP_1) | instskip(NEXT) | instid1(VALU_DEP_1)
	v_dual_add_f32 v8, v51, v8 :: v_dual_mul_f32 v55, v20, v55
	v_dual_add_f32 v8, v50, v8 :: v_dual_fmac_f32 v55, v21, v54
	s_delay_alu instid0(VALU_DEP_1) | instskip(NEXT) | instid1(VALU_DEP_1)
	v_add_f32_e32 v9, v55, v9
	v_add_f32_e32 v9, v49, v9
.LBB115_40:                             ;   in Loop: Header=BB115_6 Depth=1
	s_or_b32 exec_lo, exec_lo, s53
	s_wait_loadcnt 0x2
	v_dual_mul_f32 v48, v17, v47 :: v_dual_mul_f32 v49, v19, v45
	v_mul_f32_e32 v47, v16, v47
	s_wait_loadcnt 0x1
	v_dual_mul_f32 v45, v18, v45 :: v_dual_mul_f32 v50, v21, v43
	s_delay_alu instid0(VALU_DEP_3)
	v_fma_f32 v48, v16, v46, -v48
	v_mul_f32_e32 v43, v20, v43
	v_fmac_f32_e32 v47, v17, v46
	v_fma_f32 v49, v18, v44, -v49
	s_wait_loadcnt 0x0
	v_mul_f32_e32 v46, v23, v41
	v_add_f32_e32 v10, v10, v48
	v_fmac_f32_e32 v45, v19, v44
	v_fma_f32 v44, v20, v42, -v50
	v_mul_f32_e32 v41, v22, v41
	v_fmac_f32_e32 v43, v21, v42
	v_dual_add_f32 v10, v49, v10 :: v_dual_add_f32 v11, v11, v47
	v_fma_f32 v42, v22, v40, -v46
	s_delay_alu instid0(VALU_DEP_2) | instskip(NEXT) | instid1(VALU_DEP_1)
	v_dual_fmac_f32 v41, v23, v40 :: v_dual_add_f32 v10, v44, v10
	v_dual_add_f32 v11, v45, v11 :: v_dual_add_f32 v10, v42, v10
	s_delay_alu instid0(VALU_DEP_1) | instskip(NEXT) | instid1(VALU_DEP_1)
	v_add_f32_e32 v11, v43, v11
	v_add_f32_e32 v11, v41, v11
.LBB115_41:                             ;   in Loop: Header=BB115_6 Depth=1
	s_wait_alu 0xfffe
	s_or_b32 exec_lo, exec_lo, s8
	s_wait_loadcnt 0x2
	v_dual_mul_f32 v40, v17, v39 :: v_dual_mul_f32 v41, v19, v37
	v_mul_f32_e32 v39, v16, v39
	s_wait_loadcnt 0x1
	v_dual_mul_f32 v37, v18, v37 :: v_dual_mul_f32 v42, v21, v35
	s_delay_alu instid0(VALU_DEP_3)
	v_fma_f32 v40, v16, v38, -v40
	v_fma_f32 v41, v18, v36, -v41
	s_wait_loadcnt 0x0
	v_dual_fmac_f32 v39, v17, v38 :: v_dual_mul_f32 v38, v23, v33
	v_fmac_f32_e32 v37, v19, v36
	v_add_f32_e32 v12, v12, v40
	v_mul_f32_e32 v35, v20, v35
	v_fma_f32 v36, v20, v34, -v42
	s_delay_alu instid0(VALU_DEP_3) | instskip(SKIP_1) | instid1(VALU_DEP_2)
	v_dual_mul_f32 v33, v22, v33 :: v_dual_add_f32 v12, v41, v12
	v_add_f32_e32 v13, v13, v39
	v_fmac_f32_e32 v33, v23, v32
	s_delay_alu instid0(VALU_DEP_3) | instskip(NEXT) | instid1(VALU_DEP_3)
	v_dual_add_f32 v12, v36, v12 :: v_dual_fmac_f32 v35, v21, v34
	v_add_f32_e32 v13, v37, v13
	v_fma_f32 v34, v22, v32, -v38
	s_delay_alu instid0(VALU_DEP_1) | instskip(NEXT) | instid1(VALU_DEP_1)
	v_dual_add_f32 v12, v34, v12 :: v_dual_add_f32 v13, v35, v13
	v_add_f32_e32 v13, v33, v13
.LBB115_42:                             ;   in Loop: Header=BB115_6 Depth=1
	s_wait_alu 0xfffe
	s_or_b32 exec_lo, exec_lo, s7
	s_wait_loadcnt 0x2
	v_dual_mul_f32 v32, v17, v31 :: v_dual_mul_f32 v33, v19, v29
	v_mul_f32_e32 v31, v16, v31
	s_wait_loadcnt 0x1
	v_dual_mul_f32 v29, v18, v29 :: v_dual_mul_f32 v34, v21, v27
	s_delay_alu instid0(VALU_DEP_3) | instskip(SKIP_2) | instid1(VALU_DEP_3)
	v_fma_f32 v16, v16, v30, -v32
	v_mul_f32_e32 v27, v20, v27
	v_fma_f32 v18, v18, v28, -v33
	v_add_f32_e32 v14, v14, v16
	s_wait_loadcnt 0x0
	v_dual_mul_f32 v16, v22, v25 :: v_dual_fmac_f32 v31, v17, v30
	v_mul_f32_e32 v17, v23, v25
	v_fmac_f32_e32 v27, v21, v26
	v_add_f32_e32 v14, v18, v14
	s_delay_alu instid0(VALU_DEP_4) | instskip(SKIP_4) | instid1(VALU_DEP_1)
	v_fmac_f32_e32 v16, v23, v24
	v_add_f32_e32 v15, v15, v31
	v_fma_f32 v17, v22, v24, -v17
	v_fmac_f32_e32 v29, v19, v28
	v_fma_f32 v19, v20, v26, -v34
	v_add_f32_e32 v14, v19, v14
	s_delay_alu instid0(VALU_DEP_1) | instskip(NEXT) | instid1(VALU_DEP_4)
	v_add_f32_e32 v14, v17, v14
	v_add_f32_e32 v15, v29, v15
	s_delay_alu instid0(VALU_DEP_1) | instskip(NEXT) | instid1(VALU_DEP_1)
	v_add_f32_e32 v15, v27, v15
	v_add_f32_e32 v15, v16, v15
.LBB115_43:                             ;   in Loop: Header=BB115_6 Depth=1
	s_wait_alu 0xfffe
	s_or_b32 exec_lo, exec_lo, s9
.LBB115_44:                             ;   in Loop: Header=BB115_6 Depth=1
	ds_store_2addr_stride64_b64 v59, v[14:15], v[12:13] offset1:1
	ds_store_2addr_stride64_b64 v59, v[10:11], v[8:9] offset0:2 offset1:3
	s_wait_storecnt 0x0
	s_wait_loadcnt_dscnt 0x0
	s_barrier_signal -1
	s_barrier_wait -1
	global_inv scope:SCOPE_SE
	s_and_saveexec_b32 s7, s0
	s_cbranch_execz .LBB115_4
; %bb.45:                               ;   in Loop: Header=BB115_6 Depth=1
	ds_load_2addr_stride64_b64 v[8:11], v60 offset1:4
	ds_load_2addr_stride64_b64 v[12:15], v60 offset0:8 offset1:12
	ds_load_2addr_stride64_b64 v[16:19], v60 offset0:16 offset1:20
	s_wait_dscnt 0x2
	v_dual_add_f32 v20, v8, v10 :: v_dual_add_f32 v21, v9, v11
	ds_load_2addr_stride64_b64 v[8:11], v60 offset0:24 offset1:28
	s_wait_dscnt 0x2
	v_dual_add_f32 v12, v20, v12 :: v_dual_add_f32 v13, v21, v13
	s_delay_alu instid0(VALU_DEP_1) | instskip(SKIP_3) | instid1(VALU_DEP_1)
	v_dual_add_f32 v20, v12, v14 :: v_dual_add_f32 v21, v13, v15
	ds_load_2addr_stride64_b64 v[12:15], v60 offset0:32 offset1:36
	s_wait_dscnt 0x2
	v_dual_add_f32 v16, v20, v16 :: v_dual_add_f32 v17, v21, v17
	v_dual_add_f32 v20, v16, v18 :: v_dual_add_f32 v21, v17, v19
	ds_load_2addr_stride64_b64 v[16:19], v60 offset0:40 offset1:44
	s_wait_dscnt 0x2
	v_dual_add_f32 v8, v20, v8 :: v_dual_add_f32 v9, v21, v9
	s_delay_alu instid0(VALU_DEP_1) | instskip(SKIP_3) | instid1(VALU_DEP_1)
	v_dual_add_f32 v20, v8, v10 :: v_dual_add_f32 v21, v9, v11
	ds_load_2addr_stride64_b64 v[8:11], v60 offset0:48 offset1:52
	s_wait_dscnt 0x2
	v_dual_add_f32 v12, v20, v12 :: v_dual_add_f32 v13, v21, v13
	v_dual_add_f32 v20, v12, v14 :: v_dual_add_f32 v21, v13, v15
	ds_load_2addr_stride64_b64 v[12:15], v60 offset0:56 offset1:60
	s_wait_dscnt 0x2
	v_dual_add_f32 v16, v20, v16 :: v_dual_add_f32 v17, v21, v17
	s_delay_alu instid0(VALU_DEP_1) | instskip(SKIP_1) | instid1(VALU_DEP_1)
	v_dual_add_f32 v16, v16, v18 :: v_dual_add_f32 v17, v17, v19
	s_wait_dscnt 0x1
	v_dual_add_f32 v8, v16, v8 :: v_dual_add_f32 v9, v17, v9
	s_delay_alu instid0(VALU_DEP_1) | instskip(SKIP_1) | instid1(VALU_DEP_1)
	v_dual_add_f32 v8, v8, v10 :: v_dual_add_f32 v9, v9, v11
	s_wait_dscnt 0x0
	v_dual_add_f32 v8, v8, v12 :: v_dual_add_f32 v9, v9, v13
	s_delay_alu instid0(VALU_DEP_1)
	v_dual_add_f32 v10, v8, v14 :: v_dual_add_f32 v11, v9, v15
	ds_store_b64 v60, v[10:11]
	s_and_b32 exec_lo, exec_lo, s2
	s_cbranch_execz .LBB115_4
; %bb.46:                               ;   in Loop: Header=BB115_6 Depth=1
	v_mul_f32_e32 v9, s38, v11
	v_mul_f32_e32 v8, s39, v11
	s_and_not1_b32 vcc_lo, exec_lo, s49
	s_delay_alu instid0(VALU_DEP_2) | instskip(NEXT) | instid1(VALU_DEP_2)
	v_fmac_f32_e32 v9, s39, v10
	v_fma_f32 v8, v10, s38, -v8
	s_wait_alu 0xfffe
	s_cbranch_vccnz .LBB115_3
; %bb.47:                               ;   in Loop: Header=BB115_6 Depth=1
	v_add_co_u32 v10, vcc_lo, s46, v6
	s_wait_alu 0xfffd
	v_add_co_ci_u32_e64 v11, null, s47, v7, vcc_lo
	global_load_b64 v[10:11], v[10:11], off
	s_wait_loadcnt 0x0
	v_mul_f32_e32 v12, s41, v11
	v_mul_f32_e32 v11, s40, v11
	s_delay_alu instid0(VALU_DEP_1) | instskip(NEXT) | instid1(VALU_DEP_3)
	v_fmac_f32_e32 v11, s41, v10
	v_fma_f32 v12, s40, v10, -v12
	s_delay_alu instid0(VALU_DEP_1)
	v_dual_add_f32 v9, v9, v11 :: v_dual_add_f32 v8, v8, v12
	s_branch .LBB115_3
.LBB115_48:
	s_endpgm
	.section	.rodata,"a",@progbits
	.p2align	6, 0x0
	.amdhsa_kernel _ZL20rocblas_gemvn_kernelILi64ELi16El19rocblas_complex_numIfES1_S1_EviiT3_lPKT2_lT1_lS5_lS6_lS2_lPT4_lS6_li
		.amdhsa_group_segment_fixed_size 32768
		.amdhsa_private_segment_fixed_size 0
		.amdhsa_kernarg_size 400
		.amdhsa_user_sgpr_count 2
		.amdhsa_user_sgpr_dispatch_ptr 0
		.amdhsa_user_sgpr_queue_ptr 0
		.amdhsa_user_sgpr_kernarg_segment_ptr 1
		.amdhsa_user_sgpr_dispatch_id 0
		.amdhsa_user_sgpr_private_segment_size 0
		.amdhsa_wavefront_size32 1
		.amdhsa_uses_dynamic_stack 0
		.amdhsa_enable_private_segment 0
		.amdhsa_system_sgpr_workgroup_id_x 1
		.amdhsa_system_sgpr_workgroup_id_y 0
		.amdhsa_system_sgpr_workgroup_id_z 1
		.amdhsa_system_sgpr_workgroup_info 0
		.amdhsa_system_vgpr_workitem_id 1
		.amdhsa_next_free_vgpr 81
		.amdhsa_next_free_sgpr 57
		.amdhsa_reserve_vcc 1
		.amdhsa_float_round_mode_32 0
		.amdhsa_float_round_mode_16_64 0
		.amdhsa_float_denorm_mode_32 3
		.amdhsa_float_denorm_mode_16_64 3
		.amdhsa_fp16_overflow 0
		.amdhsa_workgroup_processor_mode 1
		.amdhsa_memory_ordered 1
		.amdhsa_forward_progress 1
		.amdhsa_inst_pref_size 35
		.amdhsa_round_robin_scheduling 0
		.amdhsa_exception_fp_ieee_invalid_op 0
		.amdhsa_exception_fp_denorm_src 0
		.amdhsa_exception_fp_ieee_div_zero 0
		.amdhsa_exception_fp_ieee_overflow 0
		.amdhsa_exception_fp_ieee_underflow 0
		.amdhsa_exception_fp_ieee_inexact 0
		.amdhsa_exception_int_div_zero 0
	.end_amdhsa_kernel
	.section	.text._ZL20rocblas_gemvn_kernelILi64ELi16El19rocblas_complex_numIfES1_S1_EviiT3_lPKT2_lT1_lS5_lS6_lS2_lPT4_lS6_li,"axG",@progbits,_ZL20rocblas_gemvn_kernelILi64ELi16El19rocblas_complex_numIfES1_S1_EviiT3_lPKT2_lT1_lS5_lS6_lS2_lPT4_lS6_li,comdat
.Lfunc_end115:
	.size	_ZL20rocblas_gemvn_kernelILi64ELi16El19rocblas_complex_numIfES1_S1_EviiT3_lPKT2_lT1_lS5_lS6_lS2_lPT4_lS6_li, .Lfunc_end115-_ZL20rocblas_gemvn_kernelILi64ELi16El19rocblas_complex_numIfES1_S1_EviiT3_lPKT2_lT1_lS5_lS6_lS2_lPT4_lS6_li
                                        ; -- End function
	.set _ZL20rocblas_gemvn_kernelILi64ELi16El19rocblas_complex_numIfES1_S1_EviiT3_lPKT2_lT1_lS5_lS6_lS2_lPT4_lS6_li.num_vgpr, 81
	.set _ZL20rocblas_gemvn_kernelILi64ELi16El19rocblas_complex_numIfES1_S1_EviiT3_lPKT2_lT1_lS5_lS6_lS2_lPT4_lS6_li.num_agpr, 0
	.set _ZL20rocblas_gemvn_kernelILi64ELi16El19rocblas_complex_numIfES1_S1_EviiT3_lPKT2_lT1_lS5_lS6_lS2_lPT4_lS6_li.numbered_sgpr, 57
	.set _ZL20rocblas_gemvn_kernelILi64ELi16El19rocblas_complex_numIfES1_S1_EviiT3_lPKT2_lT1_lS5_lS6_lS2_lPT4_lS6_li.num_named_barrier, 0
	.set _ZL20rocblas_gemvn_kernelILi64ELi16El19rocblas_complex_numIfES1_S1_EviiT3_lPKT2_lT1_lS5_lS6_lS2_lPT4_lS6_li.private_seg_size, 0
	.set _ZL20rocblas_gemvn_kernelILi64ELi16El19rocblas_complex_numIfES1_S1_EviiT3_lPKT2_lT1_lS5_lS6_lS2_lPT4_lS6_li.uses_vcc, 1
	.set _ZL20rocblas_gemvn_kernelILi64ELi16El19rocblas_complex_numIfES1_S1_EviiT3_lPKT2_lT1_lS5_lS6_lS2_lPT4_lS6_li.uses_flat_scratch, 0
	.set _ZL20rocblas_gemvn_kernelILi64ELi16El19rocblas_complex_numIfES1_S1_EviiT3_lPKT2_lT1_lS5_lS6_lS2_lPT4_lS6_li.has_dyn_sized_stack, 0
	.set _ZL20rocblas_gemvn_kernelILi64ELi16El19rocblas_complex_numIfES1_S1_EviiT3_lPKT2_lT1_lS5_lS6_lS2_lPT4_lS6_li.has_recursion, 0
	.set _ZL20rocblas_gemvn_kernelILi64ELi16El19rocblas_complex_numIfES1_S1_EviiT3_lPKT2_lT1_lS5_lS6_lS2_lPT4_lS6_li.has_indirect_call, 0
	.section	.AMDGPU.csdata,"",@progbits
; Kernel info:
; codeLenInByte = 4480
; TotalNumSgprs: 59
; NumVgprs: 81
; ScratchSize: 0
; MemoryBound: 0
; FloatMode: 240
; IeeeMode: 1
; LDSByteSize: 32768 bytes/workgroup (compile time only)
; SGPRBlocks: 0
; VGPRBlocks: 10
; NumSGPRsForWavesPerEU: 59
; NumVGPRsForWavesPerEU: 81
; Occupancy: 16
; WaveLimiterHint : 1
; COMPUTE_PGM_RSRC2:SCRATCH_EN: 0
; COMPUTE_PGM_RSRC2:USER_SGPR: 2
; COMPUTE_PGM_RSRC2:TRAP_HANDLER: 0
; COMPUTE_PGM_RSRC2:TGID_X_EN: 1
; COMPUTE_PGM_RSRC2:TGID_Y_EN: 0
; COMPUTE_PGM_RSRC2:TGID_Z_EN: 1
; COMPUTE_PGM_RSRC2:TIDIG_COMP_CNT: 1
	.section	.text._ZL22rocblas_gemvtsm_kernelILb0ELi256E19rocblas_complex_numIfEPKS1_S1_EviiT2_lPKT1_lilS7_lilS4_lPT3_lil,"axG",@progbits,_ZL22rocblas_gemvtsm_kernelILb0ELi256E19rocblas_complex_numIfEPKS1_S1_EviiT2_lPKT1_lilS7_lilS4_lPT3_lil,comdat
	.globl	_ZL22rocblas_gemvtsm_kernelILb0ELi256E19rocblas_complex_numIfEPKS1_S1_EviiT2_lPKT1_lilS7_lilS4_lPT3_lil ; -- Begin function _ZL22rocblas_gemvtsm_kernelILb0ELi256E19rocblas_complex_numIfEPKS1_S1_EviiT2_lPKT1_lilS7_lilS4_lPT3_lil
	.p2align	8
	.type	_ZL22rocblas_gemvtsm_kernelILb0ELi256E19rocblas_complex_numIfEPKS1_S1_EviiT2_lPKT1_lilS7_lilS4_lPT3_lil,@function
_ZL22rocblas_gemvtsm_kernelILb0ELi256E19rocblas_complex_numIfEPKS1_S1_EviiT2_lPKT1_lilS7_lilS4_lPT3_lil: ; @_ZL22rocblas_gemvtsm_kernelILb0ELi256E19rocblas_complex_numIfEPKS1_S1_EviiT2_lPKT1_lilS7_lilS4_lPT3_lil
; %bb.0:
	s_clause 0x1
	s_load_b256 s[4:11], s[0:1], 0x8
	s_load_b256 s[12:19], s[0:1], 0x50
	s_mov_b32 s24, ttmp9
	s_mov_b32 s25, 0
	s_wait_kmcnt 0x0
	s_mul_u64 s[2:3], s[6:7], s[24:25]
	s_delay_alu instid0(SALU_CYCLE_1) | instskip(NEXT) | instid1(SALU_CYCLE_1)
	s_lshl_b64 s[2:3], s[2:3], 3
	s_add_nc_u64 s[2:3], s[4:5], s[2:3]
	s_load_b64 s[26:27], s[2:3], 0x0
	s_mul_u64 s[2:3], s[16:17], s[24:25]
	s_delay_alu instid0(SALU_CYCLE_1) | instskip(NEXT) | instid1(SALU_CYCLE_1)
	s_lshl_b64 s[2:3], s[2:3], 3
	s_add_nc_u64 s[2:3], s[14:15], s[2:3]
	s_load_b64 s[2:3], s[2:3], 0x0
	s_wait_kmcnt 0x0
	s_cmp_neq_f32 s26, 0
	s_cselect_b32 s4, -1, 0
	s_cmp_neq_f32 s27, 0
	s_cselect_b32 s5, -1, 0
	s_delay_alu instid0(SALU_CYCLE_1) | instskip(NEXT) | instid1(SALU_CYCLE_1)
	s_or_b32 s4, s4, s5
	s_and_b32 vcc_lo, exec_lo, s4
	s_mov_b32 s4, -1
	s_cbranch_vccnz .LBB116_2
; %bb.1:
	s_cmp_neq_f32 s2, 1.0
	s_cselect_b32 s4, -1, 0
	s_cmp_neq_f32 s3, 0
	s_cselect_b32 s5, -1, 0
	s_delay_alu instid0(SALU_CYCLE_1)
	s_or_b32 s4, s4, s5
.LBB116_2:
	s_delay_alu instid0(SALU_CYCLE_1)
	s_and_not1_b32 vcc_lo, exec_lo, s4
	s_cbranch_vccnz .LBB116_36
; %bb.3:
	s_clause 0x2
	s_load_b64 s[4:5], s[0:1], 0x80
	s_load_b96 s[20:22], s[0:1], 0x70
	s_load_b64 s[14:15], s[0:1], 0x0
	s_or_b32 s6, s26, s27
	s_delay_alu instid0(SALU_CYCLE_1) | instskip(NEXT) | instid1(SALU_CYCLE_1)
	s_bitset0_b32 s6, 31
	s_cmp_lg_u32 s6, 0
	s_wait_kmcnt 0x0
	s_mul_u64 s[16:17], s[4:5], s[24:25]
	s_mov_b32 s4, -1
	s_cbranch_scc1 .LBB116_18
; %bb.4:
	s_cmp_neq_f32 s2, 0
	s_cselect_b32 s4, -1, 0
	s_cmp_neq_f32 s3, 0
	s_cselect_b32 s5, -1, 0
	s_delay_alu instid0(SALU_CYCLE_1)
	s_or_b32 s4, s4, s5
	s_cmp_gt_i32 s15, 0
	s_cselect_b32 s6, -1, 0
	s_and_b32 vcc_lo, exec_lo, s4
	s_mov_b32 s4, -1
	s_cbranch_vccnz .LBB116_11
; %bb.5:
	s_and_not1_b32 vcc_lo, exec_lo, s6
	s_cbranch_vccnz .LBB116_10
; %bb.6:
	v_mad_co_i64_i32 v[1:2], null, s22, v0, 0
	s_lshl_b64 s[4:5], s[20:21], 3
	s_lshl_b64 s[28:29], s[16:17], 3
	s_add_nc_u64 s[4:5], s[18:19], s[4:5]
	v_mov_b32_e32 v3, 0
	s_add_nc_u64 s[4:5], s[4:5], s[28:29]
	s_ashr_i32 s31, s22, 31
	v_lshlrev_b64_e32 v[1:2], 3, v[1:2]
	s_mov_b32 s30, s22
	s_mov_b32 s7, 0
	s_delay_alu instid0(VALU_DEP_1) | instskip(NEXT) | instid1(VALU_DEP_1)
	v_add_co_u32 v1, vcc_lo, s4, v1
	v_add_co_ci_u32_e64 v2, null, s5, v2, vcc_lo
	s_lshl_b64 s[4:5], s[30:31], 11
	v_add_co_u32 v1, vcc_lo, v1, 4
	s_wait_alu 0xfffd
	v_add_co_ci_u32_e64 v2, null, 0, v2, vcc_lo
	s_branch .LBB116_8
.LBB116_7:                              ;   in Loop: Header=BB116_8 Depth=1
	s_wait_alu 0xfffe
	s_or_b32 exec_lo, exec_lo, s23
	v_add_co_u32 v1, vcc_lo, v1, s4
	s_wait_alu 0xfffd
	v_add_co_ci_u32_e64 v2, null, s5, v2, vcc_lo
	s_addk_co_i32 s7, 0x100
	s_wait_alu 0xfffe
	s_cmp_ge_i32 s7, s15
	s_cbranch_scc1 .LBB116_10
.LBB116_8:                              ; =>This Inner Loop Header: Depth=1
	v_add_nc_u32_e32 v4, s7, v0
	s_mov_b32 s23, exec_lo
	s_delay_alu instid0(VALU_DEP_1)
	v_cmpx_gt_i32_e64 s15, v4
	s_cbranch_execz .LBB116_7
; %bb.9:                                ;   in Loop: Header=BB116_8 Depth=1
	v_mov_b32_e32 v4, v3
	global_store_b64 v[1:2], v[3:4], off offset:-4
	s_branch .LBB116_7
.LBB116_10:
	s_mov_b32 s4, 0
.LBB116_11:
	s_wait_alu 0xfffe
	s_and_not1_b32 vcc_lo, exec_lo, s4
	s_wait_alu 0xfffe
	s_cbranch_vccnz .LBB116_17
; %bb.12:
	s_and_not1_b32 vcc_lo, exec_lo, s6
	s_wait_alu 0xfffe
	s_cbranch_vccnz .LBB116_17
; %bb.13:
	v_mad_co_i64_i32 v[1:2], null, s22, v0, 0
	s_lshl_b64 s[4:5], s[20:21], 3
	s_lshl_b64 s[6:7], s[16:17], 3
	s_wait_alu 0xfffe
	s_add_nc_u64 s[4:5], s[18:19], s[4:5]
	s_ashr_i32 s29, s22, 31
	s_wait_alu 0xfffe
	s_add_nc_u64 s[4:5], s[4:5], s[6:7]
	s_mov_b32 s28, s22
	v_lshlrev_b64_e32 v[1:2], 3, v[1:2]
	s_mov_b32 s6, 0
	s_wait_alu 0xfffe
	s_delay_alu instid0(VALU_DEP_1) | instskip(SKIP_1) | instid1(VALU_DEP_2)
	v_add_co_u32 v1, vcc_lo, s4, v1
	s_wait_alu 0xfffd
	v_add_co_ci_u32_e64 v2, null, s5, v2, vcc_lo
	s_lshl_b64 s[4:5], s[28:29], 11
	v_add_co_u32 v1, vcc_lo, v1, 4
	s_wait_alu 0xfffd
	v_add_co_ci_u32_e64 v2, null, 0, v2, vcc_lo
	s_branch .LBB116_15
.LBB116_14:                             ;   in Loop: Header=BB116_15 Depth=1
	s_wait_alu 0xfffe
	s_or_b32 exec_lo, exec_lo, s7
	v_add_co_u32 v1, vcc_lo, v1, s4
	s_wait_alu 0xfffd
	v_add_co_ci_u32_e64 v2, null, s5, v2, vcc_lo
	s_addk_co_i32 s6, 0x100
	s_wait_alu 0xfffe
	s_cmp_ge_i32 s6, s15
	s_cbranch_scc1 .LBB116_17
.LBB116_15:                             ; =>This Inner Loop Header: Depth=1
	v_add_nc_u32_e32 v3, s6, v0
	s_mov_b32 s7, exec_lo
	s_delay_alu instid0(VALU_DEP_1)
	v_cmpx_gt_i32_e64 s15, v3
	s_cbranch_execz .LBB116_14
; %bb.16:                               ;   in Loop: Header=BB116_15 Depth=1
	global_load_b64 v[3:4], v[1:2], off offset:-4
	s_wait_loadcnt 0x0
	v_mul_f32_e32 v5, s2, v4
	s_delay_alu instid0(VALU_DEP_1) | instskip(NEXT) | instid1(VALU_DEP_1)
	v_dual_mul_f32 v6, s3, v4 :: v_dual_fmac_f32 v5, s3, v3
	v_fma_f32 v4, s2, v3, -v6
	global_store_b64 v[1:2], v[4:5], off offset:-4
	s_branch .LBB116_14
.LBB116_17:
	s_mov_b32 s4, 0
.LBB116_18:
	s_wait_alu 0xfffe
	s_and_not1_b32 vcc_lo, exec_lo, s4
	s_wait_alu 0xfffe
	s_cbranch_vccnz .LBB116_36
; %bb.19:
	s_clause 0x1
	s_load_b128 s[4:7], s[0:1], 0x30
	s_load_b64 s[28:29], s[0:1], 0x40
	s_mov_b32 s23, exec_lo
	v_cmpx_gt_i32_e64 s14, v0
	s_cbranch_execz .LBB116_21
; %bb.20:
	s_load_b32 s30, s[0:1], 0x48
	s_mul_u64 s[12:13], s[12:13], s[24:25]
	s_wait_kmcnt 0x0
	s_lshl_b64 s[28:29], s[28:29], 3
	s_lshl_b64 s[12:13], s[12:13], 3
	s_delay_alu instid0(SALU_CYCLE_1) | instskip(SKIP_3) | instid1(VALU_DEP_1)
	s_add_nc_u64 s[6:7], s[6:7], s[12:13]
	s_wait_alu 0xfffe
	s_add_nc_u64 s[6:7], s[6:7], s[28:29]
	v_mad_co_i64_i32 v[1:2], null, s30, v0, 0
	v_lshlrev_b64_e32 v[1:2], 3, v[1:2]
	s_wait_alu 0xfffe
	s_delay_alu instid0(VALU_DEP_1) | instskip(SKIP_1) | instid1(VALU_DEP_2)
	v_add_co_u32 v1, vcc_lo, s6, v1
	s_wait_alu 0xfffd
	v_add_co_ci_u32_e64 v2, null, s7, v2, vcc_lo
	global_load_b64 v[1:2], v[1:2], off
	s_wait_loadcnt 0x0
	v_mul_f32_e32 v3, s26, v2
	s_delay_alu instid0(VALU_DEP_1) | instskip(NEXT) | instid1(VALU_DEP_1)
	v_dual_mul_f32 v4, s27, v2 :: v_dual_fmac_f32 v3, s27, v1
	v_fma_f32 v2, v1, s26, -v4
	v_lshlrev_b32_e32 v1, 3, v0
	ds_store_b64 v1, v[2:3]
.LBB116_21:
	s_wait_alu 0xfffe
	s_or_b32 exec_lo, exec_lo, s23
	s_cmp_lt_i32 s15, 1
	s_wait_storecnt_dscnt 0x0
	s_barrier_signal -1
	s_barrier_wait -1
	global_inv scope:SCOPE_SE
	s_cbranch_scc1 .LBB116_36
; %bb.22:
	s_wait_kmcnt 0x0
	s_load_b32 s6, s[0:1], 0x28
	s_lshl_b64 s[0:1], s[16:17], 3
	s_lshl_b64 s[20:21], s[20:21], 3
	s_ashr_i32 s12, s22, 31
	s_add_nc_u64 s[0:1], s[18:19], s[0:1]
	s_mul_u64 s[4:5], s[4:5], s[24:25]
	s_add_nc_u64 s[0:1], s[0:1], s[20:21]
	s_mov_b32 s13, s22
	s_wait_kmcnt 0x0
	s_ashr_i32 s7, s6, 31
	s_cmp_neq_f32 s2, 0
	v_mad_co_i64_i32 v[1:2], null, s6, v0, 0
	s_cselect_b32 s16, -1, 0
	s_cmp_neq_f32 s3, 0
	v_lshlrev_b64_e32 v[1:2], 3, v[1:2]
	s_cselect_b32 s17, -1, 0
	s_delay_alu instid0(SALU_CYCLE_1)
	s_or_b32 s16, s16, s17
	s_cmp_gt_i32 s14, 0
	s_cselect_b32 s17, -1, 0
	s_and_b32 s18, s14, 7
	s_cmp_gt_u32 s14, 7
	s_cselect_b32 s19, -1, 0
	s_and_b32 s14, s14, 0x7ffffff8
	s_cmp_lg_u32 s18, 0
	s_cselect_b32 s20, -1, 0
	s_lshl_b64 s[10:11], s[10:11], 3
	s_wait_alu 0xfffe
	s_lshl_b64 s[4:5], s[4:5], 3
	s_add_nc_u64 s[8:9], s[8:9], s[10:11]
	s_lshl_b64 s[6:7], s[6:7], 11
	s_wait_alu 0xfffe
	s_add_nc_u64 s[4:5], s[8:9], s[4:5]
	s_mov_b32 s8, 0
	s_wait_alu 0xfffe
	v_add_co_u32 v9, vcc_lo, s4, v1
	s_wait_alu 0xfffd
	v_add_co_ci_u32_e64 v10, null, s5, v2, vcc_lo
	s_mov_b32 s5, 0
	v_add_co_u32 v1, vcc_lo, v9, 60
	s_wait_alu 0xfffd
	v_add_co_ci_u32_e64 v2, null, 0, v10, vcc_lo
	s_branch .LBB116_25
.LBB116_23:                             ;   in Loop: Header=BB116_25 Depth=1
	v_add_co_u32 v3, vcc_lo, s0, v3
	s_wait_alu 0xfffd
	v_add_co_ci_u32_e64 v4, null, s1, v4, vcc_lo
	global_store_b64 v[3:4], v[5:6], off
.LBB116_24:                             ;   in Loop: Header=BB116_25 Depth=1
	s_wait_alu 0xfffe
	s_or_b32 exec_lo, exec_lo, s9
	v_add_co_u32 v1, vcc_lo, v1, s6
	s_wait_alu 0xfffd
	v_add_co_ci_u32_e64 v2, null, s7, v2, vcc_lo
	v_add_co_u32 v9, vcc_lo, v9, s6
	s_wait_alu 0xfffd
	v_add_co_ci_u32_e64 v10, null, s7, v10, vcc_lo
	s_addk_co_i32 s8, 0x100
	s_wait_alu 0xfffe
	s_cmp_ge_i32 s8, s15
	s_cbranch_scc1 .LBB116_36
.LBB116_25:                             ; =>This Loop Header: Depth=1
                                        ;     Child Loop BB116_31 Depth 2
                                        ;     Child Loop BB116_35 Depth 2
	v_add_nc_u32_e32 v3, s8, v0
	s_mov_b32 s9, exec_lo
	s_delay_alu instid0(VALU_DEP_1)
	v_cmpx_gt_i32_e64 s15, v3
	s_cbranch_execz .LBB116_24
; %bb.26:                               ;   in Loop: Header=BB116_25 Depth=1
	v_mad_co_u64_u32 v[6:7], null, v3, s13, 0
	s_and_not1_b32 vcc_lo, exec_lo, s16
	v_mov_b32_e32 v4, v7
	s_delay_alu instid0(VALU_DEP_1) | instskip(SKIP_1) | instid1(VALU_DEP_2)
	v_mad_co_u64_u32 v[3:4], null, v3, s12, v[4:5]
	v_mov_b32_e32 v5, 0
	v_mov_b32_e32 v7, v3
	s_delay_alu instid0(VALU_DEP_1)
	v_lshlrev_b64_e32 v[3:4], 3, v[6:7]
	v_mov_b32_e32 v6, 0
	s_wait_alu 0xfffe
	s_cbranch_vccnz .LBB116_28
; %bb.27:                               ;   in Loop: Header=BB116_25 Depth=1
	s_delay_alu instid0(VALU_DEP_2)
	v_add_co_u32 v5, vcc_lo, s0, v3
	s_wait_alu 0xfffd
	v_add_co_ci_u32_e64 v6, null, s1, v4, vcc_lo
	global_load_b64 v[7:8], v[5:6], off
	s_wait_loadcnt 0x0
	v_mul_f32_e32 v6, s2, v8
	s_delay_alu instid0(VALU_DEP_1) | instskip(NEXT) | instid1(VALU_DEP_1)
	v_dual_mul_f32 v5, s3, v8 :: v_dual_fmac_f32 v6, s3, v7
	v_fma_f32 v5, s2, v7, -v5
.LBB116_28:                             ;   in Loop: Header=BB116_25 Depth=1
	s_and_not1_b32 vcc_lo, exec_lo, s17
	s_wait_alu 0xfffe
	s_cbranch_vccnz .LBB116_23
; %bb.29:                               ;   in Loop: Header=BB116_25 Depth=1
	s_and_not1_b32 vcc_lo, exec_lo, s19
	s_mov_b32 s4, 0
	s_wait_alu 0xfffe
	s_cbranch_vccnz .LBB116_33
; %bb.30:                               ;   in Loop: Header=BB116_25 Depth=1
	v_dual_mov_b32 v8, v2 :: v_dual_mov_b32 v7, v1
	s_mov_b32 s10, 0
.LBB116_31:                             ;   Parent Loop BB116_25 Depth=1
                                        ; =>  This Inner Loop Header: Depth=2
	s_clause 0x3
	global_load_b128 v[11:14], v[7:8], off offset:-60
	global_load_b128 v[15:18], v[7:8], off offset:-44
	;; [unrolled: 1-line block ×4, first 2 shown]
	s_wait_alu 0xfffe
	v_mov_b32_e32 v39, s4
	v_add_co_u32 v7, vcc_lo, v7, 64
	s_wait_alu 0xfffd
	v_add_co_ci_u32_e64 v8, null, 0, v8, vcc_lo
	ds_load_b128 v[27:30], v39
	ds_load_b128 v[31:34], v39 offset:16
	ds_load_b128 v[35:38], v39 offset:32
	;; [unrolled: 1-line block ×3, first 2 shown]
	s_add_co_i32 s10, s10, 8
	s_add_co_i32 s4, s4, 64
	s_wait_alu 0xfffe
	s_cmp_eq_u32 s14, s10
	s_wait_loadcnt_dscnt 0x303
	v_dual_mul_f32 v43, v12, v28 :: v_dual_mul_f32 v44, v14, v30
	v_mul_f32_e32 v28, v11, v28
	s_wait_loadcnt_dscnt 0x202
	v_dual_mul_f32 v30, v13, v30 :: v_dual_mul_f32 v45, v16, v32
	s_delay_alu instid0(VALU_DEP_3)
	v_fma_f32 v11, v11, v27, -v43
	v_mul_f32_e32 v32, v15, v32
	v_fmac_f32_e32 v28, v12, v27
	v_fma_f32 v12, v13, v29, -v44
	s_wait_loadcnt_dscnt 0x101
	v_dual_mul_f32 v46, v18, v34 :: v_dual_mul_f32 v47, v20, v36
	v_dual_add_f32 v5, v5, v11 :: v_dual_mul_f32 v48, v22, v38
	v_fma_f32 v11, v15, v31, -v45
	s_wait_loadcnt_dscnt 0x0
	v_dual_mul_f32 v34, v17, v34 :: v_dual_mul_f32 v49, v24, v40
	s_delay_alu instid0(VALU_DEP_3) | instskip(SKIP_2) | instid1(VALU_DEP_4)
	v_add_f32_e32 v5, v5, v12
	v_mul_f32_e32 v36, v19, v36
	v_fma_f32 v12, v17, v33, -v46
	v_fmac_f32_e32 v34, v18, v33
	v_mul_f32_e32 v38, v21, v38
	v_dual_add_f32 v5, v5, v11 :: v_dual_mul_f32 v50, v26, v42
	v_fma_f32 v11, v19, v35, -v47
	v_fmac_f32_e32 v36, v20, v35
	s_delay_alu instid0(VALU_DEP_3) | instskip(SKIP_3) | instid1(VALU_DEP_4)
	v_dual_fmac_f32 v38, v22, v37 :: v_dual_add_f32 v5, v5, v12
	v_mul_f32_e32 v40, v23, v40
	v_fma_f32 v12, v21, v37, -v48
	v_mul_f32_e32 v42, v25, v42
	v_add_f32_e32 v5, v5, v11
	v_fma_f32 v11, v23, v39, -v49
	v_fmac_f32_e32 v40, v24, v39
	s_delay_alu instid0(VALU_DEP_3) | instskip(SKIP_3) | instid1(VALU_DEP_4)
	v_dual_fmac_f32 v42, v26, v41 :: v_dual_add_f32 v5, v5, v12
	v_fmac_f32_e32 v30, v14, v29
	v_add_f32_e32 v6, v6, v28
	v_fma_f32 v12, v25, v41, -v50
	v_add_f32_e32 v5, v5, v11
	v_fmac_f32_e32 v32, v16, v31
	s_delay_alu instid0(VALU_DEP_2) | instskip(NEXT) | instid1(VALU_DEP_1)
	v_dual_add_f32 v6, v6, v30 :: v_dual_add_f32 v5, v5, v12
	v_add_f32_e32 v6, v6, v32
	s_delay_alu instid0(VALU_DEP_1) | instskip(NEXT) | instid1(VALU_DEP_1)
	v_add_f32_e32 v6, v6, v34
	v_add_f32_e32 v6, v6, v36
	s_delay_alu instid0(VALU_DEP_1) | instskip(NEXT) | instid1(VALU_DEP_1)
	v_add_f32_e32 v6, v6, v38
	v_add_f32_e32 v6, v6, v40
	s_delay_alu instid0(VALU_DEP_1)
	v_add_f32_e32 v6, v6, v42
	s_cbranch_scc0 .LBB116_31
; %bb.32:                               ;   in Loop: Header=BB116_25 Depth=1
	s_mov_b32 s4, s14
.LBB116_33:                             ;   in Loop: Header=BB116_25 Depth=1
	s_and_not1_b32 vcc_lo, exec_lo, s20
	s_wait_alu 0xfffe
	s_cbranch_vccnz .LBB116_23
; %bb.34:                               ;   in Loop: Header=BB116_25 Depth=1
	s_lshl_b64 s[10:11], s[4:5], 3
	s_lshl_b32 s4, s4, 3
	s_wait_alu 0xfffe
	v_add_co_u32 v7, vcc_lo, v9, s10
	s_wait_alu 0xfffd
	v_add_co_ci_u32_e64 v8, null, s11, v10, vcc_lo
	s_mov_b32 s10, s18
.LBB116_35:                             ;   Parent Loop BB116_25 Depth=1
                                        ; =>  This Inner Loop Header: Depth=2
	global_load_b64 v[11:12], v[7:8], off
	s_wait_alu 0xfffe
	v_mov_b32_e32 v13, s4
	v_add_co_u32 v7, vcc_lo, v7, 8
	s_wait_alu 0xfffd
	v_add_co_ci_u32_e64 v8, null, 0, v8, vcc_lo
	ds_load_b64 v[13:14], v13
	s_add_co_i32 s10, s10, -1
	s_add_co_i32 s4, s4, 8
	s_wait_alu 0xfffe
	s_cmp_lg_u32 s10, 0
	s_wait_loadcnt_dscnt 0x0
	v_mul_f32_e32 v15, v12, v14
	v_mul_f32_e32 v14, v11, v14
	s_delay_alu instid0(VALU_DEP_2) | instskip(NEXT) | instid1(VALU_DEP_1)
	v_fma_f32 v11, v11, v13, -v15
	v_dual_fmac_f32 v14, v12, v13 :: v_dual_add_f32 v5, v5, v11
	s_delay_alu instid0(VALU_DEP_1)
	v_add_f32_e32 v6, v6, v14
	s_cbranch_scc1 .LBB116_35
	s_branch .LBB116_23
.LBB116_36:
	s_endpgm
	.section	.rodata,"a",@progbits
	.p2align	6, 0x0
	.amdhsa_kernel _ZL22rocblas_gemvtsm_kernelILb0ELi256E19rocblas_complex_numIfEPKS1_S1_EviiT2_lPKT1_lilS7_lilS4_lPT3_lil
		.amdhsa_group_segment_fixed_size 512
		.amdhsa_private_segment_fixed_size 0
		.amdhsa_kernarg_size 136
		.amdhsa_user_sgpr_count 2
		.amdhsa_user_sgpr_dispatch_ptr 0
		.amdhsa_user_sgpr_queue_ptr 0
		.amdhsa_user_sgpr_kernarg_segment_ptr 1
		.amdhsa_user_sgpr_dispatch_id 0
		.amdhsa_user_sgpr_private_segment_size 0
		.amdhsa_wavefront_size32 1
		.amdhsa_uses_dynamic_stack 0
		.amdhsa_enable_private_segment 0
		.amdhsa_system_sgpr_workgroup_id_x 1
		.amdhsa_system_sgpr_workgroup_id_y 0
		.amdhsa_system_sgpr_workgroup_id_z 0
		.amdhsa_system_sgpr_workgroup_info 0
		.amdhsa_system_vgpr_workitem_id 0
		.amdhsa_next_free_vgpr 51
		.amdhsa_next_free_sgpr 32
		.amdhsa_reserve_vcc 1
		.amdhsa_float_round_mode_32 0
		.amdhsa_float_round_mode_16_64 0
		.amdhsa_float_denorm_mode_32 3
		.amdhsa_float_denorm_mode_16_64 3
		.amdhsa_fp16_overflow 0
		.amdhsa_workgroup_processor_mode 1
		.amdhsa_memory_ordered 1
		.amdhsa_forward_progress 1
		.amdhsa_inst_pref_size 16
		.amdhsa_round_robin_scheduling 0
		.amdhsa_exception_fp_ieee_invalid_op 0
		.amdhsa_exception_fp_denorm_src 0
		.amdhsa_exception_fp_ieee_div_zero 0
		.amdhsa_exception_fp_ieee_overflow 0
		.amdhsa_exception_fp_ieee_underflow 0
		.amdhsa_exception_fp_ieee_inexact 0
		.amdhsa_exception_int_div_zero 0
	.end_amdhsa_kernel
	.section	.text._ZL22rocblas_gemvtsm_kernelILb0ELi256E19rocblas_complex_numIfEPKS1_S1_EviiT2_lPKT1_lilS7_lilS4_lPT3_lil,"axG",@progbits,_ZL22rocblas_gemvtsm_kernelILb0ELi256E19rocblas_complex_numIfEPKS1_S1_EviiT2_lPKT1_lilS7_lilS4_lPT3_lil,comdat
.Lfunc_end116:
	.size	_ZL22rocblas_gemvtsm_kernelILb0ELi256E19rocblas_complex_numIfEPKS1_S1_EviiT2_lPKT1_lilS7_lilS4_lPT3_lil, .Lfunc_end116-_ZL22rocblas_gemvtsm_kernelILb0ELi256E19rocblas_complex_numIfEPKS1_S1_EviiT2_lPKT1_lilS7_lilS4_lPT3_lil
                                        ; -- End function
	.set _ZL22rocblas_gemvtsm_kernelILb0ELi256E19rocblas_complex_numIfEPKS1_S1_EviiT2_lPKT1_lilS7_lilS4_lPT3_lil.num_vgpr, 51
	.set _ZL22rocblas_gemvtsm_kernelILb0ELi256E19rocblas_complex_numIfEPKS1_S1_EviiT2_lPKT1_lilS7_lilS4_lPT3_lil.num_agpr, 0
	.set _ZL22rocblas_gemvtsm_kernelILb0ELi256E19rocblas_complex_numIfEPKS1_S1_EviiT2_lPKT1_lilS7_lilS4_lPT3_lil.numbered_sgpr, 32
	.set _ZL22rocblas_gemvtsm_kernelILb0ELi256E19rocblas_complex_numIfEPKS1_S1_EviiT2_lPKT1_lilS7_lilS4_lPT3_lil.num_named_barrier, 0
	.set _ZL22rocblas_gemvtsm_kernelILb0ELi256E19rocblas_complex_numIfEPKS1_S1_EviiT2_lPKT1_lilS7_lilS4_lPT3_lil.private_seg_size, 0
	.set _ZL22rocblas_gemvtsm_kernelILb0ELi256E19rocblas_complex_numIfEPKS1_S1_EviiT2_lPKT1_lilS7_lilS4_lPT3_lil.uses_vcc, 1
	.set _ZL22rocblas_gemvtsm_kernelILb0ELi256E19rocblas_complex_numIfEPKS1_S1_EviiT2_lPKT1_lilS7_lilS4_lPT3_lil.uses_flat_scratch, 0
	.set _ZL22rocblas_gemvtsm_kernelILb0ELi256E19rocblas_complex_numIfEPKS1_S1_EviiT2_lPKT1_lilS7_lilS4_lPT3_lil.has_dyn_sized_stack, 0
	.set _ZL22rocblas_gemvtsm_kernelILb0ELi256E19rocblas_complex_numIfEPKS1_S1_EviiT2_lPKT1_lilS7_lilS4_lPT3_lil.has_recursion, 0
	.set _ZL22rocblas_gemvtsm_kernelILb0ELi256E19rocblas_complex_numIfEPKS1_S1_EviiT2_lPKT1_lilS7_lilS4_lPT3_lil.has_indirect_call, 0
	.section	.AMDGPU.csdata,"",@progbits
; Kernel info:
; codeLenInByte = 1992
; TotalNumSgprs: 34
; NumVgprs: 51
; ScratchSize: 0
; MemoryBound: 0
; FloatMode: 240
; IeeeMode: 1
; LDSByteSize: 512 bytes/workgroup (compile time only)
; SGPRBlocks: 0
; VGPRBlocks: 6
; NumSGPRsForWavesPerEU: 34
; NumVGPRsForWavesPerEU: 51
; Occupancy: 16
; WaveLimiterHint : 1
; COMPUTE_PGM_RSRC2:SCRATCH_EN: 0
; COMPUTE_PGM_RSRC2:USER_SGPR: 2
; COMPUTE_PGM_RSRC2:TRAP_HANDLER: 0
; COMPUTE_PGM_RSRC2:TGID_X_EN: 1
; COMPUTE_PGM_RSRC2:TGID_Y_EN: 0
; COMPUTE_PGM_RSRC2:TGID_Z_EN: 0
; COMPUTE_PGM_RSRC2:TIDIG_COMP_CNT: 0
	.section	.text._ZL22rocblas_gemvtsm_kernelILb0ELi256E19rocblas_complex_numIfES1_S1_EviiT2_lPKT1_lilS5_lilS2_lPT3_lil,"axG",@progbits,_ZL22rocblas_gemvtsm_kernelILb0ELi256E19rocblas_complex_numIfES1_S1_EviiT2_lPKT1_lilS5_lilS2_lPT3_lil,comdat
	.globl	_ZL22rocblas_gemvtsm_kernelILb0ELi256E19rocblas_complex_numIfES1_S1_EviiT2_lPKT1_lilS5_lilS2_lPT3_lil ; -- Begin function _ZL22rocblas_gemvtsm_kernelILb0ELi256E19rocblas_complex_numIfES1_S1_EviiT2_lPKT1_lilS5_lilS2_lPT3_lil
	.p2align	8
	.type	_ZL22rocblas_gemvtsm_kernelILb0ELi256E19rocblas_complex_numIfES1_S1_EviiT2_lPKT1_lilS5_lilS2_lPT3_lil,@function
_ZL22rocblas_gemvtsm_kernelILb0ELi256E19rocblas_complex_numIfES1_S1_EviiT2_lPKT1_lilS5_lilS2_lPT3_lil: ; @_ZL22rocblas_gemvtsm_kernelILb0ELi256E19rocblas_complex_numIfES1_S1_EviiT2_lPKT1_lilS5_lilS2_lPT3_lil
; %bb.0:
	s_clause 0x1
	s_load_b128 s[4:7], s[0:1], 0x0
	s_load_b64 s[2:3], s[0:1], 0x58
	s_wait_kmcnt 0x0
	s_cmp_neq_f32 s6, 0
	s_cselect_b32 s8, -1, 0
	s_cmp_neq_f32 s7, 0
	s_cselect_b32 s9, -1, 0
	s_delay_alu instid0(SALU_CYCLE_1) | instskip(NEXT) | instid1(SALU_CYCLE_1)
	s_or_b32 s8, s8, s9
	s_and_b32 vcc_lo, exec_lo, s8
	s_mov_b32 s8, -1
	s_cbranch_vccnz .LBB117_2
; %bb.1:
	s_cmp_neq_f32 s2, 1.0
	s_cselect_b32 s8, -1, 0
	s_cmp_neq_f32 s3, 0
	s_cselect_b32 s9, -1, 0
	s_delay_alu instid0(SALU_CYCLE_1)
	s_or_b32 s8, s8, s9
.LBB117_2:
	s_delay_alu instid0(SALU_CYCLE_1)
	s_and_not1_b32 vcc_lo, exec_lo, s8
	s_cbranch_vccnz .LBB117_36
; %bb.3:
	s_clause 0x2
	s_load_b64 s[12:13], s[0:1], 0x80
	s_load_b128 s[8:11], s[0:1], 0x68
	s_load_b32 s16, s[0:1], 0x78
	s_or_b32 s14, s6, s7
	s_mov_b32 s18, ttmp9
	s_bitset0_b32 s14, 31
	s_mov_b32 s19, 0
	s_cmp_lg_u32 s14, 0
	s_wait_kmcnt 0x0
	s_mul_u64 s[20:21], s[12:13], s[18:19]
	s_mov_b32 s12, -1
	s_cbranch_scc1 .LBB117_18
; %bb.4:
	s_cmp_neq_f32 s2, 0
	s_cselect_b32 s12, -1, 0
	s_cmp_neq_f32 s3, 0
	s_cselect_b32 s13, -1, 0
	s_delay_alu instid0(SALU_CYCLE_1)
	s_or_b32 s12, s12, s13
	s_cmp_gt_i32 s5, 0
	s_cselect_b32 s14, -1, 0
	s_and_b32 vcc_lo, exec_lo, s12
	s_mov_b32 s12, -1
	s_cbranch_vccnz .LBB117_11
; %bb.5:
	s_and_not1_b32 vcc_lo, exec_lo, s14
	s_cbranch_vccnz .LBB117_10
; %bb.6:
	v_mad_co_i64_i32 v[1:2], null, s16, v0, 0
	s_lshl_b64 s[12:13], s[10:11], 3
	s_lshl_b64 s[22:23], s[20:21], 3
	s_add_nc_u64 s[12:13], s[8:9], s[12:13]
	v_mov_b32_e32 v3, 0
	s_add_nc_u64 s[12:13], s[12:13], s[22:23]
	s_ashr_i32 s17, s16, 31
	v_lshlrev_b64_e32 v[1:2], 3, v[1:2]
	s_mov_b32 s15, 0
	s_delay_alu instid0(VALU_DEP_1) | instskip(NEXT) | instid1(VALU_DEP_1)
	v_add_co_u32 v1, vcc_lo, s12, v1
	v_add_co_ci_u32_e64 v2, null, s13, v2, vcc_lo
	s_wait_alu 0xfffe
	s_lshl_b64 s[12:13], s[16:17], 11
	s_delay_alu instid0(VALU_DEP_2)
	v_add_co_u32 v1, vcc_lo, v1, 4
	s_wait_alu 0xfffd
	v_add_co_ci_u32_e64 v2, null, 0, v2, vcc_lo
	s_branch .LBB117_8
.LBB117_7:                              ;   in Loop: Header=BB117_8 Depth=1
	s_wait_alu 0xfffe
	s_or_b32 exec_lo, exec_lo, s17
	v_add_co_u32 v1, vcc_lo, v1, s12
	s_wait_alu 0xfffd
	v_add_co_ci_u32_e64 v2, null, s13, v2, vcc_lo
	s_addk_co_i32 s15, 0x100
	s_wait_alu 0xfffe
	s_cmp_ge_i32 s15, s5
	s_cbranch_scc1 .LBB117_10
.LBB117_8:                              ; =>This Inner Loop Header: Depth=1
	v_add_nc_u32_e32 v4, s15, v0
	s_mov_b32 s17, exec_lo
	s_delay_alu instid0(VALU_DEP_1)
	v_cmpx_gt_i32_e64 s5, v4
	s_cbranch_execz .LBB117_7
; %bb.9:                                ;   in Loop: Header=BB117_8 Depth=1
	v_mov_b32_e32 v4, v3
	global_store_b64 v[1:2], v[3:4], off offset:-4
	s_branch .LBB117_7
.LBB117_10:
	s_mov_b32 s12, 0
.LBB117_11:
	s_wait_alu 0xfffe
	s_and_not1_b32 vcc_lo, exec_lo, s12
	s_wait_alu 0xfffe
	s_cbranch_vccnz .LBB117_17
; %bb.12:
	s_and_not1_b32 vcc_lo, exec_lo, s14
	s_wait_alu 0xfffe
	s_cbranch_vccnz .LBB117_17
; %bb.13:
	v_mad_co_i64_i32 v[1:2], null, s16, v0, 0
	s_lshl_b64 s[12:13], s[10:11], 3
	s_lshl_b64 s[14:15], s[20:21], 3
	s_wait_alu 0xfffe
	s_add_nc_u64 s[12:13], s[8:9], s[12:13]
	s_ashr_i32 s17, s16, 31
	s_wait_alu 0xfffe
	s_add_nc_u64 s[12:13], s[12:13], s[14:15]
	s_mov_b32 s14, 0
	v_lshlrev_b64_e32 v[1:2], 3, v[1:2]
	s_wait_alu 0xfffe
	s_delay_alu instid0(VALU_DEP_1) | instskip(SKIP_1) | instid1(VALU_DEP_2)
	v_add_co_u32 v1, vcc_lo, s12, v1
	s_wait_alu 0xfffd
	v_add_co_ci_u32_e64 v2, null, s13, v2, vcc_lo
	s_lshl_b64 s[12:13], s[16:17], 11
	v_add_co_u32 v1, vcc_lo, v1, 4
	s_wait_alu 0xfffd
	v_add_co_ci_u32_e64 v2, null, 0, v2, vcc_lo
	s_branch .LBB117_15
.LBB117_14:                             ;   in Loop: Header=BB117_15 Depth=1
	s_wait_alu 0xfffe
	s_or_b32 exec_lo, exec_lo, s15
	v_add_co_u32 v1, vcc_lo, v1, s12
	s_wait_alu 0xfffd
	v_add_co_ci_u32_e64 v2, null, s13, v2, vcc_lo
	s_addk_co_i32 s14, 0x100
	s_wait_alu 0xfffe
	s_cmp_ge_i32 s14, s5
	s_cbranch_scc1 .LBB117_17
.LBB117_15:                             ; =>This Inner Loop Header: Depth=1
	v_add_nc_u32_e32 v3, s14, v0
	s_mov_b32 s15, exec_lo
	s_delay_alu instid0(VALU_DEP_1)
	v_cmpx_gt_i32_e64 s5, v3
	s_cbranch_execz .LBB117_14
; %bb.16:                               ;   in Loop: Header=BB117_15 Depth=1
	global_load_b64 v[3:4], v[1:2], off offset:-4
	s_wait_loadcnt 0x0
	v_mul_f32_e32 v5, s2, v4
	s_delay_alu instid0(VALU_DEP_1) | instskip(NEXT) | instid1(VALU_DEP_1)
	v_dual_mul_f32 v6, s3, v4 :: v_dual_fmac_f32 v5, s3, v3
	v_fma_f32 v4, s2, v3, -v6
	global_store_b64 v[1:2], v[4:5], off offset:-4
	s_branch .LBB117_14
.LBB117_17:
	s_mov_b32 s12, 0
.LBB117_18:
	s_wait_alu 0xfffe
	s_and_not1_b32 vcc_lo, exec_lo, s12
	s_wait_alu 0xfffe
	s_cbranch_vccnz .LBB117_36
; %bb.19:
	s_clause 0x1
	s_load_b128 s[12:15], s[0:1], 0x30
	s_load_b64 s[22:23], s[0:1], 0x40
	s_mov_b32 s17, exec_lo
	v_cmpx_gt_i32_e64 s4, v0
	s_cbranch_execz .LBB117_21
; %bb.20:
	s_clause 0x1
	s_load_b32 s26, s[0:1], 0x48
	s_load_b64 s[24:25], s[0:1], 0x50
	s_wait_kmcnt 0x0
	s_lshl_b64 s[22:23], s[22:23], 3
	v_mad_co_i64_i32 v[1:2], null, s26, v0, 0
	s_mul_u64 s[24:25], s[24:25], s[18:19]
	s_delay_alu instid0(SALU_CYCLE_1) | instskip(NEXT) | instid1(SALU_CYCLE_1)
	s_lshl_b64 s[24:25], s[24:25], 3
	s_add_nc_u64 s[14:15], s[14:15], s[24:25]
	s_wait_alu 0xfffe
	s_add_nc_u64 s[14:15], s[14:15], s[22:23]
	v_lshlrev_b64_e32 v[1:2], 3, v[1:2]
	s_wait_alu 0xfffe
	s_delay_alu instid0(VALU_DEP_1) | instskip(SKIP_1) | instid1(VALU_DEP_2)
	v_add_co_u32 v1, vcc_lo, s14, v1
	s_wait_alu 0xfffd
	v_add_co_ci_u32_e64 v2, null, s15, v2, vcc_lo
	global_load_b64 v[1:2], v[1:2], off
	s_wait_loadcnt 0x0
	v_mul_f32_e32 v3, s6, v2
	s_delay_alu instid0(VALU_DEP_1) | instskip(NEXT) | instid1(VALU_DEP_1)
	v_dual_mul_f32 v4, s7, v2 :: v_dual_fmac_f32 v3, s7, v1
	v_fma_f32 v2, v1, s6, -v4
	v_lshlrev_b32_e32 v1, 3, v0
	ds_store_b64 v1, v[2:3]
.LBB117_21:
	s_wait_alu 0xfffe
	s_or_b32 exec_lo, exec_lo, s17
	s_cmp_lt_i32 s5, 1
	s_wait_storecnt_dscnt 0x0
	s_barrier_signal -1
	s_barrier_wait -1
	global_inv scope:SCOPE_SE
	s_cbranch_scc1 .LBB117_36
; %bb.22:
	s_load_b32 s24, s[0:1], 0x28
	s_lshl_b64 s[6:7], s[20:21], 3
	s_wait_kmcnt 0x0
	s_lshl_b64 s[14:15], s[10:11], 3
	s_ashr_i32 s10, s16, 31
	s_load_b128 s[20:23], s[0:1], 0x18
	s_mul_u64 s[18:19], s[12:13], s[18:19]
	s_add_nc_u64 s[0:1], s[8:9], s[6:7]
	s_mov_b32 s17, 0
	s_add_nc_u64 s[0:1], s[0:1], s[14:15]
	s_ashr_i32 s25, s24, 31
	s_cmp_neq_f32 s2, 0
	v_mad_co_i64_i32 v[1:2], null, s24, v0, 0
	s_cselect_b32 s11, -1, 0
	s_cmp_neq_f32 s3, 0
	v_lshlrev_b64_e32 v[1:2], 3, v[1:2]
	s_cselect_b32 s12, -1, 0
	s_wait_alu 0xfffe
	s_or_b32 s11, s11, s12
	s_cmp_gt_i32 s4, 0
	s_cselect_b32 s12, -1, 0
	s_and_b32 s13, s4, 7
	s_cmp_gt_u32 s4, 7
	s_cselect_b32 s14, -1, 0
	s_and_b32 s4, s4, 0x7ffffff8
	s_wait_alu 0xfffe
	s_cmp_lg_u32 s13, 0
	s_cselect_b32 s15, -1, 0
	s_wait_kmcnt 0x0
	s_lshl_b64 s[6:7], s[22:23], 3
	s_lshl_b64 s[8:9], s[18:19], 3
	s_wait_alu 0xfffe
	s_add_nc_u64 s[6:7], s[20:21], s[6:7]
	s_wait_alu 0xfffe
	s_add_nc_u64 s[6:7], s[6:7], s[8:9]
	s_lshl_b64 s[8:9], s[24:25], 11
	s_wait_alu 0xfffe
	v_add_co_u32 v9, vcc_lo, s6, v1
	s_wait_alu 0xfffd
	v_add_co_ci_u32_e64 v10, null, s7, v2, vcc_lo
	s_mov_b32 s7, 0
	v_add_co_u32 v1, vcc_lo, v9, 60
	s_wait_alu 0xfffd
	v_add_co_ci_u32_e64 v2, null, 0, v10, vcc_lo
	s_branch .LBB117_25
.LBB117_23:                             ;   in Loop: Header=BB117_25 Depth=1
	v_add_co_u32 v3, vcc_lo, s0, v3
	s_wait_alu 0xfffd
	v_add_co_ci_u32_e64 v4, null, s1, v4, vcc_lo
	global_store_b64 v[3:4], v[5:6], off
.LBB117_24:                             ;   in Loop: Header=BB117_25 Depth=1
	s_or_b32 exec_lo, exec_lo, s18
	v_add_co_u32 v1, vcc_lo, v1, s8
	s_wait_alu 0xfffd
	v_add_co_ci_u32_e64 v2, null, s9, v2, vcc_lo
	v_add_co_u32 v9, vcc_lo, v9, s8
	s_wait_alu 0xfffd
	v_add_co_ci_u32_e64 v10, null, s9, v10, vcc_lo
	s_addk_co_i32 s17, 0x100
	s_wait_alu 0xfffe
	s_cmp_ge_i32 s17, s5
	s_cbranch_scc1 .LBB117_36
.LBB117_25:                             ; =>This Loop Header: Depth=1
                                        ;     Child Loop BB117_31 Depth 2
                                        ;     Child Loop BB117_35 Depth 2
	v_add_nc_u32_e32 v3, s17, v0
	s_mov_b32 s18, exec_lo
	s_delay_alu instid0(VALU_DEP_1)
	v_cmpx_gt_i32_e64 s5, v3
	s_cbranch_execz .LBB117_24
; %bb.26:                               ;   in Loop: Header=BB117_25 Depth=1
	v_mad_co_u64_u32 v[6:7], null, v3, s16, 0
	s_and_not1_b32 vcc_lo, exec_lo, s11
	v_mov_b32_e32 v4, v7
	s_delay_alu instid0(VALU_DEP_1) | instskip(SKIP_1) | instid1(VALU_DEP_2)
	v_mad_co_u64_u32 v[3:4], null, v3, s10, v[4:5]
	v_mov_b32_e32 v5, 0
	v_mov_b32_e32 v7, v3
	s_delay_alu instid0(VALU_DEP_1)
	v_lshlrev_b64_e32 v[3:4], 3, v[6:7]
	v_mov_b32_e32 v6, 0
	s_wait_alu 0xfffe
	s_cbranch_vccnz .LBB117_28
; %bb.27:                               ;   in Loop: Header=BB117_25 Depth=1
	s_delay_alu instid0(VALU_DEP_2)
	v_add_co_u32 v5, vcc_lo, s0, v3
	s_wait_alu 0xfffd
	v_add_co_ci_u32_e64 v6, null, s1, v4, vcc_lo
	global_load_b64 v[7:8], v[5:6], off
	s_wait_loadcnt 0x0
	v_mul_f32_e32 v6, s2, v8
	s_delay_alu instid0(VALU_DEP_1) | instskip(NEXT) | instid1(VALU_DEP_1)
	v_dual_mul_f32 v5, s3, v8 :: v_dual_fmac_f32 v6, s3, v7
	v_fma_f32 v5, s2, v7, -v5
.LBB117_28:                             ;   in Loop: Header=BB117_25 Depth=1
	s_and_not1_b32 vcc_lo, exec_lo, s12
	s_wait_alu 0xfffe
	s_cbranch_vccnz .LBB117_23
; %bb.29:                               ;   in Loop: Header=BB117_25 Depth=1
	s_and_not1_b32 vcc_lo, exec_lo, s14
	s_mov_b32 s6, 0
	s_wait_alu 0xfffe
	s_cbranch_vccnz .LBB117_33
; %bb.30:                               ;   in Loop: Header=BB117_25 Depth=1
	v_dual_mov_b32 v8, v2 :: v_dual_mov_b32 v7, v1
	s_mov_b32 s19, 0
.LBB117_31:                             ;   Parent Loop BB117_25 Depth=1
                                        ; =>  This Inner Loop Header: Depth=2
	s_clause 0x3
	global_load_b128 v[11:14], v[7:8], off offset:-60
	global_load_b128 v[15:18], v[7:8], off offset:-44
	;; [unrolled: 1-line block ×4, first 2 shown]
	s_wait_alu 0xfffe
	v_mov_b32_e32 v39, s6
	v_add_co_u32 v7, vcc_lo, v7, 64
	s_wait_alu 0xfffd
	v_add_co_ci_u32_e64 v8, null, 0, v8, vcc_lo
	ds_load_b128 v[27:30], v39
	ds_load_b128 v[31:34], v39 offset:16
	ds_load_b128 v[35:38], v39 offset:32
	;; [unrolled: 1-line block ×3, first 2 shown]
	s_add_co_i32 s19, s19, 8
	s_add_co_i32 s6, s6, 64
	s_cmp_eq_u32 s4, s19
	s_wait_loadcnt_dscnt 0x303
	v_dual_mul_f32 v43, v12, v28 :: v_dual_mul_f32 v44, v14, v30
	v_mul_f32_e32 v28, v11, v28
	s_wait_loadcnt_dscnt 0x202
	v_dual_mul_f32 v30, v13, v30 :: v_dual_mul_f32 v45, v16, v32
	s_delay_alu instid0(VALU_DEP_3)
	v_fma_f32 v11, v11, v27, -v43
	v_mul_f32_e32 v32, v15, v32
	v_fmac_f32_e32 v28, v12, v27
	v_fma_f32 v12, v13, v29, -v44
	s_wait_loadcnt_dscnt 0x101
	v_dual_mul_f32 v46, v18, v34 :: v_dual_mul_f32 v47, v20, v36
	v_dual_add_f32 v5, v5, v11 :: v_dual_mul_f32 v48, v22, v38
	v_fma_f32 v11, v15, v31, -v45
	s_wait_loadcnt_dscnt 0x0
	v_dual_mul_f32 v34, v17, v34 :: v_dual_mul_f32 v49, v24, v40
	s_delay_alu instid0(VALU_DEP_3) | instskip(SKIP_2) | instid1(VALU_DEP_4)
	v_add_f32_e32 v5, v5, v12
	v_mul_f32_e32 v36, v19, v36
	v_fma_f32 v12, v17, v33, -v46
	v_fmac_f32_e32 v34, v18, v33
	v_mul_f32_e32 v38, v21, v38
	v_dual_add_f32 v5, v5, v11 :: v_dual_mul_f32 v50, v26, v42
	v_fma_f32 v11, v19, v35, -v47
	v_fmac_f32_e32 v36, v20, v35
	s_delay_alu instid0(VALU_DEP_3) | instskip(SKIP_3) | instid1(VALU_DEP_4)
	v_dual_fmac_f32 v38, v22, v37 :: v_dual_add_f32 v5, v5, v12
	v_mul_f32_e32 v40, v23, v40
	v_fma_f32 v12, v21, v37, -v48
	v_mul_f32_e32 v42, v25, v42
	v_add_f32_e32 v5, v5, v11
	v_fma_f32 v11, v23, v39, -v49
	v_fmac_f32_e32 v40, v24, v39
	s_delay_alu instid0(VALU_DEP_3) | instskip(SKIP_3) | instid1(VALU_DEP_4)
	v_dual_fmac_f32 v42, v26, v41 :: v_dual_add_f32 v5, v5, v12
	v_fmac_f32_e32 v30, v14, v29
	v_add_f32_e32 v6, v6, v28
	v_fma_f32 v12, v25, v41, -v50
	v_add_f32_e32 v5, v5, v11
	v_fmac_f32_e32 v32, v16, v31
	s_delay_alu instid0(VALU_DEP_2) | instskip(NEXT) | instid1(VALU_DEP_1)
	v_dual_add_f32 v6, v6, v30 :: v_dual_add_f32 v5, v5, v12
	v_add_f32_e32 v6, v6, v32
	s_delay_alu instid0(VALU_DEP_1) | instskip(NEXT) | instid1(VALU_DEP_1)
	v_add_f32_e32 v6, v6, v34
	v_add_f32_e32 v6, v6, v36
	s_delay_alu instid0(VALU_DEP_1) | instskip(NEXT) | instid1(VALU_DEP_1)
	v_add_f32_e32 v6, v6, v38
	v_add_f32_e32 v6, v6, v40
	s_delay_alu instid0(VALU_DEP_1)
	v_add_f32_e32 v6, v6, v42
	s_cbranch_scc0 .LBB117_31
; %bb.32:                               ;   in Loop: Header=BB117_25 Depth=1
	s_mov_b32 s6, s4
.LBB117_33:                             ;   in Loop: Header=BB117_25 Depth=1
	s_and_not1_b32 vcc_lo, exec_lo, s15
	s_wait_alu 0xfffe
	s_cbranch_vccnz .LBB117_23
; %bb.34:                               ;   in Loop: Header=BB117_25 Depth=1
	s_lshl_b64 s[20:21], s[6:7], 3
	s_lshl_b32 s6, s6, 3
	s_wait_alu 0xfffe
	v_add_co_u32 v7, vcc_lo, v9, s20
	s_wait_alu 0xfffd
	v_add_co_ci_u32_e64 v8, null, s21, v10, vcc_lo
	s_mov_b32 s19, s13
.LBB117_35:                             ;   Parent Loop BB117_25 Depth=1
                                        ; =>  This Inner Loop Header: Depth=2
	global_load_b64 v[11:12], v[7:8], off
	s_wait_alu 0xfffe
	v_mov_b32_e32 v13, s6
	v_add_co_u32 v7, vcc_lo, v7, 8
	s_wait_alu 0xfffd
	v_add_co_ci_u32_e64 v8, null, 0, v8, vcc_lo
	ds_load_b64 v[13:14], v13
	s_add_co_i32 s19, s19, -1
	s_add_co_i32 s6, s6, 8
	s_cmp_lg_u32 s19, 0
	s_wait_loadcnt_dscnt 0x0
	v_mul_f32_e32 v15, v12, v14
	v_mul_f32_e32 v14, v11, v14
	s_delay_alu instid0(VALU_DEP_2) | instskip(NEXT) | instid1(VALU_DEP_1)
	v_fma_f32 v11, v11, v13, -v15
	v_dual_fmac_f32 v14, v12, v13 :: v_dual_add_f32 v5, v5, v11
	s_delay_alu instid0(VALU_DEP_1)
	v_add_f32_e32 v6, v6, v14
	s_cbranch_scc1 .LBB117_35
	s_branch .LBB117_23
.LBB117_36:
	s_endpgm
	.section	.rodata,"a",@progbits
	.p2align	6, 0x0
	.amdhsa_kernel _ZL22rocblas_gemvtsm_kernelILb0ELi256E19rocblas_complex_numIfES1_S1_EviiT2_lPKT1_lilS5_lilS2_lPT3_lil
		.amdhsa_group_segment_fixed_size 512
		.amdhsa_private_segment_fixed_size 0
		.amdhsa_kernarg_size 136
		.amdhsa_user_sgpr_count 2
		.amdhsa_user_sgpr_dispatch_ptr 0
		.amdhsa_user_sgpr_queue_ptr 0
		.amdhsa_user_sgpr_kernarg_segment_ptr 1
		.amdhsa_user_sgpr_dispatch_id 0
		.amdhsa_user_sgpr_private_segment_size 0
		.amdhsa_wavefront_size32 1
		.amdhsa_uses_dynamic_stack 0
		.amdhsa_enable_private_segment 0
		.amdhsa_system_sgpr_workgroup_id_x 1
		.amdhsa_system_sgpr_workgroup_id_y 0
		.amdhsa_system_sgpr_workgroup_id_z 0
		.amdhsa_system_sgpr_workgroup_info 0
		.amdhsa_system_vgpr_workitem_id 0
		.amdhsa_next_free_vgpr 51
		.amdhsa_next_free_sgpr 27
		.amdhsa_reserve_vcc 1
		.amdhsa_float_round_mode_32 0
		.amdhsa_float_round_mode_16_64 0
		.amdhsa_float_denorm_mode_32 3
		.amdhsa_float_denorm_mode_16_64 3
		.amdhsa_fp16_overflow 0
		.amdhsa_workgroup_processor_mode 1
		.amdhsa_memory_ordered 1
		.amdhsa_forward_progress 1
		.amdhsa_inst_pref_size 16
		.amdhsa_round_robin_scheduling 0
		.amdhsa_exception_fp_ieee_invalid_op 0
		.amdhsa_exception_fp_denorm_src 0
		.amdhsa_exception_fp_ieee_div_zero 0
		.amdhsa_exception_fp_ieee_overflow 0
		.amdhsa_exception_fp_ieee_underflow 0
		.amdhsa_exception_fp_ieee_inexact 0
		.amdhsa_exception_int_div_zero 0
	.end_amdhsa_kernel
	.section	.text._ZL22rocblas_gemvtsm_kernelILb0ELi256E19rocblas_complex_numIfES1_S1_EviiT2_lPKT1_lilS5_lilS2_lPT3_lil,"axG",@progbits,_ZL22rocblas_gemvtsm_kernelILb0ELi256E19rocblas_complex_numIfES1_S1_EviiT2_lPKT1_lilS5_lilS2_lPT3_lil,comdat
.Lfunc_end117:
	.size	_ZL22rocblas_gemvtsm_kernelILb0ELi256E19rocblas_complex_numIfES1_S1_EviiT2_lPKT1_lilS5_lilS2_lPT3_lil, .Lfunc_end117-_ZL22rocblas_gemvtsm_kernelILb0ELi256E19rocblas_complex_numIfES1_S1_EviiT2_lPKT1_lilS5_lilS2_lPT3_lil
                                        ; -- End function
	.set _ZL22rocblas_gemvtsm_kernelILb0ELi256E19rocblas_complex_numIfES1_S1_EviiT2_lPKT1_lilS5_lilS2_lPT3_lil.num_vgpr, 51
	.set _ZL22rocblas_gemvtsm_kernelILb0ELi256E19rocblas_complex_numIfES1_S1_EviiT2_lPKT1_lilS5_lilS2_lPT3_lil.num_agpr, 0
	.set _ZL22rocblas_gemvtsm_kernelILb0ELi256E19rocblas_complex_numIfES1_S1_EviiT2_lPKT1_lilS5_lilS2_lPT3_lil.numbered_sgpr, 27
	.set _ZL22rocblas_gemvtsm_kernelILb0ELi256E19rocblas_complex_numIfES1_S1_EviiT2_lPKT1_lilS5_lilS2_lPT3_lil.num_named_barrier, 0
	.set _ZL22rocblas_gemvtsm_kernelILb0ELi256E19rocblas_complex_numIfES1_S1_EviiT2_lPKT1_lilS5_lilS2_lPT3_lil.private_seg_size, 0
	.set _ZL22rocblas_gemvtsm_kernelILb0ELi256E19rocblas_complex_numIfES1_S1_EviiT2_lPKT1_lilS5_lilS2_lPT3_lil.uses_vcc, 1
	.set _ZL22rocblas_gemvtsm_kernelILb0ELi256E19rocblas_complex_numIfES1_S1_EviiT2_lPKT1_lilS5_lilS2_lPT3_lil.uses_flat_scratch, 0
	.set _ZL22rocblas_gemvtsm_kernelILb0ELi256E19rocblas_complex_numIfES1_S1_EviiT2_lPKT1_lilS5_lilS2_lPT3_lil.has_dyn_sized_stack, 0
	.set _ZL22rocblas_gemvtsm_kernelILb0ELi256E19rocblas_complex_numIfES1_S1_EviiT2_lPKT1_lilS5_lilS2_lPT3_lil.has_recursion, 0
	.set _ZL22rocblas_gemvtsm_kernelILb0ELi256E19rocblas_complex_numIfES1_S1_EviiT2_lPKT1_lilS5_lilS2_lPT3_lil.has_indirect_call, 0
	.section	.AMDGPU.csdata,"",@progbits
; Kernel info:
; codeLenInByte = 1944
; TotalNumSgprs: 29
; NumVgprs: 51
; ScratchSize: 0
; MemoryBound: 0
; FloatMode: 240
; IeeeMode: 1
; LDSByteSize: 512 bytes/workgroup (compile time only)
; SGPRBlocks: 0
; VGPRBlocks: 6
; NumSGPRsForWavesPerEU: 29
; NumVGPRsForWavesPerEU: 51
; Occupancy: 16
; WaveLimiterHint : 1
; COMPUTE_PGM_RSRC2:SCRATCH_EN: 0
; COMPUTE_PGM_RSRC2:USER_SGPR: 2
; COMPUTE_PGM_RSRC2:TRAP_HANDLER: 0
; COMPUTE_PGM_RSRC2:TGID_X_EN: 1
; COMPUTE_PGM_RSRC2:TGID_Y_EN: 0
; COMPUTE_PGM_RSRC2:TGID_Z_EN: 0
; COMPUTE_PGM_RSRC2:TIDIG_COMP_CNT: 0
	.section	.text._ZL23rocblas_gemvt_sn_kernelILb0ELi256ELi4Ei19rocblas_complex_numIfEPKS1_S1_EviiT4_lPKT3_lilS7_lilPT5_i,"axG",@progbits,_ZL23rocblas_gemvt_sn_kernelILb0ELi256ELi4Ei19rocblas_complex_numIfEPKS1_S1_EviiT4_lPKT3_lilS7_lilPT5_i,comdat
	.globl	_ZL23rocblas_gemvt_sn_kernelILb0ELi256ELi4Ei19rocblas_complex_numIfEPKS1_S1_EviiT4_lPKT3_lilS7_lilPT5_i ; -- Begin function _ZL23rocblas_gemvt_sn_kernelILb0ELi256ELi4Ei19rocblas_complex_numIfEPKS1_S1_EviiT4_lPKT3_lilS7_lilPT5_i
	.p2align	8
	.type	_ZL23rocblas_gemvt_sn_kernelILb0ELi256ELi4Ei19rocblas_complex_numIfEPKS1_S1_EviiT4_lPKT3_lilS7_lilPT5_i,@function
_ZL23rocblas_gemvt_sn_kernelILb0ELi256ELi4Ei19rocblas_complex_numIfEPKS1_S1_EviiT4_lPKT3_lilS7_lilPT5_i: ; @_ZL23rocblas_gemvt_sn_kernelILb0ELi256ELi4Ei19rocblas_complex_numIfEPKS1_S1_EviiT4_lPKT3_lilS7_lilPT5_i
; %bb.0:
	s_load_b32 s11, s[0:1], 0x60
	s_lshr_b32 s28, ttmp7, 16
	s_wait_kmcnt 0x0
	s_cmp_ge_u32 s28, s11
	s_cbranch_scc1 .LBB118_80
; %bb.1:
	s_clause 0x6
	s_load_b96 s[8:10], s[0:1], 0x40
	s_load_b256 s[12:19], s[0:1], 0x8
	s_load_b64 s[34:35], s[0:1], 0x0
	s_load_b128 s[20:23], s[0:1], 0x30
	s_load_b32 s36, s[0:1], 0x68
	s_load_b32 s33, s[0:1], 0x28
	s_load_b128 s[24:27], s[0:1], 0x50
	v_cmp_eq_u32_e64 s0, 0, v0
	s_mov_b32 s39, 0
	v_mbcnt_lo_u32_b32 v34, -1, 0
	s_mov_b32 s30, ttmp9
	s_mov_b32 s31, s39
	s_mov_b32 s37, s39
	s_wait_kmcnt 0x0
	s_lshl_b64 s[2:3], s[8:9], 3
	s_lshl_b64 s[4:5], s[18:19], 3
	s_ashr_i32 s7, s35, 31
	s_cmp_gt_i32 s35, 0
	s_add_nc_u64 s[18:19], s[22:23], s[2:3]
	s_add_nc_u64 s[2:3], s[16:17], s[4:5]
	s_cselect_b32 s1, -1, 0
	s_lshl_b32 s4, ttmp9, 10
	s_lshr_b32 s5, s7, 30
	v_lshl_or_b32 v2, v0, 2, s4
	s_ashr_i32 s4, s34, 31
	s_and_b32 s58, s0, s1
	s_wait_alu 0xfffe
	s_lshr_b32 s4, s4, 30
	s_add_co_i32 s1, s35, s5
	v_mul_lo_u32 v1, s10, v2
	v_ashrrev_i32_e32 v3, 31, v2
	s_wait_alu 0xfffe
	s_add_co_i32 s4, s34, s4
	s_and_b32 s59, s1, -4
	s_wait_alu 0xfffe
	s_and_b32 s1, s4, -4
	v_add_nc_u32_e32 v5, 4, v2
	v_lshlrev_b64_e32 v[3:4], 3, v[2:3]
	s_sub_co_i32 s60, s34, s1
	v_add_nc_u32_e32 v7, s10, v1
	v_add_nc_u32_e32 v2, s60, v2
	v_cmp_gt_u32_e64 s5, 8, v0
	s_cmp_gt_i32 s59, 0
	v_add_co_u32 v31, vcc_lo, s2, v3
	v_lshrrev_b32_e32 v3, 2, v0
	v_add_nc_u32_e32 v9, s10, v7
	v_add_co_ci_u32_e64 v32, null, s3, v4, vcc_lo
	v_cmp_gt_u32_e64 s3, 32, v0
	s_delay_alu instid0(VALU_DEP_4) | instskip(NEXT) | instid1(VALU_DEP_4)
	v_and_b32_e32 v33, 56, v3
	v_add_nc_u32_e32 v11, s10, v9
	v_mov_b32_e32 v3, 0
	v_cmp_ge_i32_e64 s2, s34, v2
	v_and_b32_e32 v2, 31, v0
	v_ashrrev_i32_e32 v8, 31, v7
	v_ashrrev_i32_e32 v10, 31, v9
	;; [unrolled: 1-line block ×3, first 2 shown]
	s_cselect_b32 s61, -1, 0
	v_cmp_eq_u32_e64 s4, 0, v2
	v_lshlrev_b32_e32 v0, 3, v2
	v_ashrrev_i32_e32 v2, 31, v1
	s_cmp_gt_i32 s60, 0
	s_mov_b32 s6, s35
	v_cmp_ge_i32_e64 s1, s34, v5
	s_cselect_b32 s34, -1, 0
	s_lshl_b64 s[22:23], s[30:31], 3
	v_lshlrev_b64_e32 v[5:6], 3, v[1:2]
	v_lshlrev_b64_e32 v[7:8], 3, v[7:8]
	;; [unrolled: 1-line block ×4, first 2 shown]
	v_lshl_or_b32 v2, v34, 2, 64
	s_mul_u64 s[16:17], s[6:7], s[36:37]
	s_add_nc_u64 s[6:7], s[26:27], s[22:23]
	s_wait_alu 0xfffe
	s_and_b32 s31, s34, s2
	s_add_nc_u64 s[40:41], s[6:7], 4
	s_lshl_b64 s[42:43], s[16:17], 3
	s_lshl_b64 s[44:45], s[36:37], 3
	s_lshl_b32 s62, s33, 2
	s_lshl_b32 s63, s33, 1
	s_mul_i32 s64, s33, 3
	s_lshl_b64 s[46:47], s[20:21], 3
	s_or_b32 s65, 0, 4
	s_branch .LBB118_3
.LBB118_2:                              ;   in Loop: Header=BB118_3 Depth=1
	s_add_co_i32 s28, s28, 0x10000
	s_delay_alu instid0(SALU_CYCLE_1)
	s_cmp_lt_u32 s28, s11
	s_cbranch_scc0 .LBB118_80
.LBB118_3:                              ; =>This Loop Header: Depth=1
                                        ;     Child Loop BB118_6 Depth 2
                                        ;     Child Loop BB118_12 Depth 2
                                        ;       Child Loop BB118_43 Depth 3
                                        ;       Child Loop BB118_45 Depth 3
                                        ;     Child Loop BB118_61 Depth 2
                                        ;       Child Loop BB118_73 Depth 3
                                        ;       Child Loop BB118_75 Depth 3
	s_mov_b32 s29, s39
	s_delay_alu instid0(SALU_CYCLE_1)
	s_mul_u64 s[6:7], s[14:15], s[28:29]
	s_wait_alu 0xfffe
	s_lshl_b64 s[6:7], s[6:7], 3
	s_wait_alu 0xfffe
	s_add_nc_u64 s[6:7], s[12:13], s[6:7]
	global_load_b64 v[13:14], v3, s[6:7]
	s_mov_b32 s6, -1
	s_wait_loadcnt 0x0
	v_or_b32_e32 v4, v13, v14
	s_delay_alu instid0(VALU_DEP_1) | instskip(NEXT) | instid1(VALU_DEP_1)
	v_and_b32_e32 v4, 0x7fffffff, v4
	v_cmp_ne_u32_e32 vcc_lo, 0, v4
	s_cbranch_vccnz .LBB118_8
; %bb.4:                                ;   in Loop: Header=BB118_3 Depth=1
	s_and_saveexec_b32 s8, s58
	s_cbranch_execz .LBB118_7
; %bb.5:                                ;   in Loop: Header=BB118_3 Depth=1
	s_mul_u64 s[6:7], s[42:43], s[28:29]
	s_mov_b32 s9, s35
	s_wait_alu 0xfffe
	s_add_nc_u64 s[6:7], s[40:41], s[6:7]
.LBB118_6:                              ;   Parent Loop BB118_3 Depth=1
                                        ; =>  This Inner Loop Header: Depth=2
	v_mov_b32_e32 v4, v3
	s_add_co_i32 s9, s9, -1
	s_wait_alu 0xfffe
	s_cmp_eq_u32 s9, 0
	global_store_b64 v3, v[3:4], s[6:7] offset:-4
	s_add_nc_u64 s[6:7], s[6:7], s[44:45]
	s_cbranch_scc0 .LBB118_6
.LBB118_7:                              ;   in Loop: Header=BB118_3 Depth=1
	s_wait_alu 0xfffe
	s_or_b32 exec_lo, exec_lo, s8
	s_mov_b32 s6, 0
.LBB118_8:                              ;   in Loop: Header=BB118_3 Depth=1
	s_wait_alu 0xfffe
	s_and_not1_b32 vcc_lo, exec_lo, s6
	s_wait_alu 0xfffe
	s_cbranch_vccnz .LBB118_2
; %bb.9:                                ;   in Loop: Header=BB118_3 Depth=1
	s_mul_u64 s[6:7], s[24:25], s[28:29]
	s_mul_u64 s[8:9], s[20:21], s[28:29]
	s_wait_alu 0xfffe
	s_lshl_b64 s[6:7], s[6:7], 3
	s_mul_u64 s[52:53], s[16:17], s[28:29]
	s_wait_alu 0xfffe
	s_add_nc_u64 s[48:49], s[18:19], s[6:7]
	s_lshl_b64 s[6:7], s[8:9], 3
	v_cmp_gt_u32_e64 s9, 24, v34
	s_wait_alu 0xfffe
	v_add_co_u32 v35, vcc_lo, v31, s6
	s_wait_alu 0xfffd
	v_add_co_ci_u32_e64 v36, null, s7, v32, vcc_lo
	v_cmp_gt_u32_e64 s8, 28, v34
	v_cmp_gt_u32_e64 s7, 30, v34
	v_cmp_ne_u32_e64 s6, 31, v34
	s_lshl_b64 s[52:53], s[52:53], 3
	s_mul_u64 s[50:51], s[46:47], s[28:29]
	s_and_not1_b32 vcc_lo, exec_lo, s61
	s_wait_alu 0xfffe
	s_add_nc_u64 s[52:53], s[26:27], s[52:53]
	s_cbranch_vccnz .LBB118_57
; %bb.10:                               ;   in Loop: Header=BB118_3 Depth=1
	v_cndmask_b32_e64 v15, 0, 4, s8
	v_cndmask_b32_e64 v16, 0, 2, s7
	v_add_co_ci_u32_e64 v17, null, 0, v34, s6
	v_cndmask_b32_e64 v4, 0, 8, s9
	s_delay_alu instid0(VALU_DEP_4)
	v_add_lshl_u32 v38, v15, v34, 2
	v_add_co_u32 v15, vcc_lo, s48, v5
	v_add_lshl_u32 v39, v16, v34, 2
	v_lshlrev_b32_e32 v40, 2, v17
	s_wait_alu 0xfffd
	v_add_co_ci_u32_e64 v16, null, s49, v6, vcc_lo
	v_add_co_u32 v17, vcc_lo, s48, v7
	s_wait_alu 0xfffd
	v_add_co_ci_u32_e64 v18, null, s49, v8, vcc_lo
	v_add_co_u32 v19, vcc_lo, s48, v9
	;; [unrolled: 3-line block ×4, first 2 shown]
	v_add_lshl_u32 v37, v4, v34, 2
	s_wait_alu 0xfffd
	v_add_co_ci_u32_e64 v42, null, s51, v32, vcc_lo
	s_mov_b32 s6, 0
	s_mov_b32 s66, s64
	;; [unrolled: 1-line block ×5, first 2 shown]
	s_branch .LBB118_12
.LBB118_11:                             ;   in Loop: Header=BB118_12 Depth=2
	s_wait_alu 0xfffe
	s_or_b32 exec_lo, exec_lo, s7
	s_add_co_i32 s29, s29, 4
	s_add_co_i32 s68, s68, s62
	;; [unrolled: 1-line block ×5, first 2 shown]
	s_cmp_ge_i32 s29, s59
	s_cbranch_scc1 .LBB118_58
.LBB118_12:                             ;   Parent Loop BB118_3 Depth=1
                                        ; =>  This Loop Header: Depth=2
                                        ;       Child Loop BB118_43 Depth 3
                                        ;       Child Loop BB118_45 Depth 3
                                        ; implicit-def: $vgpr43
                                        ; implicit-def: $vgpr44
                                        ; implicit-def: $vgpr25
                                        ; implicit-def: $vgpr26
                                        ; implicit-def: $vgpr27
                                        ; implicit-def: $vgpr28
                                        ; implicit-def: $vgpr30
                                        ; implicit-def: $vgpr29
	s_and_saveexec_b32 s7, s1
	s_wait_alu 0xfffe
	s_xor_b32 s7, exec_lo, s7
	s_cbranch_execnz .LBB118_39
; %bb.13:                               ;   in Loop: Header=BB118_12 Depth=2
	s_wait_alu 0xfffe
	s_and_not1_saveexec_b32 s38, s7
	s_cbranch_execnz .LBB118_40
.LBB118_14:                             ;   in Loop: Header=BB118_12 Depth=2
	s_or_b32 exec_lo, exec_lo, s38
	s_and_saveexec_b32 s7, s3
.LBB118_15:                             ;   in Loop: Header=BB118_12 Depth=2
	v_mov_b32_e32 v4, v3
	ds_store_b64 v0, v[3:4]
.LBB118_16:                             ;   in Loop: Header=BB118_12 Depth=2
	s_wait_alu 0xfffe
	s_or_b32 exec_lo, exec_lo, s7
	ds_bpermute_b32 v4, v2, v43
	s_wait_dscnt 0x1
	ds_bpermute_b32 v23, v2, v44
	s_wait_storecnt_dscnt 0x0
	s_barrier_signal -1
	s_barrier_wait -1
	global_inv scope:SCOPE_SE
	v_dual_add_f32 v4, v43, v4 :: v_dual_add_f32 v23, v44, v23
	ds_bpermute_b32 v24, v37, v4
	ds_bpermute_b32 v43, v37, v23
	s_wait_dscnt 0x0
	v_dual_add_f32 v4, v4, v24 :: v_dual_add_f32 v23, v23, v43
	ds_bpermute_b32 v24, v38, v4
	ds_bpermute_b32 v43, v38, v23
	s_wait_dscnt 0x0
	;; [unrolled: 4-line block ×3, first 2 shown]
	v_dual_add_f32 v4, v4, v24 :: v_dual_add_f32 v23, v23, v43
	ds_bpermute_b32 v24, v40, v4
	ds_bpermute_b32 v43, v40, v23
	s_and_saveexec_b32 s7, s4
	s_cbranch_execz .LBB118_18
; %bb.17:                               ;   in Loop: Header=BB118_12 Depth=2
	s_wait_dscnt 0x0
	v_dual_add_f32 v44, v23, v43 :: v_dual_add_f32 v43, v4, v24
	ds_store_b64 v33, v[43:44]
.LBB118_18:                             ;   in Loop: Header=BB118_12 Depth=2
	s_wait_alu 0xfffe
	s_or_b32 exec_lo, exec_lo, s7
	s_wait_dscnt 0x1
	v_dual_mov_b32 v24, 0 :: v_dual_mov_b32 v23, 0
	s_wait_loadcnt_dscnt 0x0
	s_barrier_signal -1
	s_barrier_wait -1
	global_inv scope:SCOPE_SE
	s_and_saveexec_b32 s7, s5
	s_cbranch_execnz .LBB118_46
; %bb.19:                               ;   in Loop: Header=BB118_12 Depth=2
	s_wait_alu 0xfffe
	s_or_b32 exec_lo, exec_lo, s7
	s_and_saveexec_b32 s7, s3
	s_cbranch_execnz .LBB118_47
.LBB118_20:                             ;   in Loop: Header=BB118_12 Depth=2
	s_wait_alu 0xfffe
	s_or_b32 exec_lo, exec_lo, s7
	s_and_saveexec_b32 s7, s3
.LBB118_21:                             ;   in Loop: Header=BB118_12 Depth=2
	v_mov_b32_e32 v4, v3
	ds_store_b64 v0, v[3:4]
.LBB118_22:                             ;   in Loop: Header=BB118_12 Depth=2
	s_wait_alu 0xfffe
	s_or_b32 exec_lo, exec_lo, s7
	ds_bpermute_b32 v4, v2, v25
	ds_bpermute_b32 v43, v2, v26
	s_wait_loadcnt_dscnt 0x0
	s_barrier_signal -1
	s_barrier_wait -1
	global_inv scope:SCOPE_SE
	v_dual_add_f32 v4, v25, v4 :: v_dual_add_f32 v25, v26, v43
	ds_bpermute_b32 v26, v37, v4
	ds_bpermute_b32 v43, v37, v25
	s_wait_dscnt 0x0
	v_dual_add_f32 v4, v4, v26 :: v_dual_add_f32 v25, v25, v43
	ds_bpermute_b32 v26, v38, v4
	ds_bpermute_b32 v43, v38, v25
	s_wait_dscnt 0x0
	;; [unrolled: 4-line block ×3, first 2 shown]
	v_dual_add_f32 v4, v4, v26 :: v_dual_add_f32 v25, v25, v43
	ds_bpermute_b32 v26, v40, v4
	ds_bpermute_b32 v43, v40, v25
	s_and_saveexec_b32 s7, s4
	s_cbranch_execz .LBB118_24
; %bb.23:                               ;   in Loop: Header=BB118_12 Depth=2
	s_wait_dscnt 0x0
	v_dual_add_f32 v44, v25, v43 :: v_dual_add_f32 v43, v4, v26
	ds_store_b64 v33, v[43:44]
.LBB118_24:                             ;   in Loop: Header=BB118_12 Depth=2
	s_wait_alu 0xfffe
	s_or_b32 exec_lo, exec_lo, s7
	s_wait_dscnt 0x1
	v_dual_mov_b32 v26, 0 :: v_dual_mov_b32 v25, 0
	s_wait_loadcnt_dscnt 0x0
	s_barrier_signal -1
	s_barrier_wait -1
	global_inv scope:SCOPE_SE
	s_and_saveexec_b32 s7, s5
	s_cbranch_execnz .LBB118_48
; %bb.25:                               ;   in Loop: Header=BB118_12 Depth=2
	s_wait_alu 0xfffe
	s_or_b32 exec_lo, exec_lo, s7
	s_and_saveexec_b32 s7, s3
	s_cbranch_execnz .LBB118_49
.LBB118_26:                             ;   in Loop: Header=BB118_12 Depth=2
	s_wait_alu 0xfffe
	s_or_b32 exec_lo, exec_lo, s7
	s_and_saveexec_b32 s7, s3
.LBB118_27:                             ;   in Loop: Header=BB118_12 Depth=2
	v_mov_b32_e32 v4, v3
	ds_store_b64 v0, v[3:4]
.LBB118_28:                             ;   in Loop: Header=BB118_12 Depth=2
	s_wait_alu 0xfffe
	s_or_b32 exec_lo, exec_lo, s7
	ds_bpermute_b32 v4, v2, v27
	ds_bpermute_b32 v43, v2, v28
	s_wait_loadcnt_dscnt 0x0
	s_barrier_signal -1
	s_barrier_wait -1
	global_inv scope:SCOPE_SE
	v_dual_add_f32 v4, v27, v4 :: v_dual_add_f32 v27, v28, v43
	ds_bpermute_b32 v28, v37, v4
	ds_bpermute_b32 v43, v37, v27
	s_wait_dscnt 0x0
	v_dual_add_f32 v4, v4, v28 :: v_dual_add_f32 v27, v27, v43
	ds_bpermute_b32 v28, v38, v4
	ds_bpermute_b32 v43, v38, v27
	s_wait_dscnt 0x0
	;; [unrolled: 4-line block ×3, first 2 shown]
	v_dual_add_f32 v4, v4, v28 :: v_dual_add_f32 v27, v27, v43
	ds_bpermute_b32 v28, v40, v4
	ds_bpermute_b32 v43, v40, v27
	s_and_saveexec_b32 s7, s4
	s_cbranch_execz .LBB118_30
; %bb.29:                               ;   in Loop: Header=BB118_12 Depth=2
	s_wait_dscnt 0x0
	v_dual_add_f32 v44, v27, v43 :: v_dual_add_f32 v43, v4, v28
	ds_store_b64 v33, v[43:44]
.LBB118_30:                             ;   in Loop: Header=BB118_12 Depth=2
	s_wait_alu 0xfffe
	s_or_b32 exec_lo, exec_lo, s7
	s_wait_dscnt 0x1
	v_dual_mov_b32 v28, 0 :: v_dual_mov_b32 v27, 0
	s_wait_loadcnt_dscnt 0x0
	s_barrier_signal -1
	s_barrier_wait -1
	global_inv scope:SCOPE_SE
	s_and_saveexec_b32 s7, s5
	s_cbranch_execnz .LBB118_50
; %bb.31:                               ;   in Loop: Header=BB118_12 Depth=2
	s_wait_alu 0xfffe
	s_or_b32 exec_lo, exec_lo, s7
	s_and_saveexec_b32 s7, s3
	s_cbranch_execnz .LBB118_51
.LBB118_32:                             ;   in Loop: Header=BB118_12 Depth=2
	s_wait_alu 0xfffe
	s_or_b32 exec_lo, exec_lo, s7
	s_and_saveexec_b32 s7, s3
.LBB118_33:                             ;   in Loop: Header=BB118_12 Depth=2
	v_mov_b32_e32 v4, v3
	ds_store_b64 v0, v[3:4]
.LBB118_34:                             ;   in Loop: Header=BB118_12 Depth=2
	s_wait_alu 0xfffe
	s_or_b32 exec_lo, exec_lo, s7
	ds_bpermute_b32 v4, v2, v30
	ds_bpermute_b32 v43, v2, v29
	s_wait_loadcnt_dscnt 0x0
	s_barrier_signal -1
	s_barrier_wait -1
	global_inv scope:SCOPE_SE
	v_dual_add_f32 v4, v30, v4 :: v_dual_add_f32 v29, v29, v43
	ds_bpermute_b32 v30, v37, v4
	ds_bpermute_b32 v43, v37, v29
	s_wait_dscnt 0x0
	v_dual_add_f32 v4, v4, v30 :: v_dual_add_f32 v29, v29, v43
	ds_bpermute_b32 v30, v38, v4
	ds_bpermute_b32 v43, v38, v29
	s_wait_dscnt 0x0
	;; [unrolled: 4-line block ×3, first 2 shown]
	v_dual_add_f32 v4, v4, v30 :: v_dual_add_f32 v29, v29, v43
	ds_bpermute_b32 v30, v40, v4
	ds_bpermute_b32 v43, v40, v29
	s_and_saveexec_b32 s7, s4
	s_cbranch_execz .LBB118_36
; %bb.35:                               ;   in Loop: Header=BB118_12 Depth=2
	s_wait_dscnt 0x0
	v_dual_add_f32 v44, v29, v43 :: v_dual_add_f32 v43, v4, v30
	ds_store_b64 v33, v[43:44]
.LBB118_36:                             ;   in Loop: Header=BB118_12 Depth=2
	s_wait_alu 0xfffe
	s_or_b32 exec_lo, exec_lo, s7
	s_wait_dscnt 0x1
	v_dual_mov_b32 v30, 0 :: v_dual_mov_b32 v29, 0
	s_wait_loadcnt_dscnt 0x0
	s_barrier_signal -1
	s_barrier_wait -1
	global_inv scope:SCOPE_SE
	s_and_saveexec_b32 s7, s5
	s_cbranch_execnz .LBB118_52
; %bb.37:                               ;   in Loop: Header=BB118_12 Depth=2
	s_wait_alu 0xfffe
	s_or_b32 exec_lo, exec_lo, s7
	s_and_saveexec_b32 s7, s3
	s_cbranch_execnz .LBB118_53
.LBB118_38:                             ;   in Loop: Header=BB118_12 Depth=2
	s_wait_alu 0xfffe
	s_or_b32 exec_lo, exec_lo, s7
	s_and_saveexec_b32 s7, s0
	s_cbranch_execz .LBB118_11
	s_branch .LBB118_54
.LBB118_39:                             ;   in Loop: Header=BB118_12 Depth=2
	s_mul_i32 s8, s29, s33
	global_load_b64 v[45:46], v[15:16], off
	s_wait_alu 0xfffe
	s_ashr_i32 s9, s8, 31
	s_wait_alu 0xfffe
	s_lshl_b64 s[54:55], s[8:9], 3
	s_add_co_i32 s8, s8, s33
	s_wait_alu 0xfffe
	v_add_co_u32 v27, vcc_lo, v35, s54
	s_ashr_i32 s9, s8, 31
	s_wait_alu 0xfffd
	v_add_co_ci_u32_e64 v28, null, s55, v36, vcc_lo
	s_wait_alu 0xfffe
	s_lshl_b64 s[54:55], s[8:9], 3
	s_add_co_i32 s8, s8, s33
	s_wait_alu 0xfffe
	v_add_co_u32 v43, vcc_lo, v35, s54
	s_ashr_i32 s9, s8, 31
	s_wait_alu 0xfffd
	v_add_co_ci_u32_e64 v44, null, s55, v36, vcc_lo
	s_wait_alu 0xfffe
	s_lshl_b64 s[54:55], s[8:9], 3
	s_add_co_i32 s8, s8, s33
	s_wait_alu 0xfffe
	v_add_co_u32 v65, vcc_lo, v35, s54
	s_wait_alu 0xfffd
	v_add_co_ci_u32_e64 v66, null, s55, v36, vcc_lo
	s_ashr_i32 s9, s8, 31
	s_wait_dscnt 0x0
	s_clause 0x1
	global_load_b128 v[23:26], v[27:28], off offset:16
	global_load_b128 v[27:30], v[27:28], off
	s_wait_alu 0xfffe
	s_lshl_b64 s[8:9], s[8:9], 3
	s_clause 0x2
	global_load_b64 v[47:48], v[17:18], off
	global_load_b64 v[49:50], v[19:20], off
	;; [unrolled: 1-line block ×3, first 2 shown]
	s_clause 0x2
	global_load_b128 v[53:56], v[43:44], off
	global_load_b128 v[57:60], v[43:44], off offset:16
	global_load_b128 v[61:64], v[65:66], off
	s_wait_alu 0xfffe
	v_add_co_u32 v43, vcc_lo, v35, s8
	s_wait_alu 0xfffd
	v_add_co_ci_u32_e64 v44, null, s9, v36, vcc_lo
	s_clause 0x2
	global_load_b128 v[65:68], v[65:66], off offset:16
	global_load_b128 v[69:72], v[43:44], off
	global_load_b128 v[73:76], v[43:44], off offset:16
	s_wait_loadcnt 0x8
	scratch_store_b128 off, v[45:48], off
	s_wait_loadcnt 0x6
	scratch_store_b128 off, v[49:52], off offset:16
	v_dual_mul_f32 v4, v46, v28 :: v_dual_mul_f32 v43, v48, v30
	v_dual_mul_f32 v28, v45, v28 :: v_dual_mul_f32 v77, v52, v26
	s_wait_loadcnt 0x5
	v_dual_mul_f32 v30, v47, v30 :: v_dual_mul_f32 v79, v48, v56
	v_mul_f32_e32 v44, v50, v24
	v_mul_f32_e32 v24, v49, v24
	s_wait_loadcnt 0x4
	v_dual_mul_f32 v26, v51, v26 :: v_dual_mul_f32 v81, v52, v60
	v_mul_f32_e32 v80, v50, v58
	v_mul_f32_e32 v58, v49, v58
	v_fma_f32 v4, v45, v27, -v4
	v_fmac_f32_e32 v28, v46, v27
	v_fma_f32 v27, v47, v29, -v43
	v_fmac_f32_e32 v24, v50, v23
	s_wait_loadcnt 0x1
	v_dual_fmac_f32 v26, v52, v25 :: v_dual_mul_f32 v43, v45, v70
	v_fmac_f32_e32 v58, v50, v57
	v_fmac_f32_e32 v30, v48, v29
	v_fma_f32 v29, v49, v23, -v44
	v_fma_f32 v23, v51, v25, -v77
	v_mul_f32_e32 v25, v46, v70
	v_dual_mul_f32 v78, v46, v54 :: v_dual_mul_f32 v83, v48, v64
	v_dual_mul_f32 v54, v45, v54 :: v_dual_mul_f32 v85, v52, v68
	v_mul_f32_e32 v44, v48, v72
	s_delay_alu instid0(VALU_DEP_4)
	v_fma_f32 v25, v45, v69, -v25
	v_dual_mul_f32 v56, v47, v56 :: v_dual_fmac_f32 v43, v46, v69
	v_mul_f32_e32 v82, v46, v62
	v_fmac_f32_e32 v54, v46, v53
	v_fma_f32 v44, v47, v71, -v44
	v_add_f32_e32 v25, 0, v25
	s_wait_loadcnt 0x0
	v_mul_f32_e32 v77, v52, v76
	v_mul_f32_e32 v76, v51, v76
	v_fma_f32 v78, v45, v53, -v78
	v_mul_f32_e32 v60, v51, v60
	v_fma_f32 v53, v47, v55, -v79
	v_fmac_f32_e32 v56, v48, v55
	v_fma_f32 v55, v49, v57, -v80
	v_fma_f32 v57, v51, v59, -v81
	v_mul_f32_e32 v70, v47, v72
	v_add_f32_e32 v4, 0, v4
	v_add_f32_e32 v54, 0, v54
	v_mul_f32_e32 v62, v45, v62
	v_add_f32_e32 v25, v25, v44
	v_add_f32_e32 v28, 0, v28
	v_mul_f32_e32 v64, v47, v64
	v_fmac_f32_e32 v70, v48, v71
	v_fmac_f32_e32 v76, v52, v75
	v_mul_f32_e32 v72, v50, v74
	v_mul_f32_e32 v74, v49, v74
	v_dual_add_f32 v71, 0, v78 :: v_dual_fmac_f32 v60, v52, v59
	v_fma_f32 v59, v45, v61, -v82
	v_add_f32_e32 v4, v4, v27
	v_dual_add_f32 v27, v28, v30 :: v_dual_add_f32 v28, 0, v43
	v_add_f32_e32 v43, v54, v56
	v_fmac_f32_e32 v62, v46, v61
	v_mul_f32_e32 v68, v51, v68
	v_fma_f32 v61, v47, v63, -v83
	v_fmac_f32_e32 v64, v48, v63
	v_dual_fmac_f32 v74, v50, v73 :: v_dual_add_f32 v59, 0, v59
	v_mul_f32_e32 v84, v50, v66
	v_add_f32_e32 v62, 0, v62
	v_add_f32_e32 v4, v4, v29
	v_mul_f32_e32 v66, v49, v66
	v_dual_add_f32 v24, v27, v24 :: v_dual_add_f32 v27, v28, v70
	v_add_f32_e32 v30, v71, v53
	v_add_f32_e32 v53, v59, v61
	v_fma_f32 v63, v49, v65, -v84
	v_dual_add_f32 v54, v62, v64 :: v_dual_add_f32 v29, v43, v58
	v_dual_add_f32 v43, v4, v23 :: v_dual_fmac_f32 v66, v50, v65
	v_add_f32_e32 v23, v27, v74
	v_fma_f32 v65, v51, v67, -v85
	v_fmac_f32_e32 v68, v52, v67
	v_add_f32_e32 v28, v30, v55
	v_dual_add_f32 v30, v53, v63 :: v_dual_add_f32 v53, v54, v66
	v_add_f32_e32 v44, v24, v26
	v_add_f32_e32 v26, v29, v60
	;; [unrolled: 1-line block ×3, first 2 shown]
	v_fma_f32 v67, v49, v73, -v72
	v_fma_f32 v69, v51, v75, -v77
	s_delay_alu instid0(VALU_DEP_2) | instskip(SKIP_1) | instid1(VALU_DEP_2)
	v_dual_add_f32 v27, v30, v65 :: v_dual_add_f32 v4, v25, v67
	v_dual_add_f32 v25, v28, v57 :: v_dual_add_f32 v28, v53, v68
	v_add_f32_e32 v30, v4, v69
	s_and_not1_saveexec_b32 s38, s7
	s_cbranch_execz .LBB118_14
.LBB118_40:                             ;   in Loop: Header=BB118_12 Depth=2
	v_dual_mov_b32 v43, 0 :: v_dual_mov_b32 v44, 0
	v_dual_mov_b32 v25, 0 :: v_dual_mov_b32 v26, 0
	v_dual_mov_b32 v27, 0 :: v_dual_mov_b32 v28, 0
	s_wait_dscnt 0x0
	v_dual_mov_b32 v30, 0 :: v_dual_mov_b32 v29, 0
	s_and_saveexec_b32 s69, s2
	s_cbranch_execz .LBB118_56
; %bb.41:                               ;   in Loop: Header=BB118_12 Depth=2
	s_and_not1_b32 vcc_lo, exec_lo, s34
	s_wait_alu 0xfffe
	s_cbranch_vccnz .LBB118_55
; %bb.42:                               ;   in Loop: Header=BB118_12 Depth=2
	v_mov_b32_e32 v23, v1
	s_mov_b32 s7, 0
	s_mov_b32 s8, s60
.LBB118_43:                             ;   Parent Loop BB118_3 Depth=1
                                        ;     Parent Loop BB118_12 Depth=2
                                        ; =>    This Inner Loop Header: Depth=3
	s_delay_alu instid0(VALU_DEP_1) | instskip(SKIP_2) | instid1(VALU_DEP_1)
	v_ashrrev_i32_e32 v24, 31, v23
	s_wait_alu 0xfffe
	s_add_co_i32 s8, s8, -1
	v_lshlrev_b64_e32 v[24:25], 3, v[23:24]
	v_add_nc_u32_e32 v23, s10, v23
	s_delay_alu instid0(VALU_DEP_2) | instskip(SKIP_1) | instid1(VALU_DEP_3)
	v_add_co_u32 v24, vcc_lo, s48, v24
	s_wait_alu 0xfffd
	v_add_co_ci_u32_e64 v25, null, s49, v25, vcc_lo
	global_load_b64 v[24:25], v[24:25], off
	s_wait_loadcnt 0x0
	scratch_store_b64 off, v[24:25], s7
	s_add_co_i32 s7, s7, 8
	s_wait_alu 0xfffe
	s_cmp_eq_u32 s8, 0
	s_cbranch_scc0 .LBB118_43
; %bb.44:                               ;   in Loop: Header=BB118_12 Depth=2
	s_ashr_i32 s7, s6, 31
	v_dual_mov_b32 v29, 0 :: v_dual_mov_b32 v30, 0
	s_wait_alu 0xfffe
	s_lshl_b64 s[8:9], s[6:7], 3
	v_dual_mov_b32 v28, 0 :: v_dual_mov_b32 v27, 0
	s_wait_alu 0xfffe
	v_add_co_u32 v23, vcc_lo, v41, s8
	s_wait_alu 0xfffd
	v_add_co_ci_u32_e64 v24, null, s9, v42, vcc_lo
	v_dual_mov_b32 v26, 0 :: v_dual_mov_b32 v25, 0
	v_dual_mov_b32 v44, 0 :: v_dual_mov_b32 v43, 0
	s_mov_b32 s7, s65
	s_mov_b32 s8, s66
	;; [unrolled: 1-line block ×5, first 2 shown]
.LBB118_45:                             ;   Parent Loop BB118_3 Depth=1
                                        ;     Parent Loop BB118_12 Depth=2
                                        ; =>    This Inner Loop Header: Depth=3
	s_ashr_i32 s57, s56, 31
	s_wait_alu 0xfffe
	s_ashr_i32 s55, s54, 31
	s_lshl_b64 s[72:73], s[56:57], 3
	s_ashr_i32 s9, s8, 31
	s_wait_alu 0xfffe
	s_lshl_b64 s[74:75], s[54:55], 3
	v_add_co_u32 v49, vcc_lo, v35, s72
	scratch_load_b64 v[45:46], off, s7 offset:-4
	global_load_b64 v[47:48], v[23:24], off
	s_lshl_b64 s[76:77], s[8:9], 3
	s_wait_alu 0xfffd
	v_add_co_ci_u32_e64 v50, null, s73, v36, vcc_lo
	s_wait_alu 0xfffe
	v_add_co_u32 v51, vcc_lo, v35, s74
	s_wait_alu 0xfffd
	v_add_co_ci_u32_e64 v52, null, s75, v36, vcc_lo
	v_add_co_u32 v53, vcc_lo, v35, s76
	s_wait_alu 0xfffd
	v_add_co_ci_u32_e64 v54, null, s77, v36, vcc_lo
	s_clause 0x2
	global_load_b64 v[49:50], v[49:50], off
	global_load_b64 v[51:52], v[51:52], off
	;; [unrolled: 1-line block ×3, first 2 shown]
	v_add_co_u32 v23, vcc_lo, v23, 8
	s_wait_alu 0xfffd
	v_add_co_ci_u32_e64 v24, null, 0, v24, vcc_lo
	s_add_co_i32 s70, s70, -1
	s_add_co_i32 s7, s7, 8
	s_add_co_i32 s56, s56, 1
	;; [unrolled: 1-line block ×4, first 2 shown]
	s_cmp_lg_u32 s70, 0
	s_wait_loadcnt 0x3
	v_mul_f32_e32 v4, v46, v48
	v_mul_f32_e32 v48, v45, v48
	s_delay_alu instid0(VALU_DEP_2) | instskip(NEXT) | instid1(VALU_DEP_1)
	v_fma_f32 v4, v45, v47, -v4
	v_dual_fmac_f32 v48, v46, v47 :: v_dual_add_f32 v43, v43, v4
	s_wait_loadcnt 0x2
	v_mul_f32_e32 v47, v46, v50
	s_wait_loadcnt 0x1
	v_dual_mul_f32 v50, v45, v50 :: v_dual_mul_f32 v55, v46, v52
	v_mul_f32_e32 v52, v45, v52
	s_delay_alu instid0(VALU_DEP_3)
	v_fma_f32 v4, v45, v49, -v47
	s_wait_loadcnt 0x0
	v_mul_f32_e32 v56, v46, v54
	v_mul_f32_e32 v54, v45, v54
	v_fmac_f32_e32 v50, v46, v49
	v_fma_f32 v47, v45, v51, -v55
	v_dual_fmac_f32 v52, v46, v51 :: v_dual_add_f32 v25, v25, v4
	v_fma_f32 v45, v45, v53, -v56
	v_fmac_f32_e32 v54, v46, v53
	v_add_f32_e32 v44, v44, v48
	v_dual_add_f32 v26, v26, v50 :: v_dual_add_f32 v27, v27, v47
	v_add_f32_e32 v28, v28, v52
	s_delay_alu instid0(VALU_DEP_4)
	v_dual_add_f32 v30, v30, v45 :: v_dual_add_f32 v29, v29, v54
	s_cbranch_scc1 .LBB118_45
	s_branch .LBB118_56
.LBB118_46:                             ;   in Loop: Header=BB118_12 Depth=2
	ds_load_b64 v[23:24], v0
	s_wait_alu 0xfffe
	s_or_b32 exec_lo, exec_lo, s7
	s_and_saveexec_b32 s7, s3
	s_cbranch_execz .LBB118_20
.LBB118_47:                             ;   in Loop: Header=BB118_12 Depth=2
	s_wait_dscnt 0x0
	ds_bpermute_b32 v4, v38, v23
	ds_bpermute_b32 v43, v38, v24
	s_wait_dscnt 0x0
	v_dual_add_f32 v4, v23, v4 :: v_dual_add_f32 v23, v24, v43
	ds_bpermute_b32 v24, v39, v4
	ds_bpermute_b32 v43, v39, v23
	s_wait_dscnt 0x1
	v_add_f32_e32 v4, v4, v24
	s_wait_dscnt 0x0
	v_add_f32_e32 v24, v23, v43
	ds_bpermute_b32 v23, v40, v4
	ds_bpermute_b32 v43, v40, v24
	s_wait_dscnt 0x1
	v_add_f32_e32 v23, v4, v23
	s_wait_dscnt 0x0
	v_add_f32_e32 v24, v24, v43
	s_wait_alu 0xfffe
	s_or_b32 exec_lo, exec_lo, s7
	s_and_saveexec_b32 s7, s3
	s_cbranch_execnz .LBB118_21
	s_branch .LBB118_22
.LBB118_48:                             ;   in Loop: Header=BB118_12 Depth=2
	ds_load_b64 v[25:26], v0
	s_wait_alu 0xfffe
	s_or_b32 exec_lo, exec_lo, s7
	s_and_saveexec_b32 s7, s3
	s_cbranch_execz .LBB118_26
.LBB118_49:                             ;   in Loop: Header=BB118_12 Depth=2
	s_wait_dscnt 0x0
	ds_bpermute_b32 v4, v38, v25
	ds_bpermute_b32 v43, v38, v26
	s_wait_dscnt 0x0
	v_dual_add_f32 v4, v25, v4 :: v_dual_add_f32 v25, v26, v43
	ds_bpermute_b32 v26, v39, v4
	ds_bpermute_b32 v43, v39, v25
	s_wait_dscnt 0x1
	v_add_f32_e32 v4, v4, v26
	s_wait_dscnt 0x0
	v_add_f32_e32 v26, v25, v43
	ds_bpermute_b32 v25, v40, v4
	s_wait_dscnt 0x0
	v_add_f32_e32 v25, v4, v25
	ds_bpermute_b32 v43, v40, v26
	s_wait_dscnt 0x0
	v_add_f32_e32 v26, v26, v43
	s_wait_alu 0xfffe
	s_or_b32 exec_lo, exec_lo, s7
	s_and_saveexec_b32 s7, s3
	s_cbranch_execnz .LBB118_27
	s_branch .LBB118_28
.LBB118_50:                             ;   in Loop: Header=BB118_12 Depth=2
	ds_load_b64 v[27:28], v0
	s_wait_alu 0xfffe
	s_or_b32 exec_lo, exec_lo, s7
	s_and_saveexec_b32 s7, s3
	s_cbranch_execz .LBB118_32
.LBB118_51:                             ;   in Loop: Header=BB118_12 Depth=2
	s_wait_dscnt 0x0
	ds_bpermute_b32 v4, v38, v27
	ds_bpermute_b32 v43, v38, v28
	s_wait_dscnt 0x0
	v_dual_add_f32 v4, v27, v4 :: v_dual_add_f32 v27, v28, v43
	ds_bpermute_b32 v28, v39, v4
	ds_bpermute_b32 v43, v39, v27
	s_wait_dscnt 0x1
	v_add_f32_e32 v4, v4, v28
	s_wait_dscnt 0x0
	v_add_f32_e32 v28, v27, v43
	ds_bpermute_b32 v27, v40, v4
	ds_bpermute_b32 v43, v40, v28
	s_wait_dscnt 0x1
	v_add_f32_e32 v27, v4, v27
	s_wait_dscnt 0x0
	v_add_f32_e32 v28, v28, v43
	s_wait_alu 0xfffe
	s_or_b32 exec_lo, exec_lo, s7
	s_and_saveexec_b32 s7, s3
	s_cbranch_execnz .LBB118_33
	s_branch .LBB118_34
.LBB118_52:                             ;   in Loop: Header=BB118_12 Depth=2
	ds_load_b64 v[29:30], v0
	s_wait_alu 0xfffe
	s_or_b32 exec_lo, exec_lo, s7
	s_and_saveexec_b32 s7, s3
	s_cbranch_execz .LBB118_38
.LBB118_53:                             ;   in Loop: Header=BB118_12 Depth=2
	s_wait_dscnt 0x0
	ds_bpermute_b32 v4, v38, v29
	ds_bpermute_b32 v43, v38, v30
	s_wait_dscnt 0x0
	v_dual_add_f32 v4, v29, v4 :: v_dual_add_f32 v29, v30, v43
	ds_bpermute_b32 v30, v39, v4
	ds_bpermute_b32 v43, v39, v29
	s_wait_dscnt 0x1
	v_add_f32_e32 v4, v4, v30
	s_wait_dscnt 0x0
	v_add_f32_e32 v30, v29, v43
	ds_bpermute_b32 v29, v40, v4
	s_wait_dscnt 0x0
	v_add_f32_e32 v29, v4, v29
	ds_bpermute_b32 v43, v40, v30
	s_wait_dscnt 0x0
	v_add_f32_e32 v30, v30, v43
	s_wait_alu 0xfffe
	s_or_b32 exec_lo, exec_lo, s7
	s_and_saveexec_b32 s7, s0
	s_cbranch_execz .LBB118_11
.LBB118_54:                             ;   in Loop: Header=BB118_12 Depth=2
	v_mul_f32_e32 v4, v24, v14
	v_dual_mul_f32 v44, v24, v13 :: v_dual_mul_f32 v45, v26, v14
	s_mul_i32 s8, s29, s36
	v_mul_f32_e32 v24, v26, v13
	s_wait_alu 0xfffe
	s_add_co_i32 s38, s8, s30
	v_fma_f32 v43, v23, v13, -v4
	s_lshl_b64 s[8:9], s[38:39], 3
	v_fmac_f32_e32 v44, v23, v14
	s_add_co_i32 s38, s38, s36
	v_fma_f32 v23, v25, v13, -v45
	v_fmac_f32_e32 v24, v25, v14
	v_mul_f32_e32 v4, v28, v14
	s_lshl_b64 s[54:55], s[38:39], 3
	s_wait_alu 0xfffe
	s_add_nc_u64 s[8:9], s[52:53], s[8:9]
	s_add_nc_u64 s[54:55], s[52:53], s[54:55]
	s_clause 0x1
	global_store_b64 v3, v[43:44], s[8:9]
	global_store_b64 v3, v[23:24], s[54:55]
	v_mul_f32_e32 v24, v28, v13
	v_fma_f32 v23, v27, v13, -v4
	s_wait_dscnt 0x0
	v_mul_f32_e32 v4, v30, v14
	v_mul_f32_e32 v26, v30, v13
	s_add_co_i32 s38, s38, s36
	v_fmac_f32_e32 v24, v27, v14
	s_lshl_b64 s[8:9], s[38:39], 3
	s_add_co_i32 s38, s38, s36
	v_fma_f32 v25, v29, v13, -v4
	v_fmac_f32_e32 v26, v29, v14
	s_lshl_b64 s[54:55], s[38:39], 3
	s_wait_alu 0xfffe
	s_add_nc_u64 s[8:9], s[52:53], s[8:9]
	s_add_nc_u64 s[54:55], s[52:53], s[54:55]
	s_clause 0x1
	global_store_b64 v3, v[23:24], s[8:9]
	global_store_b64 v3, v[25:26], s[54:55]
	s_branch .LBB118_11
.LBB118_55:                             ;   in Loop: Header=BB118_12 Depth=2
	v_dual_mov_b32 v43, 0 :: v_dual_mov_b32 v44, 0
	v_dual_mov_b32 v25, 0 :: v_dual_mov_b32 v26, 0
	;; [unrolled: 1-line block ×4, first 2 shown]
.LBB118_56:                             ;   in Loop: Header=BB118_12 Depth=2
	s_or_b32 exec_lo, exec_lo, s69
	s_delay_alu instid0(SALU_CYCLE_1)
	s_or_b32 exec_lo, exec_lo, s38
	s_and_saveexec_b32 s7, s3
	s_cbranch_execnz .LBB118_15
	s_branch .LBB118_16
.LBB118_57:                             ;   in Loop: Header=BB118_3 Depth=1
	s_mov_b32 s29, 0
.LBB118_58:                             ;   in Loop: Header=BB118_3 Depth=1
	s_delay_alu instid0(SALU_CYCLE_1)
	s_cmp_ge_i32 s29, s35
	s_cbranch_scc1 .LBB118_2
; %bb.59:                               ;   in Loop: Header=BB118_3 Depth=1
	v_cmp_gt_u32_e32 vcc_lo, 24, v34
	s_wait_alu 0xfffe
	s_add_nc_u64 s[6:7], s[52:53], s[22:23]
	s_mul_i32 s8, s33, s29
	s_mov_b32 s38, s29
	s_wait_alu 0xfffd
	v_cndmask_b32_e64 v4, 0, 8, vcc_lo
	v_cmp_gt_u32_e32 vcc_lo, 28, v34
	s_delay_alu instid0(VALU_DEP_2) | instskip(SKIP_3) | instid1(VALU_DEP_2)
	v_add_lshl_u32 v25, v4, v34, 2
	s_wait_alu 0xfffd
	v_cndmask_b32_e64 v15, 0, 4, vcc_lo
	v_cmp_gt_u32_e32 vcc_lo, 30, v34
	v_add_lshl_u32 v26, v15, v34, 2
	s_wait_alu 0xfffd
	v_cndmask_b32_e64 v16, 0, 2, vcc_lo
	v_cmp_ne_u32_e32 vcc_lo, 31, v34
	s_delay_alu instid0(VALU_DEP_2)
	v_add_lshl_u32 v27, v16, v34, 2
	s_wait_alu 0xfffd
	v_add_co_ci_u32_e64 v17, null, 0, v34, vcc_lo
	v_add_co_u32 v15, vcc_lo, s48, v5
	s_wait_alu 0xfffd
	v_add_co_ci_u32_e64 v16, null, s49, v6, vcc_lo
	s_delay_alu instid0(VALU_DEP_3)
	v_lshlrev_b32_e32 v28, 2, v17
	v_add_co_u32 v17, vcc_lo, s48, v7
	s_wait_alu 0xfffd
	v_add_co_ci_u32_e64 v18, null, s49, v8, vcc_lo
	v_add_co_u32 v19, vcc_lo, s48, v9
	s_wait_alu 0xfffd
	v_add_co_ci_u32_e64 v20, null, s49, v10, vcc_lo
	;; [unrolled: 3-line block ×3, first 2 shown]
	s_wait_dscnt 0x0
	v_add_co_u32 v29, vcc_lo, v31, s50
	s_wait_alu 0xfffd
	v_add_co_ci_u32_e64 v30, null, s51, v32, vcc_lo
	s_branch .LBB118_61
.LBB118_60:                             ;   in Loop: Header=BB118_61 Depth=2
	s_wait_alu 0xfffe
	s_or_b32 exec_lo, exec_lo, s9
	s_add_co_i32 s38, s38, 1
	s_add_co_i32 s8, s8, s33
	s_cmp_lt_i32 s38, s35
	s_cbranch_scc0 .LBB118_2
.LBB118_61:                             ;   Parent Loop BB118_3 Depth=1
                                        ; =>  This Loop Header: Depth=2
                                        ;       Child Loop BB118_73 Depth 3
                                        ;       Child Loop BB118_75 Depth 3
                                        ; implicit-def: $vgpr37
                                        ; implicit-def: $vgpr38
	s_and_saveexec_b32 s9, s1
	s_wait_alu 0xfffe
	s_xor_b32 s9, exec_lo, s9
	s_cbranch_execnz .LBB118_70
; %bb.62:                               ;   in Loop: Header=BB118_61 Depth=2
	s_wait_alu 0xfffe
	s_and_not1_saveexec_b32 s29, s9
	s_cbranch_execnz .LBB118_71
.LBB118_63:                             ;   in Loop: Header=BB118_61 Depth=2
	s_or_b32 exec_lo, exec_lo, s29
	s_and_saveexec_b32 s9, s3
.LBB118_64:                             ;   in Loop: Header=BB118_61 Depth=2
	v_mov_b32_e32 v4, v3
	ds_store_b64 v0, v[3:4]
.LBB118_65:                             ;   in Loop: Header=BB118_61 Depth=2
	s_wait_alu 0xfffe
	s_or_b32 exec_lo, exec_lo, s9
	ds_bpermute_b32 v4, v2, v37
	s_wait_dscnt 0x1
	ds_bpermute_b32 v23, v2, v38
	s_wait_storecnt 0x0
	s_wait_loadcnt_dscnt 0x0
	s_barrier_signal -1
	s_barrier_wait -1
	global_inv scope:SCOPE_SE
	v_dual_add_f32 v4, v37, v4 :: v_dual_add_f32 v23, v38, v23
	ds_bpermute_b32 v24, v25, v4
	ds_bpermute_b32 v37, v25, v23
	s_wait_dscnt 0x0
	v_dual_add_f32 v4, v4, v24 :: v_dual_add_f32 v23, v23, v37
	ds_bpermute_b32 v24, v26, v4
	ds_bpermute_b32 v37, v26, v23
	s_wait_dscnt 0x0
	;; [unrolled: 4-line block ×3, first 2 shown]
	v_dual_add_f32 v4, v4, v24 :: v_dual_add_f32 v23, v23, v37
	ds_bpermute_b32 v24, v28, v4
	ds_bpermute_b32 v37, v28, v23
	s_and_saveexec_b32 s9, s4
	s_cbranch_execz .LBB118_67
; %bb.66:                               ;   in Loop: Header=BB118_61 Depth=2
	s_wait_dscnt 0x0
	v_dual_add_f32 v38, v23, v37 :: v_dual_add_f32 v37, v4, v24
	ds_store_b64 v33, v[37:38]
.LBB118_67:                             ;   in Loop: Header=BB118_61 Depth=2
	s_wait_alu 0xfffe
	s_or_b32 exec_lo, exec_lo, s9
	s_wait_dscnt 0x1
	v_dual_mov_b32 v24, 0 :: v_dual_mov_b32 v23, 0
	s_wait_loadcnt_dscnt 0x0
	s_barrier_signal -1
	s_barrier_wait -1
	global_inv scope:SCOPE_SE
	s_and_saveexec_b32 s9, s5
	s_cbranch_execnz .LBB118_77
; %bb.68:                               ;   in Loop: Header=BB118_61 Depth=2
	s_wait_alu 0xfffe
	s_or_b32 exec_lo, exec_lo, s9
	s_and_saveexec_b32 s9, s3
	s_cbranch_execnz .LBB118_78
.LBB118_69:                             ;   in Loop: Header=BB118_61 Depth=2
	s_wait_alu 0xfffe
	s_or_b32 exec_lo, exec_lo, s9
	s_and_saveexec_b32 s9, s0
	s_cbranch_execz .LBB118_60
	s_branch .LBB118_79
.LBB118_70:                             ;   in Loop: Header=BB118_61 Depth=2
	s_mul_i32 s50, s38, s33
	s_wait_alu 0xfffe
	s_ashr_i32 s51, s50, 31
	s_wait_alu 0xfffe
	s_lshl_b64 s[50:51], s[50:51], 3
	s_wait_dscnt 0x0
	s_wait_alu 0xfffe
	v_add_co_u32 v23, vcc_lo, v35, s50
	s_wait_alu 0xfffd
	v_add_co_ci_u32_e64 v24, null, s51, v36, vcc_lo
	global_load_b128 v[37:40], v[23:24], off
	s_clause 0x1
	global_load_b64 v[41:42], v[15:16], off
	global_load_b64 v[43:44], v[17:18], off
	global_load_b128 v[45:48], v[23:24], off offset:16
	s_clause 0x1
	global_load_b64 v[49:50], v[19:20], off
	global_load_b64 v[51:52], v[21:22], off
	s_wait_loadcnt 0x3
	scratch_store_b128 off, v[41:44], off
	s_wait_loadcnt 0x0
	scratch_store_b128 off, v[49:52], off offset:16
	v_mul_f32_e32 v4, v42, v38
	v_dual_mul_f32 v23, v41, v38 :: v_dual_mul_f32 v24, v44, v40
	v_mul_f32_e32 v38, v43, v40
	s_delay_alu instid0(VALU_DEP_3) | instskip(NEXT) | instid1(VALU_DEP_3)
	v_fma_f32 v4, v41, v37, -v4
	v_fmac_f32_e32 v23, v42, v37
	v_mul_f32_e32 v40, v50, v46
	v_mul_f32_e32 v46, v49, v46
	v_fma_f32 v24, v43, v39, -v24
	v_fmac_f32_e32 v38, v44, v39
	v_dual_add_f32 v23, 0, v23 :: v_dual_add_f32 v4, 0, v4
	v_mul_f32_e32 v37, v52, v48
	v_mul_f32_e32 v39, v51, v48
	v_fma_f32 v40, v49, v45, -v40
	s_delay_alu instid0(VALU_DEP_4) | instskip(SKIP_3) | instid1(VALU_DEP_3)
	v_dual_fmac_f32 v46, v50, v45 :: v_dual_add_f32 v23, v23, v38
	v_add_f32_e32 v4, v4, v24
	v_fma_f32 v24, v51, v47, -v37
	v_fmac_f32_e32 v39, v52, v47
	v_dual_add_f32 v23, v23, v46 :: v_dual_add_f32 v4, v4, v40
	s_delay_alu instid0(VALU_DEP_1)
	v_dual_add_f32 v38, v23, v39 :: v_dual_add_f32 v37, v4, v24
	s_and_not1_saveexec_b32 s29, s9
	s_cbranch_execz .LBB118_63
.LBB118_71:                             ;   in Loop: Header=BB118_61 Depth=2
	v_dual_mov_b32 v37, 0 :: v_dual_mov_b32 v38, 0
	s_and_saveexec_b32 s50, s31
	s_cbranch_execz .LBB118_76
; %bb.72:                               ;   in Loop: Header=BB118_61 Depth=2
	s_wait_dscnt 0x0
	v_mov_b32_e32 v23, v1
	s_mov_b32 s9, 0
	s_mov_b32 s51, s60
.LBB118_73:                             ;   Parent Loop BB118_3 Depth=1
                                        ;     Parent Loop BB118_61 Depth=2
                                        ; =>    This Inner Loop Header: Depth=3
	s_delay_alu instid0(VALU_DEP_1) | instskip(SKIP_2) | instid1(VALU_DEP_1)
	v_ashrrev_i32_e32 v24, 31, v23
	s_wait_alu 0xfffe
	s_add_co_i32 s51, s51, -1
	v_lshlrev_b64_e32 v[37:38], 3, v[23:24]
	v_add_nc_u32_e32 v23, s10, v23
	s_delay_alu instid0(VALU_DEP_2) | instskip(SKIP_1) | instid1(VALU_DEP_3)
	v_add_co_u32 v37, vcc_lo, s48, v37
	s_wait_alu 0xfffd
	v_add_co_ci_u32_e64 v38, null, s49, v38, vcc_lo
	global_load_b64 v[37:38], v[37:38], off
	s_wait_loadcnt 0x0
	scratch_store_b64 off, v[37:38], s9
	s_add_co_i32 s9, s9, 8
	s_wait_alu 0xfffe
	s_cmp_eq_u32 s51, 0
	s_cbranch_scc0 .LBB118_73
; %bb.74:                               ;   in Loop: Header=BB118_61 Depth=2
	s_ashr_i32 s9, s8, 31
	v_dual_mov_b32 v37, 0 :: v_dual_mov_b32 v38, 0
	s_wait_alu 0xfffe
	s_lshl_b64 s[52:53], s[8:9], 3
	s_mov_b32 s9, s65
	s_wait_alu 0xfffe
	v_add_co_u32 v23, vcc_lo, v29, s52
	s_wait_alu 0xfffd
	v_add_co_ci_u32_e64 v24, null, s53, v30, vcc_lo
	s_mov_b32 s51, s60
.LBB118_75:                             ;   Parent Loop BB118_3 Depth=1
                                        ;     Parent Loop BB118_61 Depth=2
                                        ; =>    This Inner Loop Header: Depth=3
	global_load_b64 v[39:40], v[23:24], off
	scratch_load_b64 v[41:42], off, s9 offset:-4
	v_add_co_u32 v23, vcc_lo, v23, 8
	s_wait_alu 0xfffd
	v_add_co_ci_u32_e64 v24, null, 0, v24, vcc_lo
	s_wait_alu 0xfffe
	s_add_co_i32 s51, s51, -1
	s_add_co_i32 s9, s9, 8
	s_wait_alu 0xfffe
	s_cmp_lg_u32 s51, 0
	s_wait_loadcnt 0x0
	v_mul_f32_e32 v4, v42, v40
	v_mul_f32_e32 v40, v41, v40
	s_delay_alu instid0(VALU_DEP_2) | instskip(NEXT) | instid1(VALU_DEP_1)
	v_fma_f32 v4, v41, v39, -v4
	v_dual_fmac_f32 v40, v42, v39 :: v_dual_add_f32 v37, v37, v4
	s_delay_alu instid0(VALU_DEP_1)
	v_add_f32_e32 v38, v38, v40
	s_cbranch_scc1 .LBB118_75
.LBB118_76:                             ;   in Loop: Header=BB118_61 Depth=2
	s_wait_alu 0xfffe
	s_or_b32 exec_lo, exec_lo, s50
	s_delay_alu instid0(SALU_CYCLE_1)
	s_or_b32 exec_lo, exec_lo, s29
	s_and_saveexec_b32 s9, s3
	s_cbranch_execnz .LBB118_64
	s_branch .LBB118_65
.LBB118_77:                             ;   in Loop: Header=BB118_61 Depth=2
	ds_load_b64 v[23:24], v0
	s_wait_alu 0xfffe
	s_or_b32 exec_lo, exec_lo, s9
	s_and_saveexec_b32 s9, s3
	s_cbranch_execz .LBB118_69
.LBB118_78:                             ;   in Loop: Header=BB118_61 Depth=2
	s_wait_dscnt 0x0
	ds_bpermute_b32 v4, v26, v23
	ds_bpermute_b32 v37, v26, v24
	s_wait_dscnt 0x0
	v_dual_add_f32 v4, v23, v4 :: v_dual_add_f32 v23, v24, v37
	ds_bpermute_b32 v24, v27, v4
	ds_bpermute_b32 v37, v27, v23
	s_wait_dscnt 0x1
	v_add_f32_e32 v4, v4, v24
	s_wait_dscnt 0x0
	v_add_f32_e32 v24, v23, v37
	ds_bpermute_b32 v23, v28, v4
	s_wait_dscnt 0x0
	v_add_f32_e32 v23, v4, v23
	ds_bpermute_b32 v37, v28, v24
	s_wait_dscnt 0x0
	v_add_f32_e32 v24, v24, v37
	s_wait_alu 0xfffe
	s_or_b32 exec_lo, exec_lo, s9
	s_and_saveexec_b32 s9, s0
	s_cbranch_execz .LBB118_60
.LBB118_79:                             ;   in Loop: Header=BB118_61 Depth=2
	s_wait_dscnt 0x0
	v_mul_f32_e32 v4, v24, v14
	v_mul_f32_e32 v38, v24, v13
	s_mul_u64 s[50:51], s[38:39], s[36:37]
	s_wait_alu 0xfffe
	s_lshl_b64 s[50:51], s[50:51], 3
	v_fma_f32 v37, v23, v13, -v4
	v_fmac_f32_e32 v38, v23, v14
	s_wait_alu 0xfffe
	s_add_nc_u64 s[50:51], s[6:7], s[50:51]
	global_store_b64 v3, v[37:38], s[50:51]
	s_branch .LBB118_60
.LBB118_80:
	s_endpgm
	.section	.rodata,"a",@progbits
	.p2align	6, 0x0
	.amdhsa_kernel _ZL23rocblas_gemvt_sn_kernelILb0ELi256ELi4Ei19rocblas_complex_numIfEPKS1_S1_EviiT4_lPKT3_lilS7_lilPT5_i
		.amdhsa_group_segment_fixed_size 256
		.amdhsa_private_segment_fixed_size 48
		.amdhsa_kernarg_size 360
		.amdhsa_user_sgpr_count 2
		.amdhsa_user_sgpr_dispatch_ptr 0
		.amdhsa_user_sgpr_queue_ptr 0
		.amdhsa_user_sgpr_kernarg_segment_ptr 1
		.amdhsa_user_sgpr_dispatch_id 0
		.amdhsa_user_sgpr_private_segment_size 0
		.amdhsa_wavefront_size32 1
		.amdhsa_uses_dynamic_stack 0
		.amdhsa_enable_private_segment 1
		.amdhsa_system_sgpr_workgroup_id_x 1
		.amdhsa_system_sgpr_workgroup_id_y 0
		.amdhsa_system_sgpr_workgroup_id_z 1
		.amdhsa_system_sgpr_workgroup_info 0
		.amdhsa_system_vgpr_workitem_id 0
		.amdhsa_next_free_vgpr 86
		.amdhsa_next_free_sgpr 78
		.amdhsa_reserve_vcc 1
		.amdhsa_float_round_mode_32 0
		.amdhsa_float_round_mode_16_64 0
		.amdhsa_float_denorm_mode_32 3
		.amdhsa_float_denorm_mode_16_64 3
		.amdhsa_fp16_overflow 0
		.amdhsa_workgroup_processor_mode 1
		.amdhsa_memory_ordered 1
		.amdhsa_forward_progress 1
		.amdhsa_inst_pref_size 46
		.amdhsa_round_robin_scheduling 0
		.amdhsa_exception_fp_ieee_invalid_op 0
		.amdhsa_exception_fp_denorm_src 0
		.amdhsa_exception_fp_ieee_div_zero 0
		.amdhsa_exception_fp_ieee_overflow 0
		.amdhsa_exception_fp_ieee_underflow 0
		.amdhsa_exception_fp_ieee_inexact 0
		.amdhsa_exception_int_div_zero 0
	.end_amdhsa_kernel
	.section	.text._ZL23rocblas_gemvt_sn_kernelILb0ELi256ELi4Ei19rocblas_complex_numIfEPKS1_S1_EviiT4_lPKT3_lilS7_lilPT5_i,"axG",@progbits,_ZL23rocblas_gemvt_sn_kernelILb0ELi256ELi4Ei19rocblas_complex_numIfEPKS1_S1_EviiT4_lPKT3_lilS7_lilPT5_i,comdat
.Lfunc_end118:
	.size	_ZL23rocblas_gemvt_sn_kernelILb0ELi256ELi4Ei19rocblas_complex_numIfEPKS1_S1_EviiT4_lPKT3_lilS7_lilPT5_i, .Lfunc_end118-_ZL23rocblas_gemvt_sn_kernelILb0ELi256ELi4Ei19rocblas_complex_numIfEPKS1_S1_EviiT4_lPKT3_lilS7_lilPT5_i
                                        ; -- End function
	.set _ZL23rocblas_gemvt_sn_kernelILb0ELi256ELi4Ei19rocblas_complex_numIfEPKS1_S1_EviiT4_lPKT3_lilS7_lilPT5_i.num_vgpr, 86
	.set _ZL23rocblas_gemvt_sn_kernelILb0ELi256ELi4Ei19rocblas_complex_numIfEPKS1_S1_EviiT4_lPKT3_lilS7_lilPT5_i.num_agpr, 0
	.set _ZL23rocblas_gemvt_sn_kernelILb0ELi256ELi4Ei19rocblas_complex_numIfEPKS1_S1_EviiT4_lPKT3_lilS7_lilPT5_i.numbered_sgpr, 78
	.set _ZL23rocblas_gemvt_sn_kernelILb0ELi256ELi4Ei19rocblas_complex_numIfEPKS1_S1_EviiT4_lPKT3_lilS7_lilPT5_i.num_named_barrier, 0
	.set _ZL23rocblas_gemvt_sn_kernelILb0ELi256ELi4Ei19rocblas_complex_numIfEPKS1_S1_EviiT4_lPKT3_lilS7_lilPT5_i.private_seg_size, 48
	.set _ZL23rocblas_gemvt_sn_kernelILb0ELi256ELi4Ei19rocblas_complex_numIfEPKS1_S1_EviiT4_lPKT3_lilS7_lilPT5_i.uses_vcc, 1
	.set _ZL23rocblas_gemvt_sn_kernelILb0ELi256ELi4Ei19rocblas_complex_numIfEPKS1_S1_EviiT4_lPKT3_lilS7_lilPT5_i.uses_flat_scratch, 0
	.set _ZL23rocblas_gemvt_sn_kernelILb0ELi256ELi4Ei19rocblas_complex_numIfEPKS1_S1_EviiT4_lPKT3_lilS7_lilPT5_i.has_dyn_sized_stack, 0
	.set _ZL23rocblas_gemvt_sn_kernelILb0ELi256ELi4Ei19rocblas_complex_numIfEPKS1_S1_EviiT4_lPKT3_lilS7_lilPT5_i.has_recursion, 0
	.set _ZL23rocblas_gemvt_sn_kernelILb0ELi256ELi4Ei19rocblas_complex_numIfEPKS1_S1_EviiT4_lPKT3_lilS7_lilPT5_i.has_indirect_call, 0
	.section	.AMDGPU.csdata,"",@progbits
; Kernel info:
; codeLenInByte = 5768
; TotalNumSgprs: 80
; NumVgprs: 86
; ScratchSize: 48
; MemoryBound: 0
; FloatMode: 240
; IeeeMode: 1
; LDSByteSize: 256 bytes/workgroup (compile time only)
; SGPRBlocks: 0
; VGPRBlocks: 10
; NumSGPRsForWavesPerEU: 80
; NumVGPRsForWavesPerEU: 86
; Occupancy: 16
; WaveLimiterHint : 0
; COMPUTE_PGM_RSRC2:SCRATCH_EN: 1
; COMPUTE_PGM_RSRC2:USER_SGPR: 2
; COMPUTE_PGM_RSRC2:TRAP_HANDLER: 0
; COMPUTE_PGM_RSRC2:TGID_X_EN: 1
; COMPUTE_PGM_RSRC2:TGID_Y_EN: 0
; COMPUTE_PGM_RSRC2:TGID_Z_EN: 1
; COMPUTE_PGM_RSRC2:TIDIG_COMP_CNT: 0
	.section	.text._ZL23rocblas_gemvt_sn_kernelILb0ELi256ELi4El19rocblas_complex_numIfEPKS1_S1_EviiT4_lPKT3_lilS7_lilPT5_i,"axG",@progbits,_ZL23rocblas_gemvt_sn_kernelILb0ELi256ELi4El19rocblas_complex_numIfEPKS1_S1_EviiT4_lPKT3_lilS7_lilPT5_i,comdat
	.globl	_ZL23rocblas_gemvt_sn_kernelILb0ELi256ELi4El19rocblas_complex_numIfEPKS1_S1_EviiT4_lPKT3_lilS7_lilPT5_i ; -- Begin function _ZL23rocblas_gemvt_sn_kernelILb0ELi256ELi4El19rocblas_complex_numIfEPKS1_S1_EviiT4_lPKT3_lilS7_lilPT5_i
	.p2align	8
	.type	_ZL23rocblas_gemvt_sn_kernelILb0ELi256ELi4El19rocblas_complex_numIfEPKS1_S1_EviiT4_lPKT3_lilS7_lilPT5_i,@function
_ZL23rocblas_gemvt_sn_kernelILb0ELi256ELi4El19rocblas_complex_numIfEPKS1_S1_EviiT4_lPKT3_lilS7_lilPT5_i: ; @_ZL23rocblas_gemvt_sn_kernelILb0ELi256ELi4El19rocblas_complex_numIfEPKS1_S1_EviiT4_lPKT3_lilS7_lilPT5_i
; %bb.0:
	s_load_b32 s33, s[0:1], 0x60
	s_lshr_b32 s10, ttmp7, 16
	s_wait_kmcnt 0x0
	s_cmp_ge_u32 s10, s33
	s_cbranch_scc1 .LBB119_80
; %bb.1:
	s_clause 0x6
	s_load_b32 s30, s[0:1], 0x28
	s_load_b96 s[4:6], s[0:1], 0x40
	s_load_b256 s[12:19], s[0:1], 0x8
	s_load_b64 s[34:35], s[0:1], 0x0
	s_load_b128 s[20:23], s[0:1], 0x30
	s_load_b32 s36, s[0:1], 0x68
	s_load_b128 s[24:27], s[0:1], 0x50
	v_cmp_eq_u32_e64 s0, 0, v0
	v_mbcnt_lo_u32_b32 v38, -1, 0
	s_mov_b32 s28, ttmp9
	s_mov_b32 s29, 0
	s_delay_alu instid0(SALU_CYCLE_1) | instskip(NEXT) | instid1(VALU_DEP_1)
	s_mov_b32 s37, s29
	v_lshl_or_b32 v39, v38, 2, 64
	s_wait_kmcnt 0x0
	s_ashr_i32 s31, s30, 31
	s_ashr_i32 s9, s6, 31
	s_lshl_b64 s[2:3], s[4:5], 3
	s_lshl_b64 s[4:5], s[18:19], 3
	s_ashr_i32 s39, s35, 31
	s_cmp_gt_i32 s35, 0
	s_add_nc_u64 s[18:19], s[22:23], s[2:3]
	s_cselect_b32 s1, -1, 0
	s_lshl_b32 s7, ttmp9, 10
	s_add_nc_u64 s[2:3], s[16:17], s[4:5]
	v_lshl_or_b32 v1, v0, 2, s7
	s_lshr_b32 s4, s39, 30
	s_ashr_i32 s5, s34, 31
	s_and_b32 s64, s0, s1
	s_add_co_i32 s1, s35, s4
	v_ashrrev_i32_e32 v2, 31, v1
	s_lshr_b32 s4, s5, 30
	s_and_b32 s65, s1, -4
	s_add_co_i32 s1, s34, s4
	v_add_nc_u32_e32 v4, 4, v1
	v_lshlrev_b64_e32 v[2:3], 3, v[1:2]
	s_and_b32 s1, s1, -4
	v_cmp_gt_u32_e64 s5, 8, v0
	s_sub_co_i32 s66, s34, s1
	v_cmp_ge_i32_e64 s1, s34, v4
	v_or_b32_e32 v4, 2, v1
	v_add_co_u32 v34, vcc_lo, s2, v2
	v_add_nc_u32_e32 v2, s66, v1
	v_add_co_ci_u32_e64 v35, null, s3, v3, vcc_lo
	v_and_b32_e32 v3, 31, v0
	v_cmp_gt_u32_e64 s3, 32, v0
	s_delay_alu instid0(VALU_DEP_4)
	v_cmp_ge_i32_e64 s2, s34, v2
	v_lshrrev_b32_e32 v2, 2, v0
	v_or_b32_e32 v0, 1, v1
	v_mad_co_i64_i32 v[8:9], null, s6, v4, 0
	v_mov_b32_e32 v4, 0
	v_cmp_eq_u32_e64 s4, 0, v3
	v_lshlrev_b32_e32 v36, 3, v3
	v_and_b32_e32 v37, 56, v2
	v_mad_co_i64_i32 v[2:3], null, s6, v1, 0
	v_mad_co_i64_i32 v[5:6], null, s6, v0, 0
	v_or_b32_e32 v0, 3, v1
	s_cmp_gt_i32 s65, 0
	s_mov_b32 s38, s35
	s_cselect_b32 s67, -1, 0
	s_cmp_gt_i32 s66, 0
	v_mad_co_i64_i32 v[10:11], null, s6, v0, 0
	v_lshlrev_b64_e32 v[0:1], 3, v[2:3]
	s_cselect_b32 s34, -1, 0
	s_lshl_b64 s[22:23], s[28:29], 3
	v_lshlrev_b64_e32 v[6:7], 3, v[5:6]
	v_lshlrev_b64_e32 v[8:9], 3, v[8:9]
	s_mov_b32 s8, s6
	v_add_co_u32 v2, vcc_lo, s18, v0
	v_lshlrev_b64_e32 v[10:11], 3, v[10:11]
	s_wait_alu 0xfffd
	v_add_co_ci_u32_e64 v3, null, s19, v1, vcc_lo
	s_mul_u64 s[16:17], s[38:39], s[36:37]
	s_add_nc_u64 s[6:7], s[26:27], s[22:23]
	s_wait_alu 0xfffe
	s_and_b32 s68, s34, s2
	s_add_nc_u64 s[38:39], s[6:7], 4
	s_lshl_b64 s[40:41], s[16:17], 3
	s_lshl_b64 s[42:43], s[36:37], 3
	;; [unrolled: 1-line block ×4, first 2 shown]
	s_or_b32 s69, 0, 4
	s_mul_u64 s[48:49], s[30:31], 24
	s_lshl_b64 s[50:51], s[20:21], 3
	s_lshl_b64 s[52:53], s[30:31], 5
	;; [unrolled: 1-line block ×4, first 2 shown]
	s_branch .LBB119_3
.LBB119_2:                              ;   in Loop: Header=BB119_3 Depth=1
	s_add_co_i32 s10, s10, 0x10000
	s_wait_alu 0xfffe
	s_cmp_lt_u32 s10, s33
	s_cbranch_scc0 .LBB119_80
.LBB119_3:                              ; =>This Loop Header: Depth=1
                                        ;     Child Loop BB119_6 Depth 2
                                        ;     Child Loop BB119_12 Depth 2
                                        ;       Child Loop BB119_43 Depth 3
                                        ;       Child Loop BB119_45 Depth 3
                                        ;     Child Loop BB119_61 Depth 2
                                        ;       Child Loop BB119_73 Depth 3
                                        ;       Child Loop BB119_75 Depth 3
	s_mov_b32 s11, s29
	s_wait_alu 0xfffe
	s_mul_u64 s[6:7], s[14:15], s[10:11]
	s_wait_alu 0xfffe
	s_lshl_b64 s[6:7], s[6:7], 3
	s_wait_alu 0xfffe
	s_add_nc_u64 s[6:7], s[12:13], s[6:7]
	global_load_b64 v[12:13], v4, s[6:7]
	s_mov_b32 s6, -1
	s_wait_loadcnt 0x0
	v_or_b32_e32 v5, v12, v13
	s_delay_alu instid0(VALU_DEP_1) | instskip(NEXT) | instid1(VALU_DEP_1)
	v_and_b32_e32 v5, 0x7fffffff, v5
	v_cmp_ne_u32_e32 vcc_lo, 0, v5
	s_cbranch_vccnz .LBB119_8
; %bb.4:                                ;   in Loop: Header=BB119_3 Depth=1
	s_and_saveexec_b32 s8, s64
	s_cbranch_execz .LBB119_7
; %bb.5:                                ;   in Loop: Header=BB119_3 Depth=1
	s_mul_u64 s[6:7], s[40:41], s[10:11]
	s_mov_b32 s9, s35
	s_wait_alu 0xfffe
	s_add_nc_u64 s[6:7], s[38:39], s[6:7]
.LBB119_6:                              ;   Parent Loop BB119_3 Depth=1
                                        ; =>  This Inner Loop Header: Depth=2
	v_mov_b32_e32 v5, v4
	s_add_co_i32 s9, s9, -1
	s_wait_alu 0xfffe
	s_cmp_eq_u32 s9, 0
	global_store_b64 v4, v[4:5], s[6:7] offset:-4
	s_add_nc_u64 s[6:7], s[6:7], s[42:43]
	s_cbranch_scc0 .LBB119_6
.LBB119_7:                              ;   in Loop: Header=BB119_3 Depth=1
	s_wait_alu 0xfffe
	s_or_b32 exec_lo, exec_lo, s8
	s_mov_b32 s6, 0
.LBB119_8:                              ;   in Loop: Header=BB119_3 Depth=1
	s_wait_alu 0xfffe
	s_and_not1_b32 vcc_lo, exec_lo, s6
	s_wait_alu 0xfffe
	s_cbranch_vccnz .LBB119_2
; %bb.9:                                ;   in Loop: Header=BB119_3 Depth=1
	v_mad_co_u64_u32 v[14:15], null, s44, s10, v[2:3]
	s_mul_u64 s[70:71], s[20:21], s[10:11]
	s_mul_u64 s[58:59], s[24:25], s[10:11]
	s_wait_alu 0xfffe
	s_lshl_b64 s[70:71], s[70:71], 3
	s_mul_u64 s[62:63], s[16:17], s[10:11]
	s_wait_alu 0xfffe
	v_add_co_u32 v40, vcc_lo, v34, s70
	v_mov_b32_e32 v5, v15
	s_lshl_b64 s[58:59], s[58:59], 3
	s_lshl_b64 s[72:73], s[62:63], 3
	v_cmp_gt_u32_e64 s7, 24, v38
	v_cmp_gt_u32_e64 s8, 28, v38
	v_mad_co_u64_u32 v[15:16], null, s45, s10, v[5:6]
	v_cmp_gt_u32_e64 s6, 30, v38
	s_wait_alu 0xfffd
	v_add_co_ci_u32_e64 v41, null, s71, v35, vcc_lo
	v_cmp_ne_u32_e64 s9, 31, v38
	s_add_nc_u64 s[62:63], s[18:19], s[58:59]
	s_add_nc_u64 s[58:59], s[26:27], s[72:73]
	s_mul_u64 s[60:61], s[50:51], s[10:11]
	s_and_not1_b32 vcc_lo, exec_lo, s67
	s_add_nc_u64 s[58:59], s[58:59], s[22:23]
	s_wait_alu 0xfffe
	s_cbranch_vccnz .LBB119_57
; %bb.10:                               ;   in Loop: Header=BB119_3 Depth=1
	v_cndmask_b32_e64 v18, 0, 4, s8
	v_cndmask_b32_e64 v19, 0, 2, s6
	v_add_co_ci_u32_e64 v20, null, 0, v38, s9
	v_add_co_u32 v16, vcc_lo, v34, s60
	s_wait_alu 0xfffd
	v_add_co_ci_u32_e64 v17, null, s61, v35, vcc_lo
	v_add_lshl_u32 v43, v18, v38, 2
	v_add_co_u32 v18, vcc_lo, s62, v0
	v_add_lshl_u32 v44, v19, v38, 2
	v_lshlrev_b32_e32 v45, 2, v20
	s_wait_alu 0xfffd
	v_add_co_ci_u32_e64 v19, null, s63, v1, vcc_lo
	v_add_co_u32 v20, vcc_lo, s62, v6
	v_cndmask_b32_e64 v5, 0, 8, s7
	s_wait_alu 0xfffd
	v_add_co_ci_u32_e64 v21, null, s63, v7, vcc_lo
	v_add_co_u32 v22, vcc_lo, s62, v8
	s_wait_alu 0xfffd
	v_add_co_ci_u32_e64 v23, null, s63, v9, vcc_lo
	v_add_co_u32 v24, vcc_lo, s62, v10
	v_add_lshl_u32 v42, v5, v38, 2
	s_wait_alu 0xfffd
	v_add_co_ci_u32_e64 v25, null, s63, v11, vcc_lo
	s_mov_b32 s28, 0
	s_branch .LBB119_12
.LBB119_11:                             ;   in Loop: Header=BB119_12 Depth=2
	s_wait_alu 0xfffe
	s_or_b32 exec_lo, exec_lo, s6
	v_add_co_u32 v16, vcc_lo, v16, s52
	s_wait_alu 0xfffd
	v_add_co_ci_u32_e64 v17, null, s53, v17, vcc_lo
	s_add_co_i32 s28, s28, 4
	s_delay_alu instid0(SALU_CYCLE_1)
	s_cmp_ge_i32 s28, s65
	s_cbranch_scc1 .LBB119_58
.LBB119_12:                             ;   Parent Loop BB119_3 Depth=1
                                        ; =>  This Loop Header: Depth=2
                                        ;       Child Loop BB119_43 Depth 3
                                        ;       Child Loop BB119_45 Depth 3
                                        ; implicit-def: $vgpr46
                                        ; implicit-def: $vgpr47
                                        ; implicit-def: $vgpr28
                                        ; implicit-def: $vgpr29
                                        ; implicit-def: $vgpr30
                                        ; implicit-def: $vgpr31
                                        ; implicit-def: $vgpr33
                                        ; implicit-def: $vgpr32
	s_and_saveexec_b32 s6, s1
	s_wait_alu 0xfffe
	s_xor_b32 s6, exec_lo, s6
	s_cbranch_execnz .LBB119_39
; %bb.13:                               ;   in Loop: Header=BB119_12 Depth=2
	s_wait_alu 0xfffe
	s_and_not1_saveexec_b32 s6, s6
	s_cbranch_execnz .LBB119_40
.LBB119_14:                             ;   in Loop: Header=BB119_12 Depth=2
	s_wait_alu 0xfffe
	s_or_b32 exec_lo, exec_lo, s6
	s_and_saveexec_b32 s6, s3
.LBB119_15:                             ;   in Loop: Header=BB119_12 Depth=2
	v_mov_b32_e32 v5, v4
	ds_store_b64 v36, v[4:5]
.LBB119_16:                             ;   in Loop: Header=BB119_12 Depth=2
	s_wait_alu 0xfffe
	s_or_b32 exec_lo, exec_lo, s6
	ds_bpermute_b32 v5, v39, v46
	s_wait_dscnt 0x1
	ds_bpermute_b32 v26, v39, v47
	s_wait_storecnt_dscnt 0x0
	s_barrier_signal -1
	s_barrier_wait -1
	global_inv scope:SCOPE_SE
	v_dual_add_f32 v5, v46, v5 :: v_dual_add_f32 v26, v47, v26
	ds_bpermute_b32 v27, v42, v5
	ds_bpermute_b32 v46, v42, v26
	s_wait_dscnt 0x0
	v_dual_add_f32 v5, v5, v27 :: v_dual_add_f32 v26, v26, v46
	ds_bpermute_b32 v27, v43, v5
	ds_bpermute_b32 v46, v43, v26
	s_wait_dscnt 0x0
	v_dual_add_f32 v5, v5, v27 :: v_dual_add_f32 v26, v26, v46
	ds_bpermute_b32 v27, v44, v5
	ds_bpermute_b32 v46, v44, v26
	s_wait_dscnt 0x0
	v_dual_add_f32 v5, v5, v27 :: v_dual_add_f32 v26, v26, v46
	ds_bpermute_b32 v27, v45, v5
	ds_bpermute_b32 v46, v45, v26
	s_and_saveexec_b32 s6, s4
	s_cbranch_execz .LBB119_18
; %bb.17:                               ;   in Loop: Header=BB119_12 Depth=2
	s_wait_dscnt 0x0
	v_dual_add_f32 v47, v26, v46 :: v_dual_add_f32 v46, v5, v27
	ds_store_b64 v37, v[46:47]
.LBB119_18:                             ;   in Loop: Header=BB119_12 Depth=2
	s_wait_alu 0xfffe
	s_or_b32 exec_lo, exec_lo, s6
	s_wait_dscnt 0x1
	v_dual_mov_b32 v27, 0 :: v_dual_mov_b32 v26, 0
	s_wait_loadcnt_dscnt 0x0
	s_barrier_signal -1
	s_barrier_wait -1
	global_inv scope:SCOPE_SE
	s_and_saveexec_b32 s6, s5
	s_cbranch_execnz .LBB119_46
; %bb.19:                               ;   in Loop: Header=BB119_12 Depth=2
	s_wait_alu 0xfffe
	s_or_b32 exec_lo, exec_lo, s6
	s_and_saveexec_b32 s6, s3
	s_cbranch_execnz .LBB119_47
.LBB119_20:                             ;   in Loop: Header=BB119_12 Depth=2
	s_wait_alu 0xfffe
	s_or_b32 exec_lo, exec_lo, s6
	s_and_saveexec_b32 s6, s3
.LBB119_21:                             ;   in Loop: Header=BB119_12 Depth=2
	v_mov_b32_e32 v5, v4
	ds_store_b64 v36, v[4:5]
.LBB119_22:                             ;   in Loop: Header=BB119_12 Depth=2
	s_wait_alu 0xfffe
	s_or_b32 exec_lo, exec_lo, s6
	ds_bpermute_b32 v5, v39, v28
	ds_bpermute_b32 v46, v39, v29
	s_wait_loadcnt_dscnt 0x0
	s_barrier_signal -1
	s_barrier_wait -1
	global_inv scope:SCOPE_SE
	v_dual_add_f32 v5, v28, v5 :: v_dual_add_f32 v28, v29, v46
	ds_bpermute_b32 v29, v42, v5
	ds_bpermute_b32 v46, v42, v28
	s_wait_dscnt 0x0
	v_dual_add_f32 v5, v5, v29 :: v_dual_add_f32 v28, v28, v46
	ds_bpermute_b32 v29, v43, v5
	ds_bpermute_b32 v46, v43, v28
	s_wait_dscnt 0x0
	;; [unrolled: 4-line block ×3, first 2 shown]
	v_dual_add_f32 v5, v5, v29 :: v_dual_add_f32 v28, v28, v46
	ds_bpermute_b32 v29, v45, v5
	ds_bpermute_b32 v46, v45, v28
	s_and_saveexec_b32 s6, s4
	s_cbranch_execz .LBB119_24
; %bb.23:                               ;   in Loop: Header=BB119_12 Depth=2
	s_wait_dscnt 0x0
	v_dual_add_f32 v47, v28, v46 :: v_dual_add_f32 v46, v5, v29
	ds_store_b64 v37, v[46:47]
.LBB119_24:                             ;   in Loop: Header=BB119_12 Depth=2
	s_wait_alu 0xfffe
	s_or_b32 exec_lo, exec_lo, s6
	s_wait_dscnt 0x1
	v_dual_mov_b32 v29, 0 :: v_dual_mov_b32 v28, 0
	s_wait_loadcnt_dscnt 0x0
	s_barrier_signal -1
	s_barrier_wait -1
	global_inv scope:SCOPE_SE
	s_and_saveexec_b32 s6, s5
	s_cbranch_execnz .LBB119_48
; %bb.25:                               ;   in Loop: Header=BB119_12 Depth=2
	s_wait_alu 0xfffe
	s_or_b32 exec_lo, exec_lo, s6
	s_and_saveexec_b32 s6, s3
	s_cbranch_execnz .LBB119_49
.LBB119_26:                             ;   in Loop: Header=BB119_12 Depth=2
	s_wait_alu 0xfffe
	s_or_b32 exec_lo, exec_lo, s6
	s_and_saveexec_b32 s6, s3
.LBB119_27:                             ;   in Loop: Header=BB119_12 Depth=2
	v_mov_b32_e32 v5, v4
	ds_store_b64 v36, v[4:5]
.LBB119_28:                             ;   in Loop: Header=BB119_12 Depth=2
	s_wait_alu 0xfffe
	s_or_b32 exec_lo, exec_lo, s6
	ds_bpermute_b32 v5, v39, v30
	ds_bpermute_b32 v46, v39, v31
	s_wait_loadcnt_dscnt 0x0
	s_barrier_signal -1
	s_barrier_wait -1
	global_inv scope:SCOPE_SE
	v_dual_add_f32 v5, v30, v5 :: v_dual_add_f32 v30, v31, v46
	ds_bpermute_b32 v31, v42, v5
	ds_bpermute_b32 v46, v42, v30
	s_wait_dscnt 0x0
	v_dual_add_f32 v5, v5, v31 :: v_dual_add_f32 v30, v30, v46
	ds_bpermute_b32 v31, v43, v5
	ds_bpermute_b32 v46, v43, v30
	s_wait_dscnt 0x0
	;; [unrolled: 4-line block ×3, first 2 shown]
	v_dual_add_f32 v5, v5, v31 :: v_dual_add_f32 v30, v30, v46
	ds_bpermute_b32 v31, v45, v5
	ds_bpermute_b32 v46, v45, v30
	s_and_saveexec_b32 s6, s4
	s_cbranch_execz .LBB119_30
; %bb.29:                               ;   in Loop: Header=BB119_12 Depth=2
	s_wait_dscnt 0x0
	v_dual_add_f32 v47, v30, v46 :: v_dual_add_f32 v46, v5, v31
	ds_store_b64 v37, v[46:47]
.LBB119_30:                             ;   in Loop: Header=BB119_12 Depth=2
	s_wait_alu 0xfffe
	s_or_b32 exec_lo, exec_lo, s6
	s_wait_dscnt 0x1
	v_dual_mov_b32 v31, 0 :: v_dual_mov_b32 v30, 0
	s_wait_loadcnt_dscnt 0x0
	s_barrier_signal -1
	s_barrier_wait -1
	global_inv scope:SCOPE_SE
	s_and_saveexec_b32 s6, s5
	s_cbranch_execnz .LBB119_50
; %bb.31:                               ;   in Loop: Header=BB119_12 Depth=2
	s_wait_alu 0xfffe
	s_or_b32 exec_lo, exec_lo, s6
	s_and_saveexec_b32 s6, s3
	s_cbranch_execnz .LBB119_51
.LBB119_32:                             ;   in Loop: Header=BB119_12 Depth=2
	s_wait_alu 0xfffe
	s_or_b32 exec_lo, exec_lo, s6
	s_and_saveexec_b32 s6, s3
.LBB119_33:                             ;   in Loop: Header=BB119_12 Depth=2
	v_mov_b32_e32 v5, v4
	ds_store_b64 v36, v[4:5]
.LBB119_34:                             ;   in Loop: Header=BB119_12 Depth=2
	s_wait_alu 0xfffe
	s_or_b32 exec_lo, exec_lo, s6
	ds_bpermute_b32 v5, v39, v33
	ds_bpermute_b32 v46, v39, v32
	s_wait_loadcnt_dscnt 0x0
	s_barrier_signal -1
	s_barrier_wait -1
	global_inv scope:SCOPE_SE
	v_dual_add_f32 v5, v33, v5 :: v_dual_add_f32 v32, v32, v46
	ds_bpermute_b32 v33, v42, v5
	ds_bpermute_b32 v46, v42, v32
	s_wait_dscnt 0x0
	v_dual_add_f32 v5, v5, v33 :: v_dual_add_f32 v32, v32, v46
	ds_bpermute_b32 v33, v43, v5
	ds_bpermute_b32 v46, v43, v32
	s_wait_dscnt 0x0
	;; [unrolled: 4-line block ×3, first 2 shown]
	v_dual_add_f32 v5, v5, v33 :: v_dual_add_f32 v32, v32, v46
	ds_bpermute_b32 v33, v45, v5
	ds_bpermute_b32 v46, v45, v32
	s_and_saveexec_b32 s6, s4
	s_cbranch_execz .LBB119_36
; %bb.35:                               ;   in Loop: Header=BB119_12 Depth=2
	s_wait_dscnt 0x0
	v_dual_add_f32 v47, v32, v46 :: v_dual_add_f32 v46, v5, v33
	ds_store_b64 v37, v[46:47]
.LBB119_36:                             ;   in Loop: Header=BB119_12 Depth=2
	s_wait_alu 0xfffe
	s_or_b32 exec_lo, exec_lo, s6
	s_wait_dscnt 0x1
	v_dual_mov_b32 v33, 0 :: v_dual_mov_b32 v32, 0
	s_wait_loadcnt_dscnt 0x0
	s_barrier_signal -1
	s_barrier_wait -1
	global_inv scope:SCOPE_SE
	s_and_saveexec_b32 s6, s5
	s_cbranch_execnz .LBB119_52
; %bb.37:                               ;   in Loop: Header=BB119_12 Depth=2
	s_wait_alu 0xfffe
	s_or_b32 exec_lo, exec_lo, s6
	s_and_saveexec_b32 s6, s3
	s_cbranch_execnz .LBB119_53
.LBB119_38:                             ;   in Loop: Header=BB119_12 Depth=2
	s_wait_alu 0xfffe
	s_or_b32 exec_lo, exec_lo, s6
	s_and_saveexec_b32 s6, s0
	s_cbranch_execz .LBB119_11
	s_branch .LBB119_54
.LBB119_39:                             ;   in Loop: Header=BB119_12 Depth=2
	s_mul_u64 s[8:9], s[28:29], s[30:31]
	s_or_b32 s70, s28, 2
	s_wait_alu 0xfffe
	s_lshl_b64 s[8:9], s[8:9], 3
	s_mov_b32 s71, s29
	s_wait_alu 0xfffe
	v_add_co_u32 v30, vcc_lo, v40, s8
	s_wait_alu 0xfffd
	v_add_co_ci_u32_e64 v31, null, s9, v41, vcc_lo
	s_or_b32 s8, s28, 1
	s_mov_b32 s9, s29
	s_clause 0x3
	global_load_b64 v[48:49], v[18:19], off
	global_load_b64 v[50:51], v[20:21], off
	global_load_b64 v[52:53], v[22:23], off
	global_load_b64 v[54:55], v[24:25], off
	s_wait_alu 0xfffe
	s_mul_u64 s[8:9], s[8:9], s[30:31]
	s_wait_dscnt 0x0
	s_clause 0x1
	global_load_b128 v[26:29], v[30:31], off offset:16
	global_load_b128 v[30:33], v[30:31], off
	s_wait_alu 0xfffe
	s_lshl_b64 s[8:9], s[8:9], 3
	s_wait_alu 0xfffe
	v_add_co_u32 v46, vcc_lo, v40, s8
	s_wait_alu 0xfffd
	v_add_co_ci_u32_e64 v47, null, s9, v41, vcc_lo
	s_mul_u64 s[8:9], s[70:71], s[30:31]
	s_or_b32 s70, s28, 3
	s_wait_alu 0xfffe
	s_lshl_b64 s[8:9], s[8:9], 3
	s_mul_u64 s[70:71], s[70:71], s[30:31]
	s_wait_alu 0xfffe
	v_add_co_u32 v72, vcc_lo, v40, s8
	s_wait_alu 0xfffd
	v_add_co_ci_u32_e64 v73, null, s9, v41, vcc_lo
	s_lshl_b64 s[8:9], s[70:71], 3
	s_wait_alu 0xfffe
	v_add_co_u32 v76, vcc_lo, v40, s8
	s_wait_alu 0xfffd
	v_add_co_ci_u32_e64 v77, null, s9, v41, vcc_lo
	s_clause 0x5
	global_load_b128 v[56:59], v[46:47], off
	global_load_b128 v[60:63], v[72:73], off
	;; [unrolled: 1-line block ×3, first 2 shown]
	global_load_b128 v[68:71], v[46:47], off offset:16
	global_load_b128 v[72:75], v[72:73], off offset:16
	;; [unrolled: 1-line block ×3, first 2 shown]
	s_wait_loadcnt 0xa
	scratch_store_b128 off, v[48:51], off
	s_wait_loadcnt 0x8
	scratch_store_b128 off, v[52:55], off offset:16
	s_wait_loadcnt 0x7
	v_mul_f32_e32 v47, v53, v27
	s_wait_loadcnt 0x6
	v_dual_mul_f32 v5, v49, v31 :: v_dual_mul_f32 v46, v51, v33
	v_dual_mul_f32 v31, v48, v31 :: v_dual_mul_f32 v80, v55, v29
	v_mul_f32_e32 v33, v50, v33
	v_mul_f32_e32 v27, v52, v27
	;; [unrolled: 1-line block ×3, first 2 shown]
	v_fma_f32 v5, v48, v30, -v5
	s_delay_alu instid0(VALU_DEP_1)
	v_add_f32_e32 v5, 0, v5
	s_wait_loadcnt 0x5
	v_mul_f32_e32 v81, v49, v57
	v_mul_f32_e32 v57, v48, v57
	s_wait_loadcnt 0x4
	v_mul_f32_e32 v82, v49, v61
	v_mul_f32_e32 v84, v51, v59
	s_wait_loadcnt 0x3
	v_mul_f32_e32 v86, v51, v67
	s_wait_loadcnt 0x0
	v_mul_f32_e32 v92, v55, v79
	v_mul_f32_e32 v79, v54, v79
	;; [unrolled: 1-line block ×3, first 2 shown]
	v_fmac_f32_e32 v33, v51, v32
	v_fmac_f32_e32 v27, v53, v26
	;; [unrolled: 1-line block ×5, first 2 shown]
	v_fma_f32 v30, v50, v32, -v46
	v_fma_f32 v32, v52, v26, -v47
	;; [unrolled: 1-line block ×4, first 2 shown]
	v_fmac_f32_e32 v57, v49, v56
	v_fma_f32 v46, v48, v60, -v82
	v_mul_f32_e32 v61, v48, v61
	v_fma_f32 v56, v50, v58, -v84
	v_dual_add_f32 v28, 0, v28 :: v_dual_mul_f32 v83, v49, v65
	v_dual_mul_f32 v59, v50, v59 :: v_dual_mul_f32 v88, v53, v73
	v_dual_add_f32 v31, 0, v31 :: v_dual_add_f32 v46, 0, v46
	v_fmac_f32_e32 v61, v49, v60
	s_delay_alu instid0(VALU_DEP_4) | instskip(SKIP_2) | instid1(VALU_DEP_4)
	v_dual_add_f32 v28, v28, v56 :: v_dual_mul_f32 v85, v51, v63
	v_mul_f32_e32 v63, v50, v63
	v_fmac_f32_e32 v59, v51, v58
	v_add_f32_e32 v61, 0, v61
	v_add_f32_e32 v5, v5, v30
	v_fma_f32 v58, v50, v62, -v85
	v_add_f32_e32 v30, v31, v33
	v_fmac_f32_e32 v63, v51, v62
	v_mul_f32_e32 v65, v48, v65
	v_mul_f32_e32 v87, v53, v69
	v_add_f32_e32 v33, v46, v58
	s_delay_alu instid0(VALU_DEP_4) | instskip(NEXT) | instid1(VALU_DEP_4)
	v_dual_add_f32 v57, 0, v57 :: v_dual_add_f32 v46, v61, v63
	v_fmac_f32_e32 v65, v49, v64
	v_add_f32_e32 v5, v5, v32
	v_mul_f32_e32 v73, v52, v73
	s_delay_alu instid0(VALU_DEP_4)
	v_add_f32_e32 v31, v57, v59
	v_add_f32_e32 v27, v30, v27
	;; [unrolled: 1-line block ×3, first 2 shown]
	v_mul_f32_e32 v69, v52, v69
	v_fma_f32 v47, v48, v64, -v83
	v_fma_f32 v64, v52, v72, -v88
	v_fmac_f32_e32 v73, v53, v72
	v_mul_f32_e32 v91, v55, v75
	v_fmac_f32_e32 v69, v53, v68
	v_mul_f32_e32 v67, v50, v67
	v_fma_f32 v60, v50, v66, -v86
	v_fma_f32 v62, v52, v68, -v87
	;; [unrolled: 1-line block ×3, first 2 shown]
	v_add_f32_e32 v30, v31, v69
	v_fmac_f32_e32 v67, v51, v66
	v_add_f32_e32 v47, 0, v47
	v_dual_add_f32 v31, v33, v64 :: v_dual_add_f32 v32, v46, v73
	v_mul_f32_e32 v75, v54, v75
	s_delay_alu instid0(VALU_DEP_4)
	v_add_f32_e32 v56, v65, v67
	v_mul_f32_e32 v71, v54, v71
	v_add_f32_e32 v47, v47, v60
	v_fma_f32 v72, v54, v78, -v92
	v_fmac_f32_e32 v75, v55, v74
	v_add_f32_e32 v28, v28, v62
	v_fmac_f32_e32 v71, v55, v70
	v_fma_f32 v70, v54, v74, -v91
	v_mul_f32_e32 v89, v53, v77
	v_dual_mul_f32 v77, v52, v77 :: v_dual_add_f32 v46, v5, v26
	v_add_f32_e32 v28, v28, v68
	s_delay_alu instid0(VALU_DEP_3) | instskip(NEXT) | instid1(VALU_DEP_3)
	v_fma_f32 v66, v52, v76, -v89
	v_fmac_f32_e32 v77, v53, v76
	s_delay_alu instid0(VALU_DEP_1) | instskip(SKIP_3) | instid1(VALU_DEP_4)
	v_dual_add_f32 v33, v47, v66 :: v_dual_add_f32 v56, v56, v77
	v_add_f32_e32 v47, v27, v29
	v_dual_add_f32 v29, v30, v71 :: v_dual_add_f32 v30, v31, v70
	v_add_f32_e32 v31, v32, v75
	v_dual_add_f32 v33, v33, v72 :: v_dual_add_f32 v32, v56, v79
	s_and_not1_saveexec_b32 s6, s6
	s_cbranch_execz .LBB119_14
.LBB119_40:                             ;   in Loop: Header=BB119_12 Depth=2
	v_dual_mov_b32 v46, 0 :: v_dual_mov_b32 v47, 0
	v_dual_mov_b32 v28, 0 :: v_dual_mov_b32 v29, 0
	;; [unrolled: 1-line block ×3, first 2 shown]
	s_wait_dscnt 0x0
	v_dual_mov_b32 v33, 0 :: v_dual_mov_b32 v32, 0
	s_and_saveexec_b32 s7, s2
	s_cbranch_execz .LBB119_56
; %bb.41:                               ;   in Loop: Header=BB119_12 Depth=2
	s_and_not1_b32 vcc_lo, exec_lo, s34
	s_wait_alu 0xfffe
	s_cbranch_vccnz .LBB119_55
; %bb.42:                               ;   in Loop: Header=BB119_12 Depth=2
	v_dual_mov_b32 v27, v15 :: v_dual_mov_b32 v26, v14
	s_mov_b32 s8, 0
	s_mov_b32 s9, s66
.LBB119_43:                             ;   Parent Loop BB119_3 Depth=1
                                        ;     Parent Loop BB119_12 Depth=2
                                        ; =>    This Inner Loop Header: Depth=3
	global_load_b64 v[28:29], v[26:27], off
	v_add_co_u32 v26, vcc_lo, v26, s46
	s_wait_alu 0xfffd
	v_add_co_ci_u32_e64 v27, null, s47, v27, vcc_lo
	s_wait_alu 0xfffe
	s_add_co_i32 s9, s9, -1
	s_wait_loadcnt 0x0
	scratch_store_b64 off, v[28:29], s8
	s_add_co_i32 s8, s8, 8
	s_wait_alu 0xfffe
	s_cmp_eq_u32 s9, 0
	s_cbranch_scc0 .LBB119_43
; %bb.44:                               ;   in Loop: Header=BB119_12 Depth=2
	v_dual_mov_b32 v32, 0 :: v_dual_mov_b32 v27, v17
	v_dual_mov_b32 v26, v16 :: v_dual_mov_b32 v33, 0
	v_dual_mov_b32 v31, 0 :: v_dual_mov_b32 v30, 0
	v_dual_mov_b32 v29, 0 :: v_dual_mov_b32 v28, 0
	v_dual_mov_b32 v47, 0 :: v_dual_mov_b32 v46, 0
	s_mov_b32 s8, s69
	s_mov_b32 s9, s66
.LBB119_45:                             ;   Parent Loop BB119_3 Depth=1
                                        ;     Parent Loop BB119_12 Depth=2
                                        ; =>    This Inner Loop Header: Depth=3
	v_add_co_u32 v52, vcc_lo, v26, s54
	s_wait_alu 0xfffd
	v_add_co_ci_u32_e64 v53, null, s55, v27, vcc_lo
	v_add_co_u32 v54, vcc_lo, v26, s56
	scratch_load_b64 v[48:49], off, s8 offset:-4
	global_load_b64 v[50:51], v[26:27], off
	s_wait_alu 0xfffd
	v_add_co_ci_u32_e64 v55, null, s57, v27, vcc_lo
	v_add_co_u32 v56, vcc_lo, v26, s48
	s_wait_alu 0xfffd
	v_add_co_ci_u32_e64 v57, null, s49, v27, vcc_lo
	s_clause 0x2
	global_load_b64 v[52:53], v[52:53], off
	global_load_b64 v[54:55], v[54:55], off
	;; [unrolled: 1-line block ×3, first 2 shown]
	v_add_co_u32 v26, vcc_lo, v26, 8
	s_wait_alu 0xfffd
	v_add_co_ci_u32_e64 v27, null, 0, v27, vcc_lo
	s_wait_alu 0xfffe
	s_add_co_i32 s9, s9, -1
	s_add_co_i32 s8, s8, 8
	s_wait_alu 0xfffe
	s_cmp_lg_u32 s9, 0
	s_wait_loadcnt 0x3
	v_mul_f32_e32 v5, v49, v51
	v_mul_f32_e32 v51, v48, v51
	s_delay_alu instid0(VALU_DEP_2) | instskip(NEXT) | instid1(VALU_DEP_2)
	v_fma_f32 v5, v48, v50, -v5
	v_fmac_f32_e32 v51, v49, v50
	s_wait_loadcnt 0x2
	v_mul_f32_e32 v50, v49, v53
	s_wait_loadcnt 0x1
	v_dual_mul_f32 v53, v48, v53 :: v_dual_mul_f32 v58, v49, v55
	v_mul_f32_e32 v55, v48, v55
	s_wait_loadcnt 0x0
	v_mul_f32_e32 v59, v49, v57
	v_mul_f32_e32 v57, v48, v57
	v_add_f32_e32 v46, v46, v5
	v_fma_f32 v5, v48, v52, -v50
	v_fma_f32 v50, v48, v54, -v58
	v_fmac_f32_e32 v55, v49, v54
	v_fma_f32 v48, v48, v56, -v59
	v_fmac_f32_e32 v57, v49, v56
	v_fmac_f32_e32 v53, v49, v52
	v_dual_add_f32 v47, v47, v51 :: v_dual_add_f32 v28, v28, v5
	v_dual_add_f32 v30, v30, v50 :: v_dual_add_f32 v31, v31, v55
	s_delay_alu instid0(VALU_DEP_4) | instskip(NEXT) | instid1(VALU_DEP_4)
	v_dual_add_f32 v33, v33, v48 :: v_dual_add_f32 v32, v32, v57
	v_add_f32_e32 v29, v29, v53
	s_cbranch_scc1 .LBB119_45
	s_branch .LBB119_56
.LBB119_46:                             ;   in Loop: Header=BB119_12 Depth=2
	ds_load_b64 v[26:27], v36
	s_wait_alu 0xfffe
	s_or_b32 exec_lo, exec_lo, s6
	s_and_saveexec_b32 s6, s3
	s_cbranch_execz .LBB119_20
.LBB119_47:                             ;   in Loop: Header=BB119_12 Depth=2
	s_wait_dscnt 0x0
	ds_bpermute_b32 v5, v43, v26
	ds_bpermute_b32 v46, v43, v27
	s_wait_dscnt 0x0
	v_dual_add_f32 v5, v26, v5 :: v_dual_add_f32 v26, v27, v46
	ds_bpermute_b32 v27, v44, v5
	ds_bpermute_b32 v46, v44, v26
	s_wait_dscnt 0x1
	v_add_f32_e32 v5, v5, v27
	s_wait_dscnt 0x0
	v_add_f32_e32 v27, v26, v46
	ds_bpermute_b32 v26, v45, v5
	ds_bpermute_b32 v46, v45, v27
	s_wait_dscnt 0x1
	v_add_f32_e32 v26, v5, v26
	s_wait_dscnt 0x0
	v_add_f32_e32 v27, v27, v46
	s_wait_alu 0xfffe
	s_or_b32 exec_lo, exec_lo, s6
	s_and_saveexec_b32 s6, s3
	s_cbranch_execnz .LBB119_21
	s_branch .LBB119_22
.LBB119_48:                             ;   in Loop: Header=BB119_12 Depth=2
	ds_load_b64 v[28:29], v36
	s_wait_alu 0xfffe
	s_or_b32 exec_lo, exec_lo, s6
	s_and_saveexec_b32 s6, s3
	s_cbranch_execz .LBB119_26
.LBB119_49:                             ;   in Loop: Header=BB119_12 Depth=2
	s_wait_dscnt 0x0
	ds_bpermute_b32 v5, v43, v28
	ds_bpermute_b32 v46, v43, v29
	s_wait_dscnt 0x0
	v_dual_add_f32 v5, v28, v5 :: v_dual_add_f32 v28, v29, v46
	ds_bpermute_b32 v29, v44, v5
	ds_bpermute_b32 v46, v44, v28
	s_wait_dscnt 0x1
	v_add_f32_e32 v5, v5, v29
	s_wait_dscnt 0x0
	v_add_f32_e32 v29, v28, v46
	ds_bpermute_b32 v28, v45, v5
	s_wait_dscnt 0x0
	v_add_f32_e32 v28, v5, v28
	ds_bpermute_b32 v46, v45, v29
	s_wait_dscnt 0x0
	v_add_f32_e32 v29, v29, v46
	s_wait_alu 0xfffe
	s_or_b32 exec_lo, exec_lo, s6
	s_and_saveexec_b32 s6, s3
	s_cbranch_execnz .LBB119_27
	s_branch .LBB119_28
.LBB119_50:                             ;   in Loop: Header=BB119_12 Depth=2
	ds_load_b64 v[30:31], v36
	s_wait_alu 0xfffe
	s_or_b32 exec_lo, exec_lo, s6
	s_and_saveexec_b32 s6, s3
	s_cbranch_execz .LBB119_32
.LBB119_51:                             ;   in Loop: Header=BB119_12 Depth=2
	s_wait_dscnt 0x0
	ds_bpermute_b32 v5, v43, v30
	ds_bpermute_b32 v46, v43, v31
	s_wait_dscnt 0x0
	v_dual_add_f32 v5, v30, v5 :: v_dual_add_f32 v30, v31, v46
	ds_bpermute_b32 v31, v44, v5
	ds_bpermute_b32 v46, v44, v30
	s_wait_dscnt 0x1
	v_add_f32_e32 v5, v5, v31
	s_wait_dscnt 0x0
	v_add_f32_e32 v31, v30, v46
	ds_bpermute_b32 v30, v45, v5
	ds_bpermute_b32 v46, v45, v31
	s_wait_dscnt 0x1
	v_add_f32_e32 v30, v5, v30
	s_wait_dscnt 0x0
	v_add_f32_e32 v31, v31, v46
	s_wait_alu 0xfffe
	s_or_b32 exec_lo, exec_lo, s6
	s_and_saveexec_b32 s6, s3
	s_cbranch_execnz .LBB119_33
	s_branch .LBB119_34
.LBB119_52:                             ;   in Loop: Header=BB119_12 Depth=2
	ds_load_b64 v[32:33], v36
	s_wait_alu 0xfffe
	s_or_b32 exec_lo, exec_lo, s6
	s_and_saveexec_b32 s6, s3
	s_cbranch_execz .LBB119_38
.LBB119_53:                             ;   in Loop: Header=BB119_12 Depth=2
	s_wait_dscnt 0x0
	ds_bpermute_b32 v5, v43, v32
	ds_bpermute_b32 v46, v43, v33
	s_wait_dscnt 0x0
	v_dual_add_f32 v5, v32, v5 :: v_dual_add_f32 v32, v33, v46
	ds_bpermute_b32 v33, v44, v5
	ds_bpermute_b32 v46, v44, v32
	s_wait_dscnt 0x1
	v_add_f32_e32 v5, v5, v33
	s_wait_dscnt 0x0
	v_add_f32_e32 v33, v32, v46
	ds_bpermute_b32 v32, v45, v5
	s_wait_dscnt 0x0
	v_add_f32_e32 v32, v5, v32
	ds_bpermute_b32 v46, v45, v33
	s_wait_dscnt 0x0
	v_add_f32_e32 v33, v33, v46
	s_wait_alu 0xfffe
	s_or_b32 exec_lo, exec_lo, s6
	s_and_saveexec_b32 s6, s0
	s_cbranch_execz .LBB119_11
.LBB119_54:                             ;   in Loop: Header=BB119_12 Depth=2
	v_mul_f32_e32 v5, v27, v13
	v_dual_mul_f32 v47, v27, v12 :: v_dual_mul_f32 v48, v29, v13
	v_mul_f32_e32 v27, v29, v12
	s_or_b32 s70, s28, 1
	s_mov_b32 s71, s29
	s_mul_u64 s[8:9], s[28:29], s[36:37]
	v_fma_f32 v46, v26, v12, -v5
	s_wait_alu 0xfffe
	s_mul_u64 s[70:71], s[70:71], s[36:37]
	v_fmac_f32_e32 v47, v26, v13
	s_lshl_b64 s[8:9], s[8:9], 3
	v_fma_f32 v26, v28, v12, -v48
	v_fmac_f32_e32 v27, v28, v13
	v_mul_f32_e32 v5, v31, v13
	s_wait_alu 0xfffe
	s_lshl_b64 s[70:71], s[70:71], 3
	s_add_nc_u64 s[8:9], s[58:59], s[8:9]
	s_wait_alu 0xfffe
	s_add_nc_u64 s[70:71], s[58:59], s[70:71]
	s_clause 0x1
	global_store_b64 v4, v[46:47], s[8:9]
	global_store_b64 v4, v[26:27], s[70:71]
	v_mul_f32_e32 v27, v31, v12
	v_fma_f32 v26, v30, v12, -v5
	s_wait_dscnt 0x0
	v_mul_f32_e32 v5, v33, v13
	v_mul_f32_e32 v29, v33, v12
	s_or_b32 s8, s28, 2
	s_mov_b32 s9, s29
	s_or_b32 s70, s28, 3
	s_mov_b32 s71, s29
	s_wait_alu 0xfffe
	s_mul_u64 s[8:9], s[8:9], s[36:37]
	s_mul_u64 s[70:71], s[70:71], s[36:37]
	v_fmac_f32_e32 v27, v30, v13
	s_wait_alu 0xfffe
	s_lshl_b64 s[8:9], s[8:9], 3
	v_fma_f32 v28, v32, v12, -v5
	v_fmac_f32_e32 v29, v32, v13
	s_lshl_b64 s[70:71], s[70:71], 3
	s_wait_alu 0xfffe
	s_add_nc_u64 s[8:9], s[58:59], s[8:9]
	s_add_nc_u64 s[70:71], s[58:59], s[70:71]
	s_clause 0x1
	global_store_b64 v4, v[26:27], s[8:9]
	global_store_b64 v4, v[28:29], s[70:71]
	s_branch .LBB119_11
.LBB119_55:                             ;   in Loop: Header=BB119_12 Depth=2
	v_dual_mov_b32 v46, 0 :: v_dual_mov_b32 v47, 0
	v_dual_mov_b32 v28, 0 :: v_dual_mov_b32 v29, 0
	;; [unrolled: 1-line block ×4, first 2 shown]
.LBB119_56:                             ;   in Loop: Header=BB119_12 Depth=2
	s_wait_alu 0xfffe
	s_or_b32 exec_lo, exec_lo, s7
	s_delay_alu instid0(SALU_CYCLE_1)
	s_or_b32 exec_lo, exec_lo, s6
	s_and_saveexec_b32 s6, s3
	s_cbranch_execnz .LBB119_15
	s_branch .LBB119_16
.LBB119_57:                             ;   in Loop: Header=BB119_3 Depth=1
	s_mov_b32 s28, 0
.LBB119_58:                             ;   in Loop: Header=BB119_3 Depth=1
	s_delay_alu instid0(SALU_CYCLE_1)
	s_cmp_ge_i32 s28, s35
	s_cbranch_scc1 .LBB119_2
; %bb.59:                               ;   in Loop: Header=BB119_3 Depth=1
	v_cmp_gt_u32_e32 vcc_lo, 24, v38
	s_mul_u64 s[6:7], s[54:55], s[28:29]
	s_wait_alu 0xfffe
	s_add_nc_u64 s[6:7], s[6:7], s[60:61]
	s_wait_alu 0xfffd
	v_cndmask_b32_e64 v5, 0, 8, vcc_lo
	v_cmp_gt_u32_e32 vcc_lo, 28, v38
	s_delay_alu instid0(VALU_DEP_2) | instskip(SKIP_3) | instid1(VALU_DEP_2)
	v_add_lshl_u32 v28, v5, v38, 2
	s_wait_alu 0xfffd
	v_cndmask_b32_e64 v16, 0, 4, vcc_lo
	v_cmp_gt_u32_e32 vcc_lo, 30, v38
	v_add_lshl_u32 v29, v16, v38, 2
	s_wait_alu 0xfffd
	v_cndmask_b32_e64 v17, 0, 2, vcc_lo
	v_cmp_ne_u32_e32 vcc_lo, 31, v38
	s_delay_alu instid0(VALU_DEP_2)
	v_add_lshl_u32 v30, v17, v38, 2
	s_wait_alu 0xfffd
	v_add_co_ci_u32_e64 v18, null, 0, v38, vcc_lo
	v_add_co_u32 v16, vcc_lo, s62, v0
	s_wait_alu 0xfffd
	v_add_co_ci_u32_e64 v17, null, s63, v1, vcc_lo
	s_delay_alu instid0(VALU_DEP_3)
	v_lshlrev_b32_e32 v31, 2, v18
	v_add_co_u32 v18, vcc_lo, s62, v6
	s_wait_alu 0xfffd
	v_add_co_ci_u32_e64 v19, null, s63, v7, vcc_lo
	v_add_co_u32 v20, vcc_lo, s62, v8
	s_wait_alu 0xfffd
	v_add_co_ci_u32_e64 v21, null, s63, v9, vcc_lo
	;; [unrolled: 3-line block ×3, first 2 shown]
	s_wait_alu 0xfffe
	v_add_co_u32 v24, vcc_lo, v34, s6
	s_wait_alu 0xfffd
	v_add_co_ci_u32_e64 v25, null, s7, v35, vcc_lo
	s_branch .LBB119_61
.LBB119_60:                             ;   in Loop: Header=BB119_61 Depth=2
	s_wait_alu 0xfffe
	s_or_b32 exec_lo, exec_lo, s6
	v_add_co_u32 v24, vcc_lo, v24, s54
	s_wait_alu 0xfffd
	v_add_co_ci_u32_e64 v25, null, s55, v25, vcc_lo
	s_add_co_i32 s28, s28, 1
	s_delay_alu instid0(SALU_CYCLE_1)
	s_cmp_lt_i32 s28, s35
	s_cbranch_scc0 .LBB119_2
.LBB119_61:                             ;   Parent Loop BB119_3 Depth=1
                                        ; =>  This Loop Header: Depth=2
                                        ;       Child Loop BB119_73 Depth 3
                                        ;       Child Loop BB119_75 Depth 3
                                        ; implicit-def: $vgpr32
                                        ; implicit-def: $vgpr33
	s_and_saveexec_b32 s6, s1
	s_wait_alu 0xfffe
	s_xor_b32 s6, exec_lo, s6
	s_cbranch_execnz .LBB119_70
; %bb.62:                               ;   in Loop: Header=BB119_61 Depth=2
	s_wait_alu 0xfffe
	s_and_not1_saveexec_b32 s6, s6
	s_cbranch_execnz .LBB119_71
.LBB119_63:                             ;   in Loop: Header=BB119_61 Depth=2
	s_wait_alu 0xfffe
	s_or_b32 exec_lo, exec_lo, s6
	s_and_saveexec_b32 s6, s3
.LBB119_64:                             ;   in Loop: Header=BB119_61 Depth=2
	v_mov_b32_e32 v5, v4
	ds_store_b64 v36, v[4:5]
.LBB119_65:                             ;   in Loop: Header=BB119_61 Depth=2
	s_wait_alu 0xfffe
	s_or_b32 exec_lo, exec_lo, s6
	s_wait_dscnt 0x0
	ds_bpermute_b32 v5, v39, v32
	ds_bpermute_b32 v26, v39, v33
	s_wait_storecnt 0x0
	s_wait_loadcnt_dscnt 0x0
	s_barrier_signal -1
	s_barrier_wait -1
	global_inv scope:SCOPE_SE
	v_dual_add_f32 v5, v32, v5 :: v_dual_add_f32 v26, v33, v26
	ds_bpermute_b32 v27, v28, v5
	ds_bpermute_b32 v32, v28, v26
	s_wait_dscnt 0x0
	v_dual_add_f32 v5, v5, v27 :: v_dual_add_f32 v26, v26, v32
	ds_bpermute_b32 v27, v29, v5
	ds_bpermute_b32 v32, v29, v26
	s_wait_dscnt 0x0
	;; [unrolled: 4-line block ×3, first 2 shown]
	v_dual_add_f32 v5, v5, v27 :: v_dual_add_f32 v26, v26, v32
	ds_bpermute_b32 v27, v31, v5
	ds_bpermute_b32 v32, v31, v26
	s_and_saveexec_b32 s6, s4
	s_cbranch_execz .LBB119_67
; %bb.66:                               ;   in Loop: Header=BB119_61 Depth=2
	s_wait_dscnt 0x0
	v_dual_add_f32 v33, v26, v32 :: v_dual_add_f32 v32, v5, v27
	ds_store_b64 v37, v[32:33]
.LBB119_67:                             ;   in Loop: Header=BB119_61 Depth=2
	s_wait_alu 0xfffe
	s_or_b32 exec_lo, exec_lo, s6
	s_wait_dscnt 0x1
	v_dual_mov_b32 v27, 0 :: v_dual_mov_b32 v26, 0
	s_wait_loadcnt_dscnt 0x0
	s_barrier_signal -1
	s_barrier_wait -1
	global_inv scope:SCOPE_SE
	s_and_saveexec_b32 s6, s5
	s_cbranch_execnz .LBB119_77
; %bb.68:                               ;   in Loop: Header=BB119_61 Depth=2
	s_wait_alu 0xfffe
	s_or_b32 exec_lo, exec_lo, s6
	s_and_saveexec_b32 s6, s3
	s_cbranch_execnz .LBB119_78
.LBB119_69:                             ;   in Loop: Header=BB119_61 Depth=2
	s_wait_alu 0xfffe
	s_or_b32 exec_lo, exec_lo, s6
	s_and_saveexec_b32 s6, s0
	s_cbranch_execz .LBB119_60
	s_branch .LBB119_79
.LBB119_70:                             ;   in Loop: Header=BB119_61 Depth=2
	s_mul_u64 s[8:9], s[28:29], s[30:31]
	s_wait_alu 0xfffe
	s_lshl_b64 s[8:9], s[8:9], 3
	s_wait_dscnt 0x0
	s_wait_alu 0xfffe
	v_add_co_u32 v26, vcc_lo, v40, s8
	s_wait_alu 0xfffd
	v_add_co_ci_u32_e64 v27, null, s9, v41, vcc_lo
	global_load_b128 v[42:45], v[26:27], off
	s_clause 0x1
	global_load_b64 v[46:47], v[16:17], off
	global_load_b64 v[48:49], v[18:19], off
	global_load_b128 v[50:53], v[26:27], off offset:16
	s_clause 0x1
	global_load_b64 v[54:55], v[20:21], off
	global_load_b64 v[56:57], v[22:23], off
	s_wait_loadcnt 0x3
	scratch_store_b128 off, v[46:49], off
	s_wait_loadcnt 0x0
	scratch_store_b128 off, v[54:57], off offset:16
	s_wait_dscnt 0x0
	v_dual_mul_f32 v5, v47, v43 :: v_dual_mul_f32 v32, v48, v45
	v_dual_mul_f32 v26, v46, v43 :: v_dual_mul_f32 v27, v49, v45
	v_mul_f32_e32 v43, v54, v51
	s_delay_alu instid0(VALU_DEP_3) | instskip(SKIP_1) | instid1(VALU_DEP_4)
	v_fma_f32 v5, v46, v42, -v5
	v_mul_f32_e32 v33, v55, v51
	v_fmac_f32_e32 v26, v47, v42
	v_fma_f32 v27, v48, v44, -v27
	s_delay_alu instid0(VALU_DEP_4) | instskip(SKIP_1) | instid1(VALU_DEP_4)
	v_dual_fmac_f32 v32, v49, v44 :: v_dual_add_f32 v5, 0, v5
	v_mul_f32_e32 v42, v57, v53
	v_add_f32_e32 v26, 0, v26
	v_dual_mul_f32 v44, v56, v53 :: v_dual_fmac_f32 v43, v55, v50
	v_fma_f32 v33, v54, v50, -v33
	s_delay_alu instid0(VALU_DEP_3) | instskip(SKIP_1) | instid1(VALU_DEP_4)
	v_dual_add_f32 v5, v5, v27 :: v_dual_add_f32 v26, v26, v32
	v_fma_f32 v27, v56, v52, -v42
	v_fmac_f32_e32 v44, v57, v52
	s_delay_alu instid0(VALU_DEP_3) | instskip(NEXT) | instid1(VALU_DEP_1)
	v_dual_add_f32 v5, v5, v33 :: v_dual_add_f32 v26, v26, v43
	v_dual_add_f32 v32, v5, v27 :: v_dual_add_f32 v33, v26, v44
	s_and_not1_saveexec_b32 s6, s6
	s_cbranch_execz .LBB119_63
.LBB119_71:                             ;   in Loop: Header=BB119_61 Depth=2
	s_wait_dscnt 0x0
	v_dual_mov_b32 v32, 0 :: v_dual_mov_b32 v33, 0
	s_and_saveexec_b32 s7, s68
	s_cbranch_execz .LBB119_76
; %bb.72:                               ;   in Loop: Header=BB119_61 Depth=2
	v_dual_mov_b32 v27, v15 :: v_dual_mov_b32 v26, v14
	s_mov_b32 s8, 0
	s_mov_b32 s9, s66
.LBB119_73:                             ;   Parent Loop BB119_3 Depth=1
                                        ;     Parent Loop BB119_61 Depth=2
                                        ; =>    This Inner Loop Header: Depth=3
	global_load_b64 v[32:33], v[26:27], off
	v_add_co_u32 v26, vcc_lo, v26, s46
	s_wait_alu 0xfffd
	v_add_co_ci_u32_e64 v27, null, s47, v27, vcc_lo
	s_wait_alu 0xfffe
	s_add_co_i32 s9, s9, -1
	s_wait_loadcnt 0x0
	scratch_store_b64 off, v[32:33], s8
	s_add_co_i32 s8, s8, 8
	s_wait_alu 0xfffe
	s_cmp_eq_u32 s9, 0
	s_cbranch_scc0 .LBB119_73
; %bb.74:                               ;   in Loop: Header=BB119_61 Depth=2
	v_dual_mov_b32 v32, 0 :: v_dual_mov_b32 v27, v25
	v_dual_mov_b32 v26, v24 :: v_dual_mov_b32 v33, 0
	s_mov_b32 s8, s69
	s_mov_b32 s9, s66
.LBB119_75:                             ;   Parent Loop BB119_3 Depth=1
                                        ;     Parent Loop BB119_61 Depth=2
                                        ; =>    This Inner Loop Header: Depth=3
	global_load_b64 v[42:43], v[26:27], off
	scratch_load_b64 v[44:45], off, s8 offset:-4
	v_add_co_u32 v26, vcc_lo, v26, 8
	s_wait_alu 0xfffd
	v_add_co_ci_u32_e64 v27, null, 0, v27, vcc_lo
	s_wait_alu 0xfffe
	s_add_co_i32 s9, s9, -1
	s_add_co_i32 s8, s8, 8
	s_wait_alu 0xfffe
	s_cmp_lg_u32 s9, 0
	s_wait_loadcnt 0x0
	v_mul_f32_e32 v5, v45, v43
	v_mul_f32_e32 v43, v44, v43
	s_delay_alu instid0(VALU_DEP_2) | instskip(NEXT) | instid1(VALU_DEP_1)
	v_fma_f32 v5, v44, v42, -v5
	v_dual_fmac_f32 v43, v45, v42 :: v_dual_add_f32 v32, v32, v5
	s_delay_alu instid0(VALU_DEP_1)
	v_add_f32_e32 v33, v33, v43
	s_cbranch_scc1 .LBB119_75
.LBB119_76:                             ;   in Loop: Header=BB119_61 Depth=2
	s_wait_alu 0xfffe
	s_or_b32 exec_lo, exec_lo, s7
	s_delay_alu instid0(SALU_CYCLE_1)
	s_or_b32 exec_lo, exec_lo, s6
	s_and_saveexec_b32 s6, s3
	s_cbranch_execnz .LBB119_64
	s_branch .LBB119_65
.LBB119_77:                             ;   in Loop: Header=BB119_61 Depth=2
	ds_load_b64 v[26:27], v36
	s_wait_alu 0xfffe
	s_or_b32 exec_lo, exec_lo, s6
	s_and_saveexec_b32 s6, s3
	s_cbranch_execz .LBB119_69
.LBB119_78:                             ;   in Loop: Header=BB119_61 Depth=2
	s_wait_dscnt 0x0
	ds_bpermute_b32 v5, v29, v26
	ds_bpermute_b32 v32, v29, v27
	s_wait_dscnt 0x0
	v_dual_add_f32 v5, v26, v5 :: v_dual_add_f32 v26, v27, v32
	ds_bpermute_b32 v27, v30, v5
	ds_bpermute_b32 v32, v30, v26
	s_wait_dscnt 0x1
	v_add_f32_e32 v5, v5, v27
	s_wait_dscnt 0x0
	v_add_f32_e32 v27, v26, v32
	ds_bpermute_b32 v26, v31, v5
	s_wait_dscnt 0x0
	v_add_f32_e32 v26, v5, v26
	ds_bpermute_b32 v32, v31, v27
	s_wait_dscnt 0x0
	v_add_f32_e32 v27, v27, v32
	s_wait_alu 0xfffe
	s_or_b32 exec_lo, exec_lo, s6
	s_and_saveexec_b32 s6, s0
	s_cbranch_execz .LBB119_60
.LBB119_79:                             ;   in Loop: Header=BB119_61 Depth=2
	s_wait_dscnt 0x0
	v_mul_f32_e32 v5, v27, v13
	v_mul_f32_e32 v33, v27, v12
	s_mul_u64 s[8:9], s[28:29], s[36:37]
	s_wait_alu 0xfffe
	s_lshl_b64 s[8:9], s[8:9], 3
	v_fma_f32 v32, v26, v12, -v5
	v_fmac_f32_e32 v33, v26, v13
	s_wait_alu 0xfffe
	s_add_nc_u64 s[8:9], s[58:59], s[8:9]
	global_store_b64 v4, v[32:33], s[8:9]
	s_branch .LBB119_60
.LBB119_80:
	s_endpgm
	.section	.rodata,"a",@progbits
	.p2align	6, 0x0
	.amdhsa_kernel _ZL23rocblas_gemvt_sn_kernelILb0ELi256ELi4El19rocblas_complex_numIfEPKS1_S1_EviiT4_lPKT3_lilS7_lilPT5_i
		.amdhsa_group_segment_fixed_size 256
		.amdhsa_private_segment_fixed_size 48
		.amdhsa_kernarg_size 360
		.amdhsa_user_sgpr_count 2
		.amdhsa_user_sgpr_dispatch_ptr 0
		.amdhsa_user_sgpr_queue_ptr 0
		.amdhsa_user_sgpr_kernarg_segment_ptr 1
		.amdhsa_user_sgpr_dispatch_id 0
		.amdhsa_user_sgpr_private_segment_size 0
		.amdhsa_wavefront_size32 1
		.amdhsa_uses_dynamic_stack 0
		.amdhsa_enable_private_segment 1
		.amdhsa_system_sgpr_workgroup_id_x 1
		.amdhsa_system_sgpr_workgroup_id_y 0
		.amdhsa_system_sgpr_workgroup_id_z 1
		.amdhsa_system_sgpr_workgroup_info 0
		.amdhsa_system_vgpr_workitem_id 0
		.amdhsa_next_free_vgpr 93
		.amdhsa_next_free_sgpr 74
		.amdhsa_reserve_vcc 1
		.amdhsa_float_round_mode_32 0
		.amdhsa_float_round_mode_16_64 0
		.amdhsa_float_denorm_mode_32 3
		.amdhsa_float_denorm_mode_16_64 3
		.amdhsa_fp16_overflow 0
		.amdhsa_workgroup_processor_mode 1
		.amdhsa_memory_ordered 1
		.amdhsa_forward_progress 1
		.amdhsa_inst_pref_size 45
		.amdhsa_round_robin_scheduling 0
		.amdhsa_exception_fp_ieee_invalid_op 0
		.amdhsa_exception_fp_denorm_src 0
		.amdhsa_exception_fp_ieee_div_zero 0
		.amdhsa_exception_fp_ieee_overflow 0
		.amdhsa_exception_fp_ieee_underflow 0
		.amdhsa_exception_fp_ieee_inexact 0
		.amdhsa_exception_int_div_zero 0
	.end_amdhsa_kernel
	.section	.text._ZL23rocblas_gemvt_sn_kernelILb0ELi256ELi4El19rocblas_complex_numIfEPKS1_S1_EviiT4_lPKT3_lilS7_lilPT5_i,"axG",@progbits,_ZL23rocblas_gemvt_sn_kernelILb0ELi256ELi4El19rocblas_complex_numIfEPKS1_S1_EviiT4_lPKT3_lilS7_lilPT5_i,comdat
.Lfunc_end119:
	.size	_ZL23rocblas_gemvt_sn_kernelILb0ELi256ELi4El19rocblas_complex_numIfEPKS1_S1_EviiT4_lPKT3_lilS7_lilPT5_i, .Lfunc_end119-_ZL23rocblas_gemvt_sn_kernelILb0ELi256ELi4El19rocblas_complex_numIfEPKS1_S1_EviiT4_lPKT3_lilS7_lilPT5_i
                                        ; -- End function
	.set _ZL23rocblas_gemvt_sn_kernelILb0ELi256ELi4El19rocblas_complex_numIfEPKS1_S1_EviiT4_lPKT3_lilS7_lilPT5_i.num_vgpr, 93
	.set _ZL23rocblas_gemvt_sn_kernelILb0ELi256ELi4El19rocblas_complex_numIfEPKS1_S1_EviiT4_lPKT3_lilS7_lilPT5_i.num_agpr, 0
	.set _ZL23rocblas_gemvt_sn_kernelILb0ELi256ELi4El19rocblas_complex_numIfEPKS1_S1_EviiT4_lPKT3_lilS7_lilPT5_i.numbered_sgpr, 74
	.set _ZL23rocblas_gemvt_sn_kernelILb0ELi256ELi4El19rocblas_complex_numIfEPKS1_S1_EviiT4_lPKT3_lilS7_lilPT5_i.num_named_barrier, 0
	.set _ZL23rocblas_gemvt_sn_kernelILb0ELi256ELi4El19rocblas_complex_numIfEPKS1_S1_EviiT4_lPKT3_lilS7_lilPT5_i.private_seg_size, 48
	.set _ZL23rocblas_gemvt_sn_kernelILb0ELi256ELi4El19rocblas_complex_numIfEPKS1_S1_EviiT4_lPKT3_lilS7_lilPT5_i.uses_vcc, 1
	.set _ZL23rocblas_gemvt_sn_kernelILb0ELi256ELi4El19rocblas_complex_numIfEPKS1_S1_EviiT4_lPKT3_lilS7_lilPT5_i.uses_flat_scratch, 0
	.set _ZL23rocblas_gemvt_sn_kernelILb0ELi256ELi4El19rocblas_complex_numIfEPKS1_S1_EviiT4_lPKT3_lilS7_lilPT5_i.has_dyn_sized_stack, 0
	.set _ZL23rocblas_gemvt_sn_kernelILb0ELi256ELi4El19rocblas_complex_numIfEPKS1_S1_EviiT4_lPKT3_lilS7_lilPT5_i.has_recursion, 0
	.set _ZL23rocblas_gemvt_sn_kernelILb0ELi256ELi4El19rocblas_complex_numIfEPKS1_S1_EviiT4_lPKT3_lilS7_lilPT5_i.has_indirect_call, 0
	.section	.AMDGPU.csdata,"",@progbits
; Kernel info:
; codeLenInByte = 5756
; TotalNumSgprs: 76
; NumVgprs: 93
; ScratchSize: 48
; MemoryBound: 0
; FloatMode: 240
; IeeeMode: 1
; LDSByteSize: 256 bytes/workgroup (compile time only)
; SGPRBlocks: 0
; VGPRBlocks: 11
; NumSGPRsForWavesPerEU: 76
; NumVGPRsForWavesPerEU: 93
; Occupancy: 16
; WaveLimiterHint : 0
; COMPUTE_PGM_RSRC2:SCRATCH_EN: 1
; COMPUTE_PGM_RSRC2:USER_SGPR: 2
; COMPUTE_PGM_RSRC2:TRAP_HANDLER: 0
; COMPUTE_PGM_RSRC2:TGID_X_EN: 1
; COMPUTE_PGM_RSRC2:TGID_Y_EN: 0
; COMPUTE_PGM_RSRC2:TGID_Z_EN: 1
; COMPUTE_PGM_RSRC2:TIDIG_COMP_CNT: 0
	.section	.text._ZL23rocblas_gemvt_sn_reduceILi256ELi8E19rocblas_complex_numIfEPKS1_S1_EviT2_lPT3_lilPT1_i,"axG",@progbits,_ZL23rocblas_gemvt_sn_reduceILi256ELi8E19rocblas_complex_numIfEPKS1_S1_EviT2_lPT3_lilPT1_i,comdat
	.globl	_ZL23rocblas_gemvt_sn_reduceILi256ELi8E19rocblas_complex_numIfEPKS1_S1_EviT2_lPT3_lilPT1_i ; -- Begin function _ZL23rocblas_gemvt_sn_reduceILi256ELi8E19rocblas_complex_numIfEPKS1_S1_EviT2_lPT3_lilPT1_i
	.p2align	8
	.type	_ZL23rocblas_gemvt_sn_reduceILi256ELi8E19rocblas_complex_numIfEPKS1_S1_EviT2_lPT3_lilPT1_i,@function
_ZL23rocblas_gemvt_sn_reduceILi256ELi8E19rocblas_complex_numIfEPKS1_S1_EviT2_lPT3_lilPT1_i: ; @_ZL23rocblas_gemvt_sn_reduceILi256ELi8E19rocblas_complex_numIfEPKS1_S1_EviT2_lPT3_lilPT1_i
; %bb.0:
	s_load_b32 s28, s[0:1], 0x40
	s_lshr_b32 s20, ttmp7, 16
	s_wait_kmcnt 0x0
	s_cmp_ge_u32 s20, s28
	s_cbranch_scc1 .LBB120_21
; %bb.1:
	s_clause 0x5
	s_load_b32 s22, s[0:1], 0x0
	s_load_b32 s29, s[0:1], 0x4c
	;; [unrolled: 1-line block ×4, first 2 shown]
	s_load_b256 s[8:15], s[0:1], 0x8
	s_load_b128 s[16:19], s[0:1], 0x30
	v_mbcnt_lo_u32_b32 v3, -1, 0
	v_dual_mov_b32 v1, 0 :: v_dual_and_b32 v2, 31, v0
	v_lshlrev_b32_e32 v11, 3, v0
	v_cmp_gt_u32_e64 s0, 32, v0
	s_delay_alu instid0(VALU_DEP_4)
	v_cmp_gt_u32_e32 vcc_lo, 24, v3
	v_cmp_eq_u32_e64 s5, 0, v0
	v_lshlrev_b32_e32 v12, 3, v2
	v_mov_b32_e32 v6, v1
	s_mov_b32 s21, 0
	v_cndmask_b32_e64 v4, 0, 8, vcc_lo
	v_cmp_gt_u32_e32 vcc_lo, 28, v3
	v_lshl_or_b32 v13, v3, 2, 64
	s_and_b32 s24, ttmp7, 0xffff
	s_wait_kmcnt 0x0
	s_ashr_i32 s23, s22, 31
	v_xad_u32 v5, v0, -1, s22
	s_lshr_b32 s1, s23, 29
	s_wait_alu 0xfffd
	v_cndmask_b32_e64 v7, 0, 4, vcc_lo
	v_cmp_gt_u32_e32 vcc_lo, 30, v3
	s_lshl_b64 s[2:3], s[14:15], 3
	s_add_co_i32 s1, s22, s1
	s_add_nc_u64 s[12:13], s[12:13], s[2:3]
	v_cmp_eq_u32_e64 s3, 0, v2
	v_lshlrev_b32_e32 v2, 6, v0
	s_and_b32 s30, s1, -8
	s_wait_alu 0xfffd
	v_cndmask_b32_e64 v8, 0, 2, vcc_lo
	v_cmp_ne_u32_e32 vcc_lo, 31, v3
	s_sub_co_i32 s2, s22, s30
	s_and_b32 s26, s4, 0xffff
	v_cmp_gt_u32_e64 s2, s2, v0
	v_add_lshl_u32 v14, v4, v3, 2
	v_lshrrev_b32_e32 v4, 2, v0
	v_cmp_gt_u32_e64 s4, 8, v0
	v_add_co_u32 v0, s14, s18, v2
	s_wait_alu 0xfffd
	v_add_co_ci_u32_e64 v9, null, 0, v3, vcc_lo
	v_add_co_ci_u32_e64 v2, null, s19, 0, s14
	v_add_lshl_u32 v15, v7, v3, 2
	v_add_lshl_u32 v16, v8, v3, 2
	v_add_co_u32 v3, vcc_lo, v0, 60
	s_ashr_i32 s7, s6, 31
	s_mov_b32 s25, s21
	v_lshlrev_b64_e32 v[5:6], 3, v[5:6]
	v_cmp_gt_i32_e64 s1, s30, v11
	v_lshlrev_b32_e32 v17, 2, v9
	v_and_b32_e32 v18, 56, v4
	s_wait_alu 0xfffd
	v_add_co_ci_u32_e64 v4, null, 0, v2, vcc_lo
	s_mul_u64 s[6:7], s[6:7], s[24:25]
	s_mul_i32 s25, s20, s29
	s_lshl_b32 s31, s26, 3
	s_lshl_b64 s[14:15], s[22:23], 3
	s_add_co_i32 s25, s24, s25
	s_lshl_b32 s33, s29, 16
	s_lshl_b32 s34, s26, 6
	s_lshl_b64 s[26:27], s[6:7], 3
	s_branch .LBB120_4
.LBB120_2:                              ;   in Loop: Header=BB120_4 Depth=1
	s_wait_dscnt 0x0
	global_store_b64 v1, v[9:10], s[6:7]
.LBB120_3:                              ;   in Loop: Header=BB120_4 Depth=1
	s_wait_alu 0xfffe
	s_or_b32 exec_lo, exec_lo, s35
	s_add_co_i32 s20, s20, 0x10000
	s_add_co_i32 s25, s25, s33
	s_cmp_lt_u32 s20, s28
	s_cbranch_scc0 .LBB120_21
.LBB120_4:                              ; =>This Loop Header: Depth=1
                                        ;     Child Loop BB120_14 Depth 2
	s_mul_u64 s[6:7], s[10:11], s[20:21]
	v_dual_mov_b32 v0, 0 :: v_dual_mov_b32 v19, 0
	s_lshl_b64 s[6:7], s[6:7], 3
	s_delay_alu instid0(SALU_CYCLE_1)
	s_add_nc_u64 s[6:7], s[8:9], s[6:7]
	global_load_b64 v[7:8], v1, s[6:7]
	s_and_saveexec_b32 s7, s1
	s_cbranch_execnz .LBB120_13
; %bb.5:                                ;   in Loop: Header=BB120_4 Depth=1
	s_or_b32 exec_lo, exec_lo, s7
	s_and_saveexec_b32 s6, s2
	s_cbranch_execnz .LBB120_16
.LBB120_6:                              ;   in Loop: Header=BB120_4 Depth=1
	s_or_b32 exec_lo, exec_lo, s6
	s_and_saveexec_b32 s6, s0
.LBB120_7:                              ;   in Loop: Header=BB120_4 Depth=1
	v_mov_b32_e32 v2, v1
	ds_store_b64 v12, v[1:2]
.LBB120_8:                              ;   in Loop: Header=BB120_4 Depth=1
	s_or_b32 exec_lo, exec_lo, s6
	s_wait_dscnt 0x0
	ds_bpermute_b32 v9, v13, v0
	ds_bpermute_b32 v2, v13, v19
	s_wait_loadcnt_dscnt 0x0
	s_barrier_signal -1
	s_barrier_wait -1
	global_inv scope:SCOPE_SE
	v_add_f32_e32 v0, v0, v9
	v_add_f32_e32 v2, v19, v2
	ds_bpermute_b32 v10, v14, v0
	ds_bpermute_b32 v9, v14, v2
	s_wait_dscnt 0x1
	v_add_f32_e32 v0, v0, v10
	ds_bpermute_b32 v10, v15, v0
	s_wait_dscnt 0x1
	v_add_f32_e32 v2, v2, v9
	ds_bpermute_b32 v9, v15, v2
	s_wait_dscnt 0x0
	v_dual_add_f32 v2, v2, v9 :: v_dual_add_f32 v9, v0, v10
	ds_bpermute_b32 v0, v16, v2
	ds_bpermute_b32 v10, v16, v9
	s_wait_dscnt 0x1
	v_add_f32_e32 v0, v2, v0
	s_wait_dscnt 0x0
	v_add_f32_e32 v2, v9, v10
	ds_bpermute_b32 v9, v17, v0
	ds_bpermute_b32 v10, v17, v2
	s_and_saveexec_b32 s6, s3
	s_cbranch_execz .LBB120_10
; %bb.9:                                ;   in Loop: Header=BB120_4 Depth=1
	s_wait_dscnt 0x0
	v_dual_add_f32 v10, v2, v10 :: v_dual_add_f32 v9, v0, v9
	ds_store_b64 v18, v[9:10]
.LBB120_10:                             ;   in Loop: Header=BB120_4 Depth=1
	s_or_b32 exec_lo, exec_lo, s6
	s_wait_dscnt 0x0
	v_dual_mov_b32 v10, 0 :: v_dual_mov_b32 v9, 0
	s_wait_loadcnt 0x0
	s_barrier_signal -1
	s_barrier_wait -1
	global_inv scope:SCOPE_SE
	s_and_saveexec_b32 s6, s4
	s_cbranch_execnz .LBB120_17
; %bb.11:                               ;   in Loop: Header=BB120_4 Depth=1
	s_or_b32 exec_lo, exec_lo, s6
	s_and_saveexec_b32 s6, s0
	s_cbranch_execnz .LBB120_18
.LBB120_12:                             ;   in Loop: Header=BB120_4 Depth=1
	s_or_b32 exec_lo, exec_lo, s6
	s_and_saveexec_b32 s35, s5
	s_cbranch_execz .LBB120_3
	s_branch .LBB120_19
.LBB120_13:                             ;   in Loop: Header=BB120_4 Depth=1
	s_wait_dscnt 0x0
	s_wait_alu 0xfffe
	v_mad_co_u64_u32 v[9:10], null, s14, s25, v[3:4]
	v_mov_b32_e32 v2, v11
	s_mov_b32 s35, 0
	s_delay_alu instid0(VALU_DEP_2) | instskip(NEXT) | instid1(VALU_DEP_1)
	v_mov_b32_e32 v0, v10
	v_mad_co_u64_u32 v[19:20], null, s15, s25, v[0:1]
	v_mov_b32_e32 v0, 0
	s_delay_alu instid0(VALU_DEP_2)
	v_dual_mov_b32 v10, v19 :: v_dual_mov_b32 v19, 0
.LBB120_14:                             ;   Parent Loop BB120_4 Depth=1
                                        ; =>  This Inner Loop Header: Depth=2
	s_clause 0x3
	global_load_b128 v[20:23], v[9:10], off offset:-60
	global_load_b128 v[24:27], v[9:10], off offset:-44
	;; [unrolled: 1-line block ×4, first 2 shown]
	v_add_co_u32 v9, vcc_lo, v9, s34
	s_wait_alu 0xfffd
	v_add_co_ci_u32_e64 v10, null, 0, v10, vcc_lo
	s_wait_loadcnt 0x3
	v_dual_add_f32 v19, v19, v20 :: v_dual_add_f32 v0, v0, v21
	s_delay_alu instid0(VALU_DEP_1) | instskip(SKIP_1) | instid1(VALU_DEP_1)
	v_dual_add_f32 v19, v19, v22 :: v_dual_add_f32 v0, v0, v23
	s_wait_loadcnt 0x2
	v_dual_add_f32 v19, v19, v24 :: v_dual_add_f32 v0, v0, v25
	s_delay_alu instid0(VALU_DEP_1) | instskip(SKIP_1) | instid1(VALU_DEP_1)
	v_dual_add_f32 v19, v19, v26 :: v_dual_add_f32 v0, v0, v27
	;; [unrolled: 4-line block ×3, first 2 shown]
	s_wait_loadcnt 0x0
	v_dual_add_f32 v19, v19, v32 :: v_dual_add_nc_u32 v2, s31, v2
	s_delay_alu instid0(VALU_DEP_2) | instskip(NEXT) | instid1(VALU_DEP_2)
	v_add_f32_e32 v0, v0, v33
	v_cmp_le_i32_e64 s6, s30, v2
	s_delay_alu instid0(VALU_DEP_2)
	v_dual_add_f32 v19, v19, v34 :: v_dual_add_f32 v0, v0, v35
	s_wait_alu 0xfffe
	s_or_b32 s35, s6, s35
	s_wait_alu 0xfffe
	s_and_not1_b32 exec_lo, exec_lo, s35
	s_cbranch_execnz .LBB120_14
; %bb.15:                               ;   in Loop: Header=BB120_4 Depth=1
	s_or_b32 exec_lo, exec_lo, s35
	s_delay_alu instid0(SALU_CYCLE_1)
	s_or_b32 exec_lo, exec_lo, s7
	s_and_saveexec_b32 s6, s2
	s_cbranch_execz .LBB120_6
.LBB120_16:                             ;   in Loop: Header=BB120_4 Depth=1
	s_mul_i32 s7, s29, s20
	s_mov_b32 s37, s21
	s_add_co_i32 s36, s7, s24
	s_wait_alu 0xfffe
	s_mul_u64 s[36:37], s[36:37], s[22:23]
	s_wait_alu 0xfffe
	s_lshl_b64 s[36:37], s[36:37], 3
	s_wait_alu 0xfffe
	s_add_nc_u64 s[36:37], s[18:19], s[36:37]
	s_wait_dscnt 0x0
	s_wait_alu 0xfffe
	v_add_co_u32 v9, vcc_lo, s36, v5
	s_wait_alu 0xfffd
	v_add_co_ci_u32_e64 v10, null, s37, v6, vcc_lo
	global_load_b64 v[9:10], v[9:10], off
	s_wait_loadcnt 0x0
	v_dual_add_f32 v19, v19, v9 :: v_dual_add_f32 v0, v0, v10
	s_or_b32 exec_lo, exec_lo, s6
	s_and_saveexec_b32 s6, s0
	s_cbranch_execnz .LBB120_7
	s_branch .LBB120_8
.LBB120_17:                             ;   in Loop: Header=BB120_4 Depth=1
	ds_load_b64 v[9:10], v12
	s_or_b32 exec_lo, exec_lo, s6
	s_and_saveexec_b32 s6, s0
	s_cbranch_execz .LBB120_12
.LBB120_18:                             ;   in Loop: Header=BB120_4 Depth=1
	s_wait_dscnt 0x0
	ds_bpermute_b32 v0, v15, v9
	ds_bpermute_b32 v2, v15, v10
	s_wait_dscnt 0x1
	v_add_f32_e32 v0, v9, v0
	ds_bpermute_b32 v9, v16, v0
	s_wait_dscnt 0x0
	v_add_f32_e32 v0, v0, v9
	ds_bpermute_b32 v9, v17, v0
	s_wait_dscnt 0x0
	v_dual_add_f32 v2, v10, v2 :: v_dual_add_f32 v9, v0, v9
	ds_bpermute_b32 v10, v16, v2
	s_wait_dscnt 0x0
	v_add_f32_e32 v2, v2, v10
	ds_bpermute_b32 v10, v17, v2
	s_wait_dscnt 0x0
	v_add_f32_e32 v10, v2, v10
	s_or_b32 exec_lo, exec_lo, s6
	s_and_saveexec_b32 s35, s5
	s_cbranch_execz .LBB120_3
.LBB120_19:                             ;   in Loop: Header=BB120_4 Depth=1
	v_cmp_neq_f32_e32 vcc_lo, 0, v7
	v_cmp_neq_f32_e64 s6, 0, v8
	s_or_b32 s36, vcc_lo, s6
	s_mul_u64 s[6:7], s[16:17], s[20:21]
	s_wait_alu 0xfffe
	s_and_not1_b32 vcc_lo, exec_lo, s36
	s_lshl_b64 s[6:7], s[6:7], 3
	s_delay_alu instid0(SALU_CYCLE_1) | instskip(NEXT) | instid1(SALU_CYCLE_1)
	s_add_nc_u64 s[6:7], s[12:13], s[6:7]
	s_add_nc_u64 s[6:7], s[6:7], s[26:27]
	s_wait_alu 0xfffe
	s_cbranch_vccnz .LBB120_2
; %bb.20:                               ;   in Loop: Header=BB120_4 Depth=1
	global_load_b64 v[19:20], v1, s[6:7]
	s_wait_loadcnt 0x0
	v_mul_f32_e32 v0, v8, v20
	v_mul_f32_e32 v2, v7, v20
	s_delay_alu instid0(VALU_DEP_2) | instskip(NEXT) | instid1(VALU_DEP_1)
	v_xor_b32_e32 v0, 0x80000000, v0
	v_fmac_f32_e32 v0, v7, v19
	s_wait_dscnt 0x0
	s_delay_alu instid0(VALU_DEP_1) | instskip(NEXT) | instid1(VALU_DEP_1)
	v_dual_fmac_f32 v2, v8, v19 :: v_dual_add_f32 v9, v9, v0
	v_add_f32_e32 v10, v10, v2
	s_branch .LBB120_2
.LBB120_21:
	s_endpgm
	.section	.rodata,"a",@progbits
	.p2align	6, 0x0
	.amdhsa_kernel _ZL23rocblas_gemvt_sn_reduceILi256ELi8E19rocblas_complex_numIfEPKS1_S1_EviT2_lPT3_lilPT1_i
		.amdhsa_group_segment_fixed_size 256
		.amdhsa_private_segment_fixed_size 0
		.amdhsa_kernarg_size 328
		.amdhsa_user_sgpr_count 2
		.amdhsa_user_sgpr_dispatch_ptr 0
		.amdhsa_user_sgpr_queue_ptr 0
		.amdhsa_user_sgpr_kernarg_segment_ptr 1
		.amdhsa_user_sgpr_dispatch_id 0
		.amdhsa_user_sgpr_private_segment_size 0
		.amdhsa_wavefront_size32 1
		.amdhsa_uses_dynamic_stack 0
		.amdhsa_enable_private_segment 0
		.amdhsa_system_sgpr_workgroup_id_x 1
		.amdhsa_system_sgpr_workgroup_id_y 1
		.amdhsa_system_sgpr_workgroup_id_z 1
		.amdhsa_system_sgpr_workgroup_info 0
		.amdhsa_system_vgpr_workitem_id 0
		.amdhsa_next_free_vgpr 36
		.amdhsa_next_free_sgpr 38
		.amdhsa_reserve_vcc 1
		.amdhsa_float_round_mode_32 0
		.amdhsa_float_round_mode_16_64 0
		.amdhsa_float_denorm_mode_32 3
		.amdhsa_float_denorm_mode_16_64 3
		.amdhsa_fp16_overflow 0
		.amdhsa_workgroup_processor_mode 1
		.amdhsa_memory_ordered 1
		.amdhsa_forward_progress 1
		.amdhsa_inst_pref_size 12
		.amdhsa_round_robin_scheduling 0
		.amdhsa_exception_fp_ieee_invalid_op 0
		.amdhsa_exception_fp_denorm_src 0
		.amdhsa_exception_fp_ieee_div_zero 0
		.amdhsa_exception_fp_ieee_overflow 0
		.amdhsa_exception_fp_ieee_underflow 0
		.amdhsa_exception_fp_ieee_inexact 0
		.amdhsa_exception_int_div_zero 0
	.end_amdhsa_kernel
	.section	.text._ZL23rocblas_gemvt_sn_reduceILi256ELi8E19rocblas_complex_numIfEPKS1_S1_EviT2_lPT3_lilPT1_i,"axG",@progbits,_ZL23rocblas_gemvt_sn_reduceILi256ELi8E19rocblas_complex_numIfEPKS1_S1_EviT2_lPT3_lilPT1_i,comdat
.Lfunc_end120:
	.size	_ZL23rocblas_gemvt_sn_reduceILi256ELi8E19rocblas_complex_numIfEPKS1_S1_EviT2_lPT3_lilPT1_i, .Lfunc_end120-_ZL23rocblas_gemvt_sn_reduceILi256ELi8E19rocblas_complex_numIfEPKS1_S1_EviT2_lPT3_lilPT1_i
                                        ; -- End function
	.set _ZL23rocblas_gemvt_sn_reduceILi256ELi8E19rocblas_complex_numIfEPKS1_S1_EviT2_lPT3_lilPT1_i.num_vgpr, 36
	.set _ZL23rocblas_gemvt_sn_reduceILi256ELi8E19rocblas_complex_numIfEPKS1_S1_EviT2_lPT3_lilPT1_i.num_agpr, 0
	.set _ZL23rocblas_gemvt_sn_reduceILi256ELi8E19rocblas_complex_numIfEPKS1_S1_EviT2_lPT3_lilPT1_i.numbered_sgpr, 38
	.set _ZL23rocblas_gemvt_sn_reduceILi256ELi8E19rocblas_complex_numIfEPKS1_S1_EviT2_lPT3_lilPT1_i.num_named_barrier, 0
	.set _ZL23rocblas_gemvt_sn_reduceILi256ELi8E19rocblas_complex_numIfEPKS1_S1_EviT2_lPT3_lilPT1_i.private_seg_size, 0
	.set _ZL23rocblas_gemvt_sn_reduceILi256ELi8E19rocblas_complex_numIfEPKS1_S1_EviT2_lPT3_lilPT1_i.uses_vcc, 1
	.set _ZL23rocblas_gemvt_sn_reduceILi256ELi8E19rocblas_complex_numIfEPKS1_S1_EviT2_lPT3_lilPT1_i.uses_flat_scratch, 0
	.set _ZL23rocblas_gemvt_sn_reduceILi256ELi8E19rocblas_complex_numIfEPKS1_S1_EviT2_lPT3_lilPT1_i.has_dyn_sized_stack, 0
	.set _ZL23rocblas_gemvt_sn_reduceILi256ELi8E19rocblas_complex_numIfEPKS1_S1_EviT2_lPT3_lilPT1_i.has_recursion, 0
	.set _ZL23rocblas_gemvt_sn_reduceILi256ELi8E19rocblas_complex_numIfEPKS1_S1_EviT2_lPT3_lilPT1_i.has_indirect_call, 0
	.section	.AMDGPU.csdata,"",@progbits
; Kernel info:
; codeLenInByte = 1428
; TotalNumSgprs: 40
; NumVgprs: 36
; ScratchSize: 0
; MemoryBound: 0
; FloatMode: 240
; IeeeMode: 1
; LDSByteSize: 256 bytes/workgroup (compile time only)
; SGPRBlocks: 0
; VGPRBlocks: 4
; NumSGPRsForWavesPerEU: 40
; NumVGPRsForWavesPerEU: 36
; Occupancy: 16
; WaveLimiterHint : 0
; COMPUTE_PGM_RSRC2:SCRATCH_EN: 0
; COMPUTE_PGM_RSRC2:USER_SGPR: 2
; COMPUTE_PGM_RSRC2:TRAP_HANDLER: 0
; COMPUTE_PGM_RSRC2:TGID_X_EN: 1
; COMPUTE_PGM_RSRC2:TGID_Y_EN: 1
; COMPUTE_PGM_RSRC2:TGID_Z_EN: 1
; COMPUTE_PGM_RSRC2:TIDIG_COMP_CNT: 0
	.section	.text._ZL23rocblas_gemvt_sn_kernelILb0ELi256ELi4Ei19rocblas_complex_numIfES1_S1_EviiT4_lPKT3_lilS5_lilPT5_i,"axG",@progbits,_ZL23rocblas_gemvt_sn_kernelILb0ELi256ELi4Ei19rocblas_complex_numIfES1_S1_EviiT4_lPKT3_lilS5_lilPT5_i,comdat
	.globl	_ZL23rocblas_gemvt_sn_kernelILb0ELi256ELi4Ei19rocblas_complex_numIfES1_S1_EviiT4_lPKT3_lilS5_lilPT5_i ; -- Begin function _ZL23rocblas_gemvt_sn_kernelILb0ELi256ELi4Ei19rocblas_complex_numIfES1_S1_EviiT4_lPKT3_lilS5_lilPT5_i
	.p2align	8
	.type	_ZL23rocblas_gemvt_sn_kernelILb0ELi256ELi4Ei19rocblas_complex_numIfES1_S1_EviiT4_lPKT3_lilS5_lilPT5_i,@function
_ZL23rocblas_gemvt_sn_kernelILb0ELi256ELi4Ei19rocblas_complex_numIfES1_S1_EviiT4_lPKT3_lilS5_lilPT5_i: ; @_ZL23rocblas_gemvt_sn_kernelILb0ELi256ELi4Ei19rocblas_complex_numIfES1_S1_EviiT4_lPKT3_lilS5_lilPT5_i
; %bb.0:
	s_load_b32 s11, s[0:1], 0x60
	s_lshr_b32 s24, ttmp7, 16
	s_wait_kmcnt 0x0
	s_cmp_ge_u32 s24, s11
	s_cbranch_scc1 .LBB121_80
; %bb.1:
	s_clause 0x6
	s_load_b96 s[8:10], s[0:1], 0x40
	s_load_b128 s[4:7], s[0:1], 0x18
	s_load_b128 s[12:15], s[0:1], 0x0
	s_load_b128 s[16:19], s[0:1], 0x30
	s_load_b32 s28, s[0:1], 0x68
	s_load_b32 s33, s[0:1], 0x28
	s_load_b128 s[20:23], s[0:1], 0x50
	v_cmp_eq_u32_e64 s0, 0, v0
	s_mov_b32 s31, 0
	v_mbcnt_lo_u32_b32 v32, -1, 0
	s_mov_b32 s26, ttmp9
	s_mov_b32 s27, s31
	s_mov_b32 s29, s31
	s_wait_kmcnt 0x0
	s_lshl_b64 s[2:3], s[8:9], 3
	s_lshl_b64 s[6:7], s[6:7], 3
	s_or_b32 s1, s14, s15
	s_ashr_i32 s9, s13, 31
	s_bitset0_b32 s1, 31
	s_add_nc_u64 s[18:19], s[18:19], s[2:3]
	s_cmp_eq_u32 s1, 0
	s_add_nc_u64 s[2:3], s[4:5], s[6:7]
	s_cselect_b32 s56, -1, 0
	s_cmp_gt_i32 s13, 0
	s_mov_b32 s8, s13
	s_cselect_b32 s1, -1, 0
	s_lshl_b32 s4, ttmp9, 10
	s_ashr_i32 s6, s12, 31
	v_lshl_or_b32 v2, v0, 2, s4
	s_and_b32 s57, s0, s1
	s_lshr_b32 s1, s6, 30
	s_lshr_b32 s5, s9, 30
	s_add_co_i32 s1, s12, s1
	v_mul_lo_u32 v1, s10, v2
	v_ashrrev_i32_e32 v3, 31, v2
	s_and_b32 s1, s1, -4
	v_add_nc_u32_e32 v5, 4, v2
	s_sub_co_i32 s59, s12, s1
	s_wait_alu 0xfffe
	s_add_co_i32 s4, s13, s5
	v_lshlrev_b64_e32 v[3:4], 3, v[2:3]
	v_add_nc_u32_e32 v2, s59, v2
	v_add_nc_u32_e32 v7, s10, v1
	s_wait_alu 0xfffe
	s_and_b32 s58, s4, -4
	v_cmp_gt_u32_e64 s5, 8, v0
	s_wait_alu 0xfffe
	s_cmp_gt_i32 s58, 0
	v_add_co_u32 v29, vcc_lo, s2, v3
	v_lshrrev_b32_e32 v3, 2, v0
	v_add_nc_u32_e32 v9, s10, v7
	v_add_co_ci_u32_e64 v30, null, s3, v4, vcc_lo
	v_cmp_gt_u32_e64 s3, 32, v0
	s_delay_alu instid0(VALU_DEP_4) | instskip(NEXT) | instid1(VALU_DEP_4)
	v_and_b32_e32 v31, 56, v3
	v_add_nc_u32_e32 v11, s10, v9
	v_mov_b32_e32 v3, 0
	v_cmp_ge_i32_e64 s2, s12, v2
	v_and_b32_e32 v2, 31, v0
	v_ashrrev_i32_e32 v8, 31, v7
	v_ashrrev_i32_e32 v10, 31, v9
	;; [unrolled: 1-line block ×3, first 2 shown]
	s_cselect_b32 s60, -1, 0
	v_cmp_eq_u32_e64 s4, 0, v2
	v_lshlrev_b32_e32 v0, 3, v2
	v_ashrrev_i32_e32 v2, 31, v1
	s_cmp_gt_i32 s59, 0
	v_cmp_ge_i32_e64 s1, s12, v5
	s_cselect_b32 s12, -1, 0
	s_lshl_b64 s[36:37], s[26:27], 3
	v_lshlrev_b64_e32 v[5:6], 3, v[1:2]
	v_lshlrev_b64_e32 v[7:8], 3, v[7:8]
	;; [unrolled: 1-line block ×4, first 2 shown]
	v_lshl_or_b32 v2, v32, 2, 64
	s_mul_u64 s[34:35], s[8:9], s[28:29]
	s_add_nc_u64 s[6:7], s[22:23], s[36:37]
	s_wait_alu 0xfffe
	s_and_b32 s27, s12, s2
	s_add_nc_u64 s[38:39], s[6:7], 4
	s_lshl_b64 s[40:41], s[34:35], 3
	s_lshl_b64 s[42:43], s[28:29], 3
	s_lshl_b32 s61, s33, 2
	s_lshl_b32 s62, s33, 1
	s_mul_i32 s63, s33, 3
	s_lshl_b64 s[44:45], s[16:17], 3
	s_or_b32 s64, 0, 4
	s_branch .LBB121_3
.LBB121_2:                              ;   in Loop: Header=BB121_3 Depth=1
	s_add_co_i32 s24, s24, 0x10000
	s_delay_alu instid0(SALU_CYCLE_1)
	s_cmp_lt_u32 s24, s11
	s_cbranch_scc0 .LBB121_80
.LBB121_3:                              ; =>This Loop Header: Depth=1
                                        ;     Child Loop BB121_6 Depth 2
                                        ;     Child Loop BB121_12 Depth 2
                                        ;       Child Loop BB121_43 Depth 3
                                        ;       Child Loop BB121_45 Depth 3
                                        ;     Child Loop BB121_61 Depth 2
                                        ;       Child Loop BB121_73 Depth 3
                                        ;       Child Loop BB121_75 Depth 3
	s_mov_b32 s25, s31
	s_and_not1_b32 vcc_lo, exec_lo, s56
	s_mov_b32 s6, -1
	s_wait_alu 0xfffe
	s_cbranch_vccnz .LBB121_8
; %bb.4:                                ;   in Loop: Header=BB121_3 Depth=1
	s_and_saveexec_b32 s8, s57
	s_cbranch_execz .LBB121_7
; %bb.5:                                ;   in Loop: Header=BB121_3 Depth=1
	s_mul_u64 s[6:7], s[40:41], s[24:25]
	s_mov_b32 s9, s13
	s_wait_alu 0xfffe
	s_add_nc_u64 s[6:7], s[38:39], s[6:7]
.LBB121_6:                              ;   Parent Loop BB121_3 Depth=1
                                        ; =>  This Inner Loop Header: Depth=2
	v_mov_b32_e32 v4, v3
	s_add_co_i32 s9, s9, -1
	s_wait_alu 0xfffe
	s_cmp_eq_u32 s9, 0
	global_store_b64 v3, v[3:4], s[6:7] offset:-4
	s_add_nc_u64 s[6:7], s[6:7], s[42:43]
	s_cbranch_scc0 .LBB121_6
.LBB121_7:                              ;   in Loop: Header=BB121_3 Depth=1
	s_wait_alu 0xfffe
	s_or_b32 exec_lo, exec_lo, s8
	s_mov_b32 s6, 0
.LBB121_8:                              ;   in Loop: Header=BB121_3 Depth=1
	s_wait_alu 0xfffe
	s_and_not1_b32 vcc_lo, exec_lo, s6
	s_wait_alu 0xfffe
	s_cbranch_vccnz .LBB121_2
; %bb.9:                                ;   in Loop: Header=BB121_3 Depth=1
	s_mul_u64 s[6:7], s[20:21], s[24:25]
	s_mul_u64 s[8:9], s[16:17], s[24:25]
	s_wait_alu 0xfffe
	s_lshl_b64 s[6:7], s[6:7], 3
	s_mul_u64 s[50:51], s[34:35], s[24:25]
	s_wait_alu 0xfffe
	s_add_nc_u64 s[46:47], s[18:19], s[6:7]
	s_lshl_b64 s[6:7], s[8:9], 3
	v_cmp_gt_u32_e64 s9, 24, v32
	s_wait_alu 0xfffe
	v_add_co_u32 v33, vcc_lo, v29, s6
	s_wait_alu 0xfffd
	v_add_co_ci_u32_e64 v34, null, s7, v30, vcc_lo
	v_cmp_gt_u32_e64 s8, 28, v32
	v_cmp_gt_u32_e64 s7, 30, v32
	v_cmp_ne_u32_e64 s6, 31, v32
	s_lshl_b64 s[50:51], s[50:51], 3
	s_mul_u64 s[48:49], s[44:45], s[24:25]
	s_and_not1_b32 vcc_lo, exec_lo, s60
	s_wait_alu 0xfffe
	s_add_nc_u64 s[50:51], s[22:23], s[50:51]
	s_cbranch_vccnz .LBB121_57
; %bb.10:                               ;   in Loop: Header=BB121_3 Depth=1
	v_cndmask_b32_e64 v13, 0, 4, s8
	v_cndmask_b32_e64 v14, 0, 2, s7
	v_add_co_ci_u32_e64 v15, null, 0, v32, s6
	v_cndmask_b32_e64 v4, 0, 8, s9
	s_delay_alu instid0(VALU_DEP_4)
	v_add_lshl_u32 v36, v13, v32, 2
	v_add_co_u32 v13, vcc_lo, s46, v5
	v_add_lshl_u32 v37, v14, v32, 2
	v_lshlrev_b32_e32 v38, 2, v15
	s_wait_alu 0xfffd
	v_add_co_ci_u32_e64 v14, null, s47, v6, vcc_lo
	v_add_co_u32 v15, vcc_lo, s46, v7
	s_wait_alu 0xfffd
	v_add_co_ci_u32_e64 v16, null, s47, v8, vcc_lo
	v_add_co_u32 v17, vcc_lo, s46, v9
	;; [unrolled: 3-line block ×4, first 2 shown]
	v_add_lshl_u32 v35, v4, v32, 2
	s_wait_alu 0xfffd
	v_add_co_ci_u32_e64 v40, null, s49, v30, vcc_lo
	s_mov_b32 s6, 0
	s_mov_b32 s65, s63
	;; [unrolled: 1-line block ×5, first 2 shown]
	s_branch .LBB121_12
.LBB121_11:                             ;   in Loop: Header=BB121_12 Depth=2
	s_wait_alu 0xfffe
	s_or_b32 exec_lo, exec_lo, s7
	s_add_co_i32 s25, s25, 4
	s_add_co_i32 s67, s67, s61
	;; [unrolled: 1-line block ×5, first 2 shown]
	s_cmp_ge_i32 s25, s58
	s_cbranch_scc1 .LBB121_58
.LBB121_12:                             ;   Parent Loop BB121_3 Depth=1
                                        ; =>  This Loop Header: Depth=2
                                        ;       Child Loop BB121_43 Depth 3
                                        ;       Child Loop BB121_45 Depth 3
                                        ; implicit-def: $vgpr41
                                        ; implicit-def: $vgpr42
                                        ; implicit-def: $vgpr23
                                        ; implicit-def: $vgpr24
                                        ; implicit-def: $vgpr25
                                        ; implicit-def: $vgpr26
                                        ; implicit-def: $vgpr28
                                        ; implicit-def: $vgpr27
	s_and_saveexec_b32 s7, s1
	s_wait_alu 0xfffe
	s_xor_b32 s7, exec_lo, s7
	s_cbranch_execnz .LBB121_39
; %bb.13:                               ;   in Loop: Header=BB121_12 Depth=2
	s_wait_alu 0xfffe
	s_and_not1_saveexec_b32 s30, s7
	s_cbranch_execnz .LBB121_40
.LBB121_14:                             ;   in Loop: Header=BB121_12 Depth=2
	s_or_b32 exec_lo, exec_lo, s30
	s_and_saveexec_b32 s7, s3
.LBB121_15:                             ;   in Loop: Header=BB121_12 Depth=2
	v_mov_b32_e32 v4, v3
	ds_store_b64 v0, v[3:4]
.LBB121_16:                             ;   in Loop: Header=BB121_12 Depth=2
	s_wait_alu 0xfffe
	s_or_b32 exec_lo, exec_lo, s7
	ds_bpermute_b32 v4, v2, v41
	s_wait_dscnt 0x1
	ds_bpermute_b32 v21, v2, v42
	s_wait_storecnt_dscnt 0x0
	s_barrier_signal -1
	s_barrier_wait -1
	global_inv scope:SCOPE_SE
	v_dual_add_f32 v4, v41, v4 :: v_dual_add_f32 v21, v42, v21
	ds_bpermute_b32 v22, v35, v4
	ds_bpermute_b32 v41, v35, v21
	s_wait_dscnt 0x0
	v_dual_add_f32 v4, v4, v22 :: v_dual_add_f32 v21, v21, v41
	ds_bpermute_b32 v22, v36, v4
	ds_bpermute_b32 v41, v36, v21
	s_wait_dscnt 0x0
	;; [unrolled: 4-line block ×3, first 2 shown]
	v_dual_add_f32 v4, v4, v22 :: v_dual_add_f32 v21, v21, v41
	ds_bpermute_b32 v22, v38, v4
	ds_bpermute_b32 v41, v38, v21
	s_and_saveexec_b32 s7, s4
	s_cbranch_execz .LBB121_18
; %bb.17:                               ;   in Loop: Header=BB121_12 Depth=2
	s_wait_dscnt 0x0
	v_dual_add_f32 v42, v21, v41 :: v_dual_add_f32 v41, v4, v22
	ds_store_b64 v31, v[41:42]
.LBB121_18:                             ;   in Loop: Header=BB121_12 Depth=2
	s_wait_alu 0xfffe
	s_or_b32 exec_lo, exec_lo, s7
	s_wait_dscnt 0x1
	v_dual_mov_b32 v22, 0 :: v_dual_mov_b32 v21, 0
	s_wait_loadcnt_dscnt 0x0
	s_barrier_signal -1
	s_barrier_wait -1
	global_inv scope:SCOPE_SE
	s_and_saveexec_b32 s7, s5
	s_cbranch_execnz .LBB121_46
; %bb.19:                               ;   in Loop: Header=BB121_12 Depth=2
	s_wait_alu 0xfffe
	s_or_b32 exec_lo, exec_lo, s7
	s_and_saveexec_b32 s7, s3
	s_cbranch_execnz .LBB121_47
.LBB121_20:                             ;   in Loop: Header=BB121_12 Depth=2
	s_wait_alu 0xfffe
	s_or_b32 exec_lo, exec_lo, s7
	s_and_saveexec_b32 s7, s3
.LBB121_21:                             ;   in Loop: Header=BB121_12 Depth=2
	v_mov_b32_e32 v4, v3
	ds_store_b64 v0, v[3:4]
.LBB121_22:                             ;   in Loop: Header=BB121_12 Depth=2
	s_wait_alu 0xfffe
	s_or_b32 exec_lo, exec_lo, s7
	ds_bpermute_b32 v4, v2, v23
	ds_bpermute_b32 v41, v2, v24
	s_wait_loadcnt_dscnt 0x0
	s_barrier_signal -1
	s_barrier_wait -1
	global_inv scope:SCOPE_SE
	v_dual_add_f32 v4, v23, v4 :: v_dual_add_f32 v23, v24, v41
	ds_bpermute_b32 v24, v35, v4
	ds_bpermute_b32 v41, v35, v23
	s_wait_dscnt 0x0
	v_dual_add_f32 v4, v4, v24 :: v_dual_add_f32 v23, v23, v41
	ds_bpermute_b32 v24, v36, v4
	ds_bpermute_b32 v41, v36, v23
	s_wait_dscnt 0x0
	;; [unrolled: 4-line block ×3, first 2 shown]
	v_dual_add_f32 v4, v4, v24 :: v_dual_add_f32 v23, v23, v41
	ds_bpermute_b32 v24, v38, v4
	ds_bpermute_b32 v41, v38, v23
	s_and_saveexec_b32 s7, s4
	s_cbranch_execz .LBB121_24
; %bb.23:                               ;   in Loop: Header=BB121_12 Depth=2
	s_wait_dscnt 0x0
	v_dual_add_f32 v42, v23, v41 :: v_dual_add_f32 v41, v4, v24
	ds_store_b64 v31, v[41:42]
.LBB121_24:                             ;   in Loop: Header=BB121_12 Depth=2
	s_wait_alu 0xfffe
	s_or_b32 exec_lo, exec_lo, s7
	s_wait_dscnt 0x1
	v_dual_mov_b32 v24, 0 :: v_dual_mov_b32 v23, 0
	s_wait_loadcnt_dscnt 0x0
	s_barrier_signal -1
	s_barrier_wait -1
	global_inv scope:SCOPE_SE
	s_and_saveexec_b32 s7, s5
	s_cbranch_execnz .LBB121_48
; %bb.25:                               ;   in Loop: Header=BB121_12 Depth=2
	s_wait_alu 0xfffe
	s_or_b32 exec_lo, exec_lo, s7
	s_and_saveexec_b32 s7, s3
	s_cbranch_execnz .LBB121_49
.LBB121_26:                             ;   in Loop: Header=BB121_12 Depth=2
	s_wait_alu 0xfffe
	s_or_b32 exec_lo, exec_lo, s7
	s_and_saveexec_b32 s7, s3
.LBB121_27:                             ;   in Loop: Header=BB121_12 Depth=2
	v_mov_b32_e32 v4, v3
	ds_store_b64 v0, v[3:4]
.LBB121_28:                             ;   in Loop: Header=BB121_12 Depth=2
	s_wait_alu 0xfffe
	s_or_b32 exec_lo, exec_lo, s7
	ds_bpermute_b32 v4, v2, v25
	ds_bpermute_b32 v41, v2, v26
	s_wait_loadcnt_dscnt 0x0
	s_barrier_signal -1
	s_barrier_wait -1
	global_inv scope:SCOPE_SE
	v_dual_add_f32 v4, v25, v4 :: v_dual_add_f32 v25, v26, v41
	ds_bpermute_b32 v26, v35, v4
	ds_bpermute_b32 v41, v35, v25
	s_wait_dscnt 0x0
	v_dual_add_f32 v4, v4, v26 :: v_dual_add_f32 v25, v25, v41
	ds_bpermute_b32 v26, v36, v4
	ds_bpermute_b32 v41, v36, v25
	s_wait_dscnt 0x0
	;; [unrolled: 4-line block ×3, first 2 shown]
	v_dual_add_f32 v4, v4, v26 :: v_dual_add_f32 v25, v25, v41
	ds_bpermute_b32 v26, v38, v4
	ds_bpermute_b32 v41, v38, v25
	s_and_saveexec_b32 s7, s4
	s_cbranch_execz .LBB121_30
; %bb.29:                               ;   in Loop: Header=BB121_12 Depth=2
	s_wait_dscnt 0x0
	v_dual_add_f32 v42, v25, v41 :: v_dual_add_f32 v41, v4, v26
	ds_store_b64 v31, v[41:42]
.LBB121_30:                             ;   in Loop: Header=BB121_12 Depth=2
	s_wait_alu 0xfffe
	s_or_b32 exec_lo, exec_lo, s7
	s_wait_dscnt 0x1
	v_dual_mov_b32 v26, 0 :: v_dual_mov_b32 v25, 0
	s_wait_loadcnt_dscnt 0x0
	s_barrier_signal -1
	s_barrier_wait -1
	global_inv scope:SCOPE_SE
	s_and_saveexec_b32 s7, s5
	s_cbranch_execnz .LBB121_50
; %bb.31:                               ;   in Loop: Header=BB121_12 Depth=2
	s_wait_alu 0xfffe
	s_or_b32 exec_lo, exec_lo, s7
	s_and_saveexec_b32 s7, s3
	s_cbranch_execnz .LBB121_51
.LBB121_32:                             ;   in Loop: Header=BB121_12 Depth=2
	s_wait_alu 0xfffe
	s_or_b32 exec_lo, exec_lo, s7
	s_and_saveexec_b32 s7, s3
.LBB121_33:                             ;   in Loop: Header=BB121_12 Depth=2
	v_mov_b32_e32 v4, v3
	ds_store_b64 v0, v[3:4]
.LBB121_34:                             ;   in Loop: Header=BB121_12 Depth=2
	s_wait_alu 0xfffe
	s_or_b32 exec_lo, exec_lo, s7
	ds_bpermute_b32 v4, v2, v28
	ds_bpermute_b32 v41, v2, v27
	s_wait_loadcnt_dscnt 0x0
	s_barrier_signal -1
	s_barrier_wait -1
	global_inv scope:SCOPE_SE
	v_dual_add_f32 v4, v28, v4 :: v_dual_add_f32 v27, v27, v41
	ds_bpermute_b32 v28, v35, v4
	ds_bpermute_b32 v41, v35, v27
	s_wait_dscnt 0x0
	v_dual_add_f32 v4, v4, v28 :: v_dual_add_f32 v27, v27, v41
	ds_bpermute_b32 v28, v36, v4
	ds_bpermute_b32 v41, v36, v27
	s_wait_dscnt 0x0
	;; [unrolled: 4-line block ×3, first 2 shown]
	v_dual_add_f32 v4, v4, v28 :: v_dual_add_f32 v27, v27, v41
	ds_bpermute_b32 v28, v38, v4
	ds_bpermute_b32 v41, v38, v27
	s_and_saveexec_b32 s7, s4
	s_cbranch_execz .LBB121_36
; %bb.35:                               ;   in Loop: Header=BB121_12 Depth=2
	s_wait_dscnt 0x0
	v_dual_add_f32 v42, v27, v41 :: v_dual_add_f32 v41, v4, v28
	ds_store_b64 v31, v[41:42]
.LBB121_36:                             ;   in Loop: Header=BB121_12 Depth=2
	s_wait_alu 0xfffe
	s_or_b32 exec_lo, exec_lo, s7
	s_wait_dscnt 0x1
	v_dual_mov_b32 v28, 0 :: v_dual_mov_b32 v27, 0
	s_wait_loadcnt_dscnt 0x0
	s_barrier_signal -1
	s_barrier_wait -1
	global_inv scope:SCOPE_SE
	s_and_saveexec_b32 s7, s5
	s_cbranch_execnz .LBB121_52
; %bb.37:                               ;   in Loop: Header=BB121_12 Depth=2
	s_wait_alu 0xfffe
	s_or_b32 exec_lo, exec_lo, s7
	s_and_saveexec_b32 s7, s3
	s_cbranch_execnz .LBB121_53
.LBB121_38:                             ;   in Loop: Header=BB121_12 Depth=2
	s_wait_alu 0xfffe
	s_or_b32 exec_lo, exec_lo, s7
	s_and_saveexec_b32 s7, s0
	s_cbranch_execz .LBB121_11
	s_branch .LBB121_54
.LBB121_39:                             ;   in Loop: Header=BB121_12 Depth=2
	s_mul_i32 s8, s25, s33
	global_load_b64 v[43:44], v[13:14], off
	s_wait_alu 0xfffe
	s_ashr_i32 s9, s8, 31
	s_wait_alu 0xfffe
	s_lshl_b64 s[52:53], s[8:9], 3
	s_add_co_i32 s8, s8, s33
	s_wait_alu 0xfffe
	v_add_co_u32 v25, vcc_lo, v33, s52
	s_ashr_i32 s9, s8, 31
	s_wait_alu 0xfffd
	v_add_co_ci_u32_e64 v26, null, s53, v34, vcc_lo
	s_wait_alu 0xfffe
	s_lshl_b64 s[52:53], s[8:9], 3
	s_add_co_i32 s8, s8, s33
	s_wait_alu 0xfffe
	v_add_co_u32 v41, vcc_lo, v33, s52
	s_ashr_i32 s9, s8, 31
	s_wait_alu 0xfffd
	v_add_co_ci_u32_e64 v42, null, s53, v34, vcc_lo
	s_wait_alu 0xfffe
	s_lshl_b64 s[52:53], s[8:9], 3
	s_add_co_i32 s8, s8, s33
	s_wait_alu 0xfffe
	v_add_co_u32 v63, vcc_lo, v33, s52
	s_wait_alu 0xfffd
	v_add_co_ci_u32_e64 v64, null, s53, v34, vcc_lo
	s_ashr_i32 s9, s8, 31
	s_wait_dscnt 0x0
	s_clause 0x1
	global_load_b128 v[21:24], v[25:26], off offset:16
	global_load_b128 v[25:28], v[25:26], off
	s_wait_alu 0xfffe
	s_lshl_b64 s[8:9], s[8:9], 3
	s_clause 0x2
	global_load_b64 v[45:46], v[15:16], off
	global_load_b64 v[47:48], v[17:18], off
	;; [unrolled: 1-line block ×3, first 2 shown]
	s_clause 0x2
	global_load_b128 v[51:54], v[41:42], off
	global_load_b128 v[55:58], v[41:42], off offset:16
	global_load_b128 v[59:62], v[63:64], off
	s_wait_alu 0xfffe
	v_add_co_u32 v41, vcc_lo, v33, s8
	s_wait_alu 0xfffd
	v_add_co_ci_u32_e64 v42, null, s9, v34, vcc_lo
	s_clause 0x2
	global_load_b128 v[63:66], v[63:64], off offset:16
	global_load_b128 v[67:70], v[41:42], off
	global_load_b128 v[71:74], v[41:42], off offset:16
	s_wait_loadcnt 0x8
	scratch_store_b128 off, v[43:46], off
	s_wait_loadcnt 0x6
	scratch_store_b128 off, v[47:50], off offset:16
	v_dual_mul_f32 v4, v44, v26 :: v_dual_mul_f32 v41, v46, v28
	v_dual_mul_f32 v26, v43, v26 :: v_dual_mul_f32 v75, v50, v24
	s_wait_loadcnt 0x5
	v_dual_mul_f32 v28, v45, v28 :: v_dual_mul_f32 v77, v46, v54
	v_mul_f32_e32 v42, v48, v22
	v_mul_f32_e32 v22, v47, v22
	s_wait_loadcnt 0x4
	v_dual_mul_f32 v24, v49, v24 :: v_dual_mul_f32 v79, v50, v58
	v_mul_f32_e32 v78, v48, v56
	v_mul_f32_e32 v56, v47, v56
	v_fma_f32 v4, v43, v25, -v4
	v_fmac_f32_e32 v26, v44, v25
	v_fma_f32 v25, v45, v27, -v41
	v_fmac_f32_e32 v22, v48, v21
	s_wait_loadcnt 0x1
	v_dual_fmac_f32 v24, v50, v23 :: v_dual_mul_f32 v41, v43, v68
	v_fmac_f32_e32 v56, v48, v55
	v_fmac_f32_e32 v28, v46, v27
	v_fma_f32 v27, v47, v21, -v42
	v_fma_f32 v21, v49, v23, -v75
	v_mul_f32_e32 v23, v44, v68
	v_dual_mul_f32 v76, v44, v52 :: v_dual_mul_f32 v81, v46, v62
	v_dual_mul_f32 v52, v43, v52 :: v_dual_mul_f32 v83, v50, v66
	v_mul_f32_e32 v42, v46, v70
	s_delay_alu instid0(VALU_DEP_4)
	v_fma_f32 v23, v43, v67, -v23
	v_dual_mul_f32 v54, v45, v54 :: v_dual_fmac_f32 v41, v44, v67
	v_mul_f32_e32 v80, v44, v60
	v_fmac_f32_e32 v52, v44, v51
	v_fma_f32 v42, v45, v69, -v42
	v_add_f32_e32 v23, 0, v23
	s_wait_loadcnt 0x0
	v_mul_f32_e32 v75, v50, v74
	v_mul_f32_e32 v74, v49, v74
	v_fma_f32 v76, v43, v51, -v76
	v_mul_f32_e32 v58, v49, v58
	v_fma_f32 v51, v45, v53, -v77
	v_fmac_f32_e32 v54, v46, v53
	v_fma_f32 v53, v47, v55, -v78
	v_fma_f32 v55, v49, v57, -v79
	v_mul_f32_e32 v68, v45, v70
	v_add_f32_e32 v4, 0, v4
	v_add_f32_e32 v52, 0, v52
	v_mul_f32_e32 v60, v43, v60
	v_add_f32_e32 v23, v23, v42
	v_add_f32_e32 v26, 0, v26
	v_mul_f32_e32 v62, v45, v62
	v_fmac_f32_e32 v68, v46, v69
	v_fmac_f32_e32 v74, v50, v73
	v_mul_f32_e32 v70, v48, v72
	v_mul_f32_e32 v72, v47, v72
	v_dual_add_f32 v69, 0, v76 :: v_dual_fmac_f32 v58, v50, v57
	v_fma_f32 v57, v43, v59, -v80
	v_dual_add_f32 v4, v4, v25 :: v_dual_add_f32 v25, v26, v28
	v_dual_add_f32 v26, 0, v41 :: v_dual_add_f32 v41, v52, v54
	v_fmac_f32_e32 v60, v44, v59
	v_mul_f32_e32 v66, v49, v66
	v_fma_f32 v59, v45, v61, -v81
	v_fmac_f32_e32 v62, v46, v61
	v_dual_fmac_f32 v72, v48, v71 :: v_dual_add_f32 v57, 0, v57
	v_mul_f32_e32 v82, v48, v64
	v_add_f32_e32 v60, 0, v60
	v_add_f32_e32 v4, v4, v27
	v_mul_f32_e32 v64, v47, v64
	v_dual_add_f32 v22, v25, v22 :: v_dual_add_f32 v25, v26, v68
	v_add_f32_e32 v28, v69, v51
	v_add_f32_e32 v51, v57, v59
	v_fma_f32 v61, v47, v63, -v82
	v_dual_add_f32 v52, v60, v62 :: v_dual_add_f32 v27, v41, v56
	v_add_f32_e32 v41, v4, v21
	v_dual_fmac_f32 v64, v48, v63 :: v_dual_add_f32 v21, v25, v72
	v_fma_f32 v63, v49, v65, -v83
	v_fmac_f32_e32 v66, v50, v65
	v_add_f32_e32 v26, v28, v53
	s_delay_alu instid0(VALU_DEP_4)
	v_dual_add_f32 v28, v51, v61 :: v_dual_add_f32 v51, v52, v64
	v_add_f32_e32 v42, v22, v24
	v_add_f32_e32 v24, v27, v58
	;; [unrolled: 1-line block ×3, first 2 shown]
	v_fma_f32 v65, v47, v71, -v70
	v_fma_f32 v67, v49, v73, -v75
	s_delay_alu instid0(VALU_DEP_2) | instskip(SKIP_1) | instid1(VALU_DEP_2)
	v_dual_add_f32 v25, v28, v63 :: v_dual_add_f32 v4, v23, v65
	v_dual_add_f32 v23, v26, v55 :: v_dual_add_f32 v26, v51, v66
	v_add_f32_e32 v28, v4, v67
	s_and_not1_saveexec_b32 s30, s7
	s_cbranch_execz .LBB121_14
.LBB121_40:                             ;   in Loop: Header=BB121_12 Depth=2
	v_dual_mov_b32 v41, 0 :: v_dual_mov_b32 v42, 0
	v_dual_mov_b32 v23, 0 :: v_dual_mov_b32 v24, 0
	;; [unrolled: 1-line block ×3, first 2 shown]
	s_wait_dscnt 0x0
	v_dual_mov_b32 v28, 0 :: v_dual_mov_b32 v27, 0
	s_and_saveexec_b32 s68, s2
	s_cbranch_execz .LBB121_56
; %bb.41:                               ;   in Loop: Header=BB121_12 Depth=2
	s_and_not1_b32 vcc_lo, exec_lo, s12
	s_wait_alu 0xfffe
	s_cbranch_vccnz .LBB121_55
; %bb.42:                               ;   in Loop: Header=BB121_12 Depth=2
	v_mov_b32_e32 v21, v1
	s_mov_b32 s7, 0
	s_mov_b32 s8, s59
.LBB121_43:                             ;   Parent Loop BB121_3 Depth=1
                                        ;     Parent Loop BB121_12 Depth=2
                                        ; =>    This Inner Loop Header: Depth=3
	s_delay_alu instid0(VALU_DEP_1) | instskip(SKIP_2) | instid1(VALU_DEP_1)
	v_ashrrev_i32_e32 v22, 31, v21
	s_wait_alu 0xfffe
	s_add_co_i32 s8, s8, -1
	v_lshlrev_b64_e32 v[22:23], 3, v[21:22]
	v_add_nc_u32_e32 v21, s10, v21
	s_delay_alu instid0(VALU_DEP_2) | instskip(SKIP_1) | instid1(VALU_DEP_3)
	v_add_co_u32 v22, vcc_lo, s46, v22
	s_wait_alu 0xfffd
	v_add_co_ci_u32_e64 v23, null, s47, v23, vcc_lo
	global_load_b64 v[22:23], v[22:23], off
	s_wait_loadcnt 0x0
	scratch_store_b64 off, v[22:23], s7
	s_add_co_i32 s7, s7, 8
	s_wait_alu 0xfffe
	s_cmp_eq_u32 s8, 0
	s_cbranch_scc0 .LBB121_43
; %bb.44:                               ;   in Loop: Header=BB121_12 Depth=2
	s_ashr_i32 s7, s6, 31
	v_dual_mov_b32 v27, 0 :: v_dual_mov_b32 v28, 0
	s_wait_alu 0xfffe
	s_lshl_b64 s[8:9], s[6:7], 3
	v_dual_mov_b32 v26, 0 :: v_dual_mov_b32 v25, 0
	s_wait_alu 0xfffe
	v_add_co_u32 v21, vcc_lo, v39, s8
	s_wait_alu 0xfffd
	v_add_co_ci_u32_e64 v22, null, s9, v40, vcc_lo
	v_dual_mov_b32 v24, 0 :: v_dual_mov_b32 v23, 0
	v_dual_mov_b32 v42, 0 :: v_dual_mov_b32 v41, 0
	s_mov_b32 s7, s64
	s_mov_b32 s8, s65
	;; [unrolled: 1-line block ×5, first 2 shown]
.LBB121_45:                             ;   Parent Loop BB121_3 Depth=1
                                        ;     Parent Loop BB121_12 Depth=2
                                        ; =>    This Inner Loop Header: Depth=3
	s_ashr_i32 s55, s54, 31
	s_wait_alu 0xfffe
	s_ashr_i32 s53, s52, 31
	s_lshl_b64 s[70:71], s[54:55], 3
	s_ashr_i32 s9, s8, 31
	s_wait_alu 0xfffe
	s_lshl_b64 s[72:73], s[52:53], 3
	v_add_co_u32 v47, vcc_lo, v33, s70
	s_lshl_b64 s[74:75], s[8:9], 3
	s_wait_alu 0xfffd
	v_add_co_ci_u32_e64 v48, null, s71, v34, vcc_lo
	s_wait_alu 0xfffe
	v_add_co_u32 v49, vcc_lo, v33, s72
	scratch_load_b64 v[43:44], off, s7 offset:-4
	global_load_b64 v[45:46], v[21:22], off
	s_wait_alu 0xfffd
	v_add_co_ci_u32_e64 v50, null, s73, v34, vcc_lo
	v_add_co_u32 v51, vcc_lo, v33, s74
	s_wait_alu 0xfffd
	v_add_co_ci_u32_e64 v52, null, s75, v34, vcc_lo
	s_clause 0x2
	global_load_b64 v[47:48], v[47:48], off
	global_load_b64 v[49:50], v[49:50], off
	;; [unrolled: 1-line block ×3, first 2 shown]
	v_add_co_u32 v21, vcc_lo, v21, 8
	s_wait_alu 0xfffd
	v_add_co_ci_u32_e64 v22, null, 0, v22, vcc_lo
	s_add_co_i32 s69, s69, -1
	s_add_co_i32 s7, s7, 8
	s_add_co_i32 s54, s54, 1
	s_add_co_i32 s52, s52, 1
	s_add_co_i32 s8, s8, 1
	s_cmp_lg_u32 s69, 0
	s_wait_loadcnt 0x3
	v_mul_f32_e32 v4, v44, v46
	v_mul_f32_e32 v46, v43, v46
	s_delay_alu instid0(VALU_DEP_2) | instskip(NEXT) | instid1(VALU_DEP_2)
	v_fma_f32 v4, v43, v45, -v4
	v_fmac_f32_e32 v46, v44, v45
	s_wait_loadcnt 0x2
	v_mul_f32_e32 v45, v44, v48
	s_wait_loadcnt 0x1
	v_dual_mul_f32 v48, v43, v48 :: v_dual_mul_f32 v53, v44, v50
	v_mul_f32_e32 v50, v43, v50
	s_wait_loadcnt 0x0
	v_mul_f32_e32 v54, v44, v52
	v_mul_f32_e32 v52, v43, v52
	v_add_f32_e32 v41, v41, v4
	v_fma_f32 v4, v43, v47, -v45
	v_fma_f32 v45, v43, v49, -v53
	v_fmac_f32_e32 v50, v44, v49
	v_fma_f32 v43, v43, v51, -v54
	v_fmac_f32_e32 v52, v44, v51
	v_fmac_f32_e32 v48, v44, v47
	v_dual_add_f32 v42, v42, v46 :: v_dual_add_f32 v23, v23, v4
	v_dual_add_f32 v25, v25, v45 :: v_dual_add_f32 v26, v26, v50
	s_delay_alu instid0(VALU_DEP_4) | instskip(NEXT) | instid1(VALU_DEP_4)
	v_dual_add_f32 v28, v28, v43 :: v_dual_add_f32 v27, v27, v52
	v_add_f32_e32 v24, v24, v48
	s_cbranch_scc1 .LBB121_45
	s_branch .LBB121_56
.LBB121_46:                             ;   in Loop: Header=BB121_12 Depth=2
	ds_load_b64 v[21:22], v0
	s_wait_alu 0xfffe
	s_or_b32 exec_lo, exec_lo, s7
	s_and_saveexec_b32 s7, s3
	s_cbranch_execz .LBB121_20
.LBB121_47:                             ;   in Loop: Header=BB121_12 Depth=2
	s_wait_dscnt 0x0
	ds_bpermute_b32 v4, v36, v21
	ds_bpermute_b32 v41, v36, v22
	s_wait_dscnt 0x0
	v_dual_add_f32 v4, v21, v4 :: v_dual_add_f32 v21, v22, v41
	ds_bpermute_b32 v22, v37, v4
	ds_bpermute_b32 v41, v37, v21
	s_wait_dscnt 0x1
	v_add_f32_e32 v4, v4, v22
	s_wait_dscnt 0x0
	v_add_f32_e32 v22, v21, v41
	ds_bpermute_b32 v21, v38, v4
	ds_bpermute_b32 v41, v38, v22
	s_wait_dscnt 0x1
	v_add_f32_e32 v21, v4, v21
	s_wait_dscnt 0x0
	v_add_f32_e32 v22, v22, v41
	s_wait_alu 0xfffe
	s_or_b32 exec_lo, exec_lo, s7
	s_and_saveexec_b32 s7, s3
	s_cbranch_execnz .LBB121_21
	s_branch .LBB121_22
.LBB121_48:                             ;   in Loop: Header=BB121_12 Depth=2
	ds_load_b64 v[23:24], v0
	s_wait_alu 0xfffe
	s_or_b32 exec_lo, exec_lo, s7
	s_and_saveexec_b32 s7, s3
	s_cbranch_execz .LBB121_26
.LBB121_49:                             ;   in Loop: Header=BB121_12 Depth=2
	s_wait_dscnt 0x0
	ds_bpermute_b32 v4, v36, v23
	ds_bpermute_b32 v41, v36, v24
	s_wait_dscnt 0x0
	v_dual_add_f32 v4, v23, v4 :: v_dual_add_f32 v23, v24, v41
	ds_bpermute_b32 v24, v37, v4
	ds_bpermute_b32 v41, v37, v23
	s_wait_dscnt 0x1
	v_add_f32_e32 v4, v4, v24
	s_wait_dscnt 0x0
	v_add_f32_e32 v24, v23, v41
	ds_bpermute_b32 v23, v38, v4
	s_wait_dscnt 0x0
	v_add_f32_e32 v23, v4, v23
	ds_bpermute_b32 v41, v38, v24
	s_wait_dscnt 0x0
	v_add_f32_e32 v24, v24, v41
	s_wait_alu 0xfffe
	s_or_b32 exec_lo, exec_lo, s7
	s_and_saveexec_b32 s7, s3
	s_cbranch_execnz .LBB121_27
	s_branch .LBB121_28
.LBB121_50:                             ;   in Loop: Header=BB121_12 Depth=2
	ds_load_b64 v[25:26], v0
	s_wait_alu 0xfffe
	s_or_b32 exec_lo, exec_lo, s7
	s_and_saveexec_b32 s7, s3
	s_cbranch_execz .LBB121_32
.LBB121_51:                             ;   in Loop: Header=BB121_12 Depth=2
	s_wait_dscnt 0x0
	ds_bpermute_b32 v4, v36, v25
	ds_bpermute_b32 v41, v36, v26
	s_wait_dscnt 0x0
	v_dual_add_f32 v4, v25, v4 :: v_dual_add_f32 v25, v26, v41
	ds_bpermute_b32 v26, v37, v4
	ds_bpermute_b32 v41, v37, v25
	s_wait_dscnt 0x1
	v_add_f32_e32 v4, v4, v26
	s_wait_dscnt 0x0
	v_add_f32_e32 v26, v25, v41
	ds_bpermute_b32 v25, v38, v4
	ds_bpermute_b32 v41, v38, v26
	s_wait_dscnt 0x1
	v_add_f32_e32 v25, v4, v25
	s_wait_dscnt 0x0
	v_add_f32_e32 v26, v26, v41
	s_wait_alu 0xfffe
	s_or_b32 exec_lo, exec_lo, s7
	s_and_saveexec_b32 s7, s3
	s_cbranch_execnz .LBB121_33
	s_branch .LBB121_34
.LBB121_52:                             ;   in Loop: Header=BB121_12 Depth=2
	ds_load_b64 v[27:28], v0
	s_wait_alu 0xfffe
	s_or_b32 exec_lo, exec_lo, s7
	s_and_saveexec_b32 s7, s3
	s_cbranch_execz .LBB121_38
.LBB121_53:                             ;   in Loop: Header=BB121_12 Depth=2
	s_wait_dscnt 0x0
	ds_bpermute_b32 v4, v36, v27
	ds_bpermute_b32 v41, v36, v28
	s_wait_dscnt 0x0
	v_dual_add_f32 v4, v27, v4 :: v_dual_add_f32 v27, v28, v41
	ds_bpermute_b32 v28, v37, v4
	ds_bpermute_b32 v41, v37, v27
	s_wait_dscnt 0x1
	v_add_f32_e32 v4, v4, v28
	s_wait_dscnt 0x0
	v_add_f32_e32 v28, v27, v41
	ds_bpermute_b32 v27, v38, v4
	s_wait_dscnt 0x0
	v_add_f32_e32 v27, v4, v27
	ds_bpermute_b32 v41, v38, v28
	s_wait_dscnt 0x0
	v_add_f32_e32 v28, v28, v41
	s_wait_alu 0xfffe
	s_or_b32 exec_lo, exec_lo, s7
	s_and_saveexec_b32 s7, s0
	s_cbranch_execz .LBB121_11
.LBB121_54:                             ;   in Loop: Header=BB121_12 Depth=2
	v_dual_mul_f32 v4, s15, v22 :: v_dual_mul_f32 v43, s15, v24
	v_mul_f32_e32 v42, s14, v22
	s_mul_i32 s8, s25, s28
	v_mul_f32_e32 v22, s14, v24
	s_wait_alu 0xfffe
	s_add_co_i32 s30, s8, s26
	v_fma_f32 v41, v21, s14, -v4
	s_lshl_b64 s[8:9], s[30:31], 3
	v_fmac_f32_e32 v42, s15, v21
	s_add_co_i32 s30, s30, s28
	v_fma_f32 v21, v23, s14, -v43
	v_fmac_f32_e32 v22, s15, v23
	v_mul_f32_e32 v4, s15, v26
	s_lshl_b64 s[52:53], s[30:31], 3
	s_wait_alu 0xfffe
	s_add_nc_u64 s[8:9], s[50:51], s[8:9]
	s_add_nc_u64 s[52:53], s[50:51], s[52:53]
	s_clause 0x1
	global_store_b64 v3, v[41:42], s[8:9]
	global_store_b64 v3, v[21:22], s[52:53]
	v_mul_f32_e32 v22, s14, v26
	v_fma_f32 v21, v25, s14, -v4
	s_wait_dscnt 0x0
	v_mul_f32_e32 v4, s15, v28
	v_mul_f32_e32 v24, s14, v28
	s_add_co_i32 s30, s30, s28
	v_fmac_f32_e32 v22, s15, v25
	s_lshl_b64 s[8:9], s[30:31], 3
	s_add_co_i32 s30, s30, s28
	v_fma_f32 v23, v27, s14, -v4
	v_fmac_f32_e32 v24, s15, v27
	s_lshl_b64 s[52:53], s[30:31], 3
	s_wait_alu 0xfffe
	s_add_nc_u64 s[8:9], s[50:51], s[8:9]
	s_add_nc_u64 s[52:53], s[50:51], s[52:53]
	s_clause 0x1
	global_store_b64 v3, v[21:22], s[8:9]
	global_store_b64 v3, v[23:24], s[52:53]
	s_branch .LBB121_11
.LBB121_55:                             ;   in Loop: Header=BB121_12 Depth=2
	v_dual_mov_b32 v41, 0 :: v_dual_mov_b32 v42, 0
	v_dual_mov_b32 v23, 0 :: v_dual_mov_b32 v24, 0
	v_dual_mov_b32 v25, 0 :: v_dual_mov_b32 v26, 0
	v_dual_mov_b32 v28, 0 :: v_dual_mov_b32 v27, 0
.LBB121_56:                             ;   in Loop: Header=BB121_12 Depth=2
	s_or_b32 exec_lo, exec_lo, s68
	s_delay_alu instid0(SALU_CYCLE_1)
	s_or_b32 exec_lo, exec_lo, s30
	s_and_saveexec_b32 s7, s3
	s_cbranch_execnz .LBB121_15
	s_branch .LBB121_16
.LBB121_57:                             ;   in Loop: Header=BB121_3 Depth=1
	s_mov_b32 s25, 0
.LBB121_58:                             ;   in Loop: Header=BB121_3 Depth=1
	s_delay_alu instid0(SALU_CYCLE_1)
	s_cmp_ge_i32 s25, s13
	s_cbranch_scc1 .LBB121_2
; %bb.59:                               ;   in Loop: Header=BB121_3 Depth=1
	v_cmp_gt_u32_e32 vcc_lo, 24, v32
	s_wait_alu 0xfffe
	s_add_nc_u64 s[6:7], s[50:51], s[36:37]
	s_mul_i32 s8, s33, s25
	s_mov_b32 s30, s25
	s_wait_alu 0xfffd
	v_cndmask_b32_e64 v4, 0, 8, vcc_lo
	v_cmp_gt_u32_e32 vcc_lo, 28, v32
	s_delay_alu instid0(VALU_DEP_2) | instskip(SKIP_3) | instid1(VALU_DEP_2)
	v_add_lshl_u32 v23, v4, v32, 2
	s_wait_alu 0xfffd
	v_cndmask_b32_e64 v13, 0, 4, vcc_lo
	v_cmp_gt_u32_e32 vcc_lo, 30, v32
	v_add_lshl_u32 v24, v13, v32, 2
	s_wait_alu 0xfffd
	v_cndmask_b32_e64 v14, 0, 2, vcc_lo
	v_cmp_ne_u32_e32 vcc_lo, 31, v32
	s_delay_alu instid0(VALU_DEP_2)
	v_add_lshl_u32 v25, v14, v32, 2
	s_wait_alu 0xfffd
	v_add_co_ci_u32_e64 v15, null, 0, v32, vcc_lo
	v_add_co_u32 v13, vcc_lo, s46, v5
	s_wait_alu 0xfffd
	v_add_co_ci_u32_e64 v14, null, s47, v6, vcc_lo
	s_delay_alu instid0(VALU_DEP_3)
	v_lshlrev_b32_e32 v26, 2, v15
	v_add_co_u32 v15, vcc_lo, s46, v7
	s_wait_alu 0xfffd
	v_add_co_ci_u32_e64 v16, null, s47, v8, vcc_lo
	v_add_co_u32 v17, vcc_lo, s46, v9
	s_wait_alu 0xfffd
	v_add_co_ci_u32_e64 v18, null, s47, v10, vcc_lo
	;; [unrolled: 3-line block ×3, first 2 shown]
	s_wait_dscnt 0x0
	v_add_co_u32 v27, vcc_lo, v29, s48
	s_wait_alu 0xfffd
	v_add_co_ci_u32_e64 v28, null, s49, v30, vcc_lo
	s_branch .LBB121_61
.LBB121_60:                             ;   in Loop: Header=BB121_61 Depth=2
	s_wait_alu 0xfffe
	s_or_b32 exec_lo, exec_lo, s9
	s_add_co_i32 s30, s30, 1
	s_add_co_i32 s8, s8, s33
	s_cmp_lt_i32 s30, s13
	s_cbranch_scc0 .LBB121_2
.LBB121_61:                             ;   Parent Loop BB121_3 Depth=1
                                        ; =>  This Loop Header: Depth=2
                                        ;       Child Loop BB121_73 Depth 3
                                        ;       Child Loop BB121_75 Depth 3
                                        ; implicit-def: $vgpr35
                                        ; implicit-def: $vgpr36
	s_and_saveexec_b32 s9, s1
	s_wait_alu 0xfffe
	s_xor_b32 s9, exec_lo, s9
	s_cbranch_execnz .LBB121_70
; %bb.62:                               ;   in Loop: Header=BB121_61 Depth=2
	s_wait_alu 0xfffe
	s_and_not1_saveexec_b32 s25, s9
	s_cbranch_execnz .LBB121_71
.LBB121_63:                             ;   in Loop: Header=BB121_61 Depth=2
	s_or_b32 exec_lo, exec_lo, s25
	s_and_saveexec_b32 s9, s3
.LBB121_64:                             ;   in Loop: Header=BB121_61 Depth=2
	v_mov_b32_e32 v4, v3
	ds_store_b64 v0, v[3:4]
.LBB121_65:                             ;   in Loop: Header=BB121_61 Depth=2
	s_wait_alu 0xfffe
	s_or_b32 exec_lo, exec_lo, s9
	ds_bpermute_b32 v4, v2, v35
	s_wait_dscnt 0x1
	ds_bpermute_b32 v21, v2, v36
	s_wait_storecnt 0x0
	s_wait_loadcnt_dscnt 0x0
	s_barrier_signal -1
	s_barrier_wait -1
	global_inv scope:SCOPE_SE
	v_dual_add_f32 v4, v35, v4 :: v_dual_add_f32 v21, v36, v21
	ds_bpermute_b32 v22, v23, v4
	ds_bpermute_b32 v35, v23, v21
	s_wait_dscnt 0x0
	v_dual_add_f32 v4, v4, v22 :: v_dual_add_f32 v21, v21, v35
	ds_bpermute_b32 v22, v24, v4
	ds_bpermute_b32 v35, v24, v21
	s_wait_dscnt 0x0
	;; [unrolled: 4-line block ×3, first 2 shown]
	v_dual_add_f32 v4, v4, v22 :: v_dual_add_f32 v21, v21, v35
	ds_bpermute_b32 v22, v26, v4
	ds_bpermute_b32 v35, v26, v21
	s_and_saveexec_b32 s9, s4
	s_cbranch_execz .LBB121_67
; %bb.66:                               ;   in Loop: Header=BB121_61 Depth=2
	s_wait_dscnt 0x0
	v_dual_add_f32 v36, v21, v35 :: v_dual_add_f32 v35, v4, v22
	ds_store_b64 v31, v[35:36]
.LBB121_67:                             ;   in Loop: Header=BB121_61 Depth=2
	s_wait_alu 0xfffe
	s_or_b32 exec_lo, exec_lo, s9
	s_wait_dscnt 0x1
	v_dual_mov_b32 v22, 0 :: v_dual_mov_b32 v21, 0
	s_wait_loadcnt_dscnt 0x0
	s_barrier_signal -1
	s_barrier_wait -1
	global_inv scope:SCOPE_SE
	s_and_saveexec_b32 s9, s5
	s_cbranch_execnz .LBB121_77
; %bb.68:                               ;   in Loop: Header=BB121_61 Depth=2
	s_wait_alu 0xfffe
	s_or_b32 exec_lo, exec_lo, s9
	s_and_saveexec_b32 s9, s3
	s_cbranch_execnz .LBB121_78
.LBB121_69:                             ;   in Loop: Header=BB121_61 Depth=2
	s_wait_alu 0xfffe
	s_or_b32 exec_lo, exec_lo, s9
	s_and_saveexec_b32 s9, s0
	s_cbranch_execz .LBB121_60
	s_branch .LBB121_79
.LBB121_70:                             ;   in Loop: Header=BB121_61 Depth=2
	s_mul_i32 s48, s30, s33
	s_wait_alu 0xfffe
	s_ashr_i32 s49, s48, 31
	s_wait_alu 0xfffe
	s_lshl_b64 s[48:49], s[48:49], 3
	s_wait_dscnt 0x0
	s_wait_alu 0xfffe
	v_add_co_u32 v21, vcc_lo, v33, s48
	s_wait_alu 0xfffd
	v_add_co_ci_u32_e64 v22, null, s49, v34, vcc_lo
	global_load_b128 v[35:38], v[21:22], off
	s_clause 0x1
	global_load_b64 v[39:40], v[13:14], off
	global_load_b64 v[41:42], v[15:16], off
	global_load_b128 v[43:46], v[21:22], off offset:16
	s_clause 0x1
	global_load_b64 v[47:48], v[17:18], off
	global_load_b64 v[49:50], v[19:20], off
	s_wait_loadcnt 0x3
	scratch_store_b128 off, v[39:42], off
	s_wait_loadcnt 0x0
	scratch_store_b128 off, v[47:50], off offset:16
	v_mul_f32_e32 v4, v40, v36
	v_dual_mul_f32 v21, v39, v36 :: v_dual_mul_f32 v22, v42, v38
	v_mul_f32_e32 v36, v41, v38
	s_delay_alu instid0(VALU_DEP_3) | instskip(NEXT) | instid1(VALU_DEP_3)
	v_fma_f32 v4, v39, v35, -v4
	v_fmac_f32_e32 v21, v40, v35
	v_mul_f32_e32 v38, v48, v44
	v_mul_f32_e32 v44, v47, v44
	v_fma_f32 v22, v41, v37, -v22
	v_fmac_f32_e32 v36, v42, v37
	v_add_f32_e32 v21, 0, v21
	v_dual_mul_f32 v37, v49, v46 :: v_dual_add_f32 v4, 0, v4
	v_mul_f32_e32 v35, v50, v46
	v_fma_f32 v38, v47, v43, -v38
	s_delay_alu instid0(VALU_DEP_4) | instskip(NEXT) | instid1(VALU_DEP_4)
	v_dual_fmac_f32 v44, v48, v43 :: v_dual_add_f32 v21, v21, v36
	v_dual_fmac_f32 v37, v50, v45 :: v_dual_add_f32 v4, v4, v22
	s_delay_alu instid0(VALU_DEP_4) | instskip(NEXT) | instid1(VALU_DEP_2)
	v_fma_f32 v22, v49, v45, -v35
	v_dual_add_f32 v21, v21, v44 :: v_dual_add_f32 v4, v4, v38
	s_delay_alu instid0(VALU_DEP_1)
	v_dual_add_f32 v36, v21, v37 :: v_dual_add_f32 v35, v4, v22
	s_and_not1_saveexec_b32 s25, s9
	s_cbranch_execz .LBB121_63
.LBB121_71:                             ;   in Loop: Header=BB121_61 Depth=2
	v_dual_mov_b32 v35, 0 :: v_dual_mov_b32 v36, 0
	s_and_saveexec_b32 s48, s27
	s_cbranch_execz .LBB121_76
; %bb.72:                               ;   in Loop: Header=BB121_61 Depth=2
	s_wait_dscnt 0x0
	v_mov_b32_e32 v21, v1
	s_mov_b32 s9, 0
	s_mov_b32 s49, s59
.LBB121_73:                             ;   Parent Loop BB121_3 Depth=1
                                        ;     Parent Loop BB121_61 Depth=2
                                        ; =>    This Inner Loop Header: Depth=3
	s_delay_alu instid0(VALU_DEP_1) | instskip(SKIP_2) | instid1(VALU_DEP_1)
	v_ashrrev_i32_e32 v22, 31, v21
	s_wait_alu 0xfffe
	s_add_co_i32 s49, s49, -1
	v_lshlrev_b64_e32 v[35:36], 3, v[21:22]
	v_add_nc_u32_e32 v21, s10, v21
	s_delay_alu instid0(VALU_DEP_2) | instskip(SKIP_1) | instid1(VALU_DEP_3)
	v_add_co_u32 v35, vcc_lo, s46, v35
	s_wait_alu 0xfffd
	v_add_co_ci_u32_e64 v36, null, s47, v36, vcc_lo
	global_load_b64 v[35:36], v[35:36], off
	s_wait_loadcnt 0x0
	scratch_store_b64 off, v[35:36], s9
	s_add_co_i32 s9, s9, 8
	s_wait_alu 0xfffe
	s_cmp_eq_u32 s49, 0
	s_cbranch_scc0 .LBB121_73
; %bb.74:                               ;   in Loop: Header=BB121_61 Depth=2
	s_ashr_i32 s9, s8, 31
	v_dual_mov_b32 v35, 0 :: v_dual_mov_b32 v36, 0
	s_wait_alu 0xfffe
	s_lshl_b64 s[50:51], s[8:9], 3
	s_mov_b32 s9, s64
	s_wait_alu 0xfffe
	v_add_co_u32 v21, vcc_lo, v27, s50
	s_wait_alu 0xfffd
	v_add_co_ci_u32_e64 v22, null, s51, v28, vcc_lo
	s_mov_b32 s49, s59
.LBB121_75:                             ;   Parent Loop BB121_3 Depth=1
                                        ;     Parent Loop BB121_61 Depth=2
                                        ; =>    This Inner Loop Header: Depth=3
	global_load_b64 v[37:38], v[21:22], off
	scratch_load_b64 v[39:40], off, s9 offset:-4
	v_add_co_u32 v21, vcc_lo, v21, 8
	s_wait_alu 0xfffd
	v_add_co_ci_u32_e64 v22, null, 0, v22, vcc_lo
	s_wait_alu 0xfffe
	s_add_co_i32 s49, s49, -1
	s_add_co_i32 s9, s9, 8
	s_wait_alu 0xfffe
	s_cmp_lg_u32 s49, 0
	s_wait_loadcnt 0x0
	v_mul_f32_e32 v4, v40, v38
	v_mul_f32_e32 v38, v39, v38
	s_delay_alu instid0(VALU_DEP_2) | instskip(NEXT) | instid1(VALU_DEP_1)
	v_fma_f32 v4, v39, v37, -v4
	v_dual_fmac_f32 v38, v40, v37 :: v_dual_add_f32 v35, v35, v4
	s_delay_alu instid0(VALU_DEP_1)
	v_add_f32_e32 v36, v36, v38
	s_cbranch_scc1 .LBB121_75
.LBB121_76:                             ;   in Loop: Header=BB121_61 Depth=2
	s_wait_alu 0xfffe
	s_or_b32 exec_lo, exec_lo, s48
	s_delay_alu instid0(SALU_CYCLE_1)
	s_or_b32 exec_lo, exec_lo, s25
	s_and_saveexec_b32 s9, s3
	s_cbranch_execnz .LBB121_64
	s_branch .LBB121_65
.LBB121_77:                             ;   in Loop: Header=BB121_61 Depth=2
	ds_load_b64 v[21:22], v0
	s_wait_alu 0xfffe
	s_or_b32 exec_lo, exec_lo, s9
	s_and_saveexec_b32 s9, s3
	s_cbranch_execz .LBB121_69
.LBB121_78:                             ;   in Loop: Header=BB121_61 Depth=2
	s_wait_dscnt 0x0
	ds_bpermute_b32 v4, v24, v21
	ds_bpermute_b32 v35, v24, v22
	s_wait_dscnt 0x0
	v_dual_add_f32 v4, v21, v4 :: v_dual_add_f32 v21, v22, v35
	ds_bpermute_b32 v22, v25, v4
	ds_bpermute_b32 v35, v25, v21
	s_wait_dscnt 0x1
	v_add_f32_e32 v4, v4, v22
	s_wait_dscnt 0x0
	v_add_f32_e32 v22, v21, v35
	ds_bpermute_b32 v21, v26, v4
	s_wait_dscnt 0x0
	v_add_f32_e32 v21, v4, v21
	ds_bpermute_b32 v35, v26, v22
	s_wait_dscnt 0x0
	v_add_f32_e32 v22, v22, v35
	s_wait_alu 0xfffe
	s_or_b32 exec_lo, exec_lo, s9
	s_and_saveexec_b32 s9, s0
	s_cbranch_execz .LBB121_60
.LBB121_79:                             ;   in Loop: Header=BB121_61 Depth=2
	s_wait_dscnt 0x0
	v_mul_f32_e32 v4, s15, v22
	v_mul_f32_e32 v36, s14, v22
	s_mul_u64 s[48:49], s[30:31], s[28:29]
	s_wait_alu 0xfffe
	s_lshl_b64 s[48:49], s[48:49], 3
	v_fma_f32 v35, v21, s14, -v4
	v_fmac_f32_e32 v36, s15, v21
	s_wait_alu 0xfffe
	s_add_nc_u64 s[48:49], s[6:7], s[48:49]
	global_store_b64 v3, v[35:36], s[48:49]
	s_branch .LBB121_60
.LBB121_80:
	s_endpgm
	.section	.rodata,"a",@progbits
	.p2align	6, 0x0
	.amdhsa_kernel _ZL23rocblas_gemvt_sn_kernelILb0ELi256ELi4Ei19rocblas_complex_numIfES1_S1_EviiT4_lPKT3_lilS5_lilPT5_i
		.amdhsa_group_segment_fixed_size 256
		.amdhsa_private_segment_fixed_size 48
		.amdhsa_kernarg_size 360
		.amdhsa_user_sgpr_count 2
		.amdhsa_user_sgpr_dispatch_ptr 0
		.amdhsa_user_sgpr_queue_ptr 0
		.amdhsa_user_sgpr_kernarg_segment_ptr 1
		.amdhsa_user_sgpr_dispatch_id 0
		.amdhsa_user_sgpr_private_segment_size 0
		.amdhsa_wavefront_size32 1
		.amdhsa_uses_dynamic_stack 0
		.amdhsa_enable_private_segment 1
		.amdhsa_system_sgpr_workgroup_id_x 1
		.amdhsa_system_sgpr_workgroup_id_y 0
		.amdhsa_system_sgpr_workgroup_id_z 1
		.amdhsa_system_sgpr_workgroup_info 0
		.amdhsa_system_vgpr_workitem_id 0
		.amdhsa_next_free_vgpr 84
		.amdhsa_next_free_sgpr 76
		.amdhsa_reserve_vcc 1
		.amdhsa_float_round_mode_32 0
		.amdhsa_float_round_mode_16_64 0
		.amdhsa_float_denorm_mode_32 3
		.amdhsa_float_denorm_mode_16_64 3
		.amdhsa_fp16_overflow 0
		.amdhsa_workgroup_processor_mode 1
		.amdhsa_memory_ordered 1
		.amdhsa_forward_progress 1
		.amdhsa_inst_pref_size 45
		.amdhsa_round_robin_scheduling 0
		.amdhsa_exception_fp_ieee_invalid_op 0
		.amdhsa_exception_fp_denorm_src 0
		.amdhsa_exception_fp_ieee_div_zero 0
		.amdhsa_exception_fp_ieee_overflow 0
		.amdhsa_exception_fp_ieee_underflow 0
		.amdhsa_exception_fp_ieee_inexact 0
		.amdhsa_exception_int_div_zero 0
	.end_amdhsa_kernel
	.section	.text._ZL23rocblas_gemvt_sn_kernelILb0ELi256ELi4Ei19rocblas_complex_numIfES1_S1_EviiT4_lPKT3_lilS5_lilPT5_i,"axG",@progbits,_ZL23rocblas_gemvt_sn_kernelILb0ELi256ELi4Ei19rocblas_complex_numIfES1_S1_EviiT4_lPKT3_lilS5_lilPT5_i,comdat
.Lfunc_end121:
	.size	_ZL23rocblas_gemvt_sn_kernelILb0ELi256ELi4Ei19rocblas_complex_numIfES1_S1_EviiT4_lPKT3_lilS5_lilPT5_i, .Lfunc_end121-_ZL23rocblas_gemvt_sn_kernelILb0ELi256ELi4Ei19rocblas_complex_numIfES1_S1_EviiT4_lPKT3_lilS5_lilPT5_i
                                        ; -- End function
	.set _ZL23rocblas_gemvt_sn_kernelILb0ELi256ELi4Ei19rocblas_complex_numIfES1_S1_EviiT4_lPKT3_lilS5_lilPT5_i.num_vgpr, 84
	.set _ZL23rocblas_gemvt_sn_kernelILb0ELi256ELi4Ei19rocblas_complex_numIfES1_S1_EviiT4_lPKT3_lilS5_lilPT5_i.num_agpr, 0
	.set _ZL23rocblas_gemvt_sn_kernelILb0ELi256ELi4Ei19rocblas_complex_numIfES1_S1_EviiT4_lPKT3_lilS5_lilPT5_i.numbered_sgpr, 76
	.set _ZL23rocblas_gemvt_sn_kernelILb0ELi256ELi4Ei19rocblas_complex_numIfES1_S1_EviiT4_lPKT3_lilS5_lilPT5_i.num_named_barrier, 0
	.set _ZL23rocblas_gemvt_sn_kernelILb0ELi256ELi4Ei19rocblas_complex_numIfES1_S1_EviiT4_lPKT3_lilS5_lilPT5_i.private_seg_size, 48
	.set _ZL23rocblas_gemvt_sn_kernelILb0ELi256ELi4Ei19rocblas_complex_numIfES1_S1_EviiT4_lPKT3_lilS5_lilPT5_i.uses_vcc, 1
	.set _ZL23rocblas_gemvt_sn_kernelILb0ELi256ELi4Ei19rocblas_complex_numIfES1_S1_EviiT4_lPKT3_lilS5_lilPT5_i.uses_flat_scratch, 0
	.set _ZL23rocblas_gemvt_sn_kernelILb0ELi256ELi4Ei19rocblas_complex_numIfES1_S1_EviiT4_lPKT3_lilS5_lilPT5_i.has_dyn_sized_stack, 0
	.set _ZL23rocblas_gemvt_sn_kernelILb0ELi256ELi4Ei19rocblas_complex_numIfES1_S1_EviiT4_lPKT3_lilS5_lilPT5_i.has_recursion, 0
	.set _ZL23rocblas_gemvt_sn_kernelILb0ELi256ELi4Ei19rocblas_complex_numIfES1_S1_EviiT4_lPKT3_lilS5_lilPT5_i.has_indirect_call, 0
	.section	.AMDGPU.csdata,"",@progbits
; Kernel info:
; codeLenInByte = 5736
; TotalNumSgprs: 78
; NumVgprs: 84
; ScratchSize: 48
; MemoryBound: 0
; FloatMode: 240
; IeeeMode: 1
; LDSByteSize: 256 bytes/workgroup (compile time only)
; SGPRBlocks: 0
; VGPRBlocks: 10
; NumSGPRsForWavesPerEU: 78
; NumVGPRsForWavesPerEU: 84
; Occupancy: 16
; WaveLimiterHint : 1
; COMPUTE_PGM_RSRC2:SCRATCH_EN: 1
; COMPUTE_PGM_RSRC2:USER_SGPR: 2
; COMPUTE_PGM_RSRC2:TRAP_HANDLER: 0
; COMPUTE_PGM_RSRC2:TGID_X_EN: 1
; COMPUTE_PGM_RSRC2:TGID_Y_EN: 0
; COMPUTE_PGM_RSRC2:TGID_Z_EN: 1
; COMPUTE_PGM_RSRC2:TIDIG_COMP_CNT: 0
	.section	.text._ZL23rocblas_gemvt_sn_kernelILb0ELi256ELi4El19rocblas_complex_numIfES1_S1_EviiT4_lPKT3_lilS5_lilPT5_i,"axG",@progbits,_ZL23rocblas_gemvt_sn_kernelILb0ELi256ELi4El19rocblas_complex_numIfES1_S1_EviiT4_lPKT3_lilS5_lilPT5_i,comdat
	.globl	_ZL23rocblas_gemvt_sn_kernelILb0ELi256ELi4El19rocblas_complex_numIfES1_S1_EviiT4_lPKT3_lilS5_lilPT5_i ; -- Begin function _ZL23rocblas_gemvt_sn_kernelILb0ELi256ELi4El19rocblas_complex_numIfES1_S1_EviiT4_lPKT3_lilS5_lilPT5_i
	.p2align	8
	.type	_ZL23rocblas_gemvt_sn_kernelILb0ELi256ELi4El19rocblas_complex_numIfES1_S1_EviiT4_lPKT3_lilS5_lilPT5_i,@function
_ZL23rocblas_gemvt_sn_kernelILb0ELi256ELi4El19rocblas_complex_numIfES1_S1_EviiT4_lPKT3_lilS5_lilPT5_i: ; @_ZL23rocblas_gemvt_sn_kernelILb0ELi256ELi4El19rocblas_complex_numIfES1_S1_EviiT4_lPKT3_lilS5_lilPT5_i
; %bb.0:
	s_load_b32 s33, s[0:1], 0x60
	s_lshr_b32 s10, ttmp7, 16
	s_wait_kmcnt 0x0
	s_cmp_ge_u32 s10, s33
	s_cbranch_scc1 .LBB122_80
; %bb.1:
	s_clause 0x6
	s_load_b32 s26, s[0:1], 0x28
	s_load_b96 s[4:6], s[0:1], 0x40
	s_load_b128 s[36:39], s[0:1], 0x18
	s_load_b128 s[12:15], s[0:1], 0x0
	;; [unrolled: 1-line block ×4, first 2 shown]
	s_load_b32 s28, s[0:1], 0x68
	v_cmp_eq_u32_e64 s0, 0, v0
	s_mov_b32 s25, 0
	v_mbcnt_lo_u32_b32 v36, -1, 0
	s_mov_b32 s24, ttmp9
	s_mov_b32 s29, s25
	s_delay_alu instid0(VALU_DEP_1)
	v_lshl_or_b32 v37, v36, 2, 64
	s_wait_kmcnt 0x0
	s_ashr_i32 s27, s26, 31
	s_ashr_i32 s9, s6, 31
	s_lshl_b64 s[2:3], s[4:5], 3
	s_or_b32 s1, s14, s15
	s_lshl_b64 s[4:5], s[38:39], 3
	s_bitset0_b32 s1, 31
	s_ashr_i32 s35, s13, 31
	s_cmp_eq_u32 s1, 0
	s_add_nc_u64 s[18:19], s[18:19], s[2:3]
	s_cselect_b32 s62, -1, 0
	s_cmp_gt_i32 s13, 0
	s_add_nc_u64 s[2:3], s[36:37], s[4:5]
	s_cselect_b32 s1, -1, 0
	s_lshl_b32 s4, ttmp9, 10
	s_ashr_i32 s5, s12, 31
	v_lshl_or_b32 v1, v0, 2, s4
	s_and_b32 s63, s0, s1
	s_lshr_b32 s1, s5, 30
	s_lshr_b32 s4, s35, 30
	s_add_co_i32 s1, s12, s1
	v_ashrrev_i32_e32 v2, 31, v1
	v_add_nc_u32_e32 v4, 4, v1
	s_and_b32 s1, s1, -4
	v_cmp_gt_u32_e64 s5, 8, v0
	s_sub_co_i32 s65, s12, s1
	v_lshlrev_b64_e32 v[2:3], 3, v[1:2]
	v_add_nc_u32_e32 v5, s65, v1
	v_cmp_ge_i32_e64 s1, s12, v4
	v_or_b32_e32 v4, 2, v1
	s_wait_alu 0xfffe
	s_add_co_i32 s4, s13, s4
	s_mov_b32 s34, s13
	v_add_co_u32 v32, vcc_lo, s2, v2
	s_delay_alu instid0(VALU_DEP_1)
	v_add_co_ci_u32_e64 v33, null, s3, v3, vcc_lo
	v_and_b32_e32 v2, 31, v0
	v_lshrrev_b32_e32 v3, 2, v0
	v_cmp_gt_u32_e64 s3, 32, v0
	v_or_b32_e32 v0, 1, v1
	s_wait_alu 0xfffe
	s_and_b32 s64, s4, -4
	v_cmp_eq_u32_e64 s4, 0, v2
	v_lshlrev_b32_e32 v34, 3, v2
	v_and_b32_e32 v35, 56, v3
	v_mad_co_i64_i32 v[2:3], null, s6, v1, 0
	v_mad_co_i64_i32 v[8:9], null, s6, v4, 0
	v_mov_b32_e32 v4, 0
	v_cmp_ge_i32_e64 s2, s12, v5
	v_mad_co_i64_i32 v[5:6], null, s6, v0, 0
	v_or_b32_e32 v0, 3, v1
	s_wait_alu 0xfffe
	s_cmp_gt_i32 s64, 0
	s_mul_u64 s[30:31], s[34:35], s[28:29]
	s_cselect_b32 s66, -1, 0
	s_cmp_gt_i32 s65, 0
	v_mad_co_i64_i32 v[10:11], null, s6, v0, 0
	v_lshlrev_b64_e32 v[0:1], 3, v[2:3]
	s_cselect_b32 s12, -1, 0
	s_lshl_b64 s[34:35], s[24:25], 3
	v_lshlrev_b64_e32 v[6:7], 3, v[5:6]
	v_lshlrev_b64_e32 v[8:9], 3, v[8:9]
	s_mov_b32 s8, s6
	v_add_co_u32 v2, vcc_lo, s18, v0
	v_lshlrev_b64_e32 v[10:11], 3, v[10:11]
	s_wait_alu 0xfffd
	v_add_co_ci_u32_e64 v3, null, s19, v1, vcc_lo
	s_add_nc_u64 s[6:7], s[22:23], s[34:35]
	s_wait_alu 0xfffe
	s_and_b32 s67, s12, s2
	s_add_nc_u64 s[36:37], s[6:7], 4
	s_lshl_b64 s[38:39], s[30:31], 3
	s_lshl_b64 s[40:41], s[28:29], 3
	;; [unrolled: 1-line block ×4, first 2 shown]
	s_or_b32 s68, 0, 4
	s_mul_u64 s[46:47], s[26:27], 24
	s_lshl_b64 s[48:49], s[16:17], 3
	s_lshl_b64 s[50:51], s[26:27], 5
	;; [unrolled: 1-line block ×4, first 2 shown]
	s_branch .LBB122_3
.LBB122_2:                              ;   in Loop: Header=BB122_3 Depth=1
	s_add_co_i32 s10, s10, 0x10000
	s_wait_alu 0xfffe
	s_cmp_lt_u32 s10, s33
	s_cbranch_scc0 .LBB122_80
.LBB122_3:                              ; =>This Loop Header: Depth=1
                                        ;     Child Loop BB122_6 Depth 2
                                        ;     Child Loop BB122_12 Depth 2
                                        ;       Child Loop BB122_43 Depth 3
                                        ;       Child Loop BB122_45 Depth 3
                                        ;     Child Loop BB122_61 Depth 2
                                        ;       Child Loop BB122_73 Depth 3
                                        ;       Child Loop BB122_75 Depth 3
	s_mov_b32 s11, s25
	s_and_not1_b32 vcc_lo, exec_lo, s62
	s_mov_b32 s6, -1
	s_wait_alu 0xfffe
	s_cbranch_vccnz .LBB122_8
; %bb.4:                                ;   in Loop: Header=BB122_3 Depth=1
	s_and_saveexec_b32 s8, s63
	s_cbranch_execz .LBB122_7
; %bb.5:                                ;   in Loop: Header=BB122_3 Depth=1
	s_mul_u64 s[6:7], s[38:39], s[10:11]
	s_mov_b32 s9, s13
	s_wait_alu 0xfffe
	s_add_nc_u64 s[6:7], s[36:37], s[6:7]
.LBB122_6:                              ;   Parent Loop BB122_3 Depth=1
                                        ; =>  This Inner Loop Header: Depth=2
	v_mov_b32_e32 v5, v4
	s_add_co_i32 s9, s9, -1
	s_wait_alu 0xfffe
	s_cmp_eq_u32 s9, 0
	global_store_b64 v4, v[4:5], s[6:7] offset:-4
	s_add_nc_u64 s[6:7], s[6:7], s[40:41]
	s_cbranch_scc0 .LBB122_6
.LBB122_7:                              ;   in Loop: Header=BB122_3 Depth=1
	s_wait_alu 0xfffe
	s_or_b32 exec_lo, exec_lo, s8
	s_mov_b32 s6, 0
.LBB122_8:                              ;   in Loop: Header=BB122_3 Depth=1
	s_wait_alu 0xfffe
	s_and_not1_b32 vcc_lo, exec_lo, s6
	s_wait_alu 0xfffe
	s_cbranch_vccnz .LBB122_2
; %bb.9:                                ;   in Loop: Header=BB122_3 Depth=1
	v_mad_co_u64_u32 v[12:13], null, s42, s10, v[2:3]
	s_mul_u64 s[70:71], s[16:17], s[10:11]
	s_mul_u64 s[56:57], s[20:21], s[10:11]
	s_wait_alu 0xfffe
	s_lshl_b64 s[70:71], s[70:71], 3
	s_mul_u64 s[60:61], s[30:31], s[10:11]
	s_wait_alu 0xfffe
	v_add_co_u32 v38, vcc_lo, v32, s70
	v_mov_b32_e32 v5, v13
	s_lshl_b64 s[56:57], s[56:57], 3
	s_lshl_b64 s[72:73], s[60:61], 3
	v_cmp_gt_u32_e64 s7, 24, v36
	v_cmp_gt_u32_e64 s8, 28, v36
	v_mad_co_u64_u32 v[13:14], null, s43, s10, v[5:6]
	v_cmp_gt_u32_e64 s6, 30, v36
	s_wait_alu 0xfffd
	v_add_co_ci_u32_e64 v39, null, s71, v33, vcc_lo
	v_cmp_ne_u32_e64 s9, 31, v36
	s_add_nc_u64 s[60:61], s[18:19], s[56:57]
	s_add_nc_u64 s[56:57], s[22:23], s[72:73]
	s_mul_u64 s[58:59], s[48:49], s[10:11]
	s_and_not1_b32 vcc_lo, exec_lo, s66
	s_add_nc_u64 s[56:57], s[56:57], s[34:35]
	s_wait_alu 0xfffe
	s_cbranch_vccnz .LBB122_57
; %bb.10:                               ;   in Loop: Header=BB122_3 Depth=1
	v_cndmask_b32_e64 v16, 0, 4, s8
	v_cndmask_b32_e64 v17, 0, 2, s6
	v_add_co_ci_u32_e64 v18, null, 0, v36, s9
	v_add_co_u32 v14, vcc_lo, v32, s58
	s_wait_alu 0xfffd
	v_add_co_ci_u32_e64 v15, null, s59, v33, vcc_lo
	v_add_lshl_u32 v41, v16, v36, 2
	v_add_co_u32 v16, vcc_lo, s60, v0
	v_add_lshl_u32 v42, v17, v36, 2
	v_lshlrev_b32_e32 v43, 2, v18
	s_wait_alu 0xfffd
	v_add_co_ci_u32_e64 v17, null, s61, v1, vcc_lo
	v_add_co_u32 v18, vcc_lo, s60, v6
	v_cndmask_b32_e64 v5, 0, 8, s7
	s_wait_alu 0xfffd
	v_add_co_ci_u32_e64 v19, null, s61, v7, vcc_lo
	v_add_co_u32 v20, vcc_lo, s60, v8
	s_wait_alu 0xfffd
	v_add_co_ci_u32_e64 v21, null, s61, v9, vcc_lo
	v_add_co_u32 v22, vcc_lo, s60, v10
	v_add_lshl_u32 v40, v5, v36, 2
	s_wait_alu 0xfffd
	v_add_co_ci_u32_e64 v23, null, s61, v11, vcc_lo
	s_mov_b32 s24, 0
	s_branch .LBB122_12
.LBB122_11:                             ;   in Loop: Header=BB122_12 Depth=2
	s_wait_alu 0xfffe
	s_or_b32 exec_lo, exec_lo, s6
	v_add_co_u32 v14, vcc_lo, v14, s50
	s_wait_alu 0xfffd
	v_add_co_ci_u32_e64 v15, null, s51, v15, vcc_lo
	s_add_co_i32 s24, s24, 4
	s_delay_alu instid0(SALU_CYCLE_1)
	s_cmp_ge_i32 s24, s64
	s_cbranch_scc1 .LBB122_58
.LBB122_12:                             ;   Parent Loop BB122_3 Depth=1
                                        ; =>  This Loop Header: Depth=2
                                        ;       Child Loop BB122_43 Depth 3
                                        ;       Child Loop BB122_45 Depth 3
                                        ; implicit-def: $vgpr44
                                        ; implicit-def: $vgpr45
                                        ; implicit-def: $vgpr26
                                        ; implicit-def: $vgpr27
                                        ; implicit-def: $vgpr28
                                        ; implicit-def: $vgpr29
                                        ; implicit-def: $vgpr31
                                        ; implicit-def: $vgpr30
	s_and_saveexec_b32 s6, s1
	s_wait_alu 0xfffe
	s_xor_b32 s6, exec_lo, s6
	s_cbranch_execnz .LBB122_39
; %bb.13:                               ;   in Loop: Header=BB122_12 Depth=2
	s_wait_alu 0xfffe
	s_and_not1_saveexec_b32 s6, s6
	s_cbranch_execnz .LBB122_40
.LBB122_14:                             ;   in Loop: Header=BB122_12 Depth=2
	s_wait_alu 0xfffe
	s_or_b32 exec_lo, exec_lo, s6
	s_and_saveexec_b32 s6, s3
.LBB122_15:                             ;   in Loop: Header=BB122_12 Depth=2
	v_mov_b32_e32 v5, v4
	ds_store_b64 v34, v[4:5]
.LBB122_16:                             ;   in Loop: Header=BB122_12 Depth=2
	s_wait_alu 0xfffe
	s_or_b32 exec_lo, exec_lo, s6
	ds_bpermute_b32 v5, v37, v44
	s_wait_dscnt 0x1
	ds_bpermute_b32 v24, v37, v45
	s_wait_storecnt_dscnt 0x0
	s_barrier_signal -1
	s_barrier_wait -1
	global_inv scope:SCOPE_SE
	v_dual_add_f32 v5, v44, v5 :: v_dual_add_f32 v24, v45, v24
	ds_bpermute_b32 v25, v40, v5
	ds_bpermute_b32 v44, v40, v24
	s_wait_dscnt 0x0
	v_dual_add_f32 v5, v5, v25 :: v_dual_add_f32 v24, v24, v44
	ds_bpermute_b32 v25, v41, v5
	ds_bpermute_b32 v44, v41, v24
	s_wait_dscnt 0x0
	v_dual_add_f32 v5, v5, v25 :: v_dual_add_f32 v24, v24, v44
	ds_bpermute_b32 v25, v42, v5
	ds_bpermute_b32 v44, v42, v24
	s_wait_dscnt 0x0
	v_dual_add_f32 v5, v5, v25 :: v_dual_add_f32 v24, v24, v44
	ds_bpermute_b32 v25, v43, v5
	ds_bpermute_b32 v44, v43, v24
	s_and_saveexec_b32 s6, s4
	s_cbranch_execz .LBB122_18
; %bb.17:                               ;   in Loop: Header=BB122_12 Depth=2
	s_wait_dscnt 0x0
	v_dual_add_f32 v45, v24, v44 :: v_dual_add_f32 v44, v5, v25
	ds_store_b64 v35, v[44:45]
.LBB122_18:                             ;   in Loop: Header=BB122_12 Depth=2
	s_wait_alu 0xfffe
	s_or_b32 exec_lo, exec_lo, s6
	s_wait_dscnt 0x1
	v_dual_mov_b32 v25, 0 :: v_dual_mov_b32 v24, 0
	s_wait_loadcnt_dscnt 0x0
	s_barrier_signal -1
	s_barrier_wait -1
	global_inv scope:SCOPE_SE
	s_and_saveexec_b32 s6, s5
	s_cbranch_execnz .LBB122_46
; %bb.19:                               ;   in Loop: Header=BB122_12 Depth=2
	s_wait_alu 0xfffe
	s_or_b32 exec_lo, exec_lo, s6
	s_and_saveexec_b32 s6, s3
	s_cbranch_execnz .LBB122_47
.LBB122_20:                             ;   in Loop: Header=BB122_12 Depth=2
	s_wait_alu 0xfffe
	s_or_b32 exec_lo, exec_lo, s6
	s_and_saveexec_b32 s6, s3
.LBB122_21:                             ;   in Loop: Header=BB122_12 Depth=2
	v_mov_b32_e32 v5, v4
	ds_store_b64 v34, v[4:5]
.LBB122_22:                             ;   in Loop: Header=BB122_12 Depth=2
	s_wait_alu 0xfffe
	s_or_b32 exec_lo, exec_lo, s6
	ds_bpermute_b32 v5, v37, v26
	ds_bpermute_b32 v44, v37, v27
	s_wait_loadcnt_dscnt 0x0
	s_barrier_signal -1
	s_barrier_wait -1
	global_inv scope:SCOPE_SE
	v_dual_add_f32 v5, v26, v5 :: v_dual_add_f32 v26, v27, v44
	ds_bpermute_b32 v27, v40, v5
	ds_bpermute_b32 v44, v40, v26
	s_wait_dscnt 0x0
	v_dual_add_f32 v5, v5, v27 :: v_dual_add_f32 v26, v26, v44
	ds_bpermute_b32 v27, v41, v5
	ds_bpermute_b32 v44, v41, v26
	s_wait_dscnt 0x0
	;; [unrolled: 4-line block ×3, first 2 shown]
	v_dual_add_f32 v5, v5, v27 :: v_dual_add_f32 v26, v26, v44
	ds_bpermute_b32 v27, v43, v5
	ds_bpermute_b32 v44, v43, v26
	s_and_saveexec_b32 s6, s4
	s_cbranch_execz .LBB122_24
; %bb.23:                               ;   in Loop: Header=BB122_12 Depth=2
	s_wait_dscnt 0x0
	v_dual_add_f32 v45, v26, v44 :: v_dual_add_f32 v44, v5, v27
	ds_store_b64 v35, v[44:45]
.LBB122_24:                             ;   in Loop: Header=BB122_12 Depth=2
	s_wait_alu 0xfffe
	s_or_b32 exec_lo, exec_lo, s6
	s_wait_dscnt 0x1
	v_dual_mov_b32 v27, 0 :: v_dual_mov_b32 v26, 0
	s_wait_loadcnt_dscnt 0x0
	s_barrier_signal -1
	s_barrier_wait -1
	global_inv scope:SCOPE_SE
	s_and_saveexec_b32 s6, s5
	s_cbranch_execnz .LBB122_48
; %bb.25:                               ;   in Loop: Header=BB122_12 Depth=2
	s_wait_alu 0xfffe
	s_or_b32 exec_lo, exec_lo, s6
	s_and_saveexec_b32 s6, s3
	s_cbranch_execnz .LBB122_49
.LBB122_26:                             ;   in Loop: Header=BB122_12 Depth=2
	s_wait_alu 0xfffe
	s_or_b32 exec_lo, exec_lo, s6
	s_and_saveexec_b32 s6, s3
.LBB122_27:                             ;   in Loop: Header=BB122_12 Depth=2
	v_mov_b32_e32 v5, v4
	ds_store_b64 v34, v[4:5]
.LBB122_28:                             ;   in Loop: Header=BB122_12 Depth=2
	s_wait_alu 0xfffe
	s_or_b32 exec_lo, exec_lo, s6
	ds_bpermute_b32 v5, v37, v28
	ds_bpermute_b32 v44, v37, v29
	s_wait_loadcnt_dscnt 0x0
	s_barrier_signal -1
	s_barrier_wait -1
	global_inv scope:SCOPE_SE
	v_dual_add_f32 v5, v28, v5 :: v_dual_add_f32 v28, v29, v44
	ds_bpermute_b32 v29, v40, v5
	ds_bpermute_b32 v44, v40, v28
	s_wait_dscnt 0x0
	v_dual_add_f32 v5, v5, v29 :: v_dual_add_f32 v28, v28, v44
	ds_bpermute_b32 v29, v41, v5
	ds_bpermute_b32 v44, v41, v28
	s_wait_dscnt 0x0
	;; [unrolled: 4-line block ×3, first 2 shown]
	v_dual_add_f32 v5, v5, v29 :: v_dual_add_f32 v28, v28, v44
	ds_bpermute_b32 v29, v43, v5
	ds_bpermute_b32 v44, v43, v28
	s_and_saveexec_b32 s6, s4
	s_cbranch_execz .LBB122_30
; %bb.29:                               ;   in Loop: Header=BB122_12 Depth=2
	s_wait_dscnt 0x0
	v_dual_add_f32 v45, v28, v44 :: v_dual_add_f32 v44, v5, v29
	ds_store_b64 v35, v[44:45]
.LBB122_30:                             ;   in Loop: Header=BB122_12 Depth=2
	s_wait_alu 0xfffe
	s_or_b32 exec_lo, exec_lo, s6
	s_wait_dscnt 0x1
	v_dual_mov_b32 v29, 0 :: v_dual_mov_b32 v28, 0
	s_wait_loadcnt_dscnt 0x0
	s_barrier_signal -1
	s_barrier_wait -1
	global_inv scope:SCOPE_SE
	s_and_saveexec_b32 s6, s5
	s_cbranch_execnz .LBB122_50
; %bb.31:                               ;   in Loop: Header=BB122_12 Depth=2
	s_wait_alu 0xfffe
	s_or_b32 exec_lo, exec_lo, s6
	s_and_saveexec_b32 s6, s3
	s_cbranch_execnz .LBB122_51
.LBB122_32:                             ;   in Loop: Header=BB122_12 Depth=2
	s_wait_alu 0xfffe
	s_or_b32 exec_lo, exec_lo, s6
	s_and_saveexec_b32 s6, s3
.LBB122_33:                             ;   in Loop: Header=BB122_12 Depth=2
	v_mov_b32_e32 v5, v4
	ds_store_b64 v34, v[4:5]
.LBB122_34:                             ;   in Loop: Header=BB122_12 Depth=2
	s_wait_alu 0xfffe
	s_or_b32 exec_lo, exec_lo, s6
	ds_bpermute_b32 v5, v37, v31
	ds_bpermute_b32 v44, v37, v30
	s_wait_loadcnt_dscnt 0x0
	s_barrier_signal -1
	s_barrier_wait -1
	global_inv scope:SCOPE_SE
	v_dual_add_f32 v5, v31, v5 :: v_dual_add_f32 v30, v30, v44
	ds_bpermute_b32 v31, v40, v5
	ds_bpermute_b32 v44, v40, v30
	s_wait_dscnt 0x0
	v_dual_add_f32 v5, v5, v31 :: v_dual_add_f32 v30, v30, v44
	ds_bpermute_b32 v31, v41, v5
	ds_bpermute_b32 v44, v41, v30
	s_wait_dscnt 0x0
	;; [unrolled: 4-line block ×3, first 2 shown]
	v_dual_add_f32 v5, v5, v31 :: v_dual_add_f32 v30, v30, v44
	ds_bpermute_b32 v31, v43, v5
	ds_bpermute_b32 v44, v43, v30
	s_and_saveexec_b32 s6, s4
	s_cbranch_execz .LBB122_36
; %bb.35:                               ;   in Loop: Header=BB122_12 Depth=2
	s_wait_dscnt 0x0
	v_dual_add_f32 v45, v30, v44 :: v_dual_add_f32 v44, v5, v31
	ds_store_b64 v35, v[44:45]
.LBB122_36:                             ;   in Loop: Header=BB122_12 Depth=2
	s_wait_alu 0xfffe
	s_or_b32 exec_lo, exec_lo, s6
	s_wait_dscnt 0x1
	v_dual_mov_b32 v31, 0 :: v_dual_mov_b32 v30, 0
	s_wait_loadcnt_dscnt 0x0
	s_barrier_signal -1
	s_barrier_wait -1
	global_inv scope:SCOPE_SE
	s_and_saveexec_b32 s6, s5
	s_cbranch_execnz .LBB122_52
; %bb.37:                               ;   in Loop: Header=BB122_12 Depth=2
	s_wait_alu 0xfffe
	s_or_b32 exec_lo, exec_lo, s6
	s_and_saveexec_b32 s6, s3
	s_cbranch_execnz .LBB122_53
.LBB122_38:                             ;   in Loop: Header=BB122_12 Depth=2
	s_wait_alu 0xfffe
	s_or_b32 exec_lo, exec_lo, s6
	s_and_saveexec_b32 s6, s0
	s_cbranch_execz .LBB122_11
	s_branch .LBB122_54
.LBB122_39:                             ;   in Loop: Header=BB122_12 Depth=2
	s_mul_u64 s[8:9], s[24:25], s[26:27]
	s_or_b32 s70, s24, 2
	s_wait_alu 0xfffe
	s_lshl_b64 s[8:9], s[8:9], 3
	s_mov_b32 s71, s25
	s_wait_alu 0xfffe
	v_add_co_u32 v28, vcc_lo, v38, s8
	s_wait_alu 0xfffd
	v_add_co_ci_u32_e64 v29, null, s9, v39, vcc_lo
	s_or_b32 s8, s24, 1
	s_mov_b32 s9, s25
	s_clause 0x3
	global_load_b64 v[46:47], v[16:17], off
	global_load_b64 v[48:49], v[18:19], off
	;; [unrolled: 1-line block ×4, first 2 shown]
	s_wait_alu 0xfffe
	s_mul_u64 s[8:9], s[8:9], s[26:27]
	s_wait_dscnt 0x0
	s_clause 0x1
	global_load_b128 v[24:27], v[28:29], off offset:16
	global_load_b128 v[28:31], v[28:29], off
	s_wait_alu 0xfffe
	s_lshl_b64 s[8:9], s[8:9], 3
	s_wait_alu 0xfffe
	v_add_co_u32 v44, vcc_lo, v38, s8
	s_wait_alu 0xfffd
	v_add_co_ci_u32_e64 v45, null, s9, v39, vcc_lo
	s_mul_u64 s[8:9], s[70:71], s[26:27]
	s_or_b32 s70, s24, 3
	s_wait_alu 0xfffe
	s_lshl_b64 s[8:9], s[8:9], 3
	s_mul_u64 s[70:71], s[70:71], s[26:27]
	s_wait_alu 0xfffe
	v_add_co_u32 v70, vcc_lo, v38, s8
	s_wait_alu 0xfffd
	v_add_co_ci_u32_e64 v71, null, s9, v39, vcc_lo
	s_lshl_b64 s[8:9], s[70:71], 3
	s_wait_alu 0xfffe
	v_add_co_u32 v74, vcc_lo, v38, s8
	s_wait_alu 0xfffd
	v_add_co_ci_u32_e64 v75, null, s9, v39, vcc_lo
	s_clause 0x5
	global_load_b128 v[54:57], v[44:45], off
	global_load_b128 v[58:61], v[70:71], off
	global_load_b128 v[62:65], v[74:75], off
	global_load_b128 v[66:69], v[44:45], off offset:16
	global_load_b128 v[70:73], v[70:71], off offset:16
	;; [unrolled: 1-line block ×3, first 2 shown]
	s_wait_loadcnt 0xa
	scratch_store_b128 off, v[46:49], off
	s_wait_loadcnt 0x8
	scratch_store_b128 off, v[50:53], off offset:16
	s_wait_loadcnt 0x7
	v_mul_f32_e32 v45, v51, v25
	s_wait_loadcnt 0x6
	v_dual_mul_f32 v5, v47, v29 :: v_dual_mul_f32 v44, v49, v31
	v_dual_mul_f32 v29, v46, v29 :: v_dual_mul_f32 v78, v53, v27
	v_mul_f32_e32 v31, v48, v31
	v_mul_f32_e32 v25, v50, v25
	;; [unrolled: 1-line block ×3, first 2 shown]
	v_fma_f32 v5, v46, v28, -v5
	s_delay_alu instid0(VALU_DEP_1)
	v_add_f32_e32 v5, 0, v5
	s_wait_loadcnt 0x5
	v_mul_f32_e32 v79, v47, v55
	v_mul_f32_e32 v55, v46, v55
	s_wait_loadcnt 0x4
	v_mul_f32_e32 v80, v47, v59
	v_mul_f32_e32 v82, v49, v57
	s_wait_loadcnt 0x3
	v_mul_f32_e32 v84, v49, v65
	s_wait_loadcnt 0x0
	v_mul_f32_e32 v90, v53, v77
	v_mul_f32_e32 v77, v52, v77
	;; [unrolled: 1-line block ×3, first 2 shown]
	v_fmac_f32_e32 v31, v49, v30
	v_fmac_f32_e32 v25, v51, v24
	;; [unrolled: 1-line block ×5, first 2 shown]
	v_fma_f32 v28, v48, v30, -v44
	v_fma_f32 v30, v50, v24, -v45
	;; [unrolled: 1-line block ×4, first 2 shown]
	v_fmac_f32_e32 v55, v47, v54
	v_fma_f32 v44, v46, v58, -v80
	v_mul_f32_e32 v59, v46, v59
	v_fma_f32 v54, v48, v56, -v82
	v_dual_add_f32 v26, 0, v26 :: v_dual_mul_f32 v81, v47, v63
	v_dual_mul_f32 v57, v48, v57 :: v_dual_mul_f32 v86, v51, v71
	v_dual_add_f32 v29, 0, v29 :: v_dual_add_f32 v44, 0, v44
	v_fmac_f32_e32 v59, v47, v58
	s_delay_alu instid0(VALU_DEP_4) | instskip(SKIP_2) | instid1(VALU_DEP_4)
	v_dual_add_f32 v26, v26, v54 :: v_dual_mul_f32 v83, v49, v61
	v_mul_f32_e32 v61, v48, v61
	v_fmac_f32_e32 v57, v49, v56
	v_add_f32_e32 v59, 0, v59
	v_add_f32_e32 v5, v5, v28
	v_fma_f32 v56, v48, v60, -v83
	v_add_f32_e32 v28, v29, v31
	v_fmac_f32_e32 v61, v49, v60
	v_mul_f32_e32 v63, v46, v63
	v_add_f32_e32 v55, 0, v55
	v_add_f32_e32 v31, v44, v56
	s_delay_alu instid0(VALU_DEP_4) | instskip(NEXT) | instid1(VALU_DEP_4)
	v_dual_add_f32 v5, v5, v30 :: v_dual_add_f32 v44, v59, v61
	v_fmac_f32_e32 v63, v47, v62
	v_mul_f32_e32 v85, v51, v67
	v_fma_f32 v45, v46, v62, -v81
	v_fma_f32 v62, v50, v70, -v86
	v_add_f32_e32 v29, v55, v57
	v_add_f32_e32 v63, 0, v63
	v_mul_f32_e32 v67, v50, v67
	v_add_f32_e32 v25, v28, v25
	v_fma_f32 v58, v48, v64, -v84
	v_add_f32_e32 v45, 0, v45
	s_delay_alu instid0(VALU_DEP_4) | instskip(SKIP_1) | instid1(VALU_DEP_3)
	v_fmac_f32_e32 v67, v51, v66
	v_mul_f32_e32 v65, v48, v65
	v_add_f32_e32 v45, v45, v58
	s_delay_alu instid0(VALU_DEP_3) | instskip(SKIP_1) | instid1(VALU_DEP_4)
	v_dual_add_f32 v28, v29, v67 :: v_dual_add_f32 v29, v31, v62
	v_mul_f32_e32 v71, v50, v71
	v_fmac_f32_e32 v65, v49, v64
	s_delay_alu instid0(VALU_DEP_2) | instskip(SKIP_2) | instid1(VALU_DEP_4)
	v_fmac_f32_e32 v71, v51, v70
	v_mul_f32_e32 v89, v53, v73
	v_mul_f32_e32 v73, v52, v73
	v_add_f32_e32 v54, v63, v65
	v_fma_f32 v70, v52, v76, -v90
	v_add_f32_e32 v30, v44, v71
	v_add_f32_e32 v44, v5, v24
	v_fma_f32 v60, v50, v66, -v85
	v_fma_f32 v66, v52, v68, -v88
	v_fmac_f32_e32 v73, v53, v72
	s_delay_alu instid0(VALU_DEP_3) | instskip(SKIP_1) | instid1(VALU_DEP_2)
	v_dual_add_f32 v26, v26, v60 :: v_dual_mul_f32 v87, v51, v75
	v_mul_f32_e32 v75, v50, v75
	v_add_f32_e32 v26, v26, v66
	s_delay_alu instid0(VALU_DEP_3) | instskip(NEXT) | instid1(VALU_DEP_3)
	v_fma_f32 v64, v50, v74, -v87
	v_fmac_f32_e32 v75, v51, v74
	v_mul_f32_e32 v69, v52, v69
	s_delay_alu instid0(VALU_DEP_2) | instskip(NEXT) | instid1(VALU_DEP_2)
	v_dual_add_f32 v31, v45, v64 :: v_dual_add_f32 v54, v54, v75
	v_fmac_f32_e32 v69, v53, v68
	v_fma_f32 v68, v52, v72, -v89
	v_add_f32_e32 v45, v25, v27
	s_delay_alu instid0(VALU_DEP_4) | instskip(NEXT) | instid1(VALU_DEP_3)
	v_add_f32_e32 v31, v31, v70
	v_dual_add_f32 v27, v28, v69 :: v_dual_add_f32 v28, v29, v68
	v_add_f32_e32 v29, v30, v73
	v_add_f32_e32 v30, v54, v77
	s_and_not1_saveexec_b32 s6, s6
	s_cbranch_execz .LBB122_14
.LBB122_40:                             ;   in Loop: Header=BB122_12 Depth=2
	v_dual_mov_b32 v44, 0 :: v_dual_mov_b32 v45, 0
	v_dual_mov_b32 v26, 0 :: v_dual_mov_b32 v27, 0
	;; [unrolled: 1-line block ×3, first 2 shown]
	s_wait_dscnt 0x0
	v_dual_mov_b32 v31, 0 :: v_dual_mov_b32 v30, 0
	s_and_saveexec_b32 s7, s2
	s_cbranch_execz .LBB122_56
; %bb.41:                               ;   in Loop: Header=BB122_12 Depth=2
	s_and_not1_b32 vcc_lo, exec_lo, s12
	s_wait_alu 0xfffe
	s_cbranch_vccnz .LBB122_55
; %bb.42:                               ;   in Loop: Header=BB122_12 Depth=2
	v_dual_mov_b32 v25, v13 :: v_dual_mov_b32 v24, v12
	s_mov_b32 s8, 0
	s_mov_b32 s9, s65
.LBB122_43:                             ;   Parent Loop BB122_3 Depth=1
                                        ;     Parent Loop BB122_12 Depth=2
                                        ; =>    This Inner Loop Header: Depth=3
	global_load_b64 v[26:27], v[24:25], off
	v_add_co_u32 v24, vcc_lo, v24, s44
	s_wait_alu 0xfffd
	v_add_co_ci_u32_e64 v25, null, s45, v25, vcc_lo
	s_wait_alu 0xfffe
	s_add_co_i32 s9, s9, -1
	s_wait_loadcnt 0x0
	scratch_store_b64 off, v[26:27], s8
	s_add_co_i32 s8, s8, 8
	s_wait_alu 0xfffe
	s_cmp_eq_u32 s9, 0
	s_cbranch_scc0 .LBB122_43
; %bb.44:                               ;   in Loop: Header=BB122_12 Depth=2
	v_dual_mov_b32 v30, 0 :: v_dual_mov_b32 v25, v15
	v_dual_mov_b32 v24, v14 :: v_dual_mov_b32 v31, 0
	;; [unrolled: 1-line block ×5, first 2 shown]
	s_mov_b32 s8, s68
	s_mov_b32 s9, s65
.LBB122_45:                             ;   Parent Loop BB122_3 Depth=1
                                        ;     Parent Loop BB122_12 Depth=2
                                        ; =>    This Inner Loop Header: Depth=3
	v_add_co_u32 v50, vcc_lo, v24, s52
	scratch_load_b64 v[46:47], off, s8 offset:-4
	global_load_b64 v[48:49], v[24:25], off
	s_wait_alu 0xfffd
	v_add_co_ci_u32_e64 v51, null, s53, v25, vcc_lo
	v_add_co_u32 v52, vcc_lo, v24, s54
	s_wait_alu 0xfffd
	v_add_co_ci_u32_e64 v53, null, s55, v25, vcc_lo
	v_add_co_u32 v54, vcc_lo, v24, s46
	s_wait_alu 0xfffd
	v_add_co_ci_u32_e64 v55, null, s47, v25, vcc_lo
	s_clause 0x2
	global_load_b64 v[50:51], v[50:51], off
	global_load_b64 v[52:53], v[52:53], off
	;; [unrolled: 1-line block ×3, first 2 shown]
	v_add_co_u32 v24, vcc_lo, v24, 8
	s_wait_alu 0xfffd
	v_add_co_ci_u32_e64 v25, null, 0, v25, vcc_lo
	s_wait_alu 0xfffe
	s_add_co_i32 s9, s9, -1
	s_add_co_i32 s8, s8, 8
	s_wait_alu 0xfffe
	s_cmp_lg_u32 s9, 0
	s_wait_loadcnt 0x3
	v_mul_f32_e32 v5, v47, v49
	v_mul_f32_e32 v49, v46, v49
	s_delay_alu instid0(VALU_DEP_2) | instskip(NEXT) | instid1(VALU_DEP_1)
	v_fma_f32 v5, v46, v48, -v5
	v_dual_fmac_f32 v49, v47, v48 :: v_dual_add_f32 v44, v44, v5
	s_wait_loadcnt 0x2
	v_mul_f32_e32 v48, v47, v51
	s_wait_loadcnt 0x1
	v_dual_mul_f32 v51, v46, v51 :: v_dual_mul_f32 v56, v47, v53
	v_mul_f32_e32 v53, v46, v53
	s_delay_alu instid0(VALU_DEP_3)
	v_fma_f32 v5, v46, v50, -v48
	s_wait_loadcnt 0x0
	v_mul_f32_e32 v57, v47, v55
	v_mul_f32_e32 v55, v46, v55
	v_fmac_f32_e32 v51, v47, v50
	v_fma_f32 v48, v46, v52, -v56
	v_dual_fmac_f32 v53, v47, v52 :: v_dual_add_f32 v26, v26, v5
	v_fma_f32 v46, v46, v54, -v57
	v_fmac_f32_e32 v55, v47, v54
	v_add_f32_e32 v45, v45, v49
	v_dual_add_f32 v27, v27, v51 :: v_dual_add_f32 v28, v28, v48
	v_add_f32_e32 v29, v29, v53
	s_delay_alu instid0(VALU_DEP_4)
	v_dual_add_f32 v31, v31, v46 :: v_dual_add_f32 v30, v30, v55
	s_cbranch_scc1 .LBB122_45
	s_branch .LBB122_56
.LBB122_46:                             ;   in Loop: Header=BB122_12 Depth=2
	ds_load_b64 v[24:25], v34
	s_wait_alu 0xfffe
	s_or_b32 exec_lo, exec_lo, s6
	s_and_saveexec_b32 s6, s3
	s_cbranch_execz .LBB122_20
.LBB122_47:                             ;   in Loop: Header=BB122_12 Depth=2
	s_wait_dscnt 0x0
	ds_bpermute_b32 v5, v41, v24
	ds_bpermute_b32 v44, v41, v25
	s_wait_dscnt 0x0
	v_dual_add_f32 v5, v24, v5 :: v_dual_add_f32 v24, v25, v44
	ds_bpermute_b32 v25, v42, v5
	ds_bpermute_b32 v44, v42, v24
	s_wait_dscnt 0x1
	v_add_f32_e32 v5, v5, v25
	s_wait_dscnt 0x0
	v_add_f32_e32 v25, v24, v44
	ds_bpermute_b32 v24, v43, v5
	ds_bpermute_b32 v44, v43, v25
	s_wait_dscnt 0x1
	v_add_f32_e32 v24, v5, v24
	s_wait_dscnt 0x0
	v_add_f32_e32 v25, v25, v44
	s_wait_alu 0xfffe
	s_or_b32 exec_lo, exec_lo, s6
	s_and_saveexec_b32 s6, s3
	s_cbranch_execnz .LBB122_21
	s_branch .LBB122_22
.LBB122_48:                             ;   in Loop: Header=BB122_12 Depth=2
	ds_load_b64 v[26:27], v34
	s_wait_alu 0xfffe
	s_or_b32 exec_lo, exec_lo, s6
	s_and_saveexec_b32 s6, s3
	s_cbranch_execz .LBB122_26
.LBB122_49:                             ;   in Loop: Header=BB122_12 Depth=2
	s_wait_dscnt 0x0
	ds_bpermute_b32 v5, v41, v26
	ds_bpermute_b32 v44, v41, v27
	s_wait_dscnt 0x0
	v_dual_add_f32 v5, v26, v5 :: v_dual_add_f32 v26, v27, v44
	ds_bpermute_b32 v27, v42, v5
	ds_bpermute_b32 v44, v42, v26
	s_wait_dscnt 0x1
	v_add_f32_e32 v5, v5, v27
	s_wait_dscnt 0x0
	v_add_f32_e32 v27, v26, v44
	ds_bpermute_b32 v26, v43, v5
	s_wait_dscnt 0x0
	v_add_f32_e32 v26, v5, v26
	ds_bpermute_b32 v44, v43, v27
	s_wait_dscnt 0x0
	v_add_f32_e32 v27, v27, v44
	s_wait_alu 0xfffe
	s_or_b32 exec_lo, exec_lo, s6
	s_and_saveexec_b32 s6, s3
	s_cbranch_execnz .LBB122_27
	s_branch .LBB122_28
.LBB122_50:                             ;   in Loop: Header=BB122_12 Depth=2
	ds_load_b64 v[28:29], v34
	s_wait_alu 0xfffe
	s_or_b32 exec_lo, exec_lo, s6
	s_and_saveexec_b32 s6, s3
	s_cbranch_execz .LBB122_32
.LBB122_51:                             ;   in Loop: Header=BB122_12 Depth=2
	s_wait_dscnt 0x0
	ds_bpermute_b32 v5, v41, v28
	ds_bpermute_b32 v44, v41, v29
	s_wait_dscnt 0x0
	v_dual_add_f32 v5, v28, v5 :: v_dual_add_f32 v28, v29, v44
	ds_bpermute_b32 v29, v42, v5
	ds_bpermute_b32 v44, v42, v28
	s_wait_dscnt 0x1
	v_add_f32_e32 v5, v5, v29
	s_wait_dscnt 0x0
	v_add_f32_e32 v29, v28, v44
	ds_bpermute_b32 v28, v43, v5
	ds_bpermute_b32 v44, v43, v29
	s_wait_dscnt 0x1
	v_add_f32_e32 v28, v5, v28
	s_wait_dscnt 0x0
	v_add_f32_e32 v29, v29, v44
	s_wait_alu 0xfffe
	s_or_b32 exec_lo, exec_lo, s6
	s_and_saveexec_b32 s6, s3
	s_cbranch_execnz .LBB122_33
	s_branch .LBB122_34
.LBB122_52:                             ;   in Loop: Header=BB122_12 Depth=2
	ds_load_b64 v[30:31], v34
	s_wait_alu 0xfffe
	s_or_b32 exec_lo, exec_lo, s6
	s_and_saveexec_b32 s6, s3
	s_cbranch_execz .LBB122_38
.LBB122_53:                             ;   in Loop: Header=BB122_12 Depth=2
	s_wait_dscnt 0x0
	ds_bpermute_b32 v5, v41, v30
	ds_bpermute_b32 v44, v41, v31
	s_wait_dscnt 0x0
	v_dual_add_f32 v5, v30, v5 :: v_dual_add_f32 v30, v31, v44
	ds_bpermute_b32 v31, v42, v5
	ds_bpermute_b32 v44, v42, v30
	s_wait_dscnt 0x1
	v_add_f32_e32 v5, v5, v31
	s_wait_dscnt 0x0
	v_add_f32_e32 v31, v30, v44
	ds_bpermute_b32 v30, v43, v5
	s_wait_dscnt 0x0
	v_add_f32_e32 v30, v5, v30
	ds_bpermute_b32 v44, v43, v31
	s_wait_dscnt 0x0
	v_add_f32_e32 v31, v31, v44
	s_wait_alu 0xfffe
	s_or_b32 exec_lo, exec_lo, s6
	s_and_saveexec_b32 s6, s0
	s_cbranch_execz .LBB122_11
.LBB122_54:                             ;   in Loop: Header=BB122_12 Depth=2
	v_dual_mul_f32 v5, s15, v25 :: v_dual_mul_f32 v46, s15, v27
	v_mul_f32_e32 v45, s14, v25
	v_mul_f32_e32 v25, s14, v27
	s_or_b32 s70, s24, 1
	s_mov_b32 s71, s25
	s_mul_u64 s[8:9], s[24:25], s[28:29]
	v_fma_f32 v44, v24, s14, -v5
	s_wait_alu 0xfffe
	s_mul_u64 s[70:71], s[70:71], s[28:29]
	v_fmac_f32_e32 v45, s15, v24
	s_lshl_b64 s[8:9], s[8:9], 3
	v_fma_f32 v24, v26, s14, -v46
	v_fmac_f32_e32 v25, s15, v26
	v_mul_f32_e32 v5, s15, v29
	s_wait_alu 0xfffe
	s_lshl_b64 s[70:71], s[70:71], 3
	s_add_nc_u64 s[8:9], s[56:57], s[8:9]
	s_wait_alu 0xfffe
	s_add_nc_u64 s[70:71], s[56:57], s[70:71]
	s_clause 0x1
	global_store_b64 v4, v[44:45], s[8:9]
	global_store_b64 v4, v[24:25], s[70:71]
	v_mul_f32_e32 v25, s14, v29
	v_fma_f32 v24, v28, s14, -v5
	s_wait_dscnt 0x0
	v_mul_f32_e32 v5, s15, v31
	v_mul_f32_e32 v27, s14, v31
	s_or_b32 s8, s24, 2
	s_mov_b32 s9, s25
	s_or_b32 s70, s24, 3
	s_mov_b32 s71, s25
	s_wait_alu 0xfffe
	s_mul_u64 s[8:9], s[8:9], s[28:29]
	s_mul_u64 s[70:71], s[70:71], s[28:29]
	v_fmac_f32_e32 v25, s15, v28
	s_wait_alu 0xfffe
	s_lshl_b64 s[8:9], s[8:9], 3
	v_fma_f32 v26, v30, s14, -v5
	v_fmac_f32_e32 v27, s15, v30
	s_lshl_b64 s[70:71], s[70:71], 3
	s_wait_alu 0xfffe
	s_add_nc_u64 s[8:9], s[56:57], s[8:9]
	s_add_nc_u64 s[70:71], s[56:57], s[70:71]
	s_clause 0x1
	global_store_b64 v4, v[24:25], s[8:9]
	global_store_b64 v4, v[26:27], s[70:71]
	s_branch .LBB122_11
.LBB122_55:                             ;   in Loop: Header=BB122_12 Depth=2
	v_dual_mov_b32 v44, 0 :: v_dual_mov_b32 v45, 0
	v_dual_mov_b32 v26, 0 :: v_dual_mov_b32 v27, 0
	;; [unrolled: 1-line block ×4, first 2 shown]
.LBB122_56:                             ;   in Loop: Header=BB122_12 Depth=2
	s_wait_alu 0xfffe
	s_or_b32 exec_lo, exec_lo, s7
	s_delay_alu instid0(SALU_CYCLE_1)
	s_or_b32 exec_lo, exec_lo, s6
	s_and_saveexec_b32 s6, s3
	s_cbranch_execnz .LBB122_15
	s_branch .LBB122_16
.LBB122_57:                             ;   in Loop: Header=BB122_3 Depth=1
	s_mov_b32 s24, 0
.LBB122_58:                             ;   in Loop: Header=BB122_3 Depth=1
	s_delay_alu instid0(SALU_CYCLE_1)
	s_cmp_ge_i32 s24, s13
	s_cbranch_scc1 .LBB122_2
; %bb.59:                               ;   in Loop: Header=BB122_3 Depth=1
	v_cmp_gt_u32_e32 vcc_lo, 24, v36
	s_mul_u64 s[6:7], s[52:53], s[24:25]
	s_wait_alu 0xfffe
	s_add_nc_u64 s[6:7], s[6:7], s[58:59]
	s_wait_alu 0xfffd
	v_cndmask_b32_e64 v5, 0, 8, vcc_lo
	v_cmp_gt_u32_e32 vcc_lo, 28, v36
	s_delay_alu instid0(VALU_DEP_2) | instskip(SKIP_3) | instid1(VALU_DEP_2)
	v_add_lshl_u32 v26, v5, v36, 2
	s_wait_alu 0xfffd
	v_cndmask_b32_e64 v14, 0, 4, vcc_lo
	v_cmp_gt_u32_e32 vcc_lo, 30, v36
	v_add_lshl_u32 v27, v14, v36, 2
	s_wait_alu 0xfffd
	v_cndmask_b32_e64 v15, 0, 2, vcc_lo
	v_cmp_ne_u32_e32 vcc_lo, 31, v36
	s_delay_alu instid0(VALU_DEP_2)
	v_add_lshl_u32 v28, v15, v36, 2
	s_wait_alu 0xfffd
	v_add_co_ci_u32_e64 v16, null, 0, v36, vcc_lo
	v_add_co_u32 v14, vcc_lo, s60, v0
	s_wait_alu 0xfffd
	v_add_co_ci_u32_e64 v15, null, s61, v1, vcc_lo
	s_delay_alu instid0(VALU_DEP_3)
	v_lshlrev_b32_e32 v29, 2, v16
	v_add_co_u32 v16, vcc_lo, s60, v6
	s_wait_alu 0xfffd
	v_add_co_ci_u32_e64 v17, null, s61, v7, vcc_lo
	v_add_co_u32 v18, vcc_lo, s60, v8
	s_wait_alu 0xfffd
	v_add_co_ci_u32_e64 v19, null, s61, v9, vcc_lo
	v_add_co_u32 v20, vcc_lo, s60, v10
	s_wait_alu 0xfffd
	v_add_co_ci_u32_e64 v21, null, s61, v11, vcc_lo
	s_wait_alu 0xfffe
	v_add_co_u32 v22, vcc_lo, v32, s6
	s_wait_alu 0xfffd
	v_add_co_ci_u32_e64 v23, null, s7, v33, vcc_lo
	s_branch .LBB122_61
.LBB122_60:                             ;   in Loop: Header=BB122_61 Depth=2
	s_wait_alu 0xfffe
	s_or_b32 exec_lo, exec_lo, s6
	v_add_co_u32 v22, vcc_lo, v22, s52
	s_wait_alu 0xfffd
	v_add_co_ci_u32_e64 v23, null, s53, v23, vcc_lo
	s_add_co_i32 s24, s24, 1
	s_delay_alu instid0(SALU_CYCLE_1)
	s_cmp_lt_i32 s24, s13
	s_cbranch_scc0 .LBB122_2
.LBB122_61:                             ;   Parent Loop BB122_3 Depth=1
                                        ; =>  This Loop Header: Depth=2
                                        ;       Child Loop BB122_73 Depth 3
                                        ;       Child Loop BB122_75 Depth 3
                                        ; implicit-def: $vgpr30
                                        ; implicit-def: $vgpr31
	s_and_saveexec_b32 s6, s1
	s_wait_alu 0xfffe
	s_xor_b32 s6, exec_lo, s6
	s_cbranch_execnz .LBB122_70
; %bb.62:                               ;   in Loop: Header=BB122_61 Depth=2
	s_wait_alu 0xfffe
	s_and_not1_saveexec_b32 s6, s6
	s_cbranch_execnz .LBB122_71
.LBB122_63:                             ;   in Loop: Header=BB122_61 Depth=2
	s_wait_alu 0xfffe
	s_or_b32 exec_lo, exec_lo, s6
	s_and_saveexec_b32 s6, s3
.LBB122_64:                             ;   in Loop: Header=BB122_61 Depth=2
	v_mov_b32_e32 v5, v4
	ds_store_b64 v34, v[4:5]
.LBB122_65:                             ;   in Loop: Header=BB122_61 Depth=2
	s_wait_alu 0xfffe
	s_or_b32 exec_lo, exec_lo, s6
	s_wait_dscnt 0x0
	ds_bpermute_b32 v5, v37, v30
	ds_bpermute_b32 v24, v37, v31
	s_wait_storecnt 0x0
	s_wait_loadcnt_dscnt 0x0
	s_barrier_signal -1
	s_barrier_wait -1
	global_inv scope:SCOPE_SE
	v_dual_add_f32 v5, v30, v5 :: v_dual_add_f32 v24, v31, v24
	ds_bpermute_b32 v25, v26, v5
	ds_bpermute_b32 v30, v26, v24
	s_wait_dscnt 0x0
	v_dual_add_f32 v5, v5, v25 :: v_dual_add_f32 v24, v24, v30
	ds_bpermute_b32 v25, v27, v5
	ds_bpermute_b32 v30, v27, v24
	s_wait_dscnt 0x0
	;; [unrolled: 4-line block ×3, first 2 shown]
	v_dual_add_f32 v5, v5, v25 :: v_dual_add_f32 v24, v24, v30
	ds_bpermute_b32 v25, v29, v5
	ds_bpermute_b32 v30, v29, v24
	s_and_saveexec_b32 s6, s4
	s_cbranch_execz .LBB122_67
; %bb.66:                               ;   in Loop: Header=BB122_61 Depth=2
	s_wait_dscnt 0x0
	v_dual_add_f32 v31, v24, v30 :: v_dual_add_f32 v30, v5, v25
	ds_store_b64 v35, v[30:31]
.LBB122_67:                             ;   in Loop: Header=BB122_61 Depth=2
	s_wait_alu 0xfffe
	s_or_b32 exec_lo, exec_lo, s6
	s_wait_dscnt 0x1
	v_dual_mov_b32 v25, 0 :: v_dual_mov_b32 v24, 0
	s_wait_loadcnt_dscnt 0x0
	s_barrier_signal -1
	s_barrier_wait -1
	global_inv scope:SCOPE_SE
	s_and_saveexec_b32 s6, s5
	s_cbranch_execnz .LBB122_77
; %bb.68:                               ;   in Loop: Header=BB122_61 Depth=2
	s_wait_alu 0xfffe
	s_or_b32 exec_lo, exec_lo, s6
	s_and_saveexec_b32 s6, s3
	s_cbranch_execnz .LBB122_78
.LBB122_69:                             ;   in Loop: Header=BB122_61 Depth=2
	s_wait_alu 0xfffe
	s_or_b32 exec_lo, exec_lo, s6
	s_and_saveexec_b32 s6, s0
	s_cbranch_execz .LBB122_60
	s_branch .LBB122_79
.LBB122_70:                             ;   in Loop: Header=BB122_61 Depth=2
	s_mul_u64 s[8:9], s[24:25], s[26:27]
	s_wait_alu 0xfffe
	s_lshl_b64 s[8:9], s[8:9], 3
	s_wait_dscnt 0x0
	s_wait_alu 0xfffe
	v_add_co_u32 v24, vcc_lo, v38, s8
	s_wait_alu 0xfffd
	v_add_co_ci_u32_e64 v25, null, s9, v39, vcc_lo
	global_load_b128 v[40:43], v[24:25], off
	s_clause 0x1
	global_load_b64 v[44:45], v[14:15], off
	global_load_b64 v[46:47], v[16:17], off
	global_load_b128 v[48:51], v[24:25], off offset:16
	s_clause 0x1
	global_load_b64 v[52:53], v[18:19], off
	global_load_b64 v[54:55], v[20:21], off
	s_wait_loadcnt 0x3
	scratch_store_b128 off, v[44:47], off
	s_wait_loadcnt 0x0
	scratch_store_b128 off, v[52:55], off offset:16
	s_wait_dscnt 0x0
	v_dual_mul_f32 v5, v45, v41 :: v_dual_mul_f32 v30, v46, v43
	v_dual_mul_f32 v24, v44, v41 :: v_dual_mul_f32 v25, v47, v43
	v_mul_f32_e32 v41, v52, v49
	s_delay_alu instid0(VALU_DEP_3) | instskip(SKIP_1) | instid1(VALU_DEP_4)
	v_fma_f32 v5, v44, v40, -v5
	v_mul_f32_e32 v31, v53, v49
	v_fmac_f32_e32 v24, v45, v40
	v_fma_f32 v25, v46, v42, -v25
	s_delay_alu instid0(VALU_DEP_4) | instskip(SKIP_1) | instid1(VALU_DEP_4)
	v_dual_fmac_f32 v30, v47, v42 :: v_dual_add_f32 v5, 0, v5
	v_mul_f32_e32 v40, v55, v51
	v_add_f32_e32 v24, 0, v24
	v_dual_mul_f32 v42, v54, v51 :: v_dual_fmac_f32 v41, v53, v48
	v_fma_f32 v31, v52, v48, -v31
	s_delay_alu instid0(VALU_DEP_3) | instskip(SKIP_1) | instid1(VALU_DEP_2)
	v_dual_add_f32 v5, v5, v25 :: v_dual_add_f32 v24, v24, v30
	v_fma_f32 v25, v54, v50, -v40
	v_dual_fmac_f32 v42, v55, v50 :: v_dual_add_f32 v5, v5, v31
	s_delay_alu instid0(VALU_DEP_3) | instskip(NEXT) | instid1(VALU_DEP_1)
	v_add_f32_e32 v24, v24, v41
	v_dual_add_f32 v30, v5, v25 :: v_dual_add_f32 v31, v24, v42
	s_and_not1_saveexec_b32 s6, s6
	s_cbranch_execz .LBB122_63
.LBB122_71:                             ;   in Loop: Header=BB122_61 Depth=2
	s_wait_dscnt 0x0
	v_dual_mov_b32 v30, 0 :: v_dual_mov_b32 v31, 0
	s_and_saveexec_b32 s7, s67
	s_cbranch_execz .LBB122_76
; %bb.72:                               ;   in Loop: Header=BB122_61 Depth=2
	v_dual_mov_b32 v25, v13 :: v_dual_mov_b32 v24, v12
	s_mov_b32 s8, 0
	s_mov_b32 s9, s65
.LBB122_73:                             ;   Parent Loop BB122_3 Depth=1
                                        ;     Parent Loop BB122_61 Depth=2
                                        ; =>    This Inner Loop Header: Depth=3
	global_load_b64 v[30:31], v[24:25], off
	v_add_co_u32 v24, vcc_lo, v24, s44
	s_wait_alu 0xfffd
	v_add_co_ci_u32_e64 v25, null, s45, v25, vcc_lo
	s_wait_alu 0xfffe
	s_add_co_i32 s9, s9, -1
	s_wait_loadcnt 0x0
	scratch_store_b64 off, v[30:31], s8
	s_add_co_i32 s8, s8, 8
	s_wait_alu 0xfffe
	s_cmp_eq_u32 s9, 0
	s_cbranch_scc0 .LBB122_73
; %bb.74:                               ;   in Loop: Header=BB122_61 Depth=2
	v_dual_mov_b32 v30, 0 :: v_dual_mov_b32 v25, v23
	v_dual_mov_b32 v24, v22 :: v_dual_mov_b32 v31, 0
	s_mov_b32 s8, s68
	s_mov_b32 s9, s65
.LBB122_75:                             ;   Parent Loop BB122_3 Depth=1
                                        ;     Parent Loop BB122_61 Depth=2
                                        ; =>    This Inner Loop Header: Depth=3
	global_load_b64 v[40:41], v[24:25], off
	scratch_load_b64 v[42:43], off, s8 offset:-4
	v_add_co_u32 v24, vcc_lo, v24, 8
	s_wait_alu 0xfffd
	v_add_co_ci_u32_e64 v25, null, 0, v25, vcc_lo
	s_wait_alu 0xfffe
	s_add_co_i32 s9, s9, -1
	s_add_co_i32 s8, s8, 8
	s_wait_alu 0xfffe
	s_cmp_lg_u32 s9, 0
	s_wait_loadcnt 0x0
	v_mul_f32_e32 v5, v43, v41
	v_mul_f32_e32 v41, v42, v41
	s_delay_alu instid0(VALU_DEP_2) | instskip(NEXT) | instid1(VALU_DEP_1)
	v_fma_f32 v5, v42, v40, -v5
	v_dual_fmac_f32 v41, v43, v40 :: v_dual_add_f32 v30, v30, v5
	s_delay_alu instid0(VALU_DEP_1)
	v_add_f32_e32 v31, v31, v41
	s_cbranch_scc1 .LBB122_75
.LBB122_76:                             ;   in Loop: Header=BB122_61 Depth=2
	s_wait_alu 0xfffe
	s_or_b32 exec_lo, exec_lo, s7
	s_delay_alu instid0(SALU_CYCLE_1)
	s_or_b32 exec_lo, exec_lo, s6
	s_and_saveexec_b32 s6, s3
	s_cbranch_execnz .LBB122_64
	s_branch .LBB122_65
.LBB122_77:                             ;   in Loop: Header=BB122_61 Depth=2
	ds_load_b64 v[24:25], v34
	s_wait_alu 0xfffe
	s_or_b32 exec_lo, exec_lo, s6
	s_and_saveexec_b32 s6, s3
	s_cbranch_execz .LBB122_69
.LBB122_78:                             ;   in Loop: Header=BB122_61 Depth=2
	s_wait_dscnt 0x0
	ds_bpermute_b32 v5, v27, v24
	ds_bpermute_b32 v30, v27, v25
	s_wait_dscnt 0x0
	v_dual_add_f32 v5, v24, v5 :: v_dual_add_f32 v24, v25, v30
	ds_bpermute_b32 v25, v28, v5
	ds_bpermute_b32 v30, v28, v24
	s_wait_dscnt 0x1
	v_add_f32_e32 v5, v5, v25
	s_wait_dscnt 0x0
	v_add_f32_e32 v25, v24, v30
	ds_bpermute_b32 v24, v29, v5
	s_wait_dscnt 0x0
	v_add_f32_e32 v24, v5, v24
	ds_bpermute_b32 v30, v29, v25
	s_wait_dscnt 0x0
	v_add_f32_e32 v25, v25, v30
	s_wait_alu 0xfffe
	s_or_b32 exec_lo, exec_lo, s6
	s_and_saveexec_b32 s6, s0
	s_cbranch_execz .LBB122_60
.LBB122_79:                             ;   in Loop: Header=BB122_61 Depth=2
	s_wait_dscnt 0x0
	v_mul_f32_e32 v5, s15, v25
	v_mul_f32_e32 v31, s14, v25
	s_mul_u64 s[8:9], s[24:25], s[28:29]
	s_wait_alu 0xfffe
	s_lshl_b64 s[8:9], s[8:9], 3
	v_fma_f32 v30, v24, s14, -v5
	v_fmac_f32_e32 v31, s15, v24
	s_wait_alu 0xfffe
	s_add_nc_u64 s[8:9], s[56:57], s[8:9]
	global_store_b64 v4, v[30:31], s[8:9]
	s_branch .LBB122_60
.LBB122_80:
	s_endpgm
	.section	.rodata,"a",@progbits
	.p2align	6, 0x0
	.amdhsa_kernel _ZL23rocblas_gemvt_sn_kernelILb0ELi256ELi4El19rocblas_complex_numIfES1_S1_EviiT4_lPKT3_lilS5_lilPT5_i
		.amdhsa_group_segment_fixed_size 256
		.amdhsa_private_segment_fixed_size 48
		.amdhsa_kernarg_size 360
		.amdhsa_user_sgpr_count 2
		.amdhsa_user_sgpr_dispatch_ptr 0
		.amdhsa_user_sgpr_queue_ptr 0
		.amdhsa_user_sgpr_kernarg_segment_ptr 1
		.amdhsa_user_sgpr_dispatch_id 0
		.amdhsa_user_sgpr_private_segment_size 0
		.amdhsa_wavefront_size32 1
		.amdhsa_uses_dynamic_stack 0
		.amdhsa_enable_private_segment 1
		.amdhsa_system_sgpr_workgroup_id_x 1
		.amdhsa_system_sgpr_workgroup_id_y 0
		.amdhsa_system_sgpr_workgroup_id_z 1
		.amdhsa_system_sgpr_workgroup_info 0
		.amdhsa_system_vgpr_workitem_id 0
		.amdhsa_next_free_vgpr 91
		.amdhsa_next_free_sgpr 74
		.amdhsa_reserve_vcc 1
		.amdhsa_float_round_mode_32 0
		.amdhsa_float_round_mode_16_64 0
		.amdhsa_float_denorm_mode_32 3
		.amdhsa_float_denorm_mode_16_64 3
		.amdhsa_fp16_overflow 0
		.amdhsa_workgroup_processor_mode 1
		.amdhsa_memory_ordered 1
		.amdhsa_forward_progress 1
		.amdhsa_inst_pref_size 45
		.amdhsa_round_robin_scheduling 0
		.amdhsa_exception_fp_ieee_invalid_op 0
		.amdhsa_exception_fp_denorm_src 0
		.amdhsa_exception_fp_ieee_div_zero 0
		.amdhsa_exception_fp_ieee_overflow 0
		.amdhsa_exception_fp_ieee_underflow 0
		.amdhsa_exception_fp_ieee_inexact 0
		.amdhsa_exception_int_div_zero 0
	.end_amdhsa_kernel
	.section	.text._ZL23rocblas_gemvt_sn_kernelILb0ELi256ELi4El19rocblas_complex_numIfES1_S1_EviiT4_lPKT3_lilS5_lilPT5_i,"axG",@progbits,_ZL23rocblas_gemvt_sn_kernelILb0ELi256ELi4El19rocblas_complex_numIfES1_S1_EviiT4_lPKT3_lilS5_lilPT5_i,comdat
.Lfunc_end122:
	.size	_ZL23rocblas_gemvt_sn_kernelILb0ELi256ELi4El19rocblas_complex_numIfES1_S1_EviiT4_lPKT3_lilS5_lilPT5_i, .Lfunc_end122-_ZL23rocblas_gemvt_sn_kernelILb0ELi256ELi4El19rocblas_complex_numIfES1_S1_EviiT4_lPKT3_lilS5_lilPT5_i
                                        ; -- End function
	.set _ZL23rocblas_gemvt_sn_kernelILb0ELi256ELi4El19rocblas_complex_numIfES1_S1_EviiT4_lPKT3_lilS5_lilPT5_i.num_vgpr, 91
	.set _ZL23rocblas_gemvt_sn_kernelILb0ELi256ELi4El19rocblas_complex_numIfES1_S1_EviiT4_lPKT3_lilS5_lilPT5_i.num_agpr, 0
	.set _ZL23rocblas_gemvt_sn_kernelILb0ELi256ELi4El19rocblas_complex_numIfES1_S1_EviiT4_lPKT3_lilS5_lilPT5_i.numbered_sgpr, 74
	.set _ZL23rocblas_gemvt_sn_kernelILb0ELi256ELi4El19rocblas_complex_numIfES1_S1_EviiT4_lPKT3_lilS5_lilPT5_i.num_named_barrier, 0
	.set _ZL23rocblas_gemvt_sn_kernelILb0ELi256ELi4El19rocblas_complex_numIfES1_S1_EviiT4_lPKT3_lilS5_lilPT5_i.private_seg_size, 48
	.set _ZL23rocblas_gemvt_sn_kernelILb0ELi256ELi4El19rocblas_complex_numIfES1_S1_EviiT4_lPKT3_lilS5_lilPT5_i.uses_vcc, 1
	.set _ZL23rocblas_gemvt_sn_kernelILb0ELi256ELi4El19rocblas_complex_numIfES1_S1_EviiT4_lPKT3_lilS5_lilPT5_i.uses_flat_scratch, 0
	.set _ZL23rocblas_gemvt_sn_kernelILb0ELi256ELi4El19rocblas_complex_numIfES1_S1_EviiT4_lPKT3_lilS5_lilPT5_i.has_dyn_sized_stack, 0
	.set _ZL23rocblas_gemvt_sn_kernelILb0ELi256ELi4El19rocblas_complex_numIfES1_S1_EviiT4_lPKT3_lilS5_lilPT5_i.has_recursion, 0
	.set _ZL23rocblas_gemvt_sn_kernelILb0ELi256ELi4El19rocblas_complex_numIfES1_S1_EviiT4_lPKT3_lilS5_lilPT5_i.has_indirect_call, 0
	.section	.AMDGPU.csdata,"",@progbits
; Kernel info:
; codeLenInByte = 5748
; TotalNumSgprs: 76
; NumVgprs: 91
; ScratchSize: 48
; MemoryBound: 0
; FloatMode: 240
; IeeeMode: 1
; LDSByteSize: 256 bytes/workgroup (compile time only)
; SGPRBlocks: 0
; VGPRBlocks: 11
; NumSGPRsForWavesPerEU: 76
; NumVGPRsForWavesPerEU: 91
; Occupancy: 16
; WaveLimiterHint : 1
; COMPUTE_PGM_RSRC2:SCRATCH_EN: 1
; COMPUTE_PGM_RSRC2:USER_SGPR: 2
; COMPUTE_PGM_RSRC2:TRAP_HANDLER: 0
; COMPUTE_PGM_RSRC2:TGID_X_EN: 1
; COMPUTE_PGM_RSRC2:TGID_Y_EN: 0
; COMPUTE_PGM_RSRC2:TGID_Z_EN: 1
; COMPUTE_PGM_RSRC2:TIDIG_COMP_CNT: 0
	.section	.text._ZL23rocblas_gemvt_sn_reduceILi256ELi8E19rocblas_complex_numIfES1_S1_EviT2_lPT3_lilPT1_i,"axG",@progbits,_ZL23rocblas_gemvt_sn_reduceILi256ELi8E19rocblas_complex_numIfES1_S1_EviT2_lPT3_lilPT1_i,comdat
	.globl	_ZL23rocblas_gemvt_sn_reduceILi256ELi8E19rocblas_complex_numIfES1_S1_EviT2_lPT3_lilPT1_i ; -- Begin function _ZL23rocblas_gemvt_sn_reduceILi256ELi8E19rocblas_complex_numIfES1_S1_EviT2_lPT3_lilPT1_i
	.p2align	8
	.type	_ZL23rocblas_gemvt_sn_reduceILi256ELi8E19rocblas_complex_numIfES1_S1_EviT2_lPT3_lilPT1_i,@function
_ZL23rocblas_gemvt_sn_reduceILi256ELi8E19rocblas_complex_numIfES1_S1_EviT2_lPT3_lilPT1_i: ; @_ZL23rocblas_gemvt_sn_reduceILi256ELi8E19rocblas_complex_numIfES1_S1_EviT2_lPT3_lilPT1_i
; %bb.0:
	s_load_b32 s15, s[0:1], 0x40
	s_lshr_b32 s16, ttmp7, 16
	s_wait_kmcnt 0x0
	s_cmp_ge_u32 s16, s15
	s_cbranch_scc1 .LBB123_21
; %bb.1:
	s_clause 0x5
	s_load_b32 s28, s[0:1], 0x4c
	s_load_b32 s19, s[0:1], 0x54
	;; [unrolled: 1-line block ×3, first 2 shown]
	s_load_b128 s[4:7], s[0:1], 0x18
	s_load_b96 s[12:14], s[0:1], 0x0
	s_load_b128 s[8:11], s[0:1], 0x30
	v_mbcnt_lo_u32_b32 v3, -1, 0
	v_dual_mov_b32 v1, 0 :: v_dual_and_b32 v2, 31, v0
	s_and_b32 s18, ttmp7, 0xffff
	v_lshlrev_b32_e32 v9, 3, v0
	s_delay_alu instid0(VALU_DEP_3)
	v_cmp_gt_u32_e32 vcc_lo, 24, v3
	v_cmp_gt_u32_e64 s0, 32, v0
	v_lshlrev_b32_e32 v10, 3, v2
	v_mov_b32_e32 v6, v1
	s_mov_b32 s17, 0
	v_cndmask_b32_e64 v4, 0, 8, vcc_lo
	v_cmp_gt_u32_e32 vcc_lo, 28, v3
	v_lshl_or_b32 v11, v3, 2, 64
	s_delay_alu instid0(VALU_DEP_3)
	v_add_lshl_u32 v12, v4, v3, 2
	s_wait_alu 0xfffd
	v_cndmask_b32_e64 v4, 0, 4, vcc_lo
	v_cmp_gt_u32_e32 vcc_lo, 30, v3
	s_wait_kmcnt 0x0
	s_ashr_i32 s21, s12, 31
	s_lshl_b64 s[2:3], s[6:7], 3
	s_lshr_b32 s1, s21, 29
	s_add_nc_u64 s[22:23], s[4:5], s[2:3]
	s_add_co_i32 s1, s12, s1
	v_cmp_eq_u32_e64 s3, 0, v2
	v_lshlrev_b32_e32 v2, 6, v0
	s_and_b32 s29, s1, -8
	s_and_b32 s26, s19, 0xffff
	s_wait_alu 0xfffd
	v_cndmask_b32_e64 v7, 0, 2, vcc_lo
	v_cmp_ne_u32_e32 vcc_lo, 31, v3
	s_sub_co_i32 s2, s12, s29
	s_ashr_i32 s25, s24, 31
	s_lshl_b32 s30, s26, 3
	v_xad_u32 v5, v0, -1, s12
	v_cmp_gt_u32_e64 s2, s2, v0
	v_add_lshl_u32 v13, v4, v3, 2
	v_lshrrev_b32_e32 v4, 2, v0
	s_cmp_neq_f32 s13, 0
	v_cmp_gt_u32_e64 s4, 8, v0
	v_cmp_eq_u32_e64 s5, 0, v0
	v_add_co_u32 v0, s6, s10, v2
	s_wait_alu 0xfffd
	v_add_co_ci_u32_e64 v8, null, 0, v3, vcc_lo
	v_add_co_ci_u32_e64 v2, null, s11, 0, s6
	s_cselect_b32 s27, -1, 0
	s_cmp_neq_f32 s14, 0
	v_add_lshl_u32 v14, v7, v3, 2
	v_add_co_u32 v3, vcc_lo, v0, 60
	s_mov_b32 s19, s17
	v_lshlrev_b64_e32 v[5:6], 3, v[5:6]
	v_cmp_gt_i32_e64 s1, s29, v9
	v_lshlrev_b32_e32 v15, 2, v8
	v_and_b32_e32 v16, 56, v4
	s_wait_alu 0xfffd
	v_add_co_ci_u32_e64 v4, null, 0, v2, vcc_lo
	s_mov_b32 s20, s12
	s_cselect_b32 s31, -1, 0
	s_mul_u64 s[6:7], s[24:25], s[18:19]
	s_mul_i32 s12, s16, s28
	s_lshl_b64 s[24:25], s[20:21], 3
	s_wait_alu 0xfffe
	s_add_co_i32 s12, s18, s12
	s_or_b32 s19, s27, s31
	s_lshl_b32 s31, s28, 16
	s_lshl_b32 s33, s26, 6
	s_lshl_b64 s[26:27], s[6:7], 3
	s_branch .LBB123_4
.LBB123_2:                              ;   in Loop: Header=BB123_4 Depth=1
	s_wait_dscnt 0x0
	global_store_b64 v1, v[7:8], s[6:7]
.LBB123_3:                              ;   in Loop: Header=BB123_4 Depth=1
	s_wait_alu 0xfffe
	s_or_b32 exec_lo, exec_lo, s34
	s_add_co_i32 s16, s16, 0x10000
	s_add_co_i32 s12, s12, s31
	s_cmp_lt_u32 s16, s15
	s_cbranch_scc0 .LBB123_21
.LBB123_4:                              ; =>This Loop Header: Depth=1
                                        ;     Child Loop BB123_14 Depth 2
	v_dual_mov_b32 v0, 0 :: v_dual_mov_b32 v17, 0
	s_and_saveexec_b32 s7, s1
	s_cbranch_execnz .LBB123_13
; %bb.5:                                ;   in Loop: Header=BB123_4 Depth=1
	s_wait_alu 0xfffe
	s_or_b32 exec_lo, exec_lo, s7
	s_and_saveexec_b32 s6, s2
	s_cbranch_execnz .LBB123_16
.LBB123_6:                              ;   in Loop: Header=BB123_4 Depth=1
	s_wait_alu 0xfffe
	s_or_b32 exec_lo, exec_lo, s6
	s_and_saveexec_b32 s6, s0
.LBB123_7:                              ;   in Loop: Header=BB123_4 Depth=1
	v_mov_b32_e32 v2, v1
	ds_store_b64 v10, v[1:2]
.LBB123_8:                              ;   in Loop: Header=BB123_4 Depth=1
	s_wait_alu 0xfffe
	s_or_b32 exec_lo, exec_lo, s6
	s_wait_dscnt 0x0
	ds_bpermute_b32 v7, v11, v0
	ds_bpermute_b32 v2, v11, v17
	s_wait_dscnt 0x0
	s_barrier_signal -1
	s_barrier_wait -1
	global_inv scope:SCOPE_SE
	v_add_f32_e32 v0, v0, v7
	ds_bpermute_b32 v8, v12, v0
	s_wait_dscnt 0x0
	v_add_f32_e32 v0, v0, v8
	ds_bpermute_b32 v8, v13, v0
	v_add_f32_e32 v2, v17, v2
	ds_bpermute_b32 v7, v12, v2
	s_wait_dscnt 0x0
	v_add_f32_e32 v2, v2, v7
	ds_bpermute_b32 v7, v13, v2
	s_wait_dscnt 0x0
	v_dual_add_f32 v2, v2, v7 :: v_dual_add_f32 v7, v0, v8
	ds_bpermute_b32 v0, v14, v2
	ds_bpermute_b32 v8, v14, v7
	s_wait_dscnt 0x1
	v_add_f32_e32 v0, v2, v0
	s_wait_dscnt 0x0
	v_add_f32_e32 v2, v7, v8
	ds_bpermute_b32 v7, v15, v0
	ds_bpermute_b32 v8, v15, v2
	s_and_saveexec_b32 s6, s3
	s_cbranch_execz .LBB123_10
; %bb.9:                                ;   in Loop: Header=BB123_4 Depth=1
	s_wait_dscnt 0x0
	v_dual_add_f32 v8, v2, v8 :: v_dual_add_f32 v7, v0, v7
	ds_store_b64 v16, v[7:8]
.LBB123_10:                             ;   in Loop: Header=BB123_4 Depth=1
	s_wait_alu 0xfffe
	s_or_b32 exec_lo, exec_lo, s6
	s_wait_dscnt 0x0
	v_dual_mov_b32 v8, 0 :: v_dual_mov_b32 v7, 0
	s_wait_loadcnt 0x0
	s_barrier_signal -1
	s_barrier_wait -1
	global_inv scope:SCOPE_SE
	s_and_saveexec_b32 s6, s4
	s_cbranch_execnz .LBB123_17
; %bb.11:                               ;   in Loop: Header=BB123_4 Depth=1
	s_wait_alu 0xfffe
	s_or_b32 exec_lo, exec_lo, s6
	s_and_saveexec_b32 s6, s0
	s_cbranch_execnz .LBB123_18
.LBB123_12:                             ;   in Loop: Header=BB123_4 Depth=1
	s_wait_alu 0xfffe
	s_or_b32 exec_lo, exec_lo, s6
	s_and_saveexec_b32 s34, s5
	s_cbranch_execz .LBB123_3
	s_branch .LBB123_19
.LBB123_13:                             ;   in Loop: Header=BB123_4 Depth=1
	s_wait_dscnt 0x0
	s_wait_alu 0xfffe
	v_mad_co_u64_u32 v[7:8], null, s24, s12, v[3:4]
	v_mov_b32_e32 v2, v9
	s_mov_b32 s34, 0
	s_delay_alu instid0(VALU_DEP_2) | instskip(NEXT) | instid1(VALU_DEP_1)
	v_mov_b32_e32 v0, v8
	v_mad_co_u64_u32 v[17:18], null, s25, s12, v[0:1]
	v_mov_b32_e32 v0, 0
	s_delay_alu instid0(VALU_DEP_2)
	v_dual_mov_b32 v8, v17 :: v_dual_mov_b32 v17, 0
.LBB123_14:                             ;   Parent Loop BB123_4 Depth=1
                                        ; =>  This Inner Loop Header: Depth=2
	s_clause 0x3
	global_load_b128 v[18:21], v[7:8], off offset:-60
	global_load_b128 v[22:25], v[7:8], off offset:-44
	;; [unrolled: 1-line block ×4, first 2 shown]
	v_add_co_u32 v7, vcc_lo, v7, s33
	s_wait_alu 0xfffd
	v_add_co_ci_u32_e64 v8, null, 0, v8, vcc_lo
	s_wait_loadcnt 0x3
	v_dual_add_f32 v17, v17, v18 :: v_dual_add_f32 v0, v0, v19
	s_delay_alu instid0(VALU_DEP_1) | instskip(SKIP_1) | instid1(VALU_DEP_1)
	v_dual_add_f32 v17, v17, v20 :: v_dual_add_f32 v0, v0, v21
	s_wait_loadcnt 0x2
	v_dual_add_f32 v17, v17, v22 :: v_dual_add_f32 v0, v0, v23
	s_delay_alu instid0(VALU_DEP_1) | instskip(SKIP_1) | instid1(VALU_DEP_1)
	v_dual_add_f32 v17, v17, v24 :: v_dual_add_f32 v0, v0, v25
	;; [unrolled: 4-line block ×3, first 2 shown]
	s_wait_loadcnt 0x0
	v_dual_add_f32 v17, v17, v30 :: v_dual_add_f32 v0, v0, v31
	s_delay_alu instid0(VALU_DEP_1) | instskip(NEXT) | instid1(VALU_DEP_2)
	v_dual_add_f32 v17, v17, v32 :: v_dual_add_nc_u32 v2, s30, v2
	v_add_f32_e32 v0, v0, v33
	s_delay_alu instid0(VALU_DEP_2)
	v_cmp_le_i32_e64 s6, s29, v2
	s_wait_alu 0xfffe
	s_or_b32 s34, s6, s34
	s_wait_alu 0xfffe
	s_and_not1_b32 exec_lo, exec_lo, s34
	s_cbranch_execnz .LBB123_14
; %bb.15:                               ;   in Loop: Header=BB123_4 Depth=1
	s_or_b32 exec_lo, exec_lo, s34
	s_delay_alu instid0(SALU_CYCLE_1)
	s_or_b32 exec_lo, exec_lo, s7
	s_and_saveexec_b32 s6, s2
	s_cbranch_execz .LBB123_6
.LBB123_16:                             ;   in Loop: Header=BB123_4 Depth=1
	s_mul_i32 s7, s28, s16
	s_mov_b32 s35, s17
	s_wait_alu 0xfffe
	s_add_co_i32 s34, s7, s18
	s_wait_alu 0xfffe
	s_mul_u64 s[34:35], s[34:35], s[20:21]
	s_wait_alu 0xfffe
	s_lshl_b64 s[34:35], s[34:35], 3
	s_wait_alu 0xfffe
	s_add_nc_u64 s[34:35], s[10:11], s[34:35]
	s_wait_dscnt 0x0
	s_wait_alu 0xfffe
	v_add_co_u32 v7, vcc_lo, s34, v5
	s_wait_alu 0xfffd
	v_add_co_ci_u32_e64 v8, null, s35, v6, vcc_lo
	global_load_b64 v[7:8], v[7:8], off
	s_wait_loadcnt 0x0
	v_dual_add_f32 v17, v17, v7 :: v_dual_add_f32 v0, v0, v8
	s_or_b32 exec_lo, exec_lo, s6
	s_and_saveexec_b32 s6, s0
	s_cbranch_execnz .LBB123_7
	s_branch .LBB123_8
.LBB123_17:                             ;   in Loop: Header=BB123_4 Depth=1
	ds_load_b64 v[7:8], v10
	s_wait_alu 0xfffe
	s_or_b32 exec_lo, exec_lo, s6
	s_and_saveexec_b32 s6, s0
	s_cbranch_execz .LBB123_12
.LBB123_18:                             ;   in Loop: Header=BB123_4 Depth=1
	s_wait_dscnt 0x0
	ds_bpermute_b32 v0, v13, v7
	ds_bpermute_b32 v2, v13, v8
	s_wait_dscnt 0x1
	v_add_f32_e32 v0, v7, v0
	s_wait_dscnt 0x0
	v_add_f32_e32 v2, v8, v2
	ds_bpermute_b32 v7, v14, v0
	ds_bpermute_b32 v8, v14, v2
	s_wait_dscnt 0x1
	v_add_f32_e32 v0, v0, v7
	ds_bpermute_b32 v7, v15, v0
	s_wait_dscnt 0x0
	v_dual_add_f32 v2, v2, v8 :: v_dual_add_f32 v7, v0, v7
	ds_bpermute_b32 v8, v15, v2
	s_wait_dscnt 0x0
	v_add_f32_e32 v8, v2, v8
	s_wait_alu 0xfffe
	s_or_b32 exec_lo, exec_lo, s6
	s_and_saveexec_b32 s34, s5
	s_cbranch_execz .LBB123_3
.LBB123_19:                             ;   in Loop: Header=BB123_4 Depth=1
	s_mul_u64 s[6:7], s[8:9], s[16:17]
	s_and_not1_b32 vcc_lo, exec_lo, s19
	s_wait_alu 0xfffe
	s_lshl_b64 s[6:7], s[6:7], 3
	s_wait_alu 0xfffe
	s_add_nc_u64 s[6:7], s[22:23], s[6:7]
	s_wait_alu 0xfffe
	s_add_nc_u64 s[6:7], s[6:7], s[26:27]
	s_cbranch_vccnz .LBB123_2
; %bb.20:                               ;   in Loop: Header=BB123_4 Depth=1
	global_load_b64 v[17:18], v1, s[6:7]
	s_wait_loadcnt 0x0
	v_mul_f32_e32 v0, s14, v18
	s_delay_alu instid0(VALU_DEP_1) | instskip(NEXT) | instid1(VALU_DEP_1)
	v_xor_b32_e32 v0, 0x80000000, v0
	v_fmac_f32_e32 v0, s13, v17
	s_wait_dscnt 0x0
	s_delay_alu instid0(VALU_DEP_1) | instskip(NEXT) | instid1(VALU_DEP_1)
	v_dual_mul_f32 v2, s13, v18 :: v_dual_add_f32 v7, v7, v0
	v_fmac_f32_e32 v2, s14, v17
	s_delay_alu instid0(VALU_DEP_1)
	v_add_f32_e32 v8, v8, v2
	s_branch .LBB123_2
.LBB123_21:
	s_endpgm
	.section	.rodata,"a",@progbits
	.p2align	6, 0x0
	.amdhsa_kernel _ZL23rocblas_gemvt_sn_reduceILi256ELi8E19rocblas_complex_numIfES1_S1_EviT2_lPT3_lilPT1_i
		.amdhsa_group_segment_fixed_size 256
		.amdhsa_private_segment_fixed_size 0
		.amdhsa_kernarg_size 328
		.amdhsa_user_sgpr_count 2
		.amdhsa_user_sgpr_dispatch_ptr 0
		.amdhsa_user_sgpr_queue_ptr 0
		.amdhsa_user_sgpr_kernarg_segment_ptr 1
		.amdhsa_user_sgpr_dispatch_id 0
		.amdhsa_user_sgpr_private_segment_size 0
		.amdhsa_wavefront_size32 1
		.amdhsa_uses_dynamic_stack 0
		.amdhsa_enable_private_segment 0
		.amdhsa_system_sgpr_workgroup_id_x 1
		.amdhsa_system_sgpr_workgroup_id_y 1
		.amdhsa_system_sgpr_workgroup_id_z 1
		.amdhsa_system_sgpr_workgroup_info 0
		.amdhsa_system_vgpr_workitem_id 0
		.amdhsa_next_free_vgpr 34
		.amdhsa_next_free_sgpr 36
		.amdhsa_reserve_vcc 1
		.amdhsa_float_round_mode_32 0
		.amdhsa_float_round_mode_16_64 0
		.amdhsa_float_denorm_mode_32 3
		.amdhsa_float_denorm_mode_16_64 3
		.amdhsa_fp16_overflow 0
		.amdhsa_workgroup_processor_mode 1
		.amdhsa_memory_ordered 1
		.amdhsa_forward_progress 1
		.amdhsa_inst_pref_size 12
		.amdhsa_round_robin_scheduling 0
		.amdhsa_exception_fp_ieee_invalid_op 0
		.amdhsa_exception_fp_denorm_src 0
		.amdhsa_exception_fp_ieee_div_zero 0
		.amdhsa_exception_fp_ieee_overflow 0
		.amdhsa_exception_fp_ieee_underflow 0
		.amdhsa_exception_fp_ieee_inexact 0
		.amdhsa_exception_int_div_zero 0
	.end_amdhsa_kernel
	.section	.text._ZL23rocblas_gemvt_sn_reduceILi256ELi8E19rocblas_complex_numIfES1_S1_EviT2_lPT3_lilPT1_i,"axG",@progbits,_ZL23rocblas_gemvt_sn_reduceILi256ELi8E19rocblas_complex_numIfES1_S1_EviT2_lPT3_lilPT1_i,comdat
.Lfunc_end123:
	.size	_ZL23rocblas_gemvt_sn_reduceILi256ELi8E19rocblas_complex_numIfES1_S1_EviT2_lPT3_lilPT1_i, .Lfunc_end123-_ZL23rocblas_gemvt_sn_reduceILi256ELi8E19rocblas_complex_numIfES1_S1_EviT2_lPT3_lilPT1_i
                                        ; -- End function
	.set _ZL23rocblas_gemvt_sn_reduceILi256ELi8E19rocblas_complex_numIfES1_S1_EviT2_lPT3_lilPT1_i.num_vgpr, 34
	.set _ZL23rocblas_gemvt_sn_reduceILi256ELi8E19rocblas_complex_numIfES1_S1_EviT2_lPT3_lilPT1_i.num_agpr, 0
	.set _ZL23rocblas_gemvt_sn_reduceILi256ELi8E19rocblas_complex_numIfES1_S1_EviT2_lPT3_lilPT1_i.numbered_sgpr, 36
	.set _ZL23rocblas_gemvt_sn_reduceILi256ELi8E19rocblas_complex_numIfES1_S1_EviT2_lPT3_lilPT1_i.num_named_barrier, 0
	.set _ZL23rocblas_gemvt_sn_reduceILi256ELi8E19rocblas_complex_numIfES1_S1_EviT2_lPT3_lilPT1_i.private_seg_size, 0
	.set _ZL23rocblas_gemvt_sn_reduceILi256ELi8E19rocblas_complex_numIfES1_S1_EviT2_lPT3_lilPT1_i.uses_vcc, 1
	.set _ZL23rocblas_gemvt_sn_reduceILi256ELi8E19rocblas_complex_numIfES1_S1_EviT2_lPT3_lilPT1_i.uses_flat_scratch, 0
	.set _ZL23rocblas_gemvt_sn_reduceILi256ELi8E19rocblas_complex_numIfES1_S1_EviT2_lPT3_lilPT1_i.has_dyn_sized_stack, 0
	.set _ZL23rocblas_gemvt_sn_reduceILi256ELi8E19rocblas_complex_numIfES1_S1_EviT2_lPT3_lilPT1_i.has_recursion, 0
	.set _ZL23rocblas_gemvt_sn_reduceILi256ELi8E19rocblas_complex_numIfES1_S1_EviT2_lPT3_lilPT1_i.has_indirect_call, 0
	.section	.AMDGPU.csdata,"",@progbits
; Kernel info:
; codeLenInByte = 1456
; TotalNumSgprs: 38
; NumVgprs: 34
; ScratchSize: 0
; MemoryBound: 0
; FloatMode: 240
; IeeeMode: 1
; LDSByteSize: 256 bytes/workgroup (compile time only)
; SGPRBlocks: 0
; VGPRBlocks: 4
; NumSGPRsForWavesPerEU: 38
; NumVGPRsForWavesPerEU: 34
; Occupancy: 16
; WaveLimiterHint : 0
; COMPUTE_PGM_RSRC2:SCRATCH_EN: 0
; COMPUTE_PGM_RSRC2:USER_SGPR: 2
; COMPUTE_PGM_RSRC2:TRAP_HANDLER: 0
; COMPUTE_PGM_RSRC2:TGID_X_EN: 1
; COMPUTE_PGM_RSRC2:TGID_Y_EN: 1
; COMPUTE_PGM_RSRC2:TGID_Z_EN: 1
; COMPUTE_PGM_RSRC2:TIDIG_COMP_CNT: 0
	.section	.text._ZL32rocblas_gemvt_warp_reduce_kernelILb0ELi256Ei19rocblas_complex_numIfEPKS1_S1_EviiT3_lPKT2_lT1_lS7_lS8_lS4_lPT4_lS8_li,"axG",@progbits,_ZL32rocblas_gemvt_warp_reduce_kernelILb0ELi256Ei19rocblas_complex_numIfEPKS1_S1_EviiT3_lPKT2_lT1_lS7_lS8_lS4_lPT4_lS8_li,comdat
	.globl	_ZL32rocblas_gemvt_warp_reduce_kernelILb0ELi256Ei19rocblas_complex_numIfEPKS1_S1_EviiT3_lPKT2_lT1_lS7_lS8_lS4_lPT4_lS8_li ; -- Begin function _ZL32rocblas_gemvt_warp_reduce_kernelILb0ELi256Ei19rocblas_complex_numIfEPKS1_S1_EviiT3_lPKT2_lT1_lS7_lS8_lS4_lPT4_lS8_li
	.p2align	8
	.type	_ZL32rocblas_gemvt_warp_reduce_kernelILb0ELi256Ei19rocblas_complex_numIfEPKS1_S1_EviiT3_lPKT2_lT1_lS7_lS8_lS4_lPT4_lS8_li,@function
_ZL32rocblas_gemvt_warp_reduce_kernelILb0ELi256Ei19rocblas_complex_numIfEPKS1_S1_EviiT3_lPKT2_lT1_lS7_lS8_lS4_lPT4_lS8_li: ; @_ZL32rocblas_gemvt_warp_reduce_kernelILb0ELi256Ei19rocblas_complex_numIfEPKS1_S1_EviiT3_lPKT2_lT1_lS7_lS8_lS4_lPT4_lS8_li
; %bb.0:
	s_load_b32 s33, s[0:1], 0x88
	s_lshr_b32 s28, ttmp7, 16
	s_wait_kmcnt 0x0
	s_cmp_ge_u32 s28, s33
	s_cbranch_scc1 .LBB124_33
; %bb.1:
	s_clause 0x7
	s_load_b96 s[4:6], s[0:1], 0x40
	s_load_b96 s[36:38], s[0:1], 0x70
	s_load_b256 s[8:15], s[0:1], 0x8
	s_load_b32 s7, s[0:1], 0x0
	s_load_b32 s39, s[0:1], 0x28
	s_load_b128 s[24:27], s[0:1], 0x30
	s_load_b256 s[16:23], s[0:1], 0x50
	s_load_b64 s[30:31], s[0:1], 0x80
	v_mbcnt_lo_u32_b32 v15, -1, 0
	v_cmp_eq_u32_e64 s0, 0, v0
	s_mov_b32 s29, 0
	v_lshl_or_b32 v17, v15, 2, 64
	s_wait_kmcnt 0x0
	s_lshl_b64 s[2:3], s[4:5], 3
	s_lshl_b64 s[4:5], s[36:37], 3
	;; [unrolled: 1-line block ×3, first 2 shown]
	v_cmp_gt_i32_e32 vcc_lo, s7, v0
	s_ashr_i32 s1, s7, 31
	v_mov_b32_e32 v1, 0
	s_lshr_b32 s1, s1, 24
	s_add_nc_u64 s[14:15], s[26:27], s[2:3]
	v_cndmask_b32_e32 v2, 0, v0, vcc_lo
	s_add_co_i32 s1, s7, s1
	s_add_nc_u64 s[2:3], s[12:13], s[34:35]
	s_and_b32 s26, s1, 0xffffff00
	s_mul_i32 s36, s38, ttmp9
	v_or_b32_e32 v3, s26, v0
	v_lshlrev_b32_e32 v2, 3, v2
	s_mul_i32 s38, s39, ttmp9
	v_mul_lo_u32 v16, v0, s6
	s_ashr_i32 s39, s38, 31
	v_mul_lo_u32 v5, s6, v3
	v_add_co_u32 v4, s1, s2, v2
	s_delay_alu instid0(VALU_DEP_1)
	v_add_co_ci_u32_e64 v6, null, s3, 0, s1
	s_lshl_b64 s[38:39], s[38:39], 3
	v_cmp_gt_i32_e64 s2, s7, v3
	v_add_co_u32 v11, vcc_lo, v4, s38
	v_and_b32_e32 v3, 31, v0
	s_wait_alu 0xfffd
	v_add_co_ci_u32_e64 v12, null, s39, v6, vcc_lo
	v_ashrrev_i32_e32 v6, 31, v5
	s_add_nc_u64 s[34:35], s[34:35], s[38:39]
	v_lshrrev_b32_e32 v4, 2, v0
	s_add_nc_u64 s[12:13], s[12:13], s[34:35]
	s_add_nc_u64 s[22:23], s[22:23], s[4:5]
	v_lshlrev_b32_e32 v13, 3, v3
	v_cmp_eq_u32_e64 s4, 0, v3
	v_add_co_u32 v3, s7, s12, v2
	v_lshlrev_b64_e32 v[5:6], 3, v[5:6]
	v_cmp_gt_i32_e64 s1, s26, v0
	v_cmp_gt_u32_e64 s3, 32, v0
	v_and_b32_e32 v14, 56, v4
	v_cmp_gt_u32_e64 s5, 8, v0
	s_wait_alu 0xf1ff
	v_add_co_ci_u32_e64 v4, null, s13, 0, s7
	s_ashr_i32 s37, s36, 31
	s_ashr_i32 s27, s26, 31
	s_lshl_b64 s[12:13], s[24:25], 3
	s_lshl_b32 s40, s6, 8
	s_lshl_b64 s[6:7], s[36:37], 3
	s_wait_alu 0xfffe
	s_lshl_b64 s[34:35], s[26:27], 3
	s_branch .LBB124_5
.LBB124_2:                              ;   in Loop: Header=BB124_5 Depth=1
	global_store_b64 v1, v[8:9], s[36:37]
.LBB124_3:                              ;   in Loop: Header=BB124_5 Depth=1
	s_wait_alu 0xfffe
	s_or_b32 exec_lo, exec_lo, s38
.LBB124_4:                              ;   in Loop: Header=BB124_5 Depth=1
	s_add_co_i32 s28, s28, 0x10000
	s_wait_alu 0xfffe
	s_cmp_lt_u32 s28, s33
	s_cbranch_scc0 .LBB124_33
.LBB124_5:                              ; =>This Loop Header: Depth=1
                                        ;     Child Loop BB124_26 Depth 2
	s_mul_u64 s[36:37], s[10:11], s[28:29]
	s_delay_alu instid0(SALU_CYCLE_1) | instskip(NEXT) | instid1(SALU_CYCLE_1)
	s_lshl_b64 s[36:37], s[36:37], 3
	s_add_nc_u64 s[36:37], s[8:9], s[36:37]
	s_wait_dscnt 0x0
	global_load_b64 v[7:8], v1, s[36:37]
	s_mul_u64 s[36:37], s[20:21], s[28:29]
	s_delay_alu instid0(SALU_CYCLE_1) | instskip(NEXT) | instid1(SALU_CYCLE_1)
	s_lshl_b64 s[36:37], s[36:37], 3
	s_add_nc_u64 s[36:37], s[18:19], s[36:37]
	global_load_b64 v[9:10], v1, s[36:37]
	s_wait_loadcnt 0x1
	v_readfirstlane_b32 s42, v7
	v_readfirstlane_b32 s43, v8
	s_cmp_neq_f32 s42, 0
	s_wait_loadcnt 0x0
	v_readfirstlane_b32 s27, v9
	v_readfirstlane_b32 s41, v10
	s_cselect_b32 s36, -1, 0
	s_cmp_neq_f32 s43, 0
	s_cselect_b32 s37, -1, 0
	s_delay_alu instid0(SALU_CYCLE_1) | instskip(NEXT) | instid1(SALU_CYCLE_1)
	s_or_b32 s36, s36, s37
	s_and_b32 vcc_lo, exec_lo, s36
	s_mov_b32 s36, -1
	s_wait_alu 0xfffe
	s_cbranch_vccnz .LBB124_7
; %bb.6:                                ;   in Loop: Header=BB124_5 Depth=1
	s_cmp_neq_f32 s27, 1.0
	s_cselect_b32 s36, -1, 0
	s_cmp_neq_f32 s41, 0
	s_cselect_b32 s37, -1, 0
	s_delay_alu instid0(SALU_CYCLE_1)
	s_or_b32 s36, s36, s37
.LBB124_7:                              ;   in Loop: Header=BB124_5 Depth=1
	s_delay_alu instid0(SALU_CYCLE_1)
	s_and_not1_b32 vcc_lo, exec_lo, s36
	s_wait_alu 0xfffe
	s_cbranch_vccnz .LBB124_4
; %bb.8:                                ;   in Loop: Header=BB124_5 Depth=1
	s_mul_u64 s[36:37], s[30:31], s[28:29]
	s_or_b32 s38, s42, s43
	s_lshl_b64 s[36:37], s[36:37], 3
	s_wait_alu 0xfffe
	s_bitset0_b32 s38, 31
	s_add_nc_u64 s[36:37], s[22:23], s[36:37]
	s_wait_alu 0xfffe
	s_cmp_lg_u32 s38, 0
	s_mov_b32 s38, -1
	s_cbranch_scc1 .LBB124_15
; %bb.9:                                ;   in Loop: Header=BB124_5 Depth=1
	s_and_saveexec_b32 s38, s0
	s_cbranch_execz .LBB124_14
; %bb.10:                               ;   in Loop: Header=BB124_5 Depth=1
	s_cmp_neq_f32 s27, 0
	s_cselect_b32 s39, -1, 0
	s_cmp_neq_f32 s41, 0
	s_cselect_b32 s44, -1, 0
	s_wait_alu 0xfffe
	s_or_b32 s39, s39, s44
	s_wait_alu 0xfffe
	s_and_not1_b32 vcc_lo, exec_lo, s39
	s_wait_alu 0xfffe
	s_cbranch_vccnz .LBB124_12
; %bb.11:                               ;   in Loop: Header=BB124_5 Depth=1
	s_add_nc_u64 s[44:45], s[36:37], s[6:7]
	global_load_b64 v[9:10], v1, s[44:45]
	s_wait_loadcnt 0x0
	v_mul_f32_e32 v2, s41, v10
	v_mul_f32_e32 v8, s27, v10
	s_delay_alu instid0(VALU_DEP_2) | instskip(NEXT) | instid1(VALU_DEP_2)
	v_xor_b32_e32 v7, 0x80000000, v2
	v_fmac_f32_e32 v8, s41, v9
	s_delay_alu instid0(VALU_DEP_2)
	v_fmac_f32_e32 v7, s27, v9
	s_branch .LBB124_13
.LBB124_12:                             ;   in Loop: Header=BB124_5 Depth=1
	v_dual_mov_b32 v7, 0 :: v_dual_mov_b32 v8, 0
.LBB124_13:                             ;   in Loop: Header=BB124_5 Depth=1
	s_add_nc_u64 s[44:45], s[36:37], s[6:7]
	global_store_b64 v1, v[7:8], s[44:45]
.LBB124_14:                             ;   in Loop: Header=BB124_5 Depth=1
	s_wait_alu 0xfffe
	s_or_b32 exec_lo, exec_lo, s38
	s_mov_b32 s38, 0
.LBB124_15:                             ;   in Loop: Header=BB124_5 Depth=1
	s_wait_alu 0xfffe
	s_and_not1_b32 vcc_lo, exec_lo, s38
	s_wait_alu 0xfffe
	s_cbranch_vccnz .LBB124_4
; %bb.16:                               ;   in Loop: Header=BB124_5 Depth=1
	s_mul_u64 s[38:39], s[16:17], s[28:29]
	v_dual_mov_b32 v18, 0 :: v_dual_mov_b32 v19, 0
	s_wait_alu 0xfffe
	s_lshl_b64 s[38:39], s[38:39], 3
	s_wait_alu 0xfffe
	s_add_nc_u64 s[38:39], s[14:15], s[38:39]
	s_and_saveexec_b32 s44, s1
	s_cbranch_execnz .LBB124_25
; %bb.17:                               ;   in Loop: Header=BB124_5 Depth=1
	s_or_b32 exec_lo, exec_lo, s44
	s_and_saveexec_b32 s44, s2
	s_cbranch_execnz .LBB124_28
.LBB124_18:                             ;   in Loop: Header=BB124_5 Depth=1
	s_or_b32 exec_lo, exec_lo, s44
	s_and_saveexec_b32 s38, s3
.LBB124_19:                             ;   in Loop: Header=BB124_5 Depth=1
	v_mov_b32_e32 v2, v1
	ds_store_b64 v13, v[1:2]
.LBB124_20:                             ;   in Loop: Header=BB124_5 Depth=1
	s_wait_alu 0xfffe
	s_or_b32 exec_lo, exec_lo, s38
	ds_bpermute_b32 v2, v17, v19
	v_cmp_gt_u32_e32 vcc_lo, 24, v15
	ds_bpermute_b32 v7, v17, v18
	s_wait_storecnt_dscnt 0x0
	s_barrier_signal -1
	s_barrier_wait -1
	s_wait_alu 0xfffd
	v_cndmask_b32_e64 v8, 0, 8, vcc_lo
	v_cmp_gt_u32_e32 vcc_lo, 28, v15
	global_inv scope:SCOPE_SE
	v_add_lshl_u32 v8, v8, v15, 2
	v_add_f32_e32 v9, v19, v2
	s_wait_alu 0xfffd
	v_cndmask_b32_e64 v2, 0, 4, vcc_lo
	v_cmp_gt_u32_e32 vcc_lo, 30, v15
	ds_bpermute_b32 v10, v8, v9
	v_add_f32_e32 v7, v18, v7
	v_add_lshl_u32 v2, v2, v15, 2
	s_wait_dscnt 0x0
	v_add_f32_e32 v10, v9, v10
	ds_bpermute_b32 v8, v8, v7
	s_wait_alu 0xfffd
	v_cndmask_b32_e64 v9, 0, 2, vcc_lo
	v_cmp_ne_u32_e32 vcc_lo, 31, v15
	s_delay_alu instid0(VALU_DEP_2)
	v_add_lshl_u32 v9, v9, v15, 2
	s_wait_dscnt 0x0
	v_add_f32_e32 v7, v7, v8
	ds_bpermute_b32 v8, v2, v10
	s_wait_dscnt 0x0
	v_add_f32_e32 v8, v10, v8
	s_wait_alu 0xfffd
	v_add_co_ci_u32_e64 v10, null, 0, v15, vcc_lo
	s_delay_alu instid0(VALU_DEP_1)
	v_lshlrev_b32_e32 v10, 2, v10
	ds_bpermute_b32 v18, v2, v7
	s_wait_dscnt 0x0
	v_add_f32_e32 v18, v7, v18
	ds_bpermute_b32 v7, v9, v8
	s_wait_dscnt 0x0
	v_add_f32_e32 v7, v8, v7
	;; [unrolled: 3-line block ×3, first 2 shown]
	ds_bpermute_b32 v18, v10, v7
	ds_bpermute_b32 v19, v10, v8
	s_and_saveexec_b32 s38, s4
	s_cbranch_execz .LBB124_22
; %bb.21:                               ;   in Loop: Header=BB124_5 Depth=1
	s_wait_dscnt 0x0
	v_dual_add_f32 v8, v8, v19 :: v_dual_add_f32 v7, v7, v18
	ds_store_b64 v14, v[7:8]
.LBB124_22:                             ;   in Loop: Header=BB124_5 Depth=1
	s_wait_alu 0xfffe
	s_or_b32 exec_lo, exec_lo, s38
	v_dual_mov_b32 v8, 0 :: v_dual_mov_b32 v7, 0
	s_wait_loadcnt_dscnt 0x0
	s_barrier_signal -1
	s_barrier_wait -1
	global_inv scope:SCOPE_SE
	s_and_saveexec_b32 s38, s5
	s_cbranch_execnz .LBB124_29
; %bb.23:                               ;   in Loop: Header=BB124_5 Depth=1
	s_wait_alu 0xfffe
	s_or_b32 exec_lo, exec_lo, s38
	s_and_saveexec_b32 s38, s3
	s_cbranch_execnz .LBB124_30
.LBB124_24:                             ;   in Loop: Header=BB124_5 Depth=1
	s_wait_alu 0xfffe
	s_or_b32 exec_lo, exec_lo, s38
	s_and_saveexec_b32 s38, s0
	s_cbranch_execz .LBB124_3
	s_branch .LBB124_31
.LBB124_25:                             ;   in Loop: Header=BB124_5 Depth=1
	v_mad_co_u64_u32 v[7:8], null, s12, s28, v[3:4]
	v_dual_mov_b32 v18, 0 :: v_dual_mov_b32 v19, 0
	s_mov_b32 s45, 0
	s_delay_alu instid0(VALU_DEP_2) | instskip(NEXT) | instid1(VALU_DEP_1)
	v_mov_b32_e32 v2, v8
	v_mad_co_u64_u32 v[8:9], null, s13, s28, v[2:3]
	v_dual_mov_b32 v9, v16 :: v_dual_mov_b32 v2, v0
.LBB124_26:                             ;   Parent Loop BB124_5 Depth=1
                                        ; =>  This Inner Loop Header: Depth=2
	s_delay_alu instid0(VALU_DEP_1) | instskip(NEXT) | instid1(VALU_DEP_1)
	v_ashrrev_i32_e32 v10, 31, v9
	v_lshlrev_b64_e32 v[20:21], 3, v[9:10]
	v_add_nc_u32_e32 v9, s40, v9
	s_wait_alu 0xfffe
	s_delay_alu instid0(VALU_DEP_2) | instskip(SKIP_1) | instid1(VALU_DEP_3)
	v_add_co_u32 v20, vcc_lo, s38, v20
	s_wait_alu 0xfffd
	v_add_co_ci_u32_e64 v21, null, s39, v21, vcc_lo
	global_load_b64 v[22:23], v[7:8], off
	global_load_b64 v[20:21], v[20:21], off
	v_add_nc_u32_e32 v2, 0x100, v2
	v_add_co_u32 v7, vcc_lo, 0x800, v7
	s_wait_alu 0xfffd
	v_add_co_ci_u32_e64 v8, null, 0, v8, vcc_lo
	s_wait_loadcnt 0x0
	v_mul_f32_e32 v10, v21, v23
	v_mul_f32_e32 v23, v20, v23
	v_cmp_le_i32_e32 vcc_lo, s26, v2
	s_delay_alu instid0(VALU_DEP_3) | instskip(NEXT) | instid1(VALU_DEP_3)
	v_fma_f32 v10, v20, v22, -v10
	v_fmac_f32_e32 v23, v21, v22
	s_or_b32 s45, vcc_lo, s45
	s_delay_alu instid0(VALU_DEP_1)
	v_dual_add_f32 v19, v19, v10 :: v_dual_add_f32 v18, v18, v23
	s_and_not1_b32 exec_lo, exec_lo, s45
	s_cbranch_execnz .LBB124_26
; %bb.27:                               ;   in Loop: Header=BB124_5 Depth=1
	s_or_b32 exec_lo, exec_lo, s45
	s_delay_alu instid0(SALU_CYCLE_1)
	s_or_b32 exec_lo, exec_lo, s44
	s_and_saveexec_b32 s44, s2
	s_cbranch_execz .LBB124_18
.LBB124_28:                             ;   in Loop: Header=BB124_5 Depth=1
	s_mul_u64 s[46:47], s[24:25], s[28:29]
	s_wait_alu 0xfffe
	s_lshl_b64 s[46:47], s[46:47], 3
	s_wait_alu 0xfffe
	v_add_co_u32 v2, vcc_lo, v11, s46
	s_wait_alu 0xfffd
	v_add_co_ci_u32_e64 v10, null, s47, v12, vcc_lo
	v_add_co_u32 v7, vcc_lo, s38, v5
	s_wait_alu 0xfffd
	v_add_co_ci_u32_e64 v8, null, s39, v6, vcc_lo
	;; [unrolled: 3-line block ×3, first 2 shown]
	global_load_b64 v[7:8], v[7:8], off
	global_load_b64 v[9:10], v[9:10], off
	s_wait_loadcnt 0x0
	v_mul_f32_e32 v2, v8, v10
	v_mul_f32_e32 v10, v7, v10
	s_delay_alu instid0(VALU_DEP_2) | instskip(NEXT) | instid1(VALU_DEP_1)
	v_fma_f32 v2, v7, v9, -v2
	v_dual_fmac_f32 v10, v8, v9 :: v_dual_add_f32 v19, v19, v2
	s_delay_alu instid0(VALU_DEP_1)
	v_add_f32_e32 v18, v18, v10
	s_or_b32 exec_lo, exec_lo, s44
	s_and_saveexec_b32 s38, s3
	s_cbranch_execnz .LBB124_19
	s_branch .LBB124_20
.LBB124_29:                             ;   in Loop: Header=BB124_5 Depth=1
	ds_load_b64 v[7:8], v13
	s_wait_alu 0xfffe
	s_or_b32 exec_lo, exec_lo, s38
	s_and_saveexec_b32 s38, s3
	s_cbranch_execz .LBB124_24
.LBB124_30:                             ;   in Loop: Header=BB124_5 Depth=1
	s_wait_dscnt 0x0
	ds_bpermute_b32 v18, v2, v7
	ds_bpermute_b32 v2, v2, v8
	s_wait_dscnt 0x0
	v_add_f32_e32 v2, v8, v2
	v_add_f32_e32 v7, v7, v18
	ds_bpermute_b32 v8, v9, v7
	ds_bpermute_b32 v9, v9, v2
	s_wait_dscnt 0x0
	v_dual_add_f32 v2, v2, v9 :: v_dual_add_f32 v7, v7, v8
	ds_bpermute_b32 v9, v10, v2
	ds_bpermute_b32 v8, v10, v7
	s_wait_dscnt 0x0
	v_dual_add_f32 v7, v7, v8 :: v_dual_add_f32 v8, v2, v9
	s_wait_alu 0xfffe
	s_or_b32 exec_lo, exec_lo, s38
	s_and_saveexec_b32 s38, s0
	s_cbranch_execz .LBB124_3
.LBB124_31:                             ;   in Loop: Header=BB124_5 Depth=1
	s_cmp_neq_f32 s27, 0
	s_wait_dscnt 0x0
	v_mul_f32_e32 v9, s42, v8
	v_mul_f32_e32 v2, s43, v8
	s_add_nc_u64 s[36:37], s[36:37], s[6:7]
	s_cselect_b32 s39, -1, 0
	s_cmp_neq_f32 s41, 0
	v_fmac_f32_e32 v9, s43, v7
	v_fma_f32 v8, v7, s42, -v2
	s_cselect_b32 s44, -1, 0
	s_wait_alu 0xfffe
	s_or_b32 s39, s39, s44
	s_wait_alu 0xfffe
	s_and_not1_b32 vcc_lo, exec_lo, s39
	s_wait_alu 0xfffe
	s_cbranch_vccnz .LBB124_2
; %bb.32:                               ;   in Loop: Header=BB124_5 Depth=1
	global_load_b64 v[18:19], v1, s[36:37]
	s_wait_loadcnt 0x0
	v_mul_f32_e32 v7, s27, v19
	s_delay_alu instid0(VALU_DEP_1) | instskip(NEXT) | instid1(VALU_DEP_1)
	v_dual_mul_f32 v2, s41, v19 :: v_dual_fmac_f32 v7, s41, v18
	v_xor_b32_e32 v2, 0x80000000, v2
	s_delay_alu instid0(VALU_DEP_1) | instskip(NEXT) | instid1(VALU_DEP_1)
	v_dual_add_f32 v9, v9, v7 :: v_dual_fmac_f32 v2, s27, v18
	v_add_f32_e32 v8, v8, v2
	s_branch .LBB124_2
.LBB124_33:
	s_endpgm
	.section	.rodata,"a",@progbits
	.p2align	6, 0x0
	.amdhsa_kernel _ZL32rocblas_gemvt_warp_reduce_kernelILb0ELi256Ei19rocblas_complex_numIfEPKS1_S1_EviiT3_lPKT2_lT1_lS7_lS8_lS4_lPT4_lS8_li
		.amdhsa_group_segment_fixed_size 256
		.amdhsa_private_segment_fixed_size 0
		.amdhsa_kernarg_size 140
		.amdhsa_user_sgpr_count 2
		.amdhsa_user_sgpr_dispatch_ptr 0
		.amdhsa_user_sgpr_queue_ptr 0
		.amdhsa_user_sgpr_kernarg_segment_ptr 1
		.amdhsa_user_sgpr_dispatch_id 0
		.amdhsa_user_sgpr_private_segment_size 0
		.amdhsa_wavefront_size32 1
		.amdhsa_uses_dynamic_stack 0
		.amdhsa_enable_private_segment 0
		.amdhsa_system_sgpr_workgroup_id_x 1
		.amdhsa_system_sgpr_workgroup_id_y 0
		.amdhsa_system_sgpr_workgroup_id_z 1
		.amdhsa_system_sgpr_workgroup_info 0
		.amdhsa_system_vgpr_workitem_id 0
		.amdhsa_next_free_vgpr 24
		.amdhsa_next_free_sgpr 48
		.amdhsa_reserve_vcc 1
		.amdhsa_float_round_mode_32 0
		.amdhsa_float_round_mode_16_64 0
		.amdhsa_float_denorm_mode_32 3
		.amdhsa_float_denorm_mode_16_64 3
		.amdhsa_fp16_overflow 0
		.amdhsa_workgroup_processor_mode 1
		.amdhsa_memory_ordered 1
		.amdhsa_forward_progress 1
		.amdhsa_inst_pref_size 15
		.amdhsa_round_robin_scheduling 0
		.amdhsa_exception_fp_ieee_invalid_op 0
		.amdhsa_exception_fp_denorm_src 0
		.amdhsa_exception_fp_ieee_div_zero 0
		.amdhsa_exception_fp_ieee_overflow 0
		.amdhsa_exception_fp_ieee_underflow 0
		.amdhsa_exception_fp_ieee_inexact 0
		.amdhsa_exception_int_div_zero 0
	.end_amdhsa_kernel
	.section	.text._ZL32rocblas_gemvt_warp_reduce_kernelILb0ELi256Ei19rocblas_complex_numIfEPKS1_S1_EviiT3_lPKT2_lT1_lS7_lS8_lS4_lPT4_lS8_li,"axG",@progbits,_ZL32rocblas_gemvt_warp_reduce_kernelILb0ELi256Ei19rocblas_complex_numIfEPKS1_S1_EviiT3_lPKT2_lT1_lS7_lS8_lS4_lPT4_lS8_li,comdat
.Lfunc_end124:
	.size	_ZL32rocblas_gemvt_warp_reduce_kernelILb0ELi256Ei19rocblas_complex_numIfEPKS1_S1_EviiT3_lPKT2_lT1_lS7_lS8_lS4_lPT4_lS8_li, .Lfunc_end124-_ZL32rocblas_gemvt_warp_reduce_kernelILb0ELi256Ei19rocblas_complex_numIfEPKS1_S1_EviiT3_lPKT2_lT1_lS7_lS8_lS4_lPT4_lS8_li
                                        ; -- End function
	.set _ZL32rocblas_gemvt_warp_reduce_kernelILb0ELi256Ei19rocblas_complex_numIfEPKS1_S1_EviiT3_lPKT2_lT1_lS7_lS8_lS4_lPT4_lS8_li.num_vgpr, 24
	.set _ZL32rocblas_gemvt_warp_reduce_kernelILb0ELi256Ei19rocblas_complex_numIfEPKS1_S1_EviiT3_lPKT2_lT1_lS7_lS8_lS4_lPT4_lS8_li.num_agpr, 0
	.set _ZL32rocblas_gemvt_warp_reduce_kernelILb0ELi256Ei19rocblas_complex_numIfEPKS1_S1_EviiT3_lPKT2_lT1_lS7_lS8_lS4_lPT4_lS8_li.numbered_sgpr, 48
	.set _ZL32rocblas_gemvt_warp_reduce_kernelILb0ELi256Ei19rocblas_complex_numIfEPKS1_S1_EviiT3_lPKT2_lT1_lS7_lS8_lS4_lPT4_lS8_li.num_named_barrier, 0
	.set _ZL32rocblas_gemvt_warp_reduce_kernelILb0ELi256Ei19rocblas_complex_numIfEPKS1_S1_EviiT3_lPKT2_lT1_lS7_lS8_lS4_lPT4_lS8_li.private_seg_size, 0
	.set _ZL32rocblas_gemvt_warp_reduce_kernelILb0ELi256Ei19rocblas_complex_numIfEPKS1_S1_EviiT3_lPKT2_lT1_lS7_lS8_lS4_lPT4_lS8_li.uses_vcc, 1
	.set _ZL32rocblas_gemvt_warp_reduce_kernelILb0ELi256Ei19rocblas_complex_numIfEPKS1_S1_EviiT3_lPKT2_lT1_lS7_lS8_lS4_lPT4_lS8_li.uses_flat_scratch, 0
	.set _ZL32rocblas_gemvt_warp_reduce_kernelILb0ELi256Ei19rocblas_complex_numIfEPKS1_S1_EviiT3_lPKT2_lT1_lS7_lS8_lS4_lPT4_lS8_li.has_dyn_sized_stack, 0
	.set _ZL32rocblas_gemvt_warp_reduce_kernelILb0ELi256Ei19rocblas_complex_numIfEPKS1_S1_EviiT3_lPKT2_lT1_lS7_lS8_lS4_lPT4_lS8_li.has_recursion, 0
	.set _ZL32rocblas_gemvt_warp_reduce_kernelILb0ELi256Ei19rocblas_complex_numIfEPKS1_S1_EviiT3_lPKT2_lT1_lS7_lS8_lS4_lPT4_lS8_li.has_indirect_call, 0
	.section	.AMDGPU.csdata,"",@progbits
; Kernel info:
; codeLenInByte = 1868
; TotalNumSgprs: 50
; NumVgprs: 24
; ScratchSize: 0
; MemoryBound: 0
; FloatMode: 240
; IeeeMode: 1
; LDSByteSize: 256 bytes/workgroup (compile time only)
; SGPRBlocks: 0
; VGPRBlocks: 2
; NumSGPRsForWavesPerEU: 50
; NumVGPRsForWavesPerEU: 24
; Occupancy: 16
; WaveLimiterHint : 0
; COMPUTE_PGM_RSRC2:SCRATCH_EN: 0
; COMPUTE_PGM_RSRC2:USER_SGPR: 2
; COMPUTE_PGM_RSRC2:TRAP_HANDLER: 0
; COMPUTE_PGM_RSRC2:TGID_X_EN: 1
; COMPUTE_PGM_RSRC2:TGID_Y_EN: 0
; COMPUTE_PGM_RSRC2:TGID_Z_EN: 1
; COMPUTE_PGM_RSRC2:TIDIG_COMP_CNT: 0
	.section	.text._ZL32rocblas_gemvt_warp_reduce_kernelILb0ELi256El19rocblas_complex_numIfEPKS1_S1_EviiT3_lPKT2_lT1_lS7_lS8_lS4_lPT4_lS8_li,"axG",@progbits,_ZL32rocblas_gemvt_warp_reduce_kernelILb0ELi256El19rocblas_complex_numIfEPKS1_S1_EviiT3_lPKT2_lT1_lS7_lS8_lS4_lPT4_lS8_li,comdat
	.globl	_ZL32rocblas_gemvt_warp_reduce_kernelILb0ELi256El19rocblas_complex_numIfEPKS1_S1_EviiT3_lPKT2_lT1_lS7_lS8_lS4_lPT4_lS8_li ; -- Begin function _ZL32rocblas_gemvt_warp_reduce_kernelILb0ELi256El19rocblas_complex_numIfEPKS1_S1_EviiT3_lPKT2_lT1_lS7_lS8_lS4_lPT4_lS8_li
	.p2align	8
	.type	_ZL32rocblas_gemvt_warp_reduce_kernelILb0ELi256El19rocblas_complex_numIfEPKS1_S1_EviiT3_lPKT2_lT1_lS7_lS8_lS4_lPT4_lS8_li,@function
_ZL32rocblas_gemvt_warp_reduce_kernelILb0ELi256El19rocblas_complex_numIfEPKS1_S1_EviiT3_lPKT2_lT1_lS7_lS8_lS4_lPT4_lS8_li: ; @_ZL32rocblas_gemvt_warp_reduce_kernelILb0ELi256El19rocblas_complex_numIfEPKS1_S1_EviiT3_lPKT2_lT1_lS7_lS8_lS4_lPT4_lS8_li
; %bb.0:
	s_load_b32 s33, s[0:1], 0x88
	s_lshr_b32 s24, ttmp7, 16
	s_wait_kmcnt 0x0
	s_cmp_ge_u32 s24, s33
	s_cbranch_scc1 .LBB125_33
; %bb.1:
	s_clause 0x2
	s_load_b512 s[8:23], s[0:1], 0x8
	s_load_b512 s[36:51], s[0:1], 0x48
	s_load_b32 s26, s[0:1], 0x0
	s_mov_b32 s2, ttmp9
	s_ashr_i32 s3, ttmp9, 31
	v_mbcnt_lo_u32_b32 v17, -1, 0
	v_cmp_eq_u32_e64 s0, 0, v0
	s_mov_b32 s25, 0
	v_lshl_or_b32 v18, v17, 2, 64
	s_wait_kmcnt 0x0
	s_lshl_b64 s[4:5], s[22:23], 3
	s_lshl_b64 s[22:23], s[14:15], 3
	v_cmp_gt_i32_e32 vcc_lo, s26, v0
	v_mov_b32_e32 v1, 0
	s_ashr_i32 s1, s26, 31
	v_mad_co_u64_u32 v[2:3], null, s36, v0, 0
	v_cndmask_b32_e32 v4, 0, v0, vcc_lo
	s_lshr_b32 s1, s1, 24
	s_add_nc_u64 s[14:15], s[20:21], s[4:5]
	s_add_nc_u64 s[4:5], s[12:13], s[22:23]
	s_add_co_i32 s1, s26, s1
	v_lshlrev_b32_e32 v9, 3, v4
	s_and_b32 s20, s1, 0xffffff00
	s_lshl_b64 s[6:7], s[46:47], 3
	s_mul_u64 s[28:29], s[48:49], s[2:3]
	s_mul_u64 s[2:3], s[16:17], s[2:3]
	v_add_co_u32 v4, s1, s4, v9
	s_add_nc_u64 s[16:17], s[44:45], s[6:7]
	s_lshl_b64 s[6:7], s[2:3], 3
	v_or_b32_e32 v5, s20, v0
	v_add_co_u32 v13, vcc_lo, v4, s6
	v_mad_co_u64_u32 v[3:4], null, s37, v0, v[3:4]
	v_add_co_ci_u32_e64 v6, null, s5, 0, s1
	s_delay_alu instid0(VALU_DEP_4)
	v_mul_lo_u32 v10, s37, v5
	v_mad_co_u64_u32 v[7:8], null, s36, v5, 0
	v_cmp_gt_i32_e64 s2, s26, v5
	v_lshrrev_b32_e32 v5, 2, v0
	s_wait_alu 0xfffd
	v_add_co_ci_u32_e64 v14, null, s7, v6, vcc_lo
	s_ashr_i32 s21, s20, 31
	s_add_nc_u64 s[6:7], s[6:7], s[22:23]
	v_and_b32_e32 v16, 56, v5
	v_lshlrev_b64_e32 v[5:6], 3, v[2:3]
	s_wait_alu 0xfffe
	s_mul_i32 s3, s36, s21
	v_and_b32_e32 v4, 31, v0
	v_add3_u32 v8, v8, s3, v10
	s_add_nc_u64 s[6:7], s[12:13], s[6:7]
	v_cmp_gt_i32_e64 s1, s20, v0
	v_add_co_u32 v2, vcc_lo, s14, v5
	s_wait_alu 0xfffd
	v_add_co_ci_u32_e64 v6, null, s15, v6, vcc_lo
	s_wait_alu 0xfffe
	v_add_co_u32 v3, s6, s6, v9
	v_add_co_u32 v5, vcc_lo, v2, 4
	v_lshlrev_b64_e32 v[7:8], 3, v[7:8]
	v_cmp_gt_u32_e64 s3, 32, v0
	v_lshlrev_b32_e32 v15, 3, v4
	v_cmp_eq_u32_e64 s4, 0, v4
	v_cmp_gt_u32_e64 s5, 8, v0
	s_wait_alu 0xf1ff
	v_add_co_ci_u32_e64 v4, null, s7, 0, s6
	s_wait_alu 0xfffd
	v_add_co_ci_u32_e64 v6, null, 0, v6, vcc_lo
	s_lshl_b64 s[12:13], s[18:19], 3
	s_lshl_b64 s[22:23], s[38:39], 3
	;; [unrolled: 1-line block ×4, first 2 shown]
	s_branch .LBB125_5
.LBB125_2:                              ;   in Loop: Header=BB125_5 Depth=1
	s_add_nc_u64 s[30:31], s[30:31], s[28:29]
	global_store_b64 v1, v[10:11], s[30:31]
.LBB125_3:                              ;   in Loop: Header=BB125_5 Depth=1
	s_wait_alu 0xfffe
	s_or_b32 exec_lo, exec_lo, s6
.LBB125_4:                              ;   in Loop: Header=BB125_5 Depth=1
	s_add_co_i32 s24, s24, 0x10000
	s_wait_alu 0xfffe
	s_cmp_lt_u32 s24, s33
	s_cbranch_scc0 .LBB125_33
.LBB125_5:                              ; =>This Loop Header: Depth=1
                                        ;     Child Loop BB125_26 Depth 2
	s_mul_u64 s[6:7], s[10:11], s[24:25]
	s_wait_alu 0xfffe
	s_lshl_b64 s[6:7], s[6:7], 3
	s_wait_alu 0xfffe
	s_add_nc_u64 s[6:7], s[8:9], s[6:7]
	s_wait_dscnt 0x0
	global_load_b64 v[9:10], v1, s[6:7]
	s_mul_u64 s[6:7], s[42:43], s[24:25]
	s_wait_alu 0xfffe
	s_lshl_b64 s[6:7], s[6:7], 3
	s_wait_alu 0xfffe
	s_add_nc_u64 s[6:7], s[40:41], s[6:7]
	global_load_b64 v[11:12], v1, s[6:7]
	s_wait_loadcnt 0x1
	v_readfirstlane_b32 s36, v9
	v_readfirstlane_b32 s37, v10
	s_cmp_neq_f32 s36, 0
	s_wait_loadcnt 0x0
	v_readfirstlane_b32 s34, v11
	v_readfirstlane_b32 s35, v12
	s_cselect_b32 s6, -1, 0
	s_cmp_neq_f32 s37, 0
	s_cselect_b32 s7, -1, 0
	s_wait_alu 0xfffe
	s_or_b32 s6, s6, s7
	s_wait_alu 0xfffe
	s_and_b32 vcc_lo, exec_lo, s6
	s_mov_b32 s6, -1
	s_wait_alu 0xfffe
	s_cbranch_vccnz .LBB125_7
; %bb.6:                                ;   in Loop: Header=BB125_5 Depth=1
	s_cmp_neq_f32 s34, 1.0
	s_cselect_b32 s6, -1, 0
	s_cmp_neq_f32 s35, 0
	s_cselect_b32 s7, -1, 0
	s_wait_alu 0xfffe
	s_or_b32 s6, s6, s7
.LBB125_7:                              ;   in Loop: Header=BB125_5 Depth=1
	s_wait_alu 0xfffe
	s_and_not1_b32 vcc_lo, exec_lo, s6
	s_wait_alu 0xfffe
	s_cbranch_vccnz .LBB125_4
; %bb.8:                                ;   in Loop: Header=BB125_5 Depth=1
	s_mul_u64 s[6:7], s[50:51], s[24:25]
	s_or_b32 s30, s36, s37
	s_wait_alu 0xfffe
	s_lshl_b64 s[6:7], s[6:7], 3
	s_and_b32 s44, s30, 0x7fffffff
	s_wait_alu 0xfffe
	s_add_nc_u64 s[30:31], s[16:17], s[6:7]
	s_cmp_lg_u32 s44, 0
	s_mov_b32 s6, -1
	s_cbranch_scc1 .LBB125_15
; %bb.9:                                ;   in Loop: Header=BB125_5 Depth=1
	s_and_saveexec_b32 s44, s0
	s_cbranch_execz .LBB125_14
; %bb.10:                               ;   in Loop: Header=BB125_5 Depth=1
	s_cmp_neq_f32 s34, 0
	s_cselect_b32 s6, -1, 0
	s_cmp_neq_f32 s35, 0
	s_cselect_b32 s7, -1, 0
	s_wait_alu 0xfffe
	s_or_b32 s6, s6, s7
	s_wait_alu 0xfffe
	s_and_not1_b32 vcc_lo, exec_lo, s6
	s_add_nc_u64 s[6:7], s[30:31], s[28:29]
	s_wait_alu 0xfffe
	s_cbranch_vccnz .LBB125_12
; %bb.11:                               ;   in Loop: Header=BB125_5 Depth=1
	global_load_b64 v[11:12], v1, s[6:7]
	s_wait_loadcnt 0x0
	v_mul_f32_e32 v2, s35, v12
	v_mul_f32_e32 v10, s34, v12
	s_delay_alu instid0(VALU_DEP_2) | instskip(NEXT) | instid1(VALU_DEP_2)
	v_xor_b32_e32 v9, 0x80000000, v2
	v_fmac_f32_e32 v10, s35, v11
	s_delay_alu instid0(VALU_DEP_2)
	v_fmac_f32_e32 v9, s34, v11
	s_branch .LBB125_13
.LBB125_12:                             ;   in Loop: Header=BB125_5 Depth=1
	v_dual_mov_b32 v9, 0 :: v_dual_mov_b32 v10, 0
.LBB125_13:                             ;   in Loop: Header=BB125_5 Depth=1
	global_store_b64 v1, v[9:10], s[6:7]
.LBB125_14:                             ;   in Loop: Header=BB125_5 Depth=1
	s_wait_alu 0xfffe
	s_or_b32 exec_lo, exec_lo, s44
	s_mov_b32 s6, 0
.LBB125_15:                             ;   in Loop: Header=BB125_5 Depth=1
	s_wait_alu 0xfffe
	s_and_not1_b32 vcc_lo, exec_lo, s6
	s_wait_alu 0xfffe
	s_cbranch_vccnz .LBB125_4
; %bb.16:                               ;   in Loop: Header=BB125_5 Depth=1
	v_dual_mov_b32 v19, 0 :: v_dual_mov_b32 v20, 0
	s_and_saveexec_b32 s7, s1
	s_cbranch_execnz .LBB125_25
; %bb.17:                               ;   in Loop: Header=BB125_5 Depth=1
	s_wait_alu 0xfffe
	s_or_b32 exec_lo, exec_lo, s7
	s_and_saveexec_b32 s6, s2
	s_cbranch_execnz .LBB125_28
.LBB125_18:                             ;   in Loop: Header=BB125_5 Depth=1
	s_wait_alu 0xfffe
	s_or_b32 exec_lo, exec_lo, s6
	s_and_saveexec_b32 s6, s3
.LBB125_19:                             ;   in Loop: Header=BB125_5 Depth=1
	v_mov_b32_e32 v2, v1
	ds_store_b64 v15, v[1:2]
.LBB125_20:                             ;   in Loop: Header=BB125_5 Depth=1
	s_wait_alu 0xfffe
	s_or_b32 exec_lo, exec_lo, s6
	ds_bpermute_b32 v2, v18, v20
	v_cmp_gt_u32_e32 vcc_lo, 24, v17
	ds_bpermute_b32 v9, v18, v19
	s_wait_storecnt_dscnt 0x0
	s_barrier_signal -1
	s_barrier_wait -1
	s_wait_alu 0xfffd
	v_cndmask_b32_e64 v10, 0, 8, vcc_lo
	v_cmp_gt_u32_e32 vcc_lo, 28, v17
	global_inv scope:SCOPE_SE
	v_add_lshl_u32 v10, v10, v17, 2
	v_add_f32_e32 v11, v20, v2
	s_wait_alu 0xfffd
	v_cndmask_b32_e64 v2, 0, 4, vcc_lo
	v_cmp_gt_u32_e32 vcc_lo, 30, v17
	ds_bpermute_b32 v12, v10, v11
	v_add_lshl_u32 v2, v2, v17, 2
	s_wait_dscnt 0x0
	v_add_f32_e32 v12, v11, v12
	v_add_f32_e32 v9, v19, v9
	s_wait_alu 0xfffd
	v_cndmask_b32_e64 v11, 0, 2, vcc_lo
	v_cmp_ne_u32_e32 vcc_lo, 31, v17
	ds_bpermute_b32 v10, v10, v9
	v_add_lshl_u32 v11, v11, v17, 2
	s_wait_dscnt 0x0
	v_add_f32_e32 v9, v9, v10
	ds_bpermute_b32 v10, v2, v12
	ds_bpermute_b32 v19, v2, v9
	s_wait_dscnt 0x1
	v_add_f32_e32 v10, v12, v10
	s_wait_alu 0xfffd
	v_add_co_ci_u32_e64 v12, null, 0, v17, vcc_lo
	s_wait_dscnt 0x0
	v_add_f32_e32 v19, v9, v19
	ds_bpermute_b32 v9, v11, v10
	v_lshlrev_b32_e32 v12, 2, v12
	ds_bpermute_b32 v20, v11, v19
	s_wait_dscnt 0x0
	v_dual_add_f32 v9, v10, v9 :: v_dual_add_f32 v10, v19, v20
	ds_bpermute_b32 v19, v12, v9
	ds_bpermute_b32 v20, v12, v10
	s_and_saveexec_b32 s6, s4
	s_cbranch_execz .LBB125_22
; %bb.21:                               ;   in Loop: Header=BB125_5 Depth=1
	s_wait_dscnt 0x0
	v_dual_add_f32 v10, v10, v20 :: v_dual_add_f32 v9, v9, v19
	ds_store_b64 v16, v[9:10]
.LBB125_22:                             ;   in Loop: Header=BB125_5 Depth=1
	s_wait_alu 0xfffe
	s_or_b32 exec_lo, exec_lo, s6
	v_dual_mov_b32 v10, 0 :: v_dual_mov_b32 v9, 0
	s_wait_loadcnt_dscnt 0x0
	s_barrier_signal -1
	s_barrier_wait -1
	global_inv scope:SCOPE_SE
	s_and_saveexec_b32 s6, s5
	s_cbranch_execnz .LBB125_29
; %bb.23:                               ;   in Loop: Header=BB125_5 Depth=1
	s_wait_alu 0xfffe
	s_or_b32 exec_lo, exec_lo, s6
	s_and_saveexec_b32 s6, s3
	s_cbranch_execnz .LBB125_30
.LBB125_24:                             ;   in Loop: Header=BB125_5 Depth=1
	s_wait_alu 0xfffe
	s_or_b32 exec_lo, exec_lo, s6
	s_and_saveexec_b32 s6, s0
	s_cbranch_execz .LBB125_3
	s_branch .LBB125_31
.LBB125_25:                             ;   in Loop: Header=BB125_5 Depth=1
	v_mad_co_u64_u32 v[9:10], null, s12, s24, v[3:4]
	v_mad_co_u64_u32 v[11:12], null, s22, s24, v[5:6]
	s_mov_b32 s44, 0
	v_dual_mov_b32 v19, 0 :: v_dual_mov_b32 v2, v10
	v_mov_b32_e32 v10, v12
	s_delay_alu instid0(VALU_DEP_2) | instskip(NEXT) | instid1(VALU_DEP_2)
	v_mad_co_u64_u32 v[20:21], null, s13, s24, v[2:3]
	v_mad_co_u64_u32 v[21:22], null, s23, s24, v[10:11]
	v_mov_b32_e32 v2, v0
	s_delay_alu instid0(VALU_DEP_3) | instskip(SKIP_1) | instid1(VALU_DEP_4)
	v_mov_b32_e32 v10, v20
	v_mov_b32_e32 v20, 0
	v_mov_b32_e32 v12, v21
.LBB125_26:                             ;   Parent Loop BB125_5 Depth=1
                                        ; =>  This Inner Loop Header: Depth=2
	global_load_b64 v[21:22], v[9:10], off
	global_load_b64 v[23:24], v[11:12], off offset:-4
	v_add_nc_u32_e32 v2, 0x100, v2
	v_add_co_u32 v9, vcc_lo, 0x800, v9
	s_wait_alu 0xfffd
	v_add_co_ci_u32_e64 v10, null, 0, v10, vcc_lo
	v_add_co_u32 v11, vcc_lo, v11, s26
	v_cmp_le_i32_e64 s6, s20, v2
	s_wait_alu 0xfffd
	v_add_co_ci_u32_e64 v12, null, s27, v12, vcc_lo
	s_wait_alu 0xfffe
	s_delay_alu instid0(VALU_DEP_2) | instskip(SKIP_3) | instid1(VALU_DEP_2)
	s_or_b32 s44, s6, s44
	s_wait_loadcnt 0x0
	v_mul_f32_e32 v25, v24, v22
	v_mul_f32_e32 v22, v23, v22
	v_fma_f32 v23, v23, v21, -v25
	s_delay_alu instid0(VALU_DEP_2) | instskip(NEXT) | instid1(VALU_DEP_1)
	v_fmac_f32_e32 v22, v24, v21
	v_dual_add_f32 v20, v20, v23 :: v_dual_add_f32 v19, v19, v22
	s_wait_alu 0xfffe
	s_and_not1_b32 exec_lo, exec_lo, s44
	s_cbranch_execnz .LBB125_26
; %bb.27:                               ;   in Loop: Header=BB125_5 Depth=1
	s_or_b32 exec_lo, exec_lo, s44
	s_delay_alu instid0(SALU_CYCLE_1)
	s_or_b32 exec_lo, exec_lo, s7
	s_and_saveexec_b32 s6, s2
	s_cbranch_execz .LBB125_18
.LBB125_28:                             ;   in Loop: Header=BB125_5 Depth=1
	s_mul_u64 s[44:45], s[18:19], s[24:25]
	s_mul_u64 s[46:47], s[38:39], s[24:25]
	s_wait_alu 0xfffe
	s_lshl_b64 s[44:45], s[44:45], 3
	s_lshl_b64 s[46:47], s[46:47], 3
	s_wait_alu 0xfffe
	v_add_co_u32 v2, vcc_lo, v13, s44
	s_wait_alu 0xfffd
	v_add_co_ci_u32_e64 v12, null, s45, v14, vcc_lo
	s_add_nc_u64 s[44:45], s[14:15], s[46:47]
	s_lshl_b64 s[46:47], s[20:21], 3
	s_wait_alu 0xfffe
	v_add_co_u32 v9, vcc_lo, s44, v7
	s_wait_alu 0xfffd
	v_add_co_ci_u32_e64 v10, null, s45, v8, vcc_lo
	v_add_co_u32 v11, vcc_lo, v2, s46
	s_wait_alu 0xfffd
	v_add_co_ci_u32_e64 v12, null, s47, v12, vcc_lo
	global_load_b64 v[9:10], v[9:10], off
	global_load_b64 v[11:12], v[11:12], off
	s_wait_loadcnt 0x0
	v_mul_f32_e32 v2, v10, v12
	v_mul_f32_e32 v12, v9, v12
	s_delay_alu instid0(VALU_DEP_2) | instskip(NEXT) | instid1(VALU_DEP_2)
	v_fma_f32 v2, v9, v11, -v2
	v_fmac_f32_e32 v12, v10, v11
	s_delay_alu instid0(VALU_DEP_1)
	v_dual_add_f32 v20, v20, v2 :: v_dual_add_f32 v19, v19, v12
	s_or_b32 exec_lo, exec_lo, s6
	s_and_saveexec_b32 s6, s3
	s_cbranch_execnz .LBB125_19
	s_branch .LBB125_20
.LBB125_29:                             ;   in Loop: Header=BB125_5 Depth=1
	ds_load_b64 v[9:10], v15
	s_wait_alu 0xfffe
	s_or_b32 exec_lo, exec_lo, s6
	s_and_saveexec_b32 s6, s3
	s_cbranch_execz .LBB125_24
.LBB125_30:                             ;   in Loop: Header=BB125_5 Depth=1
	s_wait_dscnt 0x0
	ds_bpermute_b32 v19, v2, v9
	ds_bpermute_b32 v2, v2, v10
	s_wait_dscnt 0x0
	v_dual_add_f32 v9, v9, v19 :: v_dual_add_f32 v2, v10, v2
	ds_bpermute_b32 v10, v11, v9
	ds_bpermute_b32 v11, v11, v2
	s_wait_dscnt 0x0
	v_dual_add_f32 v9, v9, v10 :: v_dual_add_f32 v2, v2, v11
	;; [unrolled: 4-line block ×3, first 2 shown]
	s_wait_alu 0xfffe
	s_or_b32 exec_lo, exec_lo, s6
	s_and_saveexec_b32 s6, s0
	s_cbranch_execz .LBB125_3
.LBB125_31:                             ;   in Loop: Header=BB125_5 Depth=1
	s_cmp_neq_f32 s34, 0
	s_wait_dscnt 0x0
	v_mul_f32_e32 v11, s36, v10
	v_mul_f32_e32 v2, s37, v10
	s_cselect_b32 s7, -1, 0
	s_cmp_neq_f32 s35, 0
	s_delay_alu instid0(VALU_DEP_2) | instskip(NEXT) | instid1(VALU_DEP_2)
	v_fmac_f32_e32 v11, s37, v9
	v_fma_f32 v10, v9, s36, -v2
	s_cselect_b32 s44, -1, 0
	s_wait_alu 0xfffe
	s_or_b32 s7, s7, s44
	s_wait_alu 0xfffe
	s_and_not1_b32 vcc_lo, exec_lo, s7
	s_wait_alu 0xfffe
	s_cbranch_vccnz .LBB125_2
; %bb.32:                               ;   in Loop: Header=BB125_5 Depth=1
	s_add_nc_u64 s[36:37], s[30:31], s[28:29]
	global_load_b64 v[19:20], v1, s[36:37]
	s_wait_loadcnt 0x0
	v_mul_f32_e32 v9, s34, v20
	s_delay_alu instid0(VALU_DEP_1) | instskip(NEXT) | instid1(VALU_DEP_1)
	v_dual_mul_f32 v2, s35, v20 :: v_dual_fmac_f32 v9, s35, v19
	v_xor_b32_e32 v2, 0x80000000, v2
	s_delay_alu instid0(VALU_DEP_1) | instskip(NEXT) | instid1(VALU_DEP_1)
	v_dual_add_f32 v11, v11, v9 :: v_dual_fmac_f32 v2, s34, v19
	v_add_f32_e32 v10, v10, v2
	s_branch .LBB125_2
.LBB125_33:
	s_endpgm
	.section	.rodata,"a",@progbits
	.p2align	6, 0x0
	.amdhsa_kernel _ZL32rocblas_gemvt_warp_reduce_kernelILb0ELi256El19rocblas_complex_numIfEPKS1_S1_EviiT3_lPKT2_lT1_lS7_lS8_lS4_lPT4_lS8_li
		.amdhsa_group_segment_fixed_size 256
		.amdhsa_private_segment_fixed_size 0
		.amdhsa_kernarg_size 140
		.amdhsa_user_sgpr_count 2
		.amdhsa_user_sgpr_dispatch_ptr 0
		.amdhsa_user_sgpr_queue_ptr 0
		.amdhsa_user_sgpr_kernarg_segment_ptr 1
		.amdhsa_user_sgpr_dispatch_id 0
		.amdhsa_user_sgpr_private_segment_size 0
		.amdhsa_wavefront_size32 1
		.amdhsa_uses_dynamic_stack 0
		.amdhsa_enable_private_segment 0
		.amdhsa_system_sgpr_workgroup_id_x 1
		.amdhsa_system_sgpr_workgroup_id_y 0
		.amdhsa_system_sgpr_workgroup_id_z 1
		.amdhsa_system_sgpr_workgroup_info 0
		.amdhsa_system_vgpr_workitem_id 0
		.amdhsa_next_free_vgpr 26
		.amdhsa_next_free_sgpr 52
		.amdhsa_reserve_vcc 1
		.amdhsa_float_round_mode_32 0
		.amdhsa_float_round_mode_16_64 0
		.amdhsa_float_denorm_mode_32 3
		.amdhsa_float_denorm_mode_16_64 3
		.amdhsa_fp16_overflow 0
		.amdhsa_workgroup_processor_mode 1
		.amdhsa_memory_ordered 1
		.amdhsa_forward_progress 1
		.amdhsa_inst_pref_size 16
		.amdhsa_round_robin_scheduling 0
		.amdhsa_exception_fp_ieee_invalid_op 0
		.amdhsa_exception_fp_denorm_src 0
		.amdhsa_exception_fp_ieee_div_zero 0
		.amdhsa_exception_fp_ieee_overflow 0
		.amdhsa_exception_fp_ieee_underflow 0
		.amdhsa_exception_fp_ieee_inexact 0
		.amdhsa_exception_int_div_zero 0
	.end_amdhsa_kernel
	.section	.text._ZL32rocblas_gemvt_warp_reduce_kernelILb0ELi256El19rocblas_complex_numIfEPKS1_S1_EviiT3_lPKT2_lT1_lS7_lS8_lS4_lPT4_lS8_li,"axG",@progbits,_ZL32rocblas_gemvt_warp_reduce_kernelILb0ELi256El19rocblas_complex_numIfEPKS1_S1_EviiT3_lPKT2_lT1_lS7_lS8_lS4_lPT4_lS8_li,comdat
.Lfunc_end125:
	.size	_ZL32rocblas_gemvt_warp_reduce_kernelILb0ELi256El19rocblas_complex_numIfEPKS1_S1_EviiT3_lPKT2_lT1_lS7_lS8_lS4_lPT4_lS8_li, .Lfunc_end125-_ZL32rocblas_gemvt_warp_reduce_kernelILb0ELi256El19rocblas_complex_numIfEPKS1_S1_EviiT3_lPKT2_lT1_lS7_lS8_lS4_lPT4_lS8_li
                                        ; -- End function
	.set _ZL32rocblas_gemvt_warp_reduce_kernelILb0ELi256El19rocblas_complex_numIfEPKS1_S1_EviiT3_lPKT2_lT1_lS7_lS8_lS4_lPT4_lS8_li.num_vgpr, 26
	.set _ZL32rocblas_gemvt_warp_reduce_kernelILb0ELi256El19rocblas_complex_numIfEPKS1_S1_EviiT3_lPKT2_lT1_lS7_lS8_lS4_lPT4_lS8_li.num_agpr, 0
	.set _ZL32rocblas_gemvt_warp_reduce_kernelILb0ELi256El19rocblas_complex_numIfEPKS1_S1_EviiT3_lPKT2_lT1_lS7_lS8_lS4_lPT4_lS8_li.numbered_sgpr, 52
	.set _ZL32rocblas_gemvt_warp_reduce_kernelILb0ELi256El19rocblas_complex_numIfEPKS1_S1_EviiT3_lPKT2_lT1_lS7_lS8_lS4_lPT4_lS8_li.num_named_barrier, 0
	.set _ZL32rocblas_gemvt_warp_reduce_kernelILb0ELi256El19rocblas_complex_numIfEPKS1_S1_EviiT3_lPKT2_lT1_lS7_lS8_lS4_lPT4_lS8_li.private_seg_size, 0
	.set _ZL32rocblas_gemvt_warp_reduce_kernelILb0ELi256El19rocblas_complex_numIfEPKS1_S1_EviiT3_lPKT2_lT1_lS7_lS8_lS4_lPT4_lS8_li.uses_vcc, 1
	.set _ZL32rocblas_gemvt_warp_reduce_kernelILb0ELi256El19rocblas_complex_numIfEPKS1_S1_EviiT3_lPKT2_lT1_lS7_lS8_lS4_lPT4_lS8_li.uses_flat_scratch, 0
	.set _ZL32rocblas_gemvt_warp_reduce_kernelILb0ELi256El19rocblas_complex_numIfEPKS1_S1_EviiT3_lPKT2_lT1_lS7_lS8_lS4_lPT4_lS8_li.has_dyn_sized_stack, 0
	.set _ZL32rocblas_gemvt_warp_reduce_kernelILb0ELi256El19rocblas_complex_numIfEPKS1_S1_EviiT3_lPKT2_lT1_lS7_lS8_lS4_lPT4_lS8_li.has_recursion, 0
	.set _ZL32rocblas_gemvt_warp_reduce_kernelILb0ELi256El19rocblas_complex_numIfEPKS1_S1_EviiT3_lPKT2_lT1_lS7_lS8_lS4_lPT4_lS8_li.has_indirect_call, 0
	.section	.AMDGPU.csdata,"",@progbits
; Kernel info:
; codeLenInByte = 1932
; TotalNumSgprs: 54
; NumVgprs: 26
; ScratchSize: 0
; MemoryBound: 0
; FloatMode: 240
; IeeeMode: 1
; LDSByteSize: 256 bytes/workgroup (compile time only)
; SGPRBlocks: 0
; VGPRBlocks: 3
; NumSGPRsForWavesPerEU: 54
; NumVGPRsForWavesPerEU: 26
; Occupancy: 16
; WaveLimiterHint : 0
; COMPUTE_PGM_RSRC2:SCRATCH_EN: 0
; COMPUTE_PGM_RSRC2:USER_SGPR: 2
; COMPUTE_PGM_RSRC2:TRAP_HANDLER: 0
; COMPUTE_PGM_RSRC2:TGID_X_EN: 1
; COMPUTE_PGM_RSRC2:TGID_Y_EN: 0
; COMPUTE_PGM_RSRC2:TGID_Z_EN: 1
; COMPUTE_PGM_RSRC2:TIDIG_COMP_CNT: 0
	.section	.text._ZL32rocblas_gemvt_warp_reduce_kernelILb0ELi256Ei19rocblas_complex_numIfES1_S1_EviiT3_lPKT2_lT1_lS5_lS6_lS2_lPT4_lS6_li,"axG",@progbits,_ZL32rocblas_gemvt_warp_reduce_kernelILb0ELi256Ei19rocblas_complex_numIfES1_S1_EviiT3_lPKT2_lT1_lS5_lS6_lS2_lPT4_lS6_li,comdat
	.globl	_ZL32rocblas_gemvt_warp_reduce_kernelILb0ELi256Ei19rocblas_complex_numIfES1_S1_EviiT3_lPKT2_lT1_lS5_lS6_lS2_lPT4_lS6_li ; -- Begin function _ZL32rocblas_gemvt_warp_reduce_kernelILb0ELi256Ei19rocblas_complex_numIfES1_S1_EviiT3_lPKT2_lT1_lS5_lS6_lS2_lPT4_lS6_li
	.p2align	8
	.type	_ZL32rocblas_gemvt_warp_reduce_kernelILb0ELi256Ei19rocblas_complex_numIfES1_S1_EviiT3_lPKT2_lT1_lS5_lS6_lS2_lPT4_lS6_li,@function
_ZL32rocblas_gemvt_warp_reduce_kernelILb0ELi256Ei19rocblas_complex_numIfES1_S1_EviiT3_lPKT2_lT1_lS5_lS6_lS2_lPT4_lS6_li: ; @_ZL32rocblas_gemvt_warp_reduce_kernelILb0ELi256Ei19rocblas_complex_numIfES1_S1_EviiT3_lPKT2_lT1_lS5_lS6_lS2_lPT4_lS6_li
; %bb.0:
	s_load_b32 s33, s[0:1], 0x88
	s_lshr_b32 s24, ttmp7, 16
	s_wait_kmcnt 0x0
	s_cmp_ge_u32 s24, s33
	s_cbranch_scc1 .LBB126_31
; %bb.1:
	s_clause 0x7
	s_load_b96 s[20:22], s[0:1], 0x40
	s_load_b128 s[16:19], s[0:1], 0x68
	s_load_b128 s[4:7], s[0:1], 0x18
	s_load_b64 s[26:27], s[0:1], 0x8
	s_load_b128 s[8:11], s[0:1], 0x50
	s_load_b32 s23, s[0:1], 0x28
	s_load_b128 s[12:15], s[0:1], 0x30
	s_load_b32 s37, s[0:1], 0x0
	v_dual_mov_b32 v1, 0 :: v_dual_and_b32 v2, 31, v0
	v_lshrrev_b32_e32 v3, 2, v0
	v_mbcnt_lo_u32_b32 v16, -1, 0
	s_mov_b32 s25, 0
	s_delay_alu instid0(VALU_DEP_3) | instskip(NEXT) | instid1(VALU_DEP_3)
	v_cmp_eq_u32_e64 s3, 0, v2
	v_and_b32_e32 v12, 56, v3
	s_delay_alu instid0(VALU_DEP_3)
	v_lshl_or_b32 v17, v16, 2, 64
	s_wait_kmcnt 0x0
	s_lshl_b64 s[20:21], s[20:21], 3
	s_lshl_b64 s[18:19], s[18:19], 3
	;; [unrolled: 1-line block ×3, first 2 shown]
	s_cmp_neq_f32 s26, 0
	s_clause 0x1
	s_load_b32 s30, s[0:1], 0x78
	s_load_b64 s[6:7], s[0:1], 0x80
	s_mul_i32 s34, s23, ttmp9
	v_cmp_gt_i32_e32 vcc_lo, s37, v0
	s_cselect_b32 s2, -1, 0
	s_cmp_neq_f32 s27, 0
	v_lshlrev_b32_e32 v11, 3, v2
	s_add_nc_u64 s[16:17], s[16:17], s[18:19]
	v_cndmask_b32_e32 v2, 0, v0, vcc_lo
	s_cselect_b32 s1, -1, 0
	s_add_nc_u64 s[14:15], s[14:15], s[20:21]
	s_or_b32 s38, s2, s1
	s_cmp_neq_f32 s10, 1.0
	v_lshlrev_b32_e32 v2, 3, v2
	v_mul_lo_u32 v15, v0, s22
	v_cmp_eq_u32_e64 s0, 0, v0
	s_cselect_b32 s39, -1, 0
	s_cmp_neq_f32 s11, 0
	v_cmp_gt_u32_e64 s1, 32, v0
	v_cmp_gt_u32_e64 s2, 8, v0
	s_wait_kmcnt 0x0
	s_mul_i32 s30, s30, ttmp9
	s_cselect_b32 s40, -1, 0
	s_or_b32 s31, s26, s27
	s_delay_alu instid0(SALU_CYCLE_1) | instskip(NEXT) | instid1(SALU_CYCLE_1)
	s_bitset0_b32 s31, 31
	s_cmp_eq_u32 s31, 0
	s_cselect_b32 s36, -1, 0
	s_cmp_neq_f32 s10, 0
	s_cselect_b32 s23, -1, 0
	s_ashr_i32 s18, s37, 31
	s_ashr_i32 s35, s34, 31
	s_lshr_b32 s20, s18, 24
	s_add_nc_u64 s[18:19], s[4:5], s[28:29]
	s_add_co_i32 s20, s37, s20
	v_add_co_u32 v3, s18, s18, v2
	s_wait_alu 0xf1ff
	v_add_co_ci_u32_e64 v4, null, s19, 0, s18
	s_and_b32 s18, s20, 0xffffff00
	s_lshl_b64 s[20:21], s[34:35], 3
	s_wait_alu 0xfffe
	v_or_b32_e32 v6, s18, v0
	s_add_nc_u64 s[28:29], s[28:29], s[20:21]
	v_add_co_u32 v13, vcc_lo, v3, s20
	s_wait_alu 0xfffd
	v_add_co_ci_u32_e64 v14, null, s21, v4, vcc_lo
	v_mul_lo_u32 v5, s22, v6
	s_add_nc_u64 s[20:21], s[4:5], s[28:29]
	v_cmp_gt_i32_e64 s5, s37, v6
	s_wait_alu 0xfffe
	v_add_co_u32 v3, s20, s20, v2
	v_cmp_gt_i32_e64 s4, s18, v0
	s_wait_alu 0xf1ff
	v_add_co_ci_u32_e64 v4, null, s21, 0, s20
	v_ashrrev_i32_e32 v6, 31, v5
	s_ashr_i32 s31, s30, 31
	s_or_b32 s34, s38, s39
	s_ashr_i32 s19, s18, 31
	s_lshl_b64 s[20:21], s[12:13], 3
	v_lshlrev_b64_e32 v[5:6], 3, v[5:6]
	s_or_b32 s37, s34, s40
	s_or_b32 s38, s23, s40
	s_lshl_b32 s39, s22, 8
	s_lshl_b64 s[22:23], s[30:31], 3
	s_wait_alu 0xfffe
	s_lshl_b64 s[28:29], s[18:19], 3
	s_branch .LBB126_5
.LBB126_2:                              ;   in Loop: Header=BB126_5 Depth=1
	global_store_b64 v1, v[8:9], s[30:31]
.LBB126_3:                              ;   in Loop: Header=BB126_5 Depth=1
	s_wait_alu 0xfffe
	s_or_b32 exec_lo, exec_lo, s19
.LBB126_4:                              ;   in Loop: Header=BB126_5 Depth=1
	s_add_co_i32 s24, s24, 0x10000
	s_wait_alu 0xfffe
	s_cmp_lt_u32 s24, s33
	s_cbranch_scc0 .LBB126_31
.LBB126_5:                              ; =>This Loop Header: Depth=1
                                        ;     Child Loop BB126_24 Depth 2
	s_and_not1_b32 vcc_lo, exec_lo, s37
	s_wait_alu 0xfffe
	s_cbranch_vccnz .LBB126_4
; %bb.6:                                ;   in Loop: Header=BB126_5 Depth=1
	s_mul_u64 s[30:31], s[6:7], s[24:25]
	s_and_not1_b32 vcc_lo, exec_lo, s36
	s_lshl_b64 s[30:31], s[30:31], 3
	s_mov_b32 s19, -1
	s_add_nc_u64 s[30:31], s[16:17], s[30:31]
	s_wait_alu 0xfffe
	s_cbranch_vccnz .LBB126_13
; %bb.7:                                ;   in Loop: Header=BB126_5 Depth=1
	s_and_saveexec_b32 s19, s0
	s_cbranch_execz .LBB126_12
; %bb.8:                                ;   in Loop: Header=BB126_5 Depth=1
	s_and_not1_b32 vcc_lo, exec_lo, s38
	s_add_nc_u64 s[34:35], s[30:31], s[22:23]
	s_wait_alu 0xfffe
	s_cbranch_vccnz .LBB126_10
; %bb.9:                                ;   in Loop: Header=BB126_5 Depth=1
	global_load_b64 v[9:10], v1, s[34:35]
	s_wait_loadcnt 0x0
	v_mul_f32_e32 v2, s11, v10
	s_wait_dscnt 0x0
	v_mul_f32_e32 v8, s10, v10
	s_delay_alu instid0(VALU_DEP_2) | instskip(NEXT) | instid1(VALU_DEP_2)
	v_xor_b32_e32 v7, 0x80000000, v2
	v_fmac_f32_e32 v8, s11, v9
	s_delay_alu instid0(VALU_DEP_2)
	v_fmac_f32_e32 v7, s10, v9
	s_branch .LBB126_11
.LBB126_10:                             ;   in Loop: Header=BB126_5 Depth=1
	s_wait_dscnt 0x0
	v_dual_mov_b32 v7, 0 :: v_dual_mov_b32 v8, 0
.LBB126_11:                             ;   in Loop: Header=BB126_5 Depth=1
	global_store_b64 v1, v[7:8], s[34:35]
.LBB126_12:                             ;   in Loop: Header=BB126_5 Depth=1
	s_wait_alu 0xfffe
	s_or_b32 exec_lo, exec_lo, s19
	s_mov_b32 s19, 0
.LBB126_13:                             ;   in Loop: Header=BB126_5 Depth=1
	s_wait_alu 0xfffe
	s_and_not1_b32 vcc_lo, exec_lo, s19
	s_wait_alu 0xfffe
	s_cbranch_vccnz .LBB126_4
; %bb.14:                               ;   in Loop: Header=BB126_5 Depth=1
	s_mul_u64 s[34:35], s[8:9], s[24:25]
	v_dual_mov_b32 v18, 0 :: v_dual_mov_b32 v19, 0
	s_wait_alu 0xfffe
	s_lshl_b64 s[34:35], s[34:35], 3
	s_wait_alu 0xfffe
	s_add_nc_u64 s[34:35], s[14:15], s[34:35]
	s_and_saveexec_b32 s19, s4
	s_cbranch_execnz .LBB126_23
; %bb.15:                               ;   in Loop: Header=BB126_5 Depth=1
	s_wait_alu 0xfffe
	s_or_b32 exec_lo, exec_lo, s19
	s_and_saveexec_b32 s19, s5
	s_cbranch_execnz .LBB126_26
.LBB126_16:                             ;   in Loop: Header=BB126_5 Depth=1
	s_wait_alu 0xfffe
	s_or_b32 exec_lo, exec_lo, s19
	s_and_saveexec_b32 s19, s1
.LBB126_17:                             ;   in Loop: Header=BB126_5 Depth=1
	v_mov_b32_e32 v2, v1
	ds_store_b64 v11, v[1:2]
.LBB126_18:                             ;   in Loop: Header=BB126_5 Depth=1
	s_wait_alu 0xfffe
	s_or_b32 exec_lo, exec_lo, s19
	ds_bpermute_b32 v2, v17, v19
	v_cmp_gt_u32_e32 vcc_lo, 24, v16
	s_wait_dscnt 0x1
	ds_bpermute_b32 v7, v17, v18
	s_wait_storecnt_dscnt 0x0
	s_barrier_signal -1
	s_barrier_wait -1
	s_wait_alu 0xfffd
	v_cndmask_b32_e64 v8, 0, 8, vcc_lo
	v_cmp_gt_u32_e32 vcc_lo, 28, v16
	global_inv scope:SCOPE_SE
	v_add_lshl_u32 v8, v8, v16, 2
	v_add_f32_e32 v9, v19, v2
	s_wait_alu 0xfffd
	v_cndmask_b32_e64 v2, 0, 4, vcc_lo
	v_cmp_gt_u32_e32 vcc_lo, 30, v16
	ds_bpermute_b32 v10, v8, v9
	v_add_f32_e32 v7, v18, v7
	v_add_lshl_u32 v2, v2, v16, 2
	s_wait_dscnt 0x0
	v_add_f32_e32 v10, v9, v10
	ds_bpermute_b32 v8, v8, v7
	s_wait_alu 0xfffd
	v_cndmask_b32_e64 v9, 0, 2, vcc_lo
	v_cmp_ne_u32_e32 vcc_lo, 31, v16
	s_delay_alu instid0(VALU_DEP_2)
	v_add_lshl_u32 v9, v9, v16, 2
	s_wait_dscnt 0x0
	v_add_f32_e32 v7, v7, v8
	ds_bpermute_b32 v8, v2, v10
	s_wait_dscnt 0x0
	v_add_f32_e32 v8, v10, v8
	s_wait_alu 0xfffd
	v_add_co_ci_u32_e64 v10, null, 0, v16, vcc_lo
	s_delay_alu instid0(VALU_DEP_1)
	v_lshlrev_b32_e32 v10, 2, v10
	ds_bpermute_b32 v18, v2, v7
	s_wait_dscnt 0x0
	v_add_f32_e32 v18, v7, v18
	ds_bpermute_b32 v7, v9, v8
	s_wait_dscnt 0x0
	v_add_f32_e32 v7, v8, v7
	ds_bpermute_b32 v19, v9, v18
	s_wait_dscnt 0x0
	v_add_f32_e32 v8, v18, v19
	ds_bpermute_b32 v18, v10, v7
	ds_bpermute_b32 v19, v10, v8
	s_and_saveexec_b32 s19, s3
	s_cbranch_execz .LBB126_20
; %bb.19:                               ;   in Loop: Header=BB126_5 Depth=1
	s_wait_dscnt 0x0
	v_dual_add_f32 v8, v8, v19 :: v_dual_add_f32 v7, v7, v18
	ds_store_b64 v12, v[7:8]
.LBB126_20:                             ;   in Loop: Header=BB126_5 Depth=1
	s_wait_alu 0xfffe
	s_or_b32 exec_lo, exec_lo, s19
	v_dual_mov_b32 v8, 0 :: v_dual_mov_b32 v7, 0
	s_wait_loadcnt_dscnt 0x0
	s_barrier_signal -1
	s_barrier_wait -1
	global_inv scope:SCOPE_SE
	s_and_saveexec_b32 s19, s2
	s_cbranch_execnz .LBB126_27
; %bb.21:                               ;   in Loop: Header=BB126_5 Depth=1
	s_wait_alu 0xfffe
	s_or_b32 exec_lo, exec_lo, s19
	s_and_saveexec_b32 s19, s1
	s_cbranch_execnz .LBB126_28
.LBB126_22:                             ;   in Loop: Header=BB126_5 Depth=1
	s_wait_alu 0xfffe
	s_or_b32 exec_lo, exec_lo, s19
	s_and_saveexec_b32 s19, s0
	s_cbranch_execz .LBB126_3
	s_branch .LBB126_29
.LBB126_23:                             ;   in Loop: Header=BB126_5 Depth=1
	s_wait_dscnt 0x0
	v_mad_co_u64_u32 v[7:8], null, s20, s24, v[3:4]
	v_dual_mov_b32 v18, 0 :: v_dual_mov_b32 v19, 0
	s_mov_b32 s40, 0
	s_delay_alu instid0(VALU_DEP_2) | instskip(NEXT) | instid1(VALU_DEP_1)
	v_mov_b32_e32 v2, v8
	v_mad_co_u64_u32 v[8:9], null, s21, s24, v[2:3]
	v_dual_mov_b32 v9, v15 :: v_dual_mov_b32 v2, v0
.LBB126_24:                             ;   Parent Loop BB126_5 Depth=1
                                        ; =>  This Inner Loop Header: Depth=2
	s_delay_alu instid0(VALU_DEP_1) | instskip(NEXT) | instid1(VALU_DEP_1)
	v_ashrrev_i32_e32 v10, 31, v9
	v_lshlrev_b64_e32 v[20:21], 3, v[9:10]
	v_add_nc_u32_e32 v9, s39, v9
	s_wait_alu 0xfffe
	s_delay_alu instid0(VALU_DEP_2) | instskip(SKIP_1) | instid1(VALU_DEP_3)
	v_add_co_u32 v20, vcc_lo, s34, v20
	s_wait_alu 0xfffd
	v_add_co_ci_u32_e64 v21, null, s35, v21, vcc_lo
	global_load_b64 v[22:23], v[7:8], off
	global_load_b64 v[20:21], v[20:21], off
	v_add_nc_u32_e32 v2, 0x100, v2
	v_add_co_u32 v7, vcc_lo, 0x800, v7
	s_wait_alu 0xfffd
	v_add_co_ci_u32_e64 v8, null, 0, v8, vcc_lo
	s_wait_loadcnt 0x0
	v_mul_f32_e32 v10, v21, v23
	v_mul_f32_e32 v23, v20, v23
	v_cmp_le_i32_e32 vcc_lo, s18, v2
	s_delay_alu instid0(VALU_DEP_3) | instskip(NEXT) | instid1(VALU_DEP_3)
	v_fma_f32 v10, v20, v22, -v10
	v_fmac_f32_e32 v23, v21, v22
	s_or_b32 s40, vcc_lo, s40
	s_delay_alu instid0(VALU_DEP_1)
	v_dual_add_f32 v19, v19, v10 :: v_dual_add_f32 v18, v18, v23
	s_wait_alu 0xfffe
	s_and_not1_b32 exec_lo, exec_lo, s40
	s_cbranch_execnz .LBB126_24
; %bb.25:                               ;   in Loop: Header=BB126_5 Depth=1
	s_or_b32 exec_lo, exec_lo, s40
	s_delay_alu instid0(SALU_CYCLE_1)
	s_or_b32 exec_lo, exec_lo, s19
	s_and_saveexec_b32 s19, s5
	s_cbranch_execz .LBB126_16
.LBB126_26:                             ;   in Loop: Header=BB126_5 Depth=1
	s_mul_u64 s[40:41], s[12:13], s[24:25]
	s_wait_alu 0xfffe
	s_lshl_b64 s[40:41], s[40:41], 3
	s_wait_alu 0xfffe
	v_add_co_u32 v2, vcc_lo, v13, s40
	s_wait_alu 0xfffd
	v_add_co_ci_u32_e64 v10, null, s41, v14, vcc_lo
	s_wait_dscnt 0x0
	v_add_co_u32 v7, vcc_lo, s34, v5
	s_wait_alu 0xfffd
	v_add_co_ci_u32_e64 v8, null, s35, v6, vcc_lo
	v_add_co_u32 v9, vcc_lo, v2, s28
	s_wait_alu 0xfffd
	v_add_co_ci_u32_e64 v10, null, s29, v10, vcc_lo
	global_load_b64 v[7:8], v[7:8], off
	global_load_b64 v[9:10], v[9:10], off
	s_wait_loadcnt 0x0
	v_mul_f32_e32 v2, v8, v10
	v_mul_f32_e32 v10, v7, v10
	s_delay_alu instid0(VALU_DEP_2) | instskip(NEXT) | instid1(VALU_DEP_1)
	v_fma_f32 v2, v7, v9, -v2
	v_dual_fmac_f32 v10, v8, v9 :: v_dual_add_f32 v19, v19, v2
	s_delay_alu instid0(VALU_DEP_1)
	v_add_f32_e32 v18, v18, v10
	s_or_b32 exec_lo, exec_lo, s19
	s_and_saveexec_b32 s19, s1
	s_cbranch_execnz .LBB126_17
	s_branch .LBB126_18
.LBB126_27:                             ;   in Loop: Header=BB126_5 Depth=1
	ds_load_b64 v[7:8], v11
	s_wait_alu 0xfffe
	s_or_b32 exec_lo, exec_lo, s19
	s_and_saveexec_b32 s19, s1
	s_cbranch_execz .LBB126_22
.LBB126_28:                             ;   in Loop: Header=BB126_5 Depth=1
	s_wait_dscnt 0x0
	ds_bpermute_b32 v18, v2, v7
	ds_bpermute_b32 v2, v2, v8
	s_wait_dscnt 0x0
	v_add_f32_e32 v2, v8, v2
	v_add_f32_e32 v7, v7, v18
	ds_bpermute_b32 v8, v9, v7
	ds_bpermute_b32 v9, v9, v2
	s_wait_dscnt 0x0
	v_dual_add_f32 v2, v2, v9 :: v_dual_add_f32 v7, v7, v8
	ds_bpermute_b32 v9, v10, v2
	ds_bpermute_b32 v8, v10, v7
	s_wait_dscnt 0x0
	v_dual_add_f32 v7, v7, v8 :: v_dual_add_f32 v8, v2, v9
	s_wait_alu 0xfffe
	s_or_b32 exec_lo, exec_lo, s19
	s_and_saveexec_b32 s19, s0
	s_cbranch_execz .LBB126_3
.LBB126_29:                             ;   in Loop: Header=BB126_5 Depth=1
	s_wait_dscnt 0x0
	v_mul_f32_e32 v9, s26, v8
	v_mul_f32_e32 v2, s27, v8
	s_and_not1_b32 vcc_lo, exec_lo, s38
	s_add_nc_u64 s[30:31], s[30:31], s[22:23]
	s_delay_alu instid0(VALU_DEP_2) | instskip(NEXT) | instid1(VALU_DEP_2)
	v_fmac_f32_e32 v9, s27, v7
	v_fma_f32 v8, v7, s26, -v2
	s_wait_alu 0xfffe
	s_cbranch_vccnz .LBB126_2
; %bb.30:                               ;   in Loop: Header=BB126_5 Depth=1
	global_load_b64 v[18:19], v1, s[30:31]
	s_wait_loadcnt 0x0
	v_mul_f32_e32 v7, s10, v19
	s_delay_alu instid0(VALU_DEP_1) | instskip(NEXT) | instid1(VALU_DEP_1)
	v_dual_mul_f32 v2, s11, v19 :: v_dual_fmac_f32 v7, s11, v18
	v_xor_b32_e32 v2, 0x80000000, v2
	s_delay_alu instid0(VALU_DEP_1) | instskip(NEXT) | instid1(VALU_DEP_1)
	v_dual_add_f32 v9, v9, v7 :: v_dual_fmac_f32 v2, s10, v18
	v_add_f32_e32 v8, v8, v2
	s_branch .LBB126_2
.LBB126_31:
	s_endpgm
	.section	.rodata,"a",@progbits
	.p2align	6, 0x0
	.amdhsa_kernel _ZL32rocblas_gemvt_warp_reduce_kernelILb0ELi256Ei19rocblas_complex_numIfES1_S1_EviiT3_lPKT2_lT1_lS5_lS6_lS2_lPT4_lS6_li
		.amdhsa_group_segment_fixed_size 256
		.amdhsa_private_segment_fixed_size 0
		.amdhsa_kernarg_size 140
		.amdhsa_user_sgpr_count 2
		.amdhsa_user_sgpr_dispatch_ptr 0
		.amdhsa_user_sgpr_queue_ptr 0
		.amdhsa_user_sgpr_kernarg_segment_ptr 1
		.amdhsa_user_sgpr_dispatch_id 0
		.amdhsa_user_sgpr_private_segment_size 0
		.amdhsa_wavefront_size32 1
		.amdhsa_uses_dynamic_stack 0
		.amdhsa_enable_private_segment 0
		.amdhsa_system_sgpr_workgroup_id_x 1
		.amdhsa_system_sgpr_workgroup_id_y 0
		.amdhsa_system_sgpr_workgroup_id_z 1
		.amdhsa_system_sgpr_workgroup_info 0
		.amdhsa_system_vgpr_workitem_id 0
		.amdhsa_next_free_vgpr 24
		.amdhsa_next_free_sgpr 42
		.amdhsa_reserve_vcc 1
		.amdhsa_float_round_mode_32 0
		.amdhsa_float_round_mode_16_64 0
		.amdhsa_float_denorm_mode_32 3
		.amdhsa_float_denorm_mode_16_64 3
		.amdhsa_fp16_overflow 0
		.amdhsa_workgroup_processor_mode 1
		.amdhsa_memory_ordered 1
		.amdhsa_forward_progress 1
		.amdhsa_inst_pref_size 15
		.amdhsa_round_robin_scheduling 0
		.amdhsa_exception_fp_ieee_invalid_op 0
		.amdhsa_exception_fp_denorm_src 0
		.amdhsa_exception_fp_ieee_div_zero 0
		.amdhsa_exception_fp_ieee_overflow 0
		.amdhsa_exception_fp_ieee_underflow 0
		.amdhsa_exception_fp_ieee_inexact 0
		.amdhsa_exception_int_div_zero 0
	.end_amdhsa_kernel
	.section	.text._ZL32rocblas_gemvt_warp_reduce_kernelILb0ELi256Ei19rocblas_complex_numIfES1_S1_EviiT3_lPKT2_lT1_lS5_lS6_lS2_lPT4_lS6_li,"axG",@progbits,_ZL32rocblas_gemvt_warp_reduce_kernelILb0ELi256Ei19rocblas_complex_numIfES1_S1_EviiT3_lPKT2_lT1_lS5_lS6_lS2_lPT4_lS6_li,comdat
.Lfunc_end126:
	.size	_ZL32rocblas_gemvt_warp_reduce_kernelILb0ELi256Ei19rocblas_complex_numIfES1_S1_EviiT3_lPKT2_lT1_lS5_lS6_lS2_lPT4_lS6_li, .Lfunc_end126-_ZL32rocblas_gemvt_warp_reduce_kernelILb0ELi256Ei19rocblas_complex_numIfES1_S1_EviiT3_lPKT2_lT1_lS5_lS6_lS2_lPT4_lS6_li
                                        ; -- End function
	.set _ZL32rocblas_gemvt_warp_reduce_kernelILb0ELi256Ei19rocblas_complex_numIfES1_S1_EviiT3_lPKT2_lT1_lS5_lS6_lS2_lPT4_lS6_li.num_vgpr, 24
	.set _ZL32rocblas_gemvt_warp_reduce_kernelILb0ELi256Ei19rocblas_complex_numIfES1_S1_EviiT3_lPKT2_lT1_lS5_lS6_lS2_lPT4_lS6_li.num_agpr, 0
	.set _ZL32rocblas_gemvt_warp_reduce_kernelILb0ELi256Ei19rocblas_complex_numIfES1_S1_EviiT3_lPKT2_lT1_lS5_lS6_lS2_lPT4_lS6_li.numbered_sgpr, 42
	.set _ZL32rocblas_gemvt_warp_reduce_kernelILb0ELi256Ei19rocblas_complex_numIfES1_S1_EviiT3_lPKT2_lT1_lS5_lS6_lS2_lPT4_lS6_li.num_named_barrier, 0
	.set _ZL32rocblas_gemvt_warp_reduce_kernelILb0ELi256Ei19rocblas_complex_numIfES1_S1_EviiT3_lPKT2_lT1_lS5_lS6_lS2_lPT4_lS6_li.private_seg_size, 0
	.set _ZL32rocblas_gemvt_warp_reduce_kernelILb0ELi256Ei19rocblas_complex_numIfES1_S1_EviiT3_lPKT2_lT1_lS5_lS6_lS2_lPT4_lS6_li.uses_vcc, 1
	.set _ZL32rocblas_gemvt_warp_reduce_kernelILb0ELi256Ei19rocblas_complex_numIfES1_S1_EviiT3_lPKT2_lT1_lS5_lS6_lS2_lPT4_lS6_li.uses_flat_scratch, 0
	.set _ZL32rocblas_gemvt_warp_reduce_kernelILb0ELi256Ei19rocblas_complex_numIfES1_S1_EviiT3_lPKT2_lT1_lS5_lS6_lS2_lPT4_lS6_li.has_dyn_sized_stack, 0
	.set _ZL32rocblas_gemvt_warp_reduce_kernelILb0ELi256Ei19rocblas_complex_numIfES1_S1_EviiT3_lPKT2_lT1_lS5_lS6_lS2_lPT4_lS6_li.has_recursion, 0
	.set _ZL32rocblas_gemvt_warp_reduce_kernelILb0ELi256Ei19rocblas_complex_numIfES1_S1_EviiT3_lPKT2_lT1_lS5_lS6_lS2_lPT4_lS6_li.has_indirect_call, 0
	.section	.AMDGPU.csdata,"",@progbits
; Kernel info:
; codeLenInByte = 1796
; TotalNumSgprs: 44
; NumVgprs: 24
; ScratchSize: 0
; MemoryBound: 0
; FloatMode: 240
; IeeeMode: 1
; LDSByteSize: 256 bytes/workgroup (compile time only)
; SGPRBlocks: 0
; VGPRBlocks: 2
; NumSGPRsForWavesPerEU: 44
; NumVGPRsForWavesPerEU: 24
; Occupancy: 16
; WaveLimiterHint : 1
; COMPUTE_PGM_RSRC2:SCRATCH_EN: 0
; COMPUTE_PGM_RSRC2:USER_SGPR: 2
; COMPUTE_PGM_RSRC2:TRAP_HANDLER: 0
; COMPUTE_PGM_RSRC2:TGID_X_EN: 1
; COMPUTE_PGM_RSRC2:TGID_Y_EN: 0
; COMPUTE_PGM_RSRC2:TGID_Z_EN: 1
; COMPUTE_PGM_RSRC2:TIDIG_COMP_CNT: 0
	.section	.text._ZL32rocblas_gemvt_warp_reduce_kernelILb0ELi256El19rocblas_complex_numIfES1_S1_EviiT3_lPKT2_lT1_lS5_lS6_lS2_lPT4_lS6_li,"axG",@progbits,_ZL32rocblas_gemvt_warp_reduce_kernelILb0ELi256El19rocblas_complex_numIfES1_S1_EviiT3_lPKT2_lT1_lS5_lS6_lS2_lPT4_lS6_li,comdat
	.globl	_ZL32rocblas_gemvt_warp_reduce_kernelILb0ELi256El19rocblas_complex_numIfES1_S1_EviiT3_lPKT2_lT1_lS5_lS6_lS2_lPT4_lS6_li ; -- Begin function _ZL32rocblas_gemvt_warp_reduce_kernelILb0ELi256El19rocblas_complex_numIfES1_S1_EviiT3_lPKT2_lT1_lS5_lS6_lS2_lPT4_lS6_li
	.p2align	8
	.type	_ZL32rocblas_gemvt_warp_reduce_kernelILb0ELi256El19rocblas_complex_numIfES1_S1_EviiT3_lPKT2_lT1_lS5_lS6_lS2_lPT4_lS6_li,@function
_ZL32rocblas_gemvt_warp_reduce_kernelILb0ELi256El19rocblas_complex_numIfES1_S1_EviiT3_lPKT2_lT1_lS5_lS6_lS2_lPT4_lS6_li: ; @_ZL32rocblas_gemvt_warp_reduce_kernelILb0ELi256El19rocblas_complex_numIfES1_S1_EviiT3_lPKT2_lT1_lS5_lS6_lS2_lPT4_lS6_li
; %bb.0:
	s_load_b32 s33, s[0:1], 0x88
	s_lshr_b32 s34, ttmp7, 16
	s_wait_kmcnt 0x0
	s_cmp_ge_u32 s34, s33
	s_cbranch_scc1 .LBB127_31
; %bb.1:
	s_clause 0x4
	s_load_b512 s[8:23], s[0:1], 0x18
	s_load_b256 s[24:31], s[0:1], 0x68
	s_load_b64 s[36:37], s[0:1], 0x8
	s_load_b64 s[38:39], s[0:1], 0x58
	s_load_b32 s41, s[0:1], 0x0
	v_dual_mov_b32 v1, 0 :: v_dual_and_b32 v2, 31, v0
	v_lshrrev_b32_e32 v3, 2, v0
	s_mov_b32 s4, ttmp9
	v_mbcnt_lo_u32_b32 v17, -1, 0
	v_cmp_eq_u32_e64 s0, 0, v0
	v_cmp_eq_u32_e64 s3, 0, v2
	v_and_b32_e32 v14, 56, v3
	s_mov_b32 s35, 0
	v_lshl_or_b32 v18, v17, 2, 64
	s_wait_kmcnt 0x0
	s_lshl_b64 s[18:19], s[18:19], 3
	s_lshl_b64 s[26:27], s[26:27], 3
	;; [unrolled: 1-line block ×3, first 2 shown]
	s_cmp_neq_f32 s36, 0
	v_cmp_gt_i32_e32 vcc_lo, s41, v0
	v_lshlrev_b32_e32 v13, 3, v2
	v_mad_co_u64_u32 v[2:3], null, s20, v0, 0
	s_cselect_b32 s1, -1, 0
	s_cmp_neq_f32 s37, 0
	v_cndmask_b32_e32 v4, 0, v0, vcc_lo
	s_add_nc_u64 s[10:11], s[16:17], s[18:19]
	s_add_nc_u64 s[16:17], s[24:25], s[26:27]
	s_cselect_b32 s2, -1, 0
	s_add_nc_u64 s[18:19], s[8:9], s[6:7]
	s_or_b32 s42, s1, s2
	s_cmp_neq_f32 s38, 1.0
	v_lshlrev_b32_e32 v9, 3, v4
	v_mad_co_u64_u32 v[3:4], null, s21, v0, v[3:4]
	s_cselect_b32 s43, -1, 0
	s_cmp_neq_f32 s39, 0
	v_add_co_u32 v4, s18, s18, v9
	s_wait_alu 0xf1ff
	v_add_co_ci_u32_e64 v5, null, s19, 0, s18
	s_cselect_b32 s44, -1, 0
	s_or_b32 s5, s36, s37
	v_cmp_gt_u32_e64 s1, 32, v0
	s_bitset0_b32 s5, 31
	v_cmp_gt_u32_e64 s2, 8, v0
	s_cmp_eq_u32 s5, 0
	s_cselect_b32 s40, -1, 0
	s_cmp_neq_f32 s38, 0
	s_cselect_b32 s26, -1, 0
	s_ashr_i32 s5, s41, 31
	s_or_b32 s27, s42, s43
	s_lshr_b32 s5, s5, 24
	s_or_b32 s42, s26, s44
	s_add_co_i32 s5, s41, s5
	s_delay_alu instid0(SALU_CYCLE_1)
	s_and_b32 s18, s5, 0xffffff00
	s_ashr_i32 s5, ttmp9, 31
	s_wait_alu 0xfffe
	v_or_b32_e32 v6, s18, v0
	s_mul_u64 s[12:13], s[12:13], s[4:5]
	s_mul_u64 s[24:25], s[28:29], s[4:5]
	s_lshl_b64 s[4:5], s[12:13], 3
	s_ashr_i32 s19, s18, 31
	v_add_co_u32 v15, vcc_lo, v4, s4
	v_mul_lo_u32 v10, s21, v6
	v_mad_co_u64_u32 v[7:8], null, s20, v6, 0
	s_wait_alu 0xfffd
	v_add_co_ci_u32_e64 v16, null, s5, v5, vcc_lo
	s_add_nc_u64 s[6:7], s[4:5], s[6:7]
	v_cmp_gt_i32_e64 s5, s41, v6
	v_lshlrev_b64_e32 v[5:6], 3, v[2:3]
	s_wait_alu 0xfffe
	s_mul_i32 s12, s20, s19
	s_add_nc_u64 s[6:7], s[8:9], s[6:7]
	v_add3_u32 v8, v8, s12, v10
	v_add_co_u32 v3, s6, s6, v9
	v_add_co_u32 v2, vcc_lo, s10, v5
	s_wait_alu 0xfffd
	v_add_co_ci_u32_e64 v6, null, s11, v6, vcc_lo
	v_lshlrev_b64_e32 v[7:8], 3, v[7:8]
	s_delay_alu instid0(VALU_DEP_3)
	v_add_co_u32 v5, vcc_lo, v2, 4
	v_cmp_gt_i32_e64 s4, s18, v0
	s_wait_alu 0xf1ff
	v_add_co_ci_u32_e64 v4, null, s7, 0, s6
	s_wait_alu 0xfffd
	v_add_co_ci_u32_e64 v6, null, 0, v6, vcc_lo
	s_lshl_b64 s[8:9], s[14:15], 3
	s_lshl_b64 s[12:13], s[22:23], 3
	s_or_b32 s41, s27, s44
	s_lshl_b64 s[20:21], s[20:21], 11
	s_lshl_b64 s[24:25], s[24:25], 3
	;; [unrolled: 1-line block ×3, first 2 shown]
	s_branch .LBB127_5
.LBB127_2:                              ;   in Loop: Header=BB127_5 Depth=1
	global_store_b64 v1, v[10:11], s[6:7]
.LBB127_3:                              ;   in Loop: Header=BB127_5 Depth=1
	s_wait_alu 0xfffe
	s_or_b32 exec_lo, exec_lo, s19
.LBB127_4:                              ;   in Loop: Header=BB127_5 Depth=1
	s_add_co_i32 s34, s34, 0x10000
	s_wait_alu 0xfffe
	s_cmp_lt_u32 s34, s33
	s_cbranch_scc0 .LBB127_31
.LBB127_5:                              ; =>This Loop Header: Depth=1
                                        ;     Child Loop BB127_24 Depth 2
	s_wait_alu 0xfffe
	s_and_not1_b32 vcc_lo, exec_lo, s41
	s_wait_alu 0xfffe
	s_cbranch_vccnz .LBB127_4
; %bb.6:                                ;   in Loop: Header=BB127_5 Depth=1
	s_mul_u64 s[6:7], s[30:31], s[34:35]
	s_and_not1_b32 vcc_lo, exec_lo, s40
	s_wait_alu 0xfffe
	s_lshl_b64 s[6:7], s[6:7], 3
	s_wait_alu 0xfffe
	s_add_nc_u64 s[28:29], s[16:17], s[6:7]
	s_mov_b32 s6, -1
	s_cbranch_vccnz .LBB127_13
; %bb.7:                                ;   in Loop: Header=BB127_5 Depth=1
	s_and_saveexec_b32 s6, s0
	s_cbranch_execz .LBB127_12
; %bb.8:                                ;   in Loop: Header=BB127_5 Depth=1
	s_and_not1_b32 vcc_lo, exec_lo, s42
	s_wait_alu 0xfffe
	s_cbranch_vccnz .LBB127_10
; %bb.9:                                ;   in Loop: Header=BB127_5 Depth=1
	s_add_nc_u64 s[44:45], s[28:29], s[24:25]
	global_load_b64 v[11:12], v1, s[44:45]
	s_wait_loadcnt 0x0
	v_mul_f32_e32 v2, s39, v12
	s_wait_dscnt 0x0
	v_mul_f32_e32 v10, s38, v12
	s_delay_alu instid0(VALU_DEP_2) | instskip(NEXT) | instid1(VALU_DEP_2)
	v_xor_b32_e32 v9, 0x80000000, v2
	v_fmac_f32_e32 v10, s39, v11
	s_delay_alu instid0(VALU_DEP_2)
	v_fmac_f32_e32 v9, s38, v11
	s_branch .LBB127_11
.LBB127_10:                             ;   in Loop: Header=BB127_5 Depth=1
	s_wait_dscnt 0x0
	v_dual_mov_b32 v9, 0 :: v_dual_mov_b32 v10, 0
.LBB127_11:                             ;   in Loop: Header=BB127_5 Depth=1
	s_add_nc_u64 s[44:45], s[28:29], s[24:25]
	global_store_b64 v1, v[9:10], s[44:45]
.LBB127_12:                             ;   in Loop: Header=BB127_5 Depth=1
	s_wait_alu 0xfffe
	s_or_b32 exec_lo, exec_lo, s6
	s_mov_b32 s6, 0
.LBB127_13:                             ;   in Loop: Header=BB127_5 Depth=1
	s_wait_alu 0xfffe
	s_and_not1_b32 vcc_lo, exec_lo, s6
	s_wait_alu 0xfffe
	s_cbranch_vccnz .LBB127_4
; %bb.14:                               ;   in Loop: Header=BB127_5 Depth=1
	v_dual_mov_b32 v19, 0 :: v_dual_mov_b32 v20, 0
	s_and_saveexec_b32 s7, s4
	s_cbranch_execnz .LBB127_23
; %bb.15:                               ;   in Loop: Header=BB127_5 Depth=1
	s_wait_alu 0xfffe
	s_or_b32 exec_lo, exec_lo, s7
	s_and_saveexec_b32 s6, s5
	s_cbranch_execnz .LBB127_26
.LBB127_16:                             ;   in Loop: Header=BB127_5 Depth=1
	s_wait_alu 0xfffe
	s_or_b32 exec_lo, exec_lo, s6
	s_and_saveexec_b32 s6, s1
.LBB127_17:                             ;   in Loop: Header=BB127_5 Depth=1
	v_mov_b32_e32 v2, v1
	ds_store_b64 v13, v[1:2]
.LBB127_18:                             ;   in Loop: Header=BB127_5 Depth=1
	s_wait_alu 0xfffe
	s_or_b32 exec_lo, exec_lo, s6
	ds_bpermute_b32 v2, v18, v20
	v_cmp_gt_u32_e32 vcc_lo, 24, v17
	s_wait_dscnt 0x1
	ds_bpermute_b32 v9, v18, v19
	s_wait_storecnt_dscnt 0x0
	s_barrier_signal -1
	s_barrier_wait -1
	s_wait_alu 0xfffd
	v_cndmask_b32_e64 v10, 0, 8, vcc_lo
	v_cmp_gt_u32_e32 vcc_lo, 28, v17
	global_inv scope:SCOPE_SE
	v_add_lshl_u32 v10, v10, v17, 2
	v_add_f32_e32 v11, v20, v2
	s_wait_alu 0xfffd
	v_cndmask_b32_e64 v2, 0, 4, vcc_lo
	v_cmp_gt_u32_e32 vcc_lo, 30, v17
	ds_bpermute_b32 v12, v10, v11
	v_add_lshl_u32 v2, v2, v17, 2
	s_wait_dscnt 0x0
	v_add_f32_e32 v12, v11, v12
	v_add_f32_e32 v9, v19, v9
	s_wait_alu 0xfffd
	v_cndmask_b32_e64 v11, 0, 2, vcc_lo
	v_cmp_ne_u32_e32 vcc_lo, 31, v17
	ds_bpermute_b32 v10, v10, v9
	v_add_lshl_u32 v11, v11, v17, 2
	s_wait_dscnt 0x0
	v_add_f32_e32 v9, v9, v10
	ds_bpermute_b32 v10, v2, v12
	ds_bpermute_b32 v19, v2, v9
	s_wait_dscnt 0x1
	v_add_f32_e32 v10, v12, v10
	s_wait_alu 0xfffd
	v_add_co_ci_u32_e64 v12, null, 0, v17, vcc_lo
	s_wait_dscnt 0x0
	v_add_f32_e32 v19, v9, v19
	ds_bpermute_b32 v9, v11, v10
	v_lshlrev_b32_e32 v12, 2, v12
	ds_bpermute_b32 v20, v11, v19
	s_wait_dscnt 0x0
	v_dual_add_f32 v9, v10, v9 :: v_dual_add_f32 v10, v19, v20
	ds_bpermute_b32 v19, v12, v9
	ds_bpermute_b32 v20, v12, v10
	s_and_saveexec_b32 s6, s3
	s_cbranch_execz .LBB127_20
; %bb.19:                               ;   in Loop: Header=BB127_5 Depth=1
	s_wait_dscnt 0x0
	v_dual_add_f32 v10, v10, v20 :: v_dual_add_f32 v9, v9, v19
	ds_store_b64 v14, v[9:10]
.LBB127_20:                             ;   in Loop: Header=BB127_5 Depth=1
	s_wait_alu 0xfffe
	s_or_b32 exec_lo, exec_lo, s6
	v_dual_mov_b32 v10, 0 :: v_dual_mov_b32 v9, 0
	s_wait_loadcnt_dscnt 0x0
	s_barrier_signal -1
	s_barrier_wait -1
	global_inv scope:SCOPE_SE
	s_and_saveexec_b32 s6, s2
	s_cbranch_execnz .LBB127_27
; %bb.21:                               ;   in Loop: Header=BB127_5 Depth=1
	s_wait_alu 0xfffe
	s_or_b32 exec_lo, exec_lo, s6
	s_and_saveexec_b32 s6, s1
	s_cbranch_execnz .LBB127_28
.LBB127_22:                             ;   in Loop: Header=BB127_5 Depth=1
	s_wait_alu 0xfffe
	s_or_b32 exec_lo, exec_lo, s6
	s_and_saveexec_b32 s19, s0
	s_cbranch_execz .LBB127_3
	s_branch .LBB127_29
.LBB127_23:                             ;   in Loop: Header=BB127_5 Depth=1
	s_wait_dscnt 0x0
	v_mad_co_u64_u32 v[9:10], null, s8, s34, v[3:4]
	v_mad_co_u64_u32 v[11:12], null, s12, s34, v[5:6]
	s_mov_b32 s19, 0
	v_dual_mov_b32 v19, 0 :: v_dual_mov_b32 v2, v10
	v_mov_b32_e32 v10, v12
	s_delay_alu instid0(VALU_DEP_2) | instskip(NEXT) | instid1(VALU_DEP_2)
	v_mad_co_u64_u32 v[20:21], null, s9, s34, v[2:3]
	v_mad_co_u64_u32 v[21:22], null, s13, s34, v[10:11]
	v_mov_b32_e32 v2, v0
	s_delay_alu instid0(VALU_DEP_3) | instskip(SKIP_1) | instid1(VALU_DEP_4)
	v_mov_b32_e32 v10, v20
	v_mov_b32_e32 v20, 0
	;; [unrolled: 1-line block ×3, first 2 shown]
.LBB127_24:                             ;   Parent Loop BB127_5 Depth=1
                                        ; =>  This Inner Loop Header: Depth=2
	global_load_b64 v[21:22], v[9:10], off
	global_load_b64 v[23:24], v[11:12], off offset:-4
	v_add_nc_u32_e32 v2, 0x100, v2
	v_add_co_u32 v9, vcc_lo, 0x800, v9
	s_wait_alu 0xfffd
	v_add_co_ci_u32_e64 v10, null, 0, v10, vcc_lo
	v_add_co_u32 v11, vcc_lo, v11, s20
	v_cmp_le_i32_e64 s6, s18, v2
	s_wait_alu 0xfffd
	v_add_co_ci_u32_e64 v12, null, s21, v12, vcc_lo
	s_wait_alu 0xfffe
	s_delay_alu instid0(VALU_DEP_2) | instskip(SKIP_3) | instid1(VALU_DEP_2)
	s_or_b32 s19, s6, s19
	s_wait_loadcnt 0x0
	v_mul_f32_e32 v25, v24, v22
	v_mul_f32_e32 v22, v23, v22
	v_fma_f32 v23, v23, v21, -v25
	s_delay_alu instid0(VALU_DEP_2) | instskip(NEXT) | instid1(VALU_DEP_1)
	v_fmac_f32_e32 v22, v24, v21
	v_dual_add_f32 v20, v20, v23 :: v_dual_add_f32 v19, v19, v22
	s_wait_alu 0xfffe
	s_and_not1_b32 exec_lo, exec_lo, s19
	s_cbranch_execnz .LBB127_24
; %bb.25:                               ;   in Loop: Header=BB127_5 Depth=1
	s_or_b32 exec_lo, exec_lo, s19
	s_delay_alu instid0(SALU_CYCLE_1)
	s_or_b32 exec_lo, exec_lo, s7
	s_and_saveexec_b32 s6, s5
	s_cbranch_execz .LBB127_16
.LBB127_26:                             ;   in Loop: Header=BB127_5 Depth=1
	s_mul_u64 s[44:45], s[14:15], s[34:35]
	s_mul_u64 s[46:47], s[22:23], s[34:35]
	s_wait_alu 0xfffe
	s_lshl_b64 s[44:45], s[44:45], 3
	s_lshl_b64 s[46:47], s[46:47], 3
	s_wait_alu 0xfffe
	v_add_co_u32 v2, vcc_lo, v15, s44
	s_wait_alu 0xfffd
	v_add_co_ci_u32_e64 v12, null, s45, v16, vcc_lo
	s_add_nc_u64 s[44:45], s[10:11], s[46:47]
	s_wait_dscnt 0x0
	s_wait_alu 0xfffe
	v_add_co_u32 v9, vcc_lo, s44, v7
	s_wait_alu 0xfffd
	v_add_co_ci_u32_e64 v10, null, s45, v8, vcc_lo
	v_add_co_u32 v11, vcc_lo, v2, s26
	s_wait_alu 0xfffd
	v_add_co_ci_u32_e64 v12, null, s27, v12, vcc_lo
	global_load_b64 v[9:10], v[9:10], off
	global_load_b64 v[11:12], v[11:12], off
	s_wait_loadcnt 0x0
	v_mul_f32_e32 v2, v10, v12
	v_mul_f32_e32 v12, v9, v12
	s_delay_alu instid0(VALU_DEP_2) | instskip(NEXT) | instid1(VALU_DEP_2)
	v_fma_f32 v2, v9, v11, -v2
	v_fmac_f32_e32 v12, v10, v11
	s_delay_alu instid0(VALU_DEP_1)
	v_dual_add_f32 v20, v20, v2 :: v_dual_add_f32 v19, v19, v12
	s_or_b32 exec_lo, exec_lo, s6
	s_and_saveexec_b32 s6, s1
	s_cbranch_execnz .LBB127_17
	s_branch .LBB127_18
.LBB127_27:                             ;   in Loop: Header=BB127_5 Depth=1
	ds_load_b64 v[9:10], v13
	s_wait_alu 0xfffe
	s_or_b32 exec_lo, exec_lo, s6
	s_and_saveexec_b32 s6, s1
	s_cbranch_execz .LBB127_22
.LBB127_28:                             ;   in Loop: Header=BB127_5 Depth=1
	s_wait_dscnt 0x0
	ds_bpermute_b32 v19, v2, v9
	ds_bpermute_b32 v2, v2, v10
	s_wait_dscnt 0x0
	v_dual_add_f32 v9, v9, v19 :: v_dual_add_f32 v2, v10, v2
	ds_bpermute_b32 v10, v11, v9
	ds_bpermute_b32 v11, v11, v2
	s_wait_dscnt 0x0
	v_dual_add_f32 v9, v9, v10 :: v_dual_add_f32 v2, v2, v11
	;; [unrolled: 4-line block ×3, first 2 shown]
	s_wait_alu 0xfffe
	s_or_b32 exec_lo, exec_lo, s6
	s_and_saveexec_b32 s19, s0
	s_cbranch_execz .LBB127_3
.LBB127_29:                             ;   in Loop: Header=BB127_5 Depth=1
	s_wait_dscnt 0x0
	v_mul_f32_e32 v11, s36, v10
	v_mul_f32_e32 v2, s37, v10
	s_and_not1_b32 vcc_lo, exec_lo, s42
	s_add_nc_u64 s[6:7], s[28:29], s[24:25]
	s_delay_alu instid0(VALU_DEP_2) | instskip(NEXT) | instid1(VALU_DEP_2)
	v_fmac_f32_e32 v11, s37, v9
	v_fma_f32 v10, v9, s36, -v2
	s_wait_alu 0xfffe
	s_cbranch_vccnz .LBB127_2
; %bb.30:                               ;   in Loop: Header=BB127_5 Depth=1
	global_load_b64 v[19:20], v1, s[6:7]
	s_wait_loadcnt 0x0
	v_mul_f32_e32 v9, s38, v20
	s_delay_alu instid0(VALU_DEP_1) | instskip(NEXT) | instid1(VALU_DEP_1)
	v_dual_mul_f32 v2, s39, v20 :: v_dual_fmac_f32 v9, s39, v19
	v_xor_b32_e32 v2, 0x80000000, v2
	s_delay_alu instid0(VALU_DEP_1) | instskip(NEXT) | instid1(VALU_DEP_1)
	v_dual_add_f32 v11, v11, v9 :: v_dual_fmac_f32 v2, s38, v19
	v_add_f32_e32 v10, v10, v2
	s_branch .LBB127_2
.LBB127_31:
	s_endpgm
	.section	.rodata,"a",@progbits
	.p2align	6, 0x0
	.amdhsa_kernel _ZL32rocblas_gemvt_warp_reduce_kernelILb0ELi256El19rocblas_complex_numIfES1_S1_EviiT3_lPKT2_lT1_lS5_lS6_lS2_lPT4_lS6_li
		.amdhsa_group_segment_fixed_size 256
		.amdhsa_private_segment_fixed_size 0
		.amdhsa_kernarg_size 140
		.amdhsa_user_sgpr_count 2
		.amdhsa_user_sgpr_dispatch_ptr 0
		.amdhsa_user_sgpr_queue_ptr 0
		.amdhsa_user_sgpr_kernarg_segment_ptr 1
		.amdhsa_user_sgpr_dispatch_id 0
		.amdhsa_user_sgpr_private_segment_size 0
		.amdhsa_wavefront_size32 1
		.amdhsa_uses_dynamic_stack 0
		.amdhsa_enable_private_segment 0
		.amdhsa_system_sgpr_workgroup_id_x 1
		.amdhsa_system_sgpr_workgroup_id_y 0
		.amdhsa_system_sgpr_workgroup_id_z 1
		.amdhsa_system_sgpr_workgroup_info 0
		.amdhsa_system_vgpr_workitem_id 0
		.amdhsa_next_free_vgpr 26
		.amdhsa_next_free_sgpr 48
		.amdhsa_reserve_vcc 1
		.amdhsa_float_round_mode_32 0
		.amdhsa_float_round_mode_16_64 0
		.amdhsa_float_denorm_mode_32 3
		.amdhsa_float_denorm_mode_16_64 3
		.amdhsa_fp16_overflow 0
		.amdhsa_workgroup_processor_mode 1
		.amdhsa_memory_ordered 1
		.amdhsa_forward_progress 1
		.amdhsa_inst_pref_size 15
		.amdhsa_round_robin_scheduling 0
		.amdhsa_exception_fp_ieee_invalid_op 0
		.amdhsa_exception_fp_denorm_src 0
		.amdhsa_exception_fp_ieee_div_zero 0
		.amdhsa_exception_fp_ieee_overflow 0
		.amdhsa_exception_fp_ieee_underflow 0
		.amdhsa_exception_fp_ieee_inexact 0
		.amdhsa_exception_int_div_zero 0
	.end_amdhsa_kernel
	.section	.text._ZL32rocblas_gemvt_warp_reduce_kernelILb0ELi256El19rocblas_complex_numIfES1_S1_EviiT3_lPKT2_lT1_lS5_lS6_lS2_lPT4_lS6_li,"axG",@progbits,_ZL32rocblas_gemvt_warp_reduce_kernelILb0ELi256El19rocblas_complex_numIfES1_S1_EviiT3_lPKT2_lT1_lS5_lS6_lS2_lPT4_lS6_li,comdat
.Lfunc_end127:
	.size	_ZL32rocblas_gemvt_warp_reduce_kernelILb0ELi256El19rocblas_complex_numIfES1_S1_EviiT3_lPKT2_lT1_lS5_lS6_lS2_lPT4_lS6_li, .Lfunc_end127-_ZL32rocblas_gemvt_warp_reduce_kernelILb0ELi256El19rocblas_complex_numIfES1_S1_EviiT3_lPKT2_lT1_lS5_lS6_lS2_lPT4_lS6_li
                                        ; -- End function
	.set _ZL32rocblas_gemvt_warp_reduce_kernelILb0ELi256El19rocblas_complex_numIfES1_S1_EviiT3_lPKT2_lT1_lS5_lS6_lS2_lPT4_lS6_li.num_vgpr, 26
	.set _ZL32rocblas_gemvt_warp_reduce_kernelILb0ELi256El19rocblas_complex_numIfES1_S1_EviiT3_lPKT2_lT1_lS5_lS6_lS2_lPT4_lS6_li.num_agpr, 0
	.set _ZL32rocblas_gemvt_warp_reduce_kernelILb0ELi256El19rocblas_complex_numIfES1_S1_EviiT3_lPKT2_lT1_lS5_lS6_lS2_lPT4_lS6_li.numbered_sgpr, 48
	.set _ZL32rocblas_gemvt_warp_reduce_kernelILb0ELi256El19rocblas_complex_numIfES1_S1_EviiT3_lPKT2_lT1_lS5_lS6_lS2_lPT4_lS6_li.num_named_barrier, 0
	.set _ZL32rocblas_gemvt_warp_reduce_kernelILb0ELi256El19rocblas_complex_numIfES1_S1_EviiT3_lPKT2_lT1_lS5_lS6_lS2_lPT4_lS6_li.private_seg_size, 0
	.set _ZL32rocblas_gemvt_warp_reduce_kernelILb0ELi256El19rocblas_complex_numIfES1_S1_EviiT3_lPKT2_lT1_lS5_lS6_lS2_lPT4_lS6_li.uses_vcc, 1
	.set _ZL32rocblas_gemvt_warp_reduce_kernelILb0ELi256El19rocblas_complex_numIfES1_S1_EviiT3_lPKT2_lT1_lS5_lS6_lS2_lPT4_lS6_li.uses_flat_scratch, 0
	.set _ZL32rocblas_gemvt_warp_reduce_kernelILb0ELi256El19rocblas_complex_numIfES1_S1_EviiT3_lPKT2_lT1_lS5_lS6_lS2_lPT4_lS6_li.has_dyn_sized_stack, 0
	.set _ZL32rocblas_gemvt_warp_reduce_kernelILb0ELi256El19rocblas_complex_numIfES1_S1_EviiT3_lPKT2_lT1_lS5_lS6_lS2_lPT4_lS6_li.has_recursion, 0
	.set _ZL32rocblas_gemvt_warp_reduce_kernelILb0ELi256El19rocblas_complex_numIfES1_S1_EviiT3_lPKT2_lT1_lS5_lS6_lS2_lPT4_lS6_li.has_indirect_call, 0
	.section	.AMDGPU.csdata,"",@progbits
; Kernel info:
; codeLenInByte = 1820
; TotalNumSgprs: 50
; NumVgprs: 26
; ScratchSize: 0
; MemoryBound: 0
; FloatMode: 240
; IeeeMode: 1
; LDSByteSize: 256 bytes/workgroup (compile time only)
; SGPRBlocks: 0
; VGPRBlocks: 3
; NumSGPRsForWavesPerEU: 50
; NumVGPRsForWavesPerEU: 26
; Occupancy: 16
; WaveLimiterHint : 1
; COMPUTE_PGM_RSRC2:SCRATCH_EN: 0
; COMPUTE_PGM_RSRC2:USER_SGPR: 2
; COMPUTE_PGM_RSRC2:TRAP_HANDLER: 0
; COMPUTE_PGM_RSRC2:TGID_X_EN: 1
; COMPUTE_PGM_RSRC2:TGID_Y_EN: 0
; COMPUTE_PGM_RSRC2:TGID_Z_EN: 1
; COMPUTE_PGM_RSRC2:TIDIG_COMP_CNT: 0
	.section	.text._ZL20rocblas_gemvt_kernelILb0ELi256E19rocblas_complex_numIfEPKS1_S1_EviiT2_lPKT1_lilS7_lilS4_lPT3_lili,"axG",@progbits,_ZL20rocblas_gemvt_kernelILb0ELi256E19rocblas_complex_numIfEPKS1_S1_EviiT2_lPKT1_lilS7_lilS4_lPT3_lili,comdat
	.globl	_ZL20rocblas_gemvt_kernelILb0ELi256E19rocblas_complex_numIfEPKS1_S1_EviiT2_lPKT1_lilS7_lilS4_lPT3_lili ; -- Begin function _ZL20rocblas_gemvt_kernelILb0ELi256E19rocblas_complex_numIfEPKS1_S1_EviiT2_lPKT1_lilS7_lilS4_lPT3_lili
	.p2align	8
	.type	_ZL20rocblas_gemvt_kernelILb0ELi256E19rocblas_complex_numIfEPKS1_S1_EviiT2_lPKT1_lilS7_lilS4_lPT3_lili,@function
_ZL20rocblas_gemvt_kernelILb0ELi256E19rocblas_complex_numIfEPKS1_S1_EviiT2_lPKT1_lilS7_lilS4_lPT3_lili: ; @_ZL20rocblas_gemvt_kernelILb0ELi256E19rocblas_complex_numIfEPKS1_S1_EviiT2_lPKT1_lilS7_lilS4_lPT3_lili
; %bb.0:
	s_load_b32 s33, s[0:1], 0x88
	s_lshr_b32 s10, ttmp7, 16
	s_wait_kmcnt 0x0
	s_cmp_ge_u32 s10, s33
	s_cbranch_scc1 .LBB128_40
; %bb.1:
	s_clause 0x7
	s_load_b32 s8, s[0:1], 0x28
	s_load_b96 s[4:6], s[0:1], 0x40
	s_load_b96 s[36:38], s[0:1], 0x70
	s_load_b256 s[12:19], s[0:1], 0x8
	s_load_b32 s7, s[0:1], 0x0
	s_load_b128 s[28:31], s[0:1], 0x30
	s_load_b256 s[20:27], s[0:1], 0x50
	s_load_b64 s[34:35], s[0:1], 0x80
	s_mov_b32 s2, ttmp9
	s_ashr_i32 s3, ttmp9, 31
	v_lshlrev_b32_e32 v17, 3, v0
	s_mov_b32 s11, 0
	v_mov_b32_e32 v14, 0
	s_wait_kmcnt 0x0
	s_ashr_i32 s9, s8, 31
	s_lshl_b64 s[0:1], s[4:5], 3
	s_lshl_b64 s[4:5], s[36:37], 3
	;; [unrolled: 1-line block ×3, first 2 shown]
	v_cmp_gt_i32_e32 vcc_lo, s7, v0
	s_ashr_i32 s39, s38, 31
	s_add_nc_u64 s[26:27], s[26:27], s[4:5]
	s_add_nc_u64 s[4:5], s[16:17], s[42:43]
	s_mul_u64 s[44:45], s[38:39], s[2:3]
	v_cndmask_b32_e32 v1, 0, v0, vcc_lo
	s_mul_u64 s[2:3], s[8:9], s[2:3]
	s_add_nc_u64 s[18:19], s[30:31], s[0:1]
	s_lshl_b64 s[38:39], s[2:3], 3
	s_ashr_i32 s1, s7, 31
	v_lshlrev_b32_e32 v3, 3, v1
	s_lshr_b32 s1, s1, 24
	s_add_nc_u64 s[42:43], s[38:39], s[42:43]
	s_add_co_i32 s1, s7, s1
	s_ashr_i32 s41, s6, 31
	v_add_co_u32 v1, s4, s4, v3
	s_wait_alu 0xf1ff
	v_add_co_ci_u32_e64 v2, null, s5, 0, s4
	s_and_b32 s30, s1, 0xffffff00
	v_add_co_u32 v15, vcc_lo, v1, s38
	s_wait_alu 0xfffd
	v_add_co_ci_u32_e64 v16, null, s39, v2, vcc_lo
	v_mad_co_i64_i32 v[1:2], null, s6, v0, 0
	v_or_b32_e32 v4, s30, v0
	s_mov_b32 s40, s6
	v_cmp_eq_u32_e64 s0, 0, v0
	s_cmp_gt_i32 s7, 0xff
	v_cmp_gt_u32_e64 s2, 0x80, v0
	v_cmp_gt_i32_e64 s1, s7, v4
	v_lshlrev_b64_e32 v[1:2], 3, v[1:2]
	v_mad_co_i64_i32 v[4:5], null, s6, v4, 0
	v_cmp_gt_u32_e64 s3, 64, v0
	v_cmp_gt_u32_e64 s4, 32, v0
	;; [unrolled: 1-line block ×3, first 2 shown]
	v_add_co_u32 v1, vcc_lo, s18, v1
	s_wait_alu 0xfffd
	v_add_co_ci_u32_e64 v2, null, s19, v2, vcc_lo
	v_cmp_gt_u32_e64 s6, 8, v0
	v_cmp_gt_u32_e64 s7, 4, v0
	;; [unrolled: 1-line block ×3, first 2 shown]
	v_add_co_u32 v0, vcc_lo, v1, 4
	s_add_nc_u64 s[16:17], s[16:17], s[42:43]
	s_wait_alu 0xfffd
	v_add_co_ci_u32_e64 v1, null, 0, v2, vcc_lo
	v_add_co_u32 v2, s9, s16, v3
	v_lshlrev_b64_e32 v[4:5], 3, v[4:5]
	v_add_co_ci_u32_e64 v3, null, s17, 0, s9
	s_cselect_b32 s48, -1, 0
	s_ashr_i32 s31, s30, 31
	s_lshl_b64 s[36:37], s[20:21], 3
	s_lshl_b64 s[38:39], s[40:41], 11
	;; [unrolled: 1-line block ×4, first 2 shown]
	s_wait_alu 0xfffe
	s_lshl_b64 s[42:43], s[30:31], 3
	s_branch .LBB128_5
.LBB128_2:                              ;   in Loop: Header=BB128_5 Depth=1
	s_add_nc_u64 s[44:45], s[44:45], s[40:41]
	global_store_b64 v14, v[8:9], s[44:45]
.LBB128_3:                              ;   in Loop: Header=BB128_5 Depth=1
	s_wait_alu 0xfffe
	s_or_b32 exec_lo, exec_lo, s46
.LBB128_4:                              ;   in Loop: Header=BB128_5 Depth=1
	s_add_co_i32 s10, s10, 0x10000
	s_wait_alu 0xfffe
	s_cmp_lt_u32 s10, s33
	s_cbranch_scc0 .LBB128_40
.LBB128_5:                              ; =>This Loop Header: Depth=1
                                        ;     Child Loop BB128_18 Depth 2
	s_mul_u64 s[44:45], s[14:15], s[10:11]
	s_delay_alu instid0(SALU_CYCLE_1) | instskip(NEXT) | instid1(SALU_CYCLE_1)
	s_lshl_b64 s[44:45], s[44:45], 3
	s_add_nc_u64 s[44:45], s[12:13], s[44:45]
	global_load_b64 v[8:9], v14, s[44:45]
	s_mul_u64 s[44:45], s[24:25], s[10:11]
	s_delay_alu instid0(SALU_CYCLE_1) | instskip(NEXT) | instid1(SALU_CYCLE_1)
	s_lshl_b64 s[44:45], s[44:45], 3
	s_add_nc_u64 s[44:45], s[22:23], s[44:45]
	s_wait_loadcnt 0x1
	global_load_b64 v[6:7], v14, s[44:45]
	s_wait_loadcnt 0x1
	v_readfirstlane_b32 s31, v8
	v_readfirstlane_b32 s49, v9
	s_cmp_neq_f32 s31, 0
	s_cselect_b32 s9, -1, 0
	s_cmp_neq_f32 s49, 0
	s_cselect_b32 s44, -1, 0
	s_wait_alu 0xfffe
	s_or_b32 s9, s9, s44
	s_wait_alu 0xfffe
	s_and_b32 vcc_lo, exec_lo, s9
	s_mov_b32 s9, -1
	s_wait_alu 0xfffe
	s_cbranch_vccnz .LBB128_7
; %bb.6:                                ;   in Loop: Header=BB128_5 Depth=1
	s_wait_loadcnt 0x0
	v_cmp_neq_f32_e32 vcc_lo, 1.0, v6
	v_cmp_neq_f32_e64 s9, 0, v7
	s_or_b32 s9, vcc_lo, s9
.LBB128_7:                              ;   in Loop: Header=BB128_5 Depth=1
	s_wait_alu 0xfffe
	s_and_not1_b32 vcc_lo, exec_lo, s9
	s_wait_alu 0xfffe
	s_cbranch_vccnz .LBB128_4
; %bb.8:                                ;   in Loop: Header=BB128_5 Depth=1
	s_mul_u64 s[44:45], s[34:35], s[10:11]
	s_or_b32 s9, s31, s49
	s_lshl_b64 s[44:45], s[44:45], 3
	s_wait_alu 0xfffe
	s_bitset0_b32 s9, 31
	s_add_nc_u64 s[44:45], s[26:27], s[44:45]
	s_wait_alu 0xfffe
	s_cmp_lg_u32 s9, 0
	s_mov_b32 s9, -1
	s_cbranch_scc1 .LBB128_15
; %bb.9:                                ;   in Loop: Header=BB128_5 Depth=1
	s_and_saveexec_b32 s50, s0
	s_cbranch_execz .LBB128_14
; %bb.10:                               ;   in Loop: Header=BB128_5 Depth=1
	s_wait_loadcnt 0x0
	v_cmp_neq_f32_e32 vcc_lo, 0, v6
	v_cmp_neq_f32_e64 s9, 0, v7
	s_add_nc_u64 s[46:47], s[44:45], s[40:41]
	s_wait_alu 0xfffe
	s_or_b32 s9, vcc_lo, s9
	s_wait_alu 0xfffe
	s_and_not1_b32 vcc_lo, exec_lo, s9
	s_wait_alu 0xfffe
	s_cbranch_vccnz .LBB128_12
; %bb.11:                               ;   in Loop: Header=BB128_5 Depth=1
	global_load_b64 v[10:11], v14, s[46:47]
	s_wait_loadcnt 0x0
	v_mul_f32_e32 v8, v7, v11
	v_mul_f32_e32 v9, v6, v11
	s_delay_alu instid0(VALU_DEP_2) | instskip(NEXT) | instid1(VALU_DEP_2)
	v_xor_b32_e32 v8, 0x80000000, v8
	v_fmac_f32_e32 v9, v7, v10
	s_delay_alu instid0(VALU_DEP_2)
	v_fmac_f32_e32 v8, v6, v10
	s_branch .LBB128_13
.LBB128_12:                             ;   in Loop: Header=BB128_5 Depth=1
	v_dual_mov_b32 v9, 0 :: v_dual_mov_b32 v8, 0
.LBB128_13:                             ;   in Loop: Header=BB128_5 Depth=1
	global_store_b64 v14, v[8:9], s[46:47]
.LBB128_14:                             ;   in Loop: Header=BB128_5 Depth=1
	s_or_b32 exec_lo, exec_lo, s50
	s_mov_b32 s9, 0
.LBB128_15:                             ;   in Loop: Header=BB128_5 Depth=1
	s_wait_alu 0xfffe
	s_and_not1_b32 vcc_lo, exec_lo, s9
	s_wait_alu 0xfffe
	s_cbranch_vccnz .LBB128_4
; %bb.16:                               ;   in Loop: Header=BB128_5 Depth=1
	v_mov_b32_e32 v9, 0
	s_and_not1_b32 vcc_lo, exec_lo, s48
	s_delay_alu instid0(VALU_DEP_1)
	v_mov_b32_e32 v8, v9
	s_wait_alu 0xfffe
	s_cbranch_vccnz .LBB128_19
; %bb.17:                               ;   in Loop: Header=BB128_5 Depth=1
	v_mad_co_u64_u32 v[10:11], null, s36, s10, v[0:1]
	v_mad_co_u64_u32 v[12:13], null, s16, s10, v[2:3]
	s_mov_b32 s9, 0
	v_dual_mov_b32 v8, v11 :: v_dual_mov_b32 v9, v13
	s_delay_alu instid0(VALU_DEP_1) | instskip(SKIP_2) | instid1(VALU_DEP_3)
	v_mad_co_u64_u32 v[18:19], null, s37, s10, v[8:9]
	v_mad_co_u64_u32 v[8:9], null, s17, s10, v[9:10]
	v_mov_b32_e32 v9, 0
	v_mov_b32_e32 v11, v18
	s_delay_alu instid0(VALU_DEP_2)
	v_dual_mov_b32 v13, v8 :: v_dual_mov_b32 v8, v9
.LBB128_18:                             ;   Parent Loop BB128_5 Depth=1
                                        ; =>  This Inner Loop Header: Depth=2
	global_load_b64 v[18:19], v[12:13], off
	global_load_b64 v[20:21], v[10:11], off offset:-4
	v_add_co_u32 v10, vcc_lo, v10, s38
	s_wait_alu 0xfffd
	v_add_co_ci_u32_e64 v11, null, s39, v11, vcc_lo
	v_add_co_u32 v12, vcc_lo, 0x800, v12
	s_wait_alu 0xfffd
	v_add_co_ci_u32_e64 v13, null, 0, v13, vcc_lo
	s_wait_alu 0xfffe
	s_addk_co_i32 s9, 0x100
	s_wait_alu 0xfffe
	s_cmp_ge_i32 s9, s30
	s_wait_loadcnt 0x0
	v_mul_f32_e32 v22, v21, v19
	v_mul_f32_e32 v19, v20, v19
	s_delay_alu instid0(VALU_DEP_2) | instskip(NEXT) | instid1(VALU_DEP_1)
	v_fma_f32 v20, v20, v18, -v22
	v_dual_fmac_f32 v19, v21, v18 :: v_dual_add_f32 v8, v8, v20
	s_delay_alu instid0(VALU_DEP_1)
	v_add_f32_e32 v9, v9, v19
	s_cbranch_scc0 .LBB128_18
.LBB128_19:                             ;   in Loop: Header=BB128_5 Depth=1
	s_and_saveexec_b32 s9, s1
	s_cbranch_execz .LBB128_21
; %bb.20:                               ;   in Loop: Header=BB128_5 Depth=1
	s_mul_u64 s[46:47], s[28:29], s[10:11]
	s_mul_u64 s[50:51], s[20:21], s[10:11]
	s_wait_alu 0xfffe
	s_lshl_b64 s[46:47], s[46:47], 3
	s_lshl_b64 s[50:51], s[50:51], 3
	s_wait_alu 0xfffe
	v_add_co_u32 v12, vcc_lo, v15, s46
	s_wait_alu 0xfffd
	v_add_co_ci_u32_e64 v13, null, s47, v16, vcc_lo
	s_add_nc_u64 s[46:47], s[18:19], s[50:51]
	s_wait_alu 0xfffe
	v_add_co_u32 v10, vcc_lo, s46, v4
	s_wait_alu 0xfffd
	v_add_co_ci_u32_e64 v11, null, s47, v5, vcc_lo
	v_add_co_u32 v12, vcc_lo, v12, s42
	s_wait_alu 0xfffd
	v_add_co_ci_u32_e64 v13, null, s43, v13, vcc_lo
	global_load_b64 v[10:11], v[10:11], off
	global_load_b64 v[12:13], v[12:13], off
	s_wait_loadcnt 0x0
	v_mul_f32_e32 v18, v11, v13
	v_mul_f32_e32 v13, v10, v13
	s_delay_alu instid0(VALU_DEP_2) | instskip(NEXT) | instid1(VALU_DEP_1)
	v_fma_f32 v10, v10, v12, -v18
	v_dual_add_f32 v8, v8, v10 :: v_dual_fmac_f32 v13, v11, v12
	s_delay_alu instid0(VALU_DEP_1)
	v_add_f32_e32 v9, v9, v13
.LBB128_21:                             ;   in Loop: Header=BB128_5 Depth=1
	s_wait_alu 0xfffe
	s_or_b32 exec_lo, exec_lo, s9
	ds_store_b64 v17, v[8:9]
	s_wait_storecnt 0x0
	s_wait_loadcnt_dscnt 0x0
	s_barrier_signal -1
	s_barrier_wait -1
	global_inv scope:SCOPE_SE
	s_and_saveexec_b32 s9, s2
	s_cbranch_execz .LBB128_23
; %bb.22:                               ;   in Loop: Header=BB128_5 Depth=1
	ds_load_2addr_stride64_b64 v[8:11], v17 offset1:2
	s_wait_dscnt 0x0
	v_dual_add_f32 v8, v10, v8 :: v_dual_add_f32 v9, v11, v9
	ds_store_b64 v17, v[8:9]
.LBB128_23:                             ;   in Loop: Header=BB128_5 Depth=1
	s_wait_alu 0xfffe
	s_or_b32 exec_lo, exec_lo, s9
	s_wait_loadcnt_dscnt 0x0
	s_barrier_signal -1
	s_barrier_wait -1
	global_inv scope:SCOPE_SE
	s_and_saveexec_b32 s9, s3
	s_cbranch_execz .LBB128_25
; %bb.24:                               ;   in Loop: Header=BB128_5 Depth=1
	ds_load_2addr_stride64_b64 v[8:11], v17 offset1:1
	s_wait_dscnt 0x0
	v_dual_add_f32 v8, v10, v8 :: v_dual_add_f32 v9, v11, v9
	ds_store_b64 v17, v[8:9]
.LBB128_25:                             ;   in Loop: Header=BB128_5 Depth=1
	s_wait_alu 0xfffe
	s_or_b32 exec_lo, exec_lo, s9
	s_wait_loadcnt_dscnt 0x0
	s_barrier_signal -1
	s_barrier_wait -1
	global_inv scope:SCOPE_SE
	s_and_saveexec_b32 s9, s4
	s_cbranch_execz .LBB128_27
; %bb.26:                               ;   in Loop: Header=BB128_5 Depth=1
	ds_load_2addr_b64 v[8:11], v17 offset1:32
	s_wait_dscnt 0x0
	v_dual_add_f32 v8, v10, v8 :: v_dual_add_f32 v9, v11, v9
	ds_store_b64 v17, v[8:9]
.LBB128_27:                             ;   in Loop: Header=BB128_5 Depth=1
	s_wait_alu 0xfffe
	s_or_b32 exec_lo, exec_lo, s9
	s_wait_loadcnt_dscnt 0x0
	s_barrier_signal -1
	s_barrier_wait -1
	global_inv scope:SCOPE_SE
	s_and_saveexec_b32 s9, s5
	s_cbranch_execz .LBB128_29
; %bb.28:                               ;   in Loop: Header=BB128_5 Depth=1
	ds_load_2addr_b64 v[8:11], v17 offset1:16
	s_wait_dscnt 0x0
	v_dual_add_f32 v8, v10, v8 :: v_dual_add_f32 v9, v11, v9
	ds_store_b64 v17, v[8:9]
.LBB128_29:                             ;   in Loop: Header=BB128_5 Depth=1
	s_wait_alu 0xfffe
	s_or_b32 exec_lo, exec_lo, s9
	s_wait_loadcnt_dscnt 0x0
	s_barrier_signal -1
	s_barrier_wait -1
	global_inv scope:SCOPE_SE
	s_and_saveexec_b32 s9, s6
	s_cbranch_execz .LBB128_31
; %bb.30:                               ;   in Loop: Header=BB128_5 Depth=1
	ds_load_2addr_b64 v[8:11], v17 offset1:8
	s_wait_dscnt 0x0
	v_dual_add_f32 v8, v10, v8 :: v_dual_add_f32 v9, v11, v9
	ds_store_b64 v17, v[8:9]
.LBB128_31:                             ;   in Loop: Header=BB128_5 Depth=1
	s_wait_alu 0xfffe
	s_or_b32 exec_lo, exec_lo, s9
	s_wait_loadcnt_dscnt 0x0
	s_barrier_signal -1
	s_barrier_wait -1
	global_inv scope:SCOPE_SE
	s_and_saveexec_b32 s9, s7
	s_cbranch_execz .LBB128_33
; %bb.32:                               ;   in Loop: Header=BB128_5 Depth=1
	ds_load_2addr_b64 v[8:11], v17 offset1:4
	s_wait_dscnt 0x0
	v_dual_add_f32 v8, v10, v8 :: v_dual_add_f32 v9, v11, v9
	ds_store_b64 v17, v[8:9]
.LBB128_33:                             ;   in Loop: Header=BB128_5 Depth=1
	s_wait_alu 0xfffe
	s_or_b32 exec_lo, exec_lo, s9
	s_wait_loadcnt_dscnt 0x0
	s_barrier_signal -1
	s_barrier_wait -1
	global_inv scope:SCOPE_SE
	s_and_saveexec_b32 s9, s8
	s_cbranch_execz .LBB128_35
; %bb.34:                               ;   in Loop: Header=BB128_5 Depth=1
	ds_load_2addr_b64 v[8:11], v17 offset1:2
	s_wait_dscnt 0x0
	v_dual_add_f32 v8, v10, v8 :: v_dual_add_f32 v9, v11, v9
	ds_store_b64 v17, v[8:9]
.LBB128_35:                             ;   in Loop: Header=BB128_5 Depth=1
	s_wait_alu 0xfffe
	s_or_b32 exec_lo, exec_lo, s9
	s_wait_loadcnt_dscnt 0x0
	s_barrier_signal -1
	s_barrier_wait -1
	global_inv scope:SCOPE_SE
	s_and_saveexec_b32 s9, s0
	s_cbranch_execz .LBB128_37
; %bb.36:                               ;   in Loop: Header=BB128_5 Depth=1
	ds_load_b128 v[8:11], v14
	s_wait_dscnt 0x0
	v_dual_add_f32 v8, v10, v8 :: v_dual_add_f32 v9, v11, v9
	ds_store_b64 v14, v[8:9]
.LBB128_37:                             ;   in Loop: Header=BB128_5 Depth=1
	s_wait_alu 0xfffe
	s_or_b32 exec_lo, exec_lo, s9
	s_wait_loadcnt_dscnt 0x0
	s_barrier_signal -1
	s_barrier_wait -1
	global_inv scope:SCOPE_SE
	s_and_saveexec_b32 s46, s0
	s_cbranch_execz .LBB128_3
; %bb.38:                               ;   in Loop: Header=BB128_5 Depth=1
	ds_load_b64 v[10:11], v14
	v_cmp_neq_f32_e32 vcc_lo, 0, v6
	v_cmp_neq_f32_e64 s9, 0, v7
	s_or_b32 s9, vcc_lo, s9
	s_wait_alu 0xfffe
	s_and_not1_b32 vcc_lo, exec_lo, s9
	s_wait_dscnt 0x0
	v_mul_f32_e32 v9, s31, v11
	s_delay_alu instid0(VALU_DEP_1) | instskip(NEXT) | instid1(VALU_DEP_1)
	v_dual_mul_f32 v8, s49, v11 :: v_dual_fmac_f32 v9, s49, v10
	v_xor_b32_e32 v8, 0x80000000, v8
	s_delay_alu instid0(VALU_DEP_1)
	v_fmac_f32_e32 v8, s31, v10
	s_wait_alu 0xfffe
	s_cbranch_vccnz .LBB128_2
; %bb.39:                               ;   in Loop: Header=BB128_5 Depth=1
	s_add_nc_u64 s[50:51], s[44:45], s[40:41]
	global_load_b64 v[10:11], v14, s[50:51]
	s_wait_loadcnt 0x0
	v_mul_f32_e32 v12, v7, v11
	s_delay_alu instid0(VALU_DEP_1) | instskip(NEXT) | instid1(VALU_DEP_1)
	v_xor_b32_e32 v12, 0x80000000, v12
	v_fmac_f32_e32 v12, v6, v10
	s_delay_alu instid0(VALU_DEP_1) | instskip(NEXT) | instid1(VALU_DEP_1)
	v_dual_mul_f32 v11, v6, v11 :: v_dual_add_f32 v8, v8, v12
	v_fmac_f32_e32 v11, v7, v10
	s_delay_alu instid0(VALU_DEP_1)
	v_add_f32_e32 v9, v9, v11
	s_branch .LBB128_2
.LBB128_40:
	s_endpgm
	.section	.rodata,"a",@progbits
	.p2align	6, 0x0
	.amdhsa_kernel _ZL20rocblas_gemvt_kernelILb0ELi256E19rocblas_complex_numIfEPKS1_S1_EviiT2_lPKT1_lilS7_lilS4_lPT3_lili
		.amdhsa_group_segment_fixed_size 2048
		.amdhsa_private_segment_fixed_size 0
		.amdhsa_kernarg_size 140
		.amdhsa_user_sgpr_count 2
		.amdhsa_user_sgpr_dispatch_ptr 0
		.amdhsa_user_sgpr_queue_ptr 0
		.amdhsa_user_sgpr_kernarg_segment_ptr 1
		.amdhsa_user_sgpr_dispatch_id 0
		.amdhsa_user_sgpr_private_segment_size 0
		.amdhsa_wavefront_size32 1
		.amdhsa_uses_dynamic_stack 0
		.amdhsa_enable_private_segment 0
		.amdhsa_system_sgpr_workgroup_id_x 1
		.amdhsa_system_sgpr_workgroup_id_y 0
		.amdhsa_system_sgpr_workgroup_id_z 1
		.amdhsa_system_sgpr_workgroup_info 0
		.amdhsa_system_vgpr_workitem_id 0
		.amdhsa_next_free_vgpr 23
		.amdhsa_next_free_sgpr 52
		.amdhsa_reserve_vcc 1
		.amdhsa_float_round_mode_32 0
		.amdhsa_float_round_mode_16_64 0
		.amdhsa_float_denorm_mode_32 3
		.amdhsa_float_denorm_mode_16_64 3
		.amdhsa_fp16_overflow 0
		.amdhsa_workgroup_processor_mode 1
		.amdhsa_memory_ordered 1
		.amdhsa_forward_progress 1
		.amdhsa_inst_pref_size 16
		.amdhsa_round_robin_scheduling 0
		.amdhsa_exception_fp_ieee_invalid_op 0
		.amdhsa_exception_fp_denorm_src 0
		.amdhsa_exception_fp_ieee_div_zero 0
		.amdhsa_exception_fp_ieee_overflow 0
		.amdhsa_exception_fp_ieee_underflow 0
		.amdhsa_exception_fp_ieee_inexact 0
		.amdhsa_exception_int_div_zero 0
	.end_amdhsa_kernel
	.section	.text._ZL20rocblas_gemvt_kernelILb0ELi256E19rocblas_complex_numIfEPKS1_S1_EviiT2_lPKT1_lilS7_lilS4_lPT3_lili,"axG",@progbits,_ZL20rocblas_gemvt_kernelILb0ELi256E19rocblas_complex_numIfEPKS1_S1_EviiT2_lPKT1_lilS7_lilS4_lPT3_lili,comdat
.Lfunc_end128:
	.size	_ZL20rocblas_gemvt_kernelILb0ELi256E19rocblas_complex_numIfEPKS1_S1_EviiT2_lPKT1_lilS7_lilS4_lPT3_lili, .Lfunc_end128-_ZL20rocblas_gemvt_kernelILb0ELi256E19rocblas_complex_numIfEPKS1_S1_EviiT2_lPKT1_lilS7_lilS4_lPT3_lili
                                        ; -- End function
	.set _ZL20rocblas_gemvt_kernelILb0ELi256E19rocblas_complex_numIfEPKS1_S1_EviiT2_lPKT1_lilS7_lilS4_lPT3_lili.num_vgpr, 23
	.set _ZL20rocblas_gemvt_kernelILb0ELi256E19rocblas_complex_numIfEPKS1_S1_EviiT2_lPKT1_lilS7_lilS4_lPT3_lili.num_agpr, 0
	.set _ZL20rocblas_gemvt_kernelILb0ELi256E19rocblas_complex_numIfEPKS1_S1_EviiT2_lPKT1_lilS7_lilS4_lPT3_lili.numbered_sgpr, 52
	.set _ZL20rocblas_gemvt_kernelILb0ELi256E19rocblas_complex_numIfEPKS1_S1_EviiT2_lPKT1_lilS7_lilS4_lPT3_lili.num_named_barrier, 0
	.set _ZL20rocblas_gemvt_kernelILb0ELi256E19rocblas_complex_numIfEPKS1_S1_EviiT2_lPKT1_lilS7_lilS4_lPT3_lili.private_seg_size, 0
	.set _ZL20rocblas_gemvt_kernelILb0ELi256E19rocblas_complex_numIfEPKS1_S1_EviiT2_lPKT1_lilS7_lilS4_lPT3_lili.uses_vcc, 1
	.set _ZL20rocblas_gemvt_kernelILb0ELi256E19rocblas_complex_numIfEPKS1_S1_EviiT2_lPKT1_lilS7_lilS4_lPT3_lili.uses_flat_scratch, 0
	.set _ZL20rocblas_gemvt_kernelILb0ELi256E19rocblas_complex_numIfEPKS1_S1_EviiT2_lPKT1_lilS7_lilS4_lPT3_lili.has_dyn_sized_stack, 0
	.set _ZL20rocblas_gemvt_kernelILb0ELi256E19rocblas_complex_numIfEPKS1_S1_EviiT2_lPKT1_lilS7_lilS4_lPT3_lili.has_recursion, 0
	.set _ZL20rocblas_gemvt_kernelILb0ELi256E19rocblas_complex_numIfEPKS1_S1_EviiT2_lPKT1_lilS7_lilS4_lPT3_lili.has_indirect_call, 0
	.section	.AMDGPU.csdata,"",@progbits
; Kernel info:
; codeLenInByte = 1964
; TotalNumSgprs: 54
; NumVgprs: 23
; ScratchSize: 0
; MemoryBound: 0
; FloatMode: 240
; IeeeMode: 1
; LDSByteSize: 2048 bytes/workgroup (compile time only)
; SGPRBlocks: 0
; VGPRBlocks: 2
; NumSGPRsForWavesPerEU: 54
; NumVGPRsForWavesPerEU: 23
; Occupancy: 16
; WaveLimiterHint : 0
; COMPUTE_PGM_RSRC2:SCRATCH_EN: 0
; COMPUTE_PGM_RSRC2:USER_SGPR: 2
; COMPUTE_PGM_RSRC2:TRAP_HANDLER: 0
; COMPUTE_PGM_RSRC2:TGID_X_EN: 1
; COMPUTE_PGM_RSRC2:TGID_Y_EN: 0
; COMPUTE_PGM_RSRC2:TGID_Z_EN: 1
; COMPUTE_PGM_RSRC2:TIDIG_COMP_CNT: 0
	.section	.text._ZL20rocblas_gemvt_kernelILb0ELi256E19rocblas_complex_numIfES1_S1_EviiT2_lPKT1_lilS5_lilS2_lPT3_lili,"axG",@progbits,_ZL20rocblas_gemvt_kernelILb0ELi256E19rocblas_complex_numIfES1_S1_EviiT2_lPKT1_lilS5_lilS2_lPT3_lili,comdat
	.globl	_ZL20rocblas_gemvt_kernelILb0ELi256E19rocblas_complex_numIfES1_S1_EviiT2_lPKT1_lilS5_lilS2_lPT3_lili ; -- Begin function _ZL20rocblas_gemvt_kernelILb0ELi256E19rocblas_complex_numIfES1_S1_EviiT2_lPKT1_lilS5_lilS2_lPT3_lili
	.p2align	8
	.type	_ZL20rocblas_gemvt_kernelILb0ELi256E19rocblas_complex_numIfES1_S1_EviiT2_lPKT1_lilS5_lilS2_lPT3_lili,@function
_ZL20rocblas_gemvt_kernelILb0ELi256E19rocblas_complex_numIfES1_S1_EviiT2_lPKT1_lilS5_lilS2_lPT3_lili: ; @_ZL20rocblas_gemvt_kernelILb0ELi256E19rocblas_complex_numIfES1_S1_EviiT2_lPKT1_lilS5_lilS2_lPT3_lili
; %bb.0:
	s_load_b32 s33, s[0:1], 0x88
	s_lshr_b32 s24, ttmp7, 16
	s_wait_kmcnt 0x0
	s_cmp_ge_u32 s24, s33
	s_cbranch_scc1 .LBB129_38
; %bb.1:
	s_clause 0x9
	s_load_b32 s30, s[0:1], 0x28
	s_load_b96 s[8:10], s[0:1], 0x40
	s_load_b32 s38, s[0:1], 0x78
	s_load_b128 s[4:7], s[0:1], 0x68
	s_load_b128 s[20:23], s[0:1], 0x18
	s_load_b64 s[26:27], s[0:1], 0x8
	s_load_b32 s11, s[0:1], 0x0
	s_load_b128 s[12:15], s[0:1], 0x30
	s_load_b128 s[16:19], s[0:1], 0x50
	s_load_b64 s[28:29], s[0:1], 0x80
	s_mov_b32 s2, ttmp9
	v_lshlrev_b32_e32 v15, 3, v0
	s_mov_b32 s25, 0
	s_wait_kmcnt 0x0
	s_ashr_i32 s31, s30, 31
	s_ashr_i32 s35, s10, 31
	;; [unrolled: 1-line block ×3, first 2 shown]
	s_lshl_b64 s[8:9], s[8:9], 3
	s_lshl_b64 s[6:7], s[6:7], 3
	;; [unrolled: 1-line block ×3, first 2 shown]
	s_cmp_neq_f32 s26, 0
	v_cmp_gt_i32_e32 vcc_lo, s11, v0
	v_mov_b32_e32 v12, 0
	s_add_nc_u64 s[14:15], s[14:15], s[8:9]
	s_cselect_b32 s0, -1, 0
	s_cmp_neq_f32 s27, 0
	v_cndmask_b32_e32 v1, 0, v0, vcc_lo
	s_add_nc_u64 s[22:23], s[4:5], s[6:7]
	s_add_nc_u64 s[4:5], s[20:21], s[36:37]
	s_cselect_b32 s1, -1, 0
	v_cmp_gt_u32_e64 s7, 4, v0
	s_or_b32 s44, s0, s1
	s_cmp_neq_f32 s18, 1.0
	v_lshlrev_b32_e32 v3, 3, v1
	v_cmp_eq_u32_e64 s0, 0, v0
	v_cmp_gt_u32_e64 s8, 2, v0
	s_cselect_b32 s45, -1, 0
	s_cmp_neq_f32 s19, 0
	s_mov_b32 s34, s10
	s_cselect_b32 s46, -1, 0
	s_or_b32 s1, s26, s27
	s_delay_alu instid0(SALU_CYCLE_1) | instskip(NEXT) | instid1(SALU_CYCLE_1)
	s_bitset0_b32 s1, 31
	s_cmp_eq_u32 s1, 0
	v_add_co_u32 v1, s1, s4, v3
	s_cselect_b32 s9, -1, 0
	s_cmp_neq_f32 s18, 0
	v_add_co_ci_u32_e64 v2, null, s5, 0, s1
	s_cselect_b32 s1, -1, 0
	s_ashr_i32 s3, ttmp9, 31
	s_ashr_i32 s6, s11, 31
	s_mul_u64 s[4:5], s[30:31], s[2:3]
	s_lshr_b32 s6, s6, 24
	s_wait_alu 0xfffe
	s_lshl_b64 s[40:41], s[4:5], 3
	s_or_b32 s42, s1, s46
	v_add_co_u32 v13, vcc_lo, v1, s40
	s_wait_alu 0xfffd
	v_add_co_ci_u32_e64 v14, null, s41, v2, vcc_lo
	v_mad_co_i64_i32 v[1:2], null, s10, v0, 0
	s_add_co_i32 s1, s11, s6
	s_mul_u64 s[38:39], s[38:39], s[2:3]
	s_wait_alu 0xfffe
	s_and_b32 s30, s1, 0xffffff00
	v_cmp_gt_u32_e64 s2, 0x80, v0
	v_or_b32_e32 v4, s30, v0
	v_cmp_gt_u32_e64 s3, 64, v0
	v_lshlrev_b64_e32 v[1:2], 3, v[1:2]
	v_cmp_gt_u32_e64 s4, 32, v0
	v_cmp_gt_u32_e64 s5, 16, v0
	v_cmp_gt_i32_e64 s1, s11, v4
	v_mad_co_i64_i32 v[4:5], null, s10, v4, 0
	v_cmp_gt_u32_e64 s6, 8, v0
	v_add_co_u32 v0, vcc_lo, s14, v1
	s_add_nc_u64 s[36:37], s[40:41], s[36:37]
	s_wait_alu 0xfffd
	v_add_co_ci_u32_e64 v1, null, s15, v2, vcc_lo
	s_add_nc_u64 s[20:21], s[20:21], s[36:37]
	v_add_co_u32 v0, vcc_lo, v0, 4
	v_add_co_u32 v2, s20, s20, v3
	s_cmp_gt_i32 s11, 0xff
	v_lshlrev_b64_e32 v[4:5], 3, v[4:5]
	s_wait_alu 0xfffd
	v_add_co_ci_u32_e64 v1, null, 0, v1, vcc_lo
	v_add_co_ci_u32_e64 v3, null, s21, 0, s20
	s_cselect_b32 s43, -1, 0
	s_ashr_i32 s31, s30, 31
	s_or_b32 s44, s44, s45
	s_lshl_b64 s[10:11], s[16:17], 3
	s_lshl_b64 s[34:35], s[34:35], 11
	s_or_b32 s44, s44, s46
	s_lshl_b64 s[20:21], s[12:13], 3
	s_lshl_b64 s[36:37], s[38:39], 3
	s_wait_alu 0xfffe
	s_lshl_b64 s[38:39], s[30:31], 3
	s_branch .LBB129_5
.LBB129_2:                              ;   in Loop: Header=BB129_5 Depth=1
	global_store_b64 v12, v[6:7], s[40:41]
.LBB129_3:                              ;   in Loop: Header=BB129_5 Depth=1
	s_wait_alu 0xfffe
	s_or_b32 exec_lo, exec_lo, s31
.LBB129_4:                              ;   in Loop: Header=BB129_5 Depth=1
	s_add_co_i32 s24, s24, 0x10000
	s_wait_alu 0xfffe
	s_cmp_lt_u32 s24, s33
	s_cbranch_scc0 .LBB129_38
.LBB129_5:                              ; =>This Loop Header: Depth=1
                                        ;     Child Loop BB129_16 Depth 2
	s_and_not1_b32 vcc_lo, exec_lo, s44
	s_wait_alu 0xfffe
	s_cbranch_vccnz .LBB129_4
; %bb.6:                                ;   in Loop: Header=BB129_5 Depth=1
	s_mul_u64 s[40:41], s[28:29], s[24:25]
	s_and_not1_b32 vcc_lo, exec_lo, s9
	s_wait_alu 0xfffe
	s_lshl_b64 s[40:41], s[40:41], 3
	s_mov_b32 s31, -1
	s_wait_alu 0xfffe
	s_add_nc_u64 s[40:41], s[22:23], s[40:41]
	s_cbranch_vccnz .LBB129_13
; %bb.7:                                ;   in Loop: Header=BB129_5 Depth=1
	s_and_saveexec_b32 s31, s0
	s_cbranch_execz .LBB129_12
; %bb.8:                                ;   in Loop: Header=BB129_5 Depth=1
	s_and_not1_b32 vcc_lo, exec_lo, s42
	s_wait_alu 0xfffe
	s_cbranch_vccnz .LBB129_10
; %bb.9:                                ;   in Loop: Header=BB129_5 Depth=1
	s_add_nc_u64 s[46:47], s[40:41], s[36:37]
	global_load_b64 v[8:9], v12, s[46:47]
	s_wait_loadcnt 0x0
	v_mul_f32_e32 v7, s18, v9
	s_delay_alu instid0(VALU_DEP_1) | instskip(NEXT) | instid1(VALU_DEP_1)
	v_dual_mul_f32 v6, s19, v9 :: v_dual_fmac_f32 v7, s19, v8
	v_xor_b32_e32 v6, 0x80000000, v6
	s_delay_alu instid0(VALU_DEP_1)
	v_fmac_f32_e32 v6, s18, v8
	s_branch .LBB129_11
.LBB129_10:                             ;   in Loop: Header=BB129_5 Depth=1
	v_dual_mov_b32 v6, 0 :: v_dual_mov_b32 v7, 0
.LBB129_11:                             ;   in Loop: Header=BB129_5 Depth=1
	s_add_nc_u64 s[46:47], s[40:41], s[36:37]
	global_store_b64 v12, v[6:7], s[46:47]
.LBB129_12:                             ;   in Loop: Header=BB129_5 Depth=1
	s_wait_alu 0xfffe
	s_or_b32 exec_lo, exec_lo, s31
	s_mov_b32 s31, 0
.LBB129_13:                             ;   in Loop: Header=BB129_5 Depth=1
	s_wait_alu 0xfffe
	s_and_not1_b32 vcc_lo, exec_lo, s31
	s_wait_alu 0xfffe
	s_cbranch_vccnz .LBB129_4
; %bb.14:                               ;   in Loop: Header=BB129_5 Depth=1
	v_mov_b32_e32 v7, 0
	s_and_not1_b32 vcc_lo, exec_lo, s43
	s_delay_alu instid0(VALU_DEP_1)
	v_mov_b32_e32 v6, v7
	s_wait_alu 0xfffe
	s_cbranch_vccnz .LBB129_17
; %bb.15:                               ;   in Loop: Header=BB129_5 Depth=1
	v_mad_co_u64_u32 v[8:9], null, s10, s24, v[0:1]
	v_mad_co_u64_u32 v[10:11], null, s20, s24, v[2:3]
	s_mov_b32 s31, 0
	v_dual_mov_b32 v6, v9 :: v_dual_mov_b32 v7, v11
	s_delay_alu instid0(VALU_DEP_1) | instskip(SKIP_2) | instid1(VALU_DEP_3)
	v_mad_co_u64_u32 v[16:17], null, s11, s24, v[6:7]
	v_mad_co_u64_u32 v[6:7], null, s21, s24, v[7:8]
	v_mov_b32_e32 v7, 0
	v_mov_b32_e32 v9, v16
	s_delay_alu instid0(VALU_DEP_2)
	v_dual_mov_b32 v11, v6 :: v_dual_mov_b32 v6, v7
.LBB129_16:                             ;   Parent Loop BB129_5 Depth=1
                                        ; =>  This Inner Loop Header: Depth=2
	global_load_b64 v[16:17], v[10:11], off
	global_load_b64 v[18:19], v[8:9], off offset:-4
	v_add_co_u32 v8, vcc_lo, v8, s34
	s_wait_alu 0xfffd
	v_add_co_ci_u32_e64 v9, null, s35, v9, vcc_lo
	v_add_co_u32 v10, vcc_lo, 0x800, v10
	s_wait_alu 0xfffd
	v_add_co_ci_u32_e64 v11, null, 0, v11, vcc_lo
	s_wait_alu 0xfffe
	s_addk_co_i32 s31, 0x100
	s_wait_alu 0xfffe
	s_cmp_ge_i32 s31, s30
	s_wait_loadcnt 0x0
	v_mul_f32_e32 v20, v19, v17
	v_mul_f32_e32 v17, v18, v17
	s_delay_alu instid0(VALU_DEP_2) | instskip(NEXT) | instid1(VALU_DEP_1)
	v_fma_f32 v18, v18, v16, -v20
	v_dual_fmac_f32 v17, v19, v16 :: v_dual_add_f32 v6, v6, v18
	s_delay_alu instid0(VALU_DEP_1)
	v_add_f32_e32 v7, v7, v17
	s_cbranch_scc0 .LBB129_16
.LBB129_17:                             ;   in Loop: Header=BB129_5 Depth=1
	s_and_saveexec_b32 s31, s1
	s_cbranch_execz .LBB129_19
; %bb.18:                               ;   in Loop: Header=BB129_5 Depth=1
	s_mul_u64 s[46:47], s[12:13], s[24:25]
	s_mul_u64 s[48:49], s[16:17], s[24:25]
	s_wait_alu 0xfffe
	s_lshl_b64 s[46:47], s[46:47], 3
	s_lshl_b64 s[48:49], s[48:49], 3
	s_wait_alu 0xfffe
	v_add_co_u32 v10, vcc_lo, v13, s46
	s_wait_alu 0xfffd
	v_add_co_ci_u32_e64 v11, null, s47, v14, vcc_lo
	s_add_nc_u64 s[46:47], s[14:15], s[48:49]
	s_wait_alu 0xfffe
	v_add_co_u32 v8, vcc_lo, s46, v4
	s_wait_alu 0xfffd
	v_add_co_ci_u32_e64 v9, null, s47, v5, vcc_lo
	v_add_co_u32 v10, vcc_lo, v10, s38
	s_wait_alu 0xfffd
	v_add_co_ci_u32_e64 v11, null, s39, v11, vcc_lo
	global_load_b64 v[8:9], v[8:9], off
	global_load_b64 v[10:11], v[10:11], off
	s_wait_loadcnt 0x0
	v_mul_f32_e32 v16, v9, v11
	v_mul_f32_e32 v11, v8, v11
	s_delay_alu instid0(VALU_DEP_2) | instskip(NEXT) | instid1(VALU_DEP_1)
	v_fma_f32 v8, v8, v10, -v16
	v_dual_add_f32 v6, v6, v8 :: v_dual_fmac_f32 v11, v9, v10
	s_delay_alu instid0(VALU_DEP_1)
	v_add_f32_e32 v7, v7, v11
.LBB129_19:                             ;   in Loop: Header=BB129_5 Depth=1
	s_wait_alu 0xfffe
	s_or_b32 exec_lo, exec_lo, s31
	ds_store_b64 v15, v[6:7]
	s_wait_storecnt_dscnt 0x0
	s_barrier_signal -1
	s_barrier_wait -1
	global_inv scope:SCOPE_SE
	s_and_saveexec_b32 s31, s2
	s_cbranch_execz .LBB129_21
; %bb.20:                               ;   in Loop: Header=BB129_5 Depth=1
	ds_load_2addr_stride64_b64 v[6:9], v15 offset1:2
	s_wait_dscnt 0x0
	v_dual_add_f32 v6, v8, v6 :: v_dual_add_f32 v7, v9, v7
	ds_store_b64 v15, v[6:7]
.LBB129_21:                             ;   in Loop: Header=BB129_5 Depth=1
	s_wait_alu 0xfffe
	s_or_b32 exec_lo, exec_lo, s31
	s_wait_loadcnt_dscnt 0x0
	s_barrier_signal -1
	s_barrier_wait -1
	global_inv scope:SCOPE_SE
	s_and_saveexec_b32 s31, s3
	s_cbranch_execz .LBB129_23
; %bb.22:                               ;   in Loop: Header=BB129_5 Depth=1
	ds_load_2addr_stride64_b64 v[6:9], v15 offset1:1
	s_wait_dscnt 0x0
	v_dual_add_f32 v6, v8, v6 :: v_dual_add_f32 v7, v9, v7
	ds_store_b64 v15, v[6:7]
.LBB129_23:                             ;   in Loop: Header=BB129_5 Depth=1
	s_wait_alu 0xfffe
	s_or_b32 exec_lo, exec_lo, s31
	s_wait_loadcnt_dscnt 0x0
	s_barrier_signal -1
	s_barrier_wait -1
	global_inv scope:SCOPE_SE
	s_and_saveexec_b32 s31, s4
	s_cbranch_execz .LBB129_25
; %bb.24:                               ;   in Loop: Header=BB129_5 Depth=1
	ds_load_2addr_b64 v[6:9], v15 offset1:32
	s_wait_dscnt 0x0
	v_dual_add_f32 v6, v8, v6 :: v_dual_add_f32 v7, v9, v7
	ds_store_b64 v15, v[6:7]
.LBB129_25:                             ;   in Loop: Header=BB129_5 Depth=1
	s_wait_alu 0xfffe
	s_or_b32 exec_lo, exec_lo, s31
	s_wait_loadcnt_dscnt 0x0
	s_barrier_signal -1
	s_barrier_wait -1
	global_inv scope:SCOPE_SE
	s_and_saveexec_b32 s31, s5
	s_cbranch_execz .LBB129_27
; %bb.26:                               ;   in Loop: Header=BB129_5 Depth=1
	ds_load_2addr_b64 v[6:9], v15 offset1:16
	s_wait_dscnt 0x0
	v_dual_add_f32 v6, v8, v6 :: v_dual_add_f32 v7, v9, v7
	ds_store_b64 v15, v[6:7]
.LBB129_27:                             ;   in Loop: Header=BB129_5 Depth=1
	;; [unrolled: 14-line block ×5, first 2 shown]
	s_wait_alu 0xfffe
	s_or_b32 exec_lo, exec_lo, s31
	s_wait_loadcnt_dscnt 0x0
	s_barrier_signal -1
	s_barrier_wait -1
	global_inv scope:SCOPE_SE
	s_and_saveexec_b32 s31, s0
	s_cbranch_execz .LBB129_35
; %bb.34:                               ;   in Loop: Header=BB129_5 Depth=1
	ds_load_b128 v[6:9], v12
	s_wait_dscnt 0x0
	v_dual_add_f32 v6, v8, v6 :: v_dual_add_f32 v7, v9, v7
	ds_store_b64 v12, v[6:7]
.LBB129_35:                             ;   in Loop: Header=BB129_5 Depth=1
	s_wait_alu 0xfffe
	s_or_b32 exec_lo, exec_lo, s31
	s_wait_loadcnt_dscnt 0x0
	s_barrier_signal -1
	s_barrier_wait -1
	global_inv scope:SCOPE_SE
	s_and_saveexec_b32 s31, s0
	s_cbranch_execz .LBB129_3
; %bb.36:                               ;   in Loop: Header=BB129_5 Depth=1
	ds_load_b64 v[8:9], v12
	s_and_not1_b32 vcc_lo, exec_lo, s42
	s_add_nc_u64 s[40:41], s[40:41], s[36:37]
	s_wait_dscnt 0x0
	v_mul_f32_e32 v7, s26, v9
	s_delay_alu instid0(VALU_DEP_1) | instskip(NEXT) | instid1(VALU_DEP_1)
	v_dual_mul_f32 v6, s27, v9 :: v_dual_fmac_f32 v7, s27, v8
	v_xor_b32_e32 v6, 0x80000000, v6
	s_delay_alu instid0(VALU_DEP_1)
	v_fmac_f32_e32 v6, s26, v8
	s_wait_alu 0xfffe
	s_cbranch_vccnz .LBB129_2
; %bb.37:                               ;   in Loop: Header=BB129_5 Depth=1
	global_load_b64 v[8:9], v12, s[40:41]
	s_wait_loadcnt 0x0
	v_mul_f32_e32 v10, s19, v9
	v_mul_f32_e32 v9, s18, v9
	s_delay_alu instid0(VALU_DEP_1) | instskip(NEXT) | instid1(VALU_DEP_3)
	v_fmac_f32_e32 v9, s19, v8
	v_xor_b32_e32 v10, 0x80000000, v10
	s_delay_alu instid0(VALU_DEP_1) | instskip(NEXT) | instid1(VALU_DEP_1)
	v_dual_add_f32 v7, v7, v9 :: v_dual_fmac_f32 v10, s18, v8
	v_add_f32_e32 v6, v6, v10
	s_branch .LBB129_2
.LBB129_38:
	s_endpgm
	.section	.rodata,"a",@progbits
	.p2align	6, 0x0
	.amdhsa_kernel _ZL20rocblas_gemvt_kernelILb0ELi256E19rocblas_complex_numIfES1_S1_EviiT2_lPKT1_lilS5_lilS2_lPT3_lili
		.amdhsa_group_segment_fixed_size 2048
		.amdhsa_private_segment_fixed_size 0
		.amdhsa_kernarg_size 140
		.amdhsa_user_sgpr_count 2
		.amdhsa_user_sgpr_dispatch_ptr 0
		.amdhsa_user_sgpr_queue_ptr 0
		.amdhsa_user_sgpr_kernarg_segment_ptr 1
		.amdhsa_user_sgpr_dispatch_id 0
		.amdhsa_user_sgpr_private_segment_size 0
		.amdhsa_wavefront_size32 1
		.amdhsa_uses_dynamic_stack 0
		.amdhsa_enable_private_segment 0
		.amdhsa_system_sgpr_workgroup_id_x 1
		.amdhsa_system_sgpr_workgroup_id_y 0
		.amdhsa_system_sgpr_workgroup_id_z 1
		.amdhsa_system_sgpr_workgroup_info 0
		.amdhsa_system_vgpr_workitem_id 0
		.amdhsa_next_free_vgpr 21
		.amdhsa_next_free_sgpr 50
		.amdhsa_reserve_vcc 1
		.amdhsa_float_round_mode_32 0
		.amdhsa_float_round_mode_16_64 0
		.amdhsa_float_denorm_mode_32 3
		.amdhsa_float_denorm_mode_16_64 3
		.amdhsa_fp16_overflow 0
		.amdhsa_workgroup_processor_mode 1
		.amdhsa_memory_ordered 1
		.amdhsa_forward_progress 1
		.amdhsa_inst_pref_size 15
		.amdhsa_round_robin_scheduling 0
		.amdhsa_exception_fp_ieee_invalid_op 0
		.amdhsa_exception_fp_denorm_src 0
		.amdhsa_exception_fp_ieee_div_zero 0
		.amdhsa_exception_fp_ieee_overflow 0
		.amdhsa_exception_fp_ieee_underflow 0
		.amdhsa_exception_fp_ieee_inexact 0
		.amdhsa_exception_int_div_zero 0
	.end_amdhsa_kernel
	.section	.text._ZL20rocblas_gemvt_kernelILb0ELi256E19rocblas_complex_numIfES1_S1_EviiT2_lPKT1_lilS5_lilS2_lPT3_lili,"axG",@progbits,_ZL20rocblas_gemvt_kernelILb0ELi256E19rocblas_complex_numIfES1_S1_EviiT2_lPKT1_lilS5_lilS2_lPT3_lili,comdat
.Lfunc_end129:
	.size	_ZL20rocblas_gemvt_kernelILb0ELi256E19rocblas_complex_numIfES1_S1_EviiT2_lPKT1_lilS5_lilS2_lPT3_lili, .Lfunc_end129-_ZL20rocblas_gemvt_kernelILb0ELi256E19rocblas_complex_numIfES1_S1_EviiT2_lPKT1_lilS5_lilS2_lPT3_lili
                                        ; -- End function
	.set _ZL20rocblas_gemvt_kernelILb0ELi256E19rocblas_complex_numIfES1_S1_EviiT2_lPKT1_lilS5_lilS2_lPT3_lili.num_vgpr, 21
	.set _ZL20rocblas_gemvt_kernelILb0ELi256E19rocblas_complex_numIfES1_S1_EviiT2_lPKT1_lilS5_lilS2_lPT3_lili.num_agpr, 0
	.set _ZL20rocblas_gemvt_kernelILb0ELi256E19rocblas_complex_numIfES1_S1_EviiT2_lPKT1_lilS5_lilS2_lPT3_lili.numbered_sgpr, 50
	.set _ZL20rocblas_gemvt_kernelILb0ELi256E19rocblas_complex_numIfES1_S1_EviiT2_lPKT1_lilS5_lilS2_lPT3_lili.num_named_barrier, 0
	.set _ZL20rocblas_gemvt_kernelILb0ELi256E19rocblas_complex_numIfES1_S1_EviiT2_lPKT1_lilS5_lilS2_lPT3_lili.private_seg_size, 0
	.set _ZL20rocblas_gemvt_kernelILb0ELi256E19rocblas_complex_numIfES1_S1_EviiT2_lPKT1_lilS5_lilS2_lPT3_lili.uses_vcc, 1
	.set _ZL20rocblas_gemvt_kernelILb0ELi256E19rocblas_complex_numIfES1_S1_EviiT2_lPKT1_lilS5_lilS2_lPT3_lili.uses_flat_scratch, 0
	.set _ZL20rocblas_gemvt_kernelILb0ELi256E19rocblas_complex_numIfES1_S1_EviiT2_lPKT1_lilS5_lilS2_lPT3_lili.has_dyn_sized_stack, 0
	.set _ZL20rocblas_gemvt_kernelILb0ELi256E19rocblas_complex_numIfES1_S1_EviiT2_lPKT1_lilS5_lilS2_lPT3_lili.has_recursion, 0
	.set _ZL20rocblas_gemvt_kernelILb0ELi256E19rocblas_complex_numIfES1_S1_EviiT2_lPKT1_lilS5_lilS2_lPT3_lili.has_indirect_call, 0
	.section	.AMDGPU.csdata,"",@progbits
; Kernel info:
; codeLenInByte = 1860
; TotalNumSgprs: 52
; NumVgprs: 21
; ScratchSize: 0
; MemoryBound: 0
; FloatMode: 240
; IeeeMode: 1
; LDSByteSize: 2048 bytes/workgroup (compile time only)
; SGPRBlocks: 0
; VGPRBlocks: 2
; NumSGPRsForWavesPerEU: 52
; NumVGPRsForWavesPerEU: 21
; Occupancy: 16
; WaveLimiterHint : 1
; COMPUTE_PGM_RSRC2:SCRATCH_EN: 0
; COMPUTE_PGM_RSRC2:USER_SGPR: 2
; COMPUTE_PGM_RSRC2:TRAP_HANDLER: 0
; COMPUTE_PGM_RSRC2:TGID_X_EN: 1
; COMPUTE_PGM_RSRC2:TGID_Y_EN: 0
; COMPUTE_PGM_RSRC2:TGID_Z_EN: 1
; COMPUTE_PGM_RSRC2:TIDIG_COMP_CNT: 0
	.section	.text._ZL32rocblas_gemvt_warp_reduce_kernelILb0ELi1024Ei19rocblas_complex_numIfEPKS1_S1_EviiT3_lPKT2_lT1_lS7_lS8_lS4_lPT4_lS8_li,"axG",@progbits,_ZL32rocblas_gemvt_warp_reduce_kernelILb0ELi1024Ei19rocblas_complex_numIfEPKS1_S1_EviiT3_lPKT2_lT1_lS7_lS8_lS4_lPT4_lS8_li,comdat
	.globl	_ZL32rocblas_gemvt_warp_reduce_kernelILb0ELi1024Ei19rocblas_complex_numIfEPKS1_S1_EviiT3_lPKT2_lT1_lS7_lS8_lS4_lPT4_lS8_li ; -- Begin function _ZL32rocblas_gemvt_warp_reduce_kernelILb0ELi1024Ei19rocblas_complex_numIfEPKS1_S1_EviiT3_lPKT2_lT1_lS7_lS8_lS4_lPT4_lS8_li
	.p2align	8
	.type	_ZL32rocblas_gemvt_warp_reduce_kernelILb0ELi1024Ei19rocblas_complex_numIfEPKS1_S1_EviiT3_lPKT2_lT1_lS7_lS8_lS4_lPT4_lS8_li,@function
_ZL32rocblas_gemvt_warp_reduce_kernelILb0ELi1024Ei19rocblas_complex_numIfEPKS1_S1_EviiT3_lPKT2_lT1_lS7_lS8_lS4_lPT4_lS8_li: ; @_ZL32rocblas_gemvt_warp_reduce_kernelILb0ELi1024Ei19rocblas_complex_numIfEPKS1_S1_EviiT3_lPKT2_lT1_lS7_lS8_lS4_lPT4_lS8_li
; %bb.0:
	s_load_b32 s33, s[0:1], 0x88
	s_lshr_b32 s28, ttmp7, 16
	s_wait_kmcnt 0x0
	s_cmp_ge_u32 s28, s33
	s_cbranch_scc1 .LBB130_33
; %bb.1:
	s_clause 0x7
	s_load_b96 s[4:6], s[0:1], 0x40
	s_load_b96 s[36:38], s[0:1], 0x70
	s_load_b256 s[8:15], s[0:1], 0x8
	s_load_b32 s7, s[0:1], 0x0
	s_load_b32 s39, s[0:1], 0x28
	s_load_b128 s[24:27], s[0:1], 0x30
	s_load_b256 s[16:23], s[0:1], 0x50
	s_load_b64 s[30:31], s[0:1], 0x80
	v_mbcnt_lo_u32_b32 v16, -1, 0
	v_cmp_eq_u32_e64 s0, 0, v0
	s_mov_b32 s29, 0
	v_lshl_or_b32 v17, v16, 2, 64
	s_wait_kmcnt 0x0
	s_lshl_b64 s[2:3], s[4:5], 3
	s_lshl_b64 s[4:5], s[36:37], 3
	;; [unrolled: 1-line block ×3, first 2 shown]
	v_cmp_gt_i32_e32 vcc_lo, s7, v0
	s_ashr_i32 s1, s7, 31
	v_mov_b32_e32 v1, 0
	s_lshr_b32 s1, s1, 22
	s_add_nc_u64 s[14:15], s[26:27], s[2:3]
	v_cndmask_b32_e32 v2, 0, v0, vcc_lo
	s_add_co_i32 s1, s7, s1
	s_add_nc_u64 s[2:3], s[12:13], s[34:35]
	s_and_b32 s26, s1, 0xfffffc00
	s_mul_i32 s36, s38, ttmp9
	v_or_b32_e32 v3, s26, v0
	v_lshlrev_b32_e32 v2, 3, v2
	s_mul_i32 s38, s39, ttmp9
	s_add_nc_u64 s[22:23], s[22:23], s[4:5]
	s_ashr_i32 s39, s38, 31
	v_mul_lo_u32 v5, s6, v3
	v_add_co_u32 v4, s1, s2, v2
	s_delay_alu instid0(VALU_DEP_1)
	v_add_co_ci_u32_e64 v6, null, s3, 0, s1
	s_lshl_b64 s[38:39], s[38:39], 3
	v_cmp_gt_i32_e64 s2, s7, v3
	v_add_co_u32 v11, vcc_lo, v4, s38
	v_and_b32_e32 v3, 31, v0
	s_wait_alu 0xfffd
	v_add_co_ci_u32_e64 v12, null, s39, v6, vcc_lo
	v_ashrrev_i32_e32 v6, 31, v5
	s_add_nc_u64 s[34:35], s[34:35], s[38:39]
	v_lshrrev_b32_e32 v4, 2, v0
	v_mul_lo_u32 v15, v0, s6
	s_lshl_b32 s5, s6, 10
	s_add_nc_u64 s[6:7], s[12:13], s[34:35]
	v_lshlrev_b32_e32 v13, 3, v3
	v_cmp_eq_u32_e64 s4, 0, v3
	s_wait_alu 0xfffe
	v_add_co_u32 v3, s6, s6, v2
	v_lshlrev_b64_e32 v[5:6], 3, v[5:6]
	v_cmp_gt_i32_e64 s1, s26, v0
	v_cmp_gt_u32_e64 s3, 32, v0
	v_and_b32_e32 v14, 0xf8, v4
	s_wait_alu 0xf1ff
	v_add_co_ci_u32_e64 v4, null, s7, 0, s6
	s_ashr_i32 s37, s36, 31
	s_ashr_i32 s27, s26, 31
	s_lshl_b64 s[6:7], s[24:25], 3
	s_lshl_b64 s[12:13], s[36:37], 3
	s_wait_alu 0xfffe
	s_lshl_b64 s[34:35], s[26:27], 3
	s_branch .LBB130_5
.LBB130_2:                              ;   in Loop: Header=BB130_5 Depth=1
	global_store_b64 v1, v[8:9], s[36:37]
.LBB130_3:                              ;   in Loop: Header=BB130_5 Depth=1
	s_wait_alu 0xfffe
	s_or_b32 exec_lo, exec_lo, s38
.LBB130_4:                              ;   in Loop: Header=BB130_5 Depth=1
	s_add_co_i32 s28, s28, 0x10000
	s_wait_alu 0xfffe
	s_cmp_lt_u32 s28, s33
	s_cbranch_scc0 .LBB130_33
.LBB130_5:                              ; =>This Loop Header: Depth=1
                                        ;     Child Loop BB130_26 Depth 2
	s_mul_u64 s[36:37], s[10:11], s[28:29]
	s_delay_alu instid0(SALU_CYCLE_1) | instskip(NEXT) | instid1(SALU_CYCLE_1)
	s_lshl_b64 s[36:37], s[36:37], 3
	s_add_nc_u64 s[36:37], s[8:9], s[36:37]
	s_wait_dscnt 0x0
	global_load_b64 v[7:8], v1, s[36:37]
	s_mul_u64 s[36:37], s[20:21], s[28:29]
	s_delay_alu instid0(SALU_CYCLE_1) | instskip(NEXT) | instid1(SALU_CYCLE_1)
	s_lshl_b64 s[36:37], s[36:37], 3
	s_add_nc_u64 s[36:37], s[18:19], s[36:37]
	global_load_b64 v[9:10], v1, s[36:37]
	s_wait_loadcnt 0x1
	v_readfirstlane_b32 s41, v7
	v_readfirstlane_b32 s42, v8
	s_cmp_neq_f32 s41, 0
	s_wait_loadcnt 0x0
	v_readfirstlane_b32 s27, v9
	v_readfirstlane_b32 s40, v10
	s_cselect_b32 s36, -1, 0
	s_cmp_neq_f32 s42, 0
	s_cselect_b32 s37, -1, 0
	s_delay_alu instid0(SALU_CYCLE_1) | instskip(NEXT) | instid1(SALU_CYCLE_1)
	s_or_b32 s36, s36, s37
	s_and_b32 vcc_lo, exec_lo, s36
	s_mov_b32 s36, -1
	s_wait_alu 0xfffe
	s_cbranch_vccnz .LBB130_7
; %bb.6:                                ;   in Loop: Header=BB130_5 Depth=1
	s_cmp_neq_f32 s27, 1.0
	s_cselect_b32 s36, -1, 0
	s_cmp_neq_f32 s40, 0
	s_cselect_b32 s37, -1, 0
	s_delay_alu instid0(SALU_CYCLE_1)
	s_or_b32 s36, s36, s37
.LBB130_7:                              ;   in Loop: Header=BB130_5 Depth=1
	s_delay_alu instid0(SALU_CYCLE_1)
	s_and_not1_b32 vcc_lo, exec_lo, s36
	s_wait_alu 0xfffe
	s_cbranch_vccnz .LBB130_4
; %bb.8:                                ;   in Loop: Header=BB130_5 Depth=1
	s_mul_u64 s[36:37], s[30:31], s[28:29]
	s_or_b32 s38, s41, s42
	s_lshl_b64 s[36:37], s[36:37], 3
	s_wait_alu 0xfffe
	s_bitset0_b32 s38, 31
	s_add_nc_u64 s[36:37], s[22:23], s[36:37]
	s_wait_alu 0xfffe
	s_cmp_lg_u32 s38, 0
	s_mov_b32 s38, -1
	s_cbranch_scc1 .LBB130_15
; %bb.9:                                ;   in Loop: Header=BB130_5 Depth=1
	s_and_saveexec_b32 s38, s0
	s_cbranch_execz .LBB130_14
; %bb.10:                               ;   in Loop: Header=BB130_5 Depth=1
	s_cmp_neq_f32 s27, 0
	s_cselect_b32 s39, -1, 0
	s_cmp_neq_f32 s40, 0
	s_cselect_b32 s43, -1, 0
	s_wait_alu 0xfffe
	s_or_b32 s39, s39, s43
	s_wait_alu 0xfffe
	s_and_not1_b32 vcc_lo, exec_lo, s39
	s_wait_alu 0xfffe
	s_cbranch_vccnz .LBB130_12
; %bb.11:                               ;   in Loop: Header=BB130_5 Depth=1
	s_add_nc_u64 s[44:45], s[36:37], s[12:13]
	global_load_b64 v[9:10], v1, s[44:45]
	s_wait_loadcnt 0x0
	v_mul_f32_e32 v2, s40, v10
	v_mul_f32_e32 v8, s27, v10
	s_delay_alu instid0(VALU_DEP_2) | instskip(NEXT) | instid1(VALU_DEP_2)
	v_xor_b32_e32 v7, 0x80000000, v2
	v_fmac_f32_e32 v8, s40, v9
	s_delay_alu instid0(VALU_DEP_2)
	v_fmac_f32_e32 v7, s27, v9
	s_branch .LBB130_13
.LBB130_12:                             ;   in Loop: Header=BB130_5 Depth=1
	v_dual_mov_b32 v7, 0 :: v_dual_mov_b32 v8, 0
.LBB130_13:                             ;   in Loop: Header=BB130_5 Depth=1
	s_add_nc_u64 s[44:45], s[36:37], s[12:13]
	global_store_b64 v1, v[7:8], s[44:45]
.LBB130_14:                             ;   in Loop: Header=BB130_5 Depth=1
	s_wait_alu 0xfffe
	s_or_b32 exec_lo, exec_lo, s38
	s_mov_b32 s38, 0
.LBB130_15:                             ;   in Loop: Header=BB130_5 Depth=1
	s_wait_alu 0xfffe
	s_and_not1_b32 vcc_lo, exec_lo, s38
	s_wait_alu 0xfffe
	s_cbranch_vccnz .LBB130_4
; %bb.16:                               ;   in Loop: Header=BB130_5 Depth=1
	s_mul_u64 s[38:39], s[16:17], s[28:29]
	v_dual_mov_b32 v18, 0 :: v_dual_mov_b32 v19, 0
	s_wait_alu 0xfffe
	s_lshl_b64 s[38:39], s[38:39], 3
	s_wait_alu 0xfffe
	s_add_nc_u64 s[38:39], s[14:15], s[38:39]
	s_and_saveexec_b32 s43, s1
	s_cbranch_execnz .LBB130_25
; %bb.17:                               ;   in Loop: Header=BB130_5 Depth=1
	s_wait_alu 0xfffe
	s_or_b32 exec_lo, exec_lo, s43
	s_and_saveexec_b32 s43, s2
	s_cbranch_execnz .LBB130_28
.LBB130_18:                             ;   in Loop: Header=BB130_5 Depth=1
	s_wait_alu 0xfffe
	s_or_b32 exec_lo, exec_lo, s43
	s_and_saveexec_b32 s38, s3
.LBB130_19:                             ;   in Loop: Header=BB130_5 Depth=1
	v_mov_b32_e32 v2, v1
	ds_store_b64 v13, v[1:2]
.LBB130_20:                             ;   in Loop: Header=BB130_5 Depth=1
	s_wait_alu 0xfffe
	s_or_b32 exec_lo, exec_lo, s38
	ds_bpermute_b32 v7, v17, v19
	ds_bpermute_b32 v8, v17, v18
	v_cmp_gt_u32_e32 vcc_lo, 24, v16
	s_wait_storecnt_dscnt 0x0
	s_barrier_signal -1
	s_barrier_wait -1
	global_inv scope:SCOPE_SE
	s_wait_alu 0xfffd
	v_cndmask_b32_e64 v2, 0, 8, vcc_lo
	v_cmp_gt_u32_e32 vcc_lo, 28, v16
	s_delay_alu instid0(VALU_DEP_2) | instskip(SKIP_3) | instid1(VALU_DEP_2)
	v_add_lshl_u32 v2, v2, v16, 2
	s_wait_alu 0xfffd
	v_cndmask_b32_e64 v9, 0, 4, vcc_lo
	v_cmp_gt_u32_e32 vcc_lo, 30, v16
	v_add_lshl_u32 v9, v9, v16, 2
	v_dual_add_f32 v7, v19, v7 :: v_dual_add_f32 v8, v18, v8
	ds_bpermute_b32 v10, v2, v7
	ds_bpermute_b32 v18, v2, v8
	s_wait_dscnt 0x0
	v_add_f32_e32 v8, v8, v18
	ds_bpermute_b32 v19, v9, v8
	v_add_f32_e32 v7, v7, v10
	s_wait_alu 0xfffd
	v_cndmask_b32_e64 v10, 0, 2, vcc_lo
	v_cmp_ne_u32_e32 vcc_lo, 31, v16
	s_delay_alu instid0(VALU_DEP_2)
	v_add_lshl_u32 v10, v10, v16, 2
	s_wait_dscnt 0x0
	v_add_f32_e32 v8, v8, v19
	ds_bpermute_b32 v18, v9, v7
	ds_bpermute_b32 v20, v10, v8
	s_wait_dscnt 0x1
	v_add_f32_e32 v7, v7, v18
	s_wait_alu 0xfffd
	v_add_co_ci_u32_e64 v18, null, 0, v16, vcc_lo
	s_wait_dscnt 0x0
	v_add_f32_e32 v8, v8, v20
	ds_bpermute_b32 v19, v10, v7
	v_lshlrev_b32_e32 v18, 2, v18
	ds_bpermute_b32 v20, v18, v8
	s_wait_dscnt 0x1
	v_add_f32_e32 v7, v7, v19
	ds_bpermute_b32 v19, v18, v7
	s_and_saveexec_b32 s38, s4
	s_cbranch_execz .LBB130_22
; %bb.21:                               ;   in Loop: Header=BB130_5 Depth=1
	s_wait_dscnt 0x0
	v_dual_add_f32 v8, v8, v20 :: v_dual_add_f32 v7, v7, v19
	ds_store_b64 v14, v[7:8]
.LBB130_22:                             ;   in Loop: Header=BB130_5 Depth=1
	s_wait_alu 0xfffe
	s_or_b32 exec_lo, exec_lo, s38
	v_dual_mov_b32 v8, 0 :: v_dual_mov_b32 v7, 0
	s_wait_loadcnt_dscnt 0x0
	s_barrier_signal -1
	s_barrier_wait -1
	global_inv scope:SCOPE_SE
	s_and_saveexec_b32 s38, s3
	s_cbranch_execnz .LBB130_29
; %bb.23:                               ;   in Loop: Header=BB130_5 Depth=1
	s_wait_alu 0xfffe
	s_or_b32 exec_lo, exec_lo, s38
	s_and_saveexec_b32 s38, s3
	s_cbranch_execnz .LBB130_30
.LBB130_24:                             ;   in Loop: Header=BB130_5 Depth=1
	s_wait_alu 0xfffe
	s_or_b32 exec_lo, exec_lo, s38
	s_and_saveexec_b32 s38, s0
	s_cbranch_execz .LBB130_3
	s_branch .LBB130_31
.LBB130_25:                             ;   in Loop: Header=BB130_5 Depth=1
	v_mad_co_u64_u32 v[7:8], null, s6, s28, v[3:4]
	v_dual_mov_b32 v18, 0 :: v_dual_mov_b32 v19, 0
	s_mov_b32 s44, 0
	s_delay_alu instid0(VALU_DEP_2) | instskip(NEXT) | instid1(VALU_DEP_1)
	v_mov_b32_e32 v2, v8
	v_mad_co_u64_u32 v[8:9], null, s7, s28, v[2:3]
	v_dual_mov_b32 v2, v0 :: v_dual_mov_b32 v9, v15
.LBB130_26:                             ;   Parent Loop BB130_5 Depth=1
                                        ; =>  This Inner Loop Header: Depth=2
	s_delay_alu instid0(VALU_DEP_1) | instskip(NEXT) | instid1(VALU_DEP_1)
	v_ashrrev_i32_e32 v10, 31, v9
	v_lshlrev_b64_e32 v[20:21], 3, v[9:10]
	v_add_nc_u32_e32 v9, s5, v9
	s_wait_alu 0xfffe
	s_delay_alu instid0(VALU_DEP_2) | instskip(SKIP_1) | instid1(VALU_DEP_3)
	v_add_co_u32 v20, vcc_lo, s38, v20
	s_wait_alu 0xfffd
	v_add_co_ci_u32_e64 v21, null, s39, v21, vcc_lo
	global_load_b64 v[22:23], v[7:8], off
	global_load_b64 v[20:21], v[20:21], off
	v_add_nc_u32_e32 v2, 0x400, v2
	v_add_co_u32 v7, vcc_lo, 0x2000, v7
	s_wait_alu 0xfffd
	v_add_co_ci_u32_e64 v8, null, 0, v8, vcc_lo
	s_wait_loadcnt 0x0
	v_mul_f32_e32 v10, v21, v23
	v_mul_f32_e32 v23, v20, v23
	v_cmp_le_i32_e32 vcc_lo, s26, v2
	s_delay_alu instid0(VALU_DEP_3) | instskip(NEXT) | instid1(VALU_DEP_3)
	v_fma_f32 v10, v20, v22, -v10
	v_fmac_f32_e32 v23, v21, v22
	s_or_b32 s44, vcc_lo, s44
	s_delay_alu instid0(VALU_DEP_1)
	v_dual_add_f32 v19, v19, v10 :: v_dual_add_f32 v18, v18, v23
	s_wait_alu 0xfffe
	s_and_not1_b32 exec_lo, exec_lo, s44
	s_cbranch_execnz .LBB130_26
; %bb.27:                               ;   in Loop: Header=BB130_5 Depth=1
	s_or_b32 exec_lo, exec_lo, s44
	s_delay_alu instid0(SALU_CYCLE_1)
	s_or_b32 exec_lo, exec_lo, s43
	s_and_saveexec_b32 s43, s2
	s_cbranch_execz .LBB130_18
.LBB130_28:                             ;   in Loop: Header=BB130_5 Depth=1
	s_mul_u64 s[44:45], s[24:25], s[28:29]
	s_wait_alu 0xfffe
	s_lshl_b64 s[44:45], s[44:45], 3
	s_wait_alu 0xfffe
	v_add_co_u32 v2, vcc_lo, v11, s44
	s_wait_alu 0xfffd
	v_add_co_ci_u32_e64 v10, null, s45, v12, vcc_lo
	v_add_co_u32 v7, vcc_lo, s38, v5
	s_wait_alu 0xfffd
	v_add_co_ci_u32_e64 v8, null, s39, v6, vcc_lo
	;; [unrolled: 3-line block ×3, first 2 shown]
	global_load_b64 v[7:8], v[7:8], off
	global_load_b64 v[9:10], v[9:10], off
	s_wait_loadcnt 0x0
	v_mul_f32_e32 v2, v8, v10
	v_mul_f32_e32 v10, v7, v10
	s_delay_alu instid0(VALU_DEP_2) | instskip(NEXT) | instid1(VALU_DEP_1)
	v_fma_f32 v2, v7, v9, -v2
	v_dual_fmac_f32 v10, v8, v9 :: v_dual_add_f32 v19, v19, v2
	s_delay_alu instid0(VALU_DEP_1)
	v_add_f32_e32 v18, v18, v10
	s_or_b32 exec_lo, exec_lo, s43
	s_and_saveexec_b32 s38, s3
	s_cbranch_execnz .LBB130_19
	s_branch .LBB130_20
.LBB130_29:                             ;   in Loop: Header=BB130_5 Depth=1
	ds_load_b64 v[7:8], v13
	s_wait_alu 0xfffe
	s_or_b32 exec_lo, exec_lo, s38
	s_and_saveexec_b32 s38, s3
	s_cbranch_execz .LBB130_24
.LBB130_30:                             ;   in Loop: Header=BB130_5 Depth=1
	s_wait_dscnt 0x0
	ds_bpermute_b32 v19, v17, v7
	ds_bpermute_b32 v20, v17, v8
	s_wait_dscnt 0x0
	v_dual_add_f32 v7, v7, v19 :: v_dual_add_f32 v8, v8, v20
	ds_bpermute_b32 v19, v2, v7
	ds_bpermute_b32 v2, v2, v8
	s_wait_dscnt 0x0
	v_dual_add_f32 v7, v7, v19 :: v_dual_add_f32 v2, v8, v2
	;; [unrolled: 4-line block ×5, first 2 shown]
	s_wait_alu 0xfffe
	s_or_b32 exec_lo, exec_lo, s38
	s_and_saveexec_b32 s38, s0
	s_cbranch_execz .LBB130_3
.LBB130_31:                             ;   in Loop: Header=BB130_5 Depth=1
	s_cmp_neq_f32 s27, 0
	s_wait_dscnt 0x0
	v_mul_f32_e32 v9, s41, v8
	v_mul_f32_e32 v2, s42, v8
	s_add_nc_u64 s[36:37], s[36:37], s[12:13]
	s_cselect_b32 s39, -1, 0
	s_cmp_neq_f32 s40, 0
	v_fmac_f32_e32 v9, s42, v7
	v_fma_f32 v8, v7, s41, -v2
	s_cselect_b32 s43, -1, 0
	s_wait_alu 0xfffe
	s_or_b32 s39, s39, s43
	s_wait_alu 0xfffe
	s_and_not1_b32 vcc_lo, exec_lo, s39
	s_wait_alu 0xfffe
	s_cbranch_vccnz .LBB130_2
; %bb.32:                               ;   in Loop: Header=BB130_5 Depth=1
	global_load_b64 v[18:19], v1, s[36:37]
	s_wait_loadcnt 0x0
	v_mul_f32_e32 v7, s27, v19
	s_delay_alu instid0(VALU_DEP_1) | instskip(NEXT) | instid1(VALU_DEP_1)
	v_dual_mul_f32 v2, s40, v19 :: v_dual_fmac_f32 v7, s40, v18
	v_xor_b32_e32 v2, 0x80000000, v2
	s_delay_alu instid0(VALU_DEP_1) | instskip(NEXT) | instid1(VALU_DEP_1)
	v_dual_add_f32 v9, v9, v7 :: v_dual_fmac_f32 v2, s27, v18
	v_add_f32_e32 v8, v8, v2
	s_branch .LBB130_2
.LBB130_33:
	s_endpgm
	.section	.rodata,"a",@progbits
	.p2align	6, 0x0
	.amdhsa_kernel _ZL32rocblas_gemvt_warp_reduce_kernelILb0ELi1024Ei19rocblas_complex_numIfEPKS1_S1_EviiT3_lPKT2_lT1_lS7_lS8_lS4_lPT4_lS8_li
		.amdhsa_group_segment_fixed_size 256
		.amdhsa_private_segment_fixed_size 0
		.amdhsa_kernarg_size 140
		.amdhsa_user_sgpr_count 2
		.amdhsa_user_sgpr_dispatch_ptr 0
		.amdhsa_user_sgpr_queue_ptr 0
		.amdhsa_user_sgpr_kernarg_segment_ptr 1
		.amdhsa_user_sgpr_dispatch_id 0
		.amdhsa_user_sgpr_private_segment_size 0
		.amdhsa_wavefront_size32 1
		.amdhsa_uses_dynamic_stack 0
		.amdhsa_enable_private_segment 0
		.amdhsa_system_sgpr_workgroup_id_x 1
		.amdhsa_system_sgpr_workgroup_id_y 0
		.amdhsa_system_sgpr_workgroup_id_z 1
		.amdhsa_system_sgpr_workgroup_info 0
		.amdhsa_system_vgpr_workitem_id 0
		.amdhsa_next_free_vgpr 24
		.amdhsa_next_free_sgpr 46
		.amdhsa_reserve_vcc 1
		.amdhsa_float_round_mode_32 0
		.amdhsa_float_round_mode_16_64 0
		.amdhsa_float_denorm_mode_32 3
		.amdhsa_float_denorm_mode_16_64 3
		.amdhsa_fp16_overflow 0
		.amdhsa_workgroup_processor_mode 1
		.amdhsa_memory_ordered 1
		.amdhsa_forward_progress 1
		.amdhsa_inst_pref_size 16
		.amdhsa_round_robin_scheduling 0
		.amdhsa_exception_fp_ieee_invalid_op 0
		.amdhsa_exception_fp_denorm_src 0
		.amdhsa_exception_fp_ieee_div_zero 0
		.amdhsa_exception_fp_ieee_overflow 0
		.amdhsa_exception_fp_ieee_underflow 0
		.amdhsa_exception_fp_ieee_inexact 0
		.amdhsa_exception_int_div_zero 0
	.end_amdhsa_kernel
	.section	.text._ZL32rocblas_gemvt_warp_reduce_kernelILb0ELi1024Ei19rocblas_complex_numIfEPKS1_S1_EviiT3_lPKT2_lT1_lS7_lS8_lS4_lPT4_lS8_li,"axG",@progbits,_ZL32rocblas_gemvt_warp_reduce_kernelILb0ELi1024Ei19rocblas_complex_numIfEPKS1_S1_EviiT3_lPKT2_lT1_lS7_lS8_lS4_lPT4_lS8_li,comdat
.Lfunc_end130:
	.size	_ZL32rocblas_gemvt_warp_reduce_kernelILb0ELi1024Ei19rocblas_complex_numIfEPKS1_S1_EviiT3_lPKT2_lT1_lS7_lS8_lS4_lPT4_lS8_li, .Lfunc_end130-_ZL32rocblas_gemvt_warp_reduce_kernelILb0ELi1024Ei19rocblas_complex_numIfEPKS1_S1_EviiT3_lPKT2_lT1_lS7_lS8_lS4_lPT4_lS8_li
                                        ; -- End function
	.set _ZL32rocblas_gemvt_warp_reduce_kernelILb0ELi1024Ei19rocblas_complex_numIfEPKS1_S1_EviiT3_lPKT2_lT1_lS7_lS8_lS4_lPT4_lS8_li.num_vgpr, 24
	.set _ZL32rocblas_gemvt_warp_reduce_kernelILb0ELi1024Ei19rocblas_complex_numIfEPKS1_S1_EviiT3_lPKT2_lT1_lS7_lS8_lS4_lPT4_lS8_li.num_agpr, 0
	.set _ZL32rocblas_gemvt_warp_reduce_kernelILb0ELi1024Ei19rocblas_complex_numIfEPKS1_S1_EviiT3_lPKT2_lT1_lS7_lS8_lS4_lPT4_lS8_li.numbered_sgpr, 46
	.set _ZL32rocblas_gemvt_warp_reduce_kernelILb0ELi1024Ei19rocblas_complex_numIfEPKS1_S1_EviiT3_lPKT2_lT1_lS7_lS8_lS4_lPT4_lS8_li.num_named_barrier, 0
	.set _ZL32rocblas_gemvt_warp_reduce_kernelILb0ELi1024Ei19rocblas_complex_numIfEPKS1_S1_EviiT3_lPKT2_lT1_lS7_lS8_lS4_lPT4_lS8_li.private_seg_size, 0
	.set _ZL32rocblas_gemvt_warp_reduce_kernelILb0ELi1024Ei19rocblas_complex_numIfEPKS1_S1_EviiT3_lPKT2_lT1_lS7_lS8_lS4_lPT4_lS8_li.uses_vcc, 1
	.set _ZL32rocblas_gemvt_warp_reduce_kernelILb0ELi1024Ei19rocblas_complex_numIfEPKS1_S1_EviiT3_lPKT2_lT1_lS7_lS8_lS4_lPT4_lS8_li.uses_flat_scratch, 0
	.set _ZL32rocblas_gemvt_warp_reduce_kernelILb0ELi1024Ei19rocblas_complex_numIfEPKS1_S1_EviiT3_lPKT2_lT1_lS7_lS8_lS4_lPT4_lS8_li.has_dyn_sized_stack, 0
	.set _ZL32rocblas_gemvt_warp_reduce_kernelILb0ELi1024Ei19rocblas_complex_numIfEPKS1_S1_EviiT3_lPKT2_lT1_lS7_lS8_lS4_lPT4_lS8_li.has_recursion, 0
	.set _ZL32rocblas_gemvt_warp_reduce_kernelILb0ELi1024Ei19rocblas_complex_numIfEPKS1_S1_EviiT3_lPKT2_lT1_lS7_lS8_lS4_lPT4_lS8_li.has_indirect_call, 0
	.section	.AMDGPU.csdata,"",@progbits
; Kernel info:
; codeLenInByte = 1932
; TotalNumSgprs: 48
; NumVgprs: 24
; ScratchSize: 0
; MemoryBound: 0
; FloatMode: 240
; IeeeMode: 1
; LDSByteSize: 256 bytes/workgroup (compile time only)
; SGPRBlocks: 0
; VGPRBlocks: 2
; NumSGPRsForWavesPerEU: 48
; NumVGPRsForWavesPerEU: 24
; Occupancy: 16
; WaveLimiterHint : 0
; COMPUTE_PGM_RSRC2:SCRATCH_EN: 0
; COMPUTE_PGM_RSRC2:USER_SGPR: 2
; COMPUTE_PGM_RSRC2:TRAP_HANDLER: 0
; COMPUTE_PGM_RSRC2:TGID_X_EN: 1
; COMPUTE_PGM_RSRC2:TGID_Y_EN: 0
; COMPUTE_PGM_RSRC2:TGID_Z_EN: 1
; COMPUTE_PGM_RSRC2:TIDIG_COMP_CNT: 0
	.section	.text._ZL32rocblas_gemvt_warp_reduce_kernelILb0ELi1024El19rocblas_complex_numIfEPKS1_S1_EviiT3_lPKT2_lT1_lS7_lS8_lS4_lPT4_lS8_li,"axG",@progbits,_ZL32rocblas_gemvt_warp_reduce_kernelILb0ELi1024El19rocblas_complex_numIfEPKS1_S1_EviiT3_lPKT2_lT1_lS7_lS8_lS4_lPT4_lS8_li,comdat
	.globl	_ZL32rocblas_gemvt_warp_reduce_kernelILb0ELi1024El19rocblas_complex_numIfEPKS1_S1_EviiT3_lPKT2_lT1_lS7_lS8_lS4_lPT4_lS8_li ; -- Begin function _ZL32rocblas_gemvt_warp_reduce_kernelILb0ELi1024El19rocblas_complex_numIfEPKS1_S1_EviiT3_lPKT2_lT1_lS7_lS8_lS4_lPT4_lS8_li
	.p2align	8
	.type	_ZL32rocblas_gemvt_warp_reduce_kernelILb0ELi1024El19rocblas_complex_numIfEPKS1_S1_EviiT3_lPKT2_lT1_lS7_lS8_lS4_lPT4_lS8_li,@function
_ZL32rocblas_gemvt_warp_reduce_kernelILb0ELi1024El19rocblas_complex_numIfEPKS1_S1_EviiT3_lPKT2_lT1_lS7_lS8_lS4_lPT4_lS8_li: ; @_ZL32rocblas_gemvt_warp_reduce_kernelILb0ELi1024El19rocblas_complex_numIfEPKS1_S1_EviiT3_lPKT2_lT1_lS7_lS8_lS4_lPT4_lS8_li
; %bb.0:
	s_load_b32 s33, s[0:1], 0x88
	s_lshr_b32 s6, ttmp7, 16
	s_wait_kmcnt 0x0
	s_cmp_ge_u32 s6, s33
	s_cbranch_scc1 .LBB131_33
; %bb.1:
	s_clause 0x2
	s_load_b512 s[8:23], s[0:1], 0x8
	s_load_b512 s[36:51], s[0:1], 0x48
	s_load_b32 s28, s[0:1], 0x0
	s_mov_b32 s2, ttmp9
	s_ashr_i32 s3, ttmp9, 31
	v_mbcnt_lo_u32_b32 v17, -1, 0
	v_cmp_eq_u32_e64 s0, 0, v0
	s_mov_b32 s7, 0
	v_lshl_or_b32 v18, v17, 2, 64
	s_wait_kmcnt 0x0
	s_lshl_b64 s[4:5], s[22:23], 3
	s_lshl_b64 s[24:25], s[14:15], 3
	v_cmp_gt_i32_e32 vcc_lo, s28, v0
	v_mov_b32_e32 v1, 0
	s_ashr_i32 s1, s28, 31
	v_mad_co_u64_u32 v[2:3], null, s36, v0, 0
	v_cndmask_b32_e32 v4, 0, v0, vcc_lo
	s_lshr_b32 s1, s1, 22
	s_add_nc_u64 s[14:15], s[20:21], s[4:5]
	s_add_nc_u64 s[4:5], s[12:13], s[24:25]
	s_add_co_i32 s1, s28, s1
	v_lshlrev_b32_e32 v9, 3, v4
	s_and_b32 s20, s1, 0xfffffc00
	s_lshl_b64 s[22:23], s[46:47], 3
	s_mul_u64 s[26:27], s[48:49], s[2:3]
	s_mul_u64 s[2:3], s[16:17], s[2:3]
	v_add_co_u32 v4, s1, s4, v9
	s_add_nc_u64 s[16:17], s[44:45], s[22:23]
	s_lshl_b64 s[22:23], s[2:3], 3
	v_or_b32_e32 v5, s20, v0
	v_add_co_u32 v13, vcc_lo, v4, s22
	v_mad_co_u64_u32 v[3:4], null, s37, v0, v[3:4]
	v_add_co_ci_u32_e64 v6, null, s5, 0, s1
	s_delay_alu instid0(VALU_DEP_4)
	v_mul_lo_u32 v10, s37, v5
	v_mad_co_u64_u32 v[7:8], null, s36, v5, 0
	v_cmp_gt_i32_e64 s2, s28, v5
	v_lshrrev_b32_e32 v5, 2, v0
	s_wait_alu 0xfffd
	v_add_co_ci_u32_e64 v14, null, s23, v6, vcc_lo
	s_ashr_i32 s21, s20, 31
	s_add_nc_u64 s[22:23], s[22:23], s[24:25]
	v_and_b32_e32 v16, 0xf8, v5
	v_lshlrev_b64_e32 v[5:6], 3, v[2:3]
	s_wait_alu 0xfffe
	s_mul_i32 s3, s36, s21
	v_and_b32_e32 v4, 31, v0
	v_add3_u32 v8, v8, s3, v10
	s_add_nc_u64 s[12:13], s[12:13], s[22:23]
	v_cmp_gt_i32_e64 s1, s20, v0
	v_add_co_u32 v2, vcc_lo, s14, v5
	s_wait_alu 0xfffd
	v_add_co_ci_u32_e64 v6, null, s15, v6, vcc_lo
	v_add_co_u32 v3, s5, s12, v9
	s_delay_alu instid0(VALU_DEP_3)
	v_add_co_u32 v5, vcc_lo, v2, 4
	v_lshlrev_b64_e32 v[7:8], 3, v[7:8]
	v_cmp_gt_u32_e64 s3, 32, v0
	v_lshlrev_b32_e32 v15, 3, v4
	v_cmp_eq_u32_e64 s4, 0, v4
	s_wait_alu 0xf1ff
	v_add_co_ci_u32_e64 v4, null, s13, 0, s5
	s_wait_alu 0xfffd
	v_add_co_ci_u32_e64 v6, null, 0, v6, vcc_lo
	s_lshl_b64 s[12:13], s[18:19], 3
	s_lshl_b64 s[22:23], s[38:39], 3
	;; [unrolled: 1-line block ×5, first 2 shown]
	s_branch .LBB131_5
.LBB131_2:                              ;   in Loop: Header=BB131_5 Depth=1
	s_add_nc_u64 s[30:31], s[30:31], s[26:27]
	global_store_b64 v1, v[10:11], s[30:31]
.LBB131_3:                              ;   in Loop: Header=BB131_5 Depth=1
	s_wait_alu 0xfffe
	s_or_b32 exec_lo, exec_lo, s5
.LBB131_4:                              ;   in Loop: Header=BB131_5 Depth=1
	s_add_co_i32 s6, s6, 0x10000
	s_wait_alu 0xfffe
	s_cmp_lt_u32 s6, s33
	s_cbranch_scc0 .LBB131_33
.LBB131_5:                              ; =>This Loop Header: Depth=1
                                        ;     Child Loop BB131_26 Depth 2
	s_mul_u64 s[30:31], s[10:11], s[6:7]
	s_delay_alu instid0(SALU_CYCLE_1) | instskip(NEXT) | instid1(SALU_CYCLE_1)
	s_lshl_b64 s[30:31], s[30:31], 3
	s_add_nc_u64 s[30:31], s[8:9], s[30:31]
	s_wait_dscnt 0x0
	global_load_b64 v[9:10], v1, s[30:31]
	s_mul_u64 s[30:31], s[42:43], s[6:7]
	s_delay_alu instid0(SALU_CYCLE_1) | instskip(NEXT) | instid1(SALU_CYCLE_1)
	s_lshl_b64 s[30:31], s[30:31], 3
	s_add_nc_u64 s[30:31], s[40:41], s[30:31]
	global_load_b64 v[11:12], v1, s[30:31]
	s_wait_loadcnt 0x1
	v_readfirstlane_b32 s37, v9
	v_readfirstlane_b32 s44, v10
	s_cmp_neq_f32 s37, 0
	s_wait_loadcnt 0x0
	v_readfirstlane_b32 s21, v11
	v_readfirstlane_b32 s36, v12
	s_cselect_b32 s5, -1, 0
	s_cmp_neq_f32 s44, 0
	s_cselect_b32 s30, -1, 0
	s_wait_alu 0xfffe
	s_or_b32 s5, s5, s30
	s_wait_alu 0xfffe
	s_and_b32 vcc_lo, exec_lo, s5
	s_mov_b32 s5, -1
	s_wait_alu 0xfffe
	s_cbranch_vccnz .LBB131_7
; %bb.6:                                ;   in Loop: Header=BB131_5 Depth=1
	s_cmp_neq_f32 s21, 1.0
	s_cselect_b32 s5, -1, 0
	s_cmp_neq_f32 s36, 0
	s_cselect_b32 s30, -1, 0
	s_wait_alu 0xfffe
	s_or_b32 s5, s5, s30
.LBB131_7:                              ;   in Loop: Header=BB131_5 Depth=1
	s_wait_alu 0xfffe
	s_and_not1_b32 vcc_lo, exec_lo, s5
	s_wait_alu 0xfffe
	s_cbranch_vccnz .LBB131_4
; %bb.8:                                ;   in Loop: Header=BB131_5 Depth=1
	s_mul_u64 s[30:31], s[50:51], s[6:7]
	s_or_b32 s5, s37, s44
	s_lshl_b64 s[30:31], s[30:31], 3
	s_wait_alu 0xfffe
	s_bitset0_b32 s5, 31
	s_add_nc_u64 s[30:31], s[16:17], s[30:31]
	s_wait_alu 0xfffe
	s_cmp_lg_u32 s5, 0
	s_mov_b32 s5, -1
	s_cbranch_scc1 .LBB131_15
; %bb.9:                                ;   in Loop: Header=BB131_5 Depth=1
	s_and_saveexec_b32 s5, s0
	s_cbranch_execz .LBB131_14
; %bb.10:                               ;   in Loop: Header=BB131_5 Depth=1
	s_cmp_neq_f32 s21, 0
	s_cselect_b32 s34, -1, 0
	s_cmp_neq_f32 s36, 0
	s_cselect_b32 s35, -1, 0
	s_wait_alu 0xfffe
	s_or_b32 s34, s34, s35
	s_wait_alu 0xfffe
	s_and_not1_b32 vcc_lo, exec_lo, s34
	s_add_nc_u64 s[34:35], s[30:31], s[26:27]
	s_wait_alu 0xfffe
	s_cbranch_vccnz .LBB131_12
; %bb.11:                               ;   in Loop: Header=BB131_5 Depth=1
	global_load_b64 v[11:12], v1, s[34:35]
	s_wait_loadcnt 0x0
	v_mul_f32_e32 v2, s36, v12
	v_mul_f32_e32 v10, s21, v12
	s_delay_alu instid0(VALU_DEP_2) | instskip(NEXT) | instid1(VALU_DEP_2)
	v_xor_b32_e32 v9, 0x80000000, v2
	v_fmac_f32_e32 v10, s36, v11
	s_delay_alu instid0(VALU_DEP_2)
	v_fmac_f32_e32 v9, s21, v11
	s_branch .LBB131_13
.LBB131_12:                             ;   in Loop: Header=BB131_5 Depth=1
	v_dual_mov_b32 v9, 0 :: v_dual_mov_b32 v10, 0
.LBB131_13:                             ;   in Loop: Header=BB131_5 Depth=1
	global_store_b64 v1, v[9:10], s[34:35]
.LBB131_14:                             ;   in Loop: Header=BB131_5 Depth=1
	s_wait_alu 0xfffe
	s_or_b32 exec_lo, exec_lo, s5
	s_mov_b32 s5, 0
.LBB131_15:                             ;   in Loop: Header=BB131_5 Depth=1
	s_wait_alu 0xfffe
	s_and_not1_b32 vcc_lo, exec_lo, s5
	s_wait_alu 0xfffe
	s_cbranch_vccnz .LBB131_4
; %bb.16:                               ;   in Loop: Header=BB131_5 Depth=1
	v_dual_mov_b32 v19, 0 :: v_dual_mov_b32 v20, 0
	s_and_saveexec_b32 s34, s1
	s_cbranch_execnz .LBB131_25
; %bb.17:                               ;   in Loop: Header=BB131_5 Depth=1
	s_wait_alu 0xfffe
	s_or_b32 exec_lo, exec_lo, s34
	s_and_saveexec_b32 s5, s2
	s_cbranch_execnz .LBB131_28
.LBB131_18:                             ;   in Loop: Header=BB131_5 Depth=1
	s_wait_alu 0xfffe
	s_or_b32 exec_lo, exec_lo, s5
	s_and_saveexec_b32 s5, s3
.LBB131_19:                             ;   in Loop: Header=BB131_5 Depth=1
	v_mov_b32_e32 v2, v1
	ds_store_b64 v15, v[1:2]
.LBB131_20:                             ;   in Loop: Header=BB131_5 Depth=1
	s_wait_alu 0xfffe
	s_or_b32 exec_lo, exec_lo, s5
	ds_bpermute_b32 v9, v18, v20
	ds_bpermute_b32 v10, v18, v19
	v_cmp_gt_u32_e32 vcc_lo, 24, v17
	s_wait_storecnt_dscnt 0x0
	s_barrier_signal -1
	s_barrier_wait -1
	global_inv scope:SCOPE_SE
	s_wait_alu 0xfffd
	v_cndmask_b32_e64 v2, 0, 8, vcc_lo
	v_cmp_gt_u32_e32 vcc_lo, 28, v17
	s_delay_alu instid0(VALU_DEP_2) | instskip(SKIP_3) | instid1(VALU_DEP_2)
	v_add_lshl_u32 v2, v2, v17, 2
	s_wait_alu 0xfffd
	v_cndmask_b32_e64 v11, 0, 4, vcc_lo
	v_cmp_gt_u32_e32 vcc_lo, 30, v17
	v_add_lshl_u32 v11, v11, v17, 2
	v_dual_add_f32 v9, v20, v9 :: v_dual_add_f32 v10, v19, v10
	ds_bpermute_b32 v12, v2, v9
	ds_bpermute_b32 v19, v2, v10
	s_wait_dscnt 0x0
	v_dual_add_f32 v9, v9, v12 :: v_dual_add_f32 v10, v10, v19
	s_wait_alu 0xfffd
	v_cndmask_b32_e64 v12, 0, 2, vcc_lo
	v_cmp_ne_u32_e32 vcc_lo, 31, v17
	ds_bpermute_b32 v19, v11, v9
	ds_bpermute_b32 v20, v11, v10
	v_add_lshl_u32 v12, v12, v17, 2
	s_wait_dscnt 0x0
	v_dual_add_f32 v9, v9, v19 :: v_dual_add_f32 v10, v10, v20
	s_wait_alu 0xfffd
	v_add_co_ci_u32_e64 v19, null, 0, v17, vcc_lo
	ds_bpermute_b32 v20, v12, v9
	ds_bpermute_b32 v21, v12, v10
	v_lshlrev_b32_e32 v19, 2, v19
	s_wait_dscnt 0x0
	v_dual_add_f32 v9, v9, v20 :: v_dual_add_f32 v10, v10, v21
	ds_bpermute_b32 v20, v19, v9
	ds_bpermute_b32 v21, v19, v10
	s_and_saveexec_b32 s5, s4
	s_cbranch_execz .LBB131_22
; %bb.21:                               ;   in Loop: Header=BB131_5 Depth=1
	s_wait_dscnt 0x0
	v_dual_add_f32 v10, v10, v21 :: v_dual_add_f32 v9, v9, v20
	ds_store_b64 v16, v[9:10]
.LBB131_22:                             ;   in Loop: Header=BB131_5 Depth=1
	s_wait_alu 0xfffe
	s_or_b32 exec_lo, exec_lo, s5
	v_dual_mov_b32 v10, 0 :: v_dual_mov_b32 v9, 0
	s_wait_loadcnt_dscnt 0x0
	s_barrier_signal -1
	s_barrier_wait -1
	global_inv scope:SCOPE_SE
	s_and_saveexec_b32 s5, s3
	s_cbranch_execnz .LBB131_29
; %bb.23:                               ;   in Loop: Header=BB131_5 Depth=1
	s_wait_alu 0xfffe
	s_or_b32 exec_lo, exec_lo, s5
	s_and_saveexec_b32 s5, s3
	s_cbranch_execnz .LBB131_30
.LBB131_24:                             ;   in Loop: Header=BB131_5 Depth=1
	s_wait_alu 0xfffe
	s_or_b32 exec_lo, exec_lo, s5
	s_and_saveexec_b32 s5, s0
	s_cbranch_execz .LBB131_3
	s_branch .LBB131_31
.LBB131_25:                             ;   in Loop: Header=BB131_5 Depth=1
	v_mad_co_u64_u32 v[9:10], null, s12, s6, v[3:4]
	v_mad_co_u64_u32 v[11:12], null, s22, s6, v[5:6]
	s_mov_b32 s35, 0
	v_dual_mov_b32 v19, 0 :: v_dual_mov_b32 v2, v10
	v_mov_b32_e32 v10, v12
	s_delay_alu instid0(VALU_DEP_2) | instskip(NEXT) | instid1(VALU_DEP_2)
	v_mad_co_u64_u32 v[20:21], null, s13, s6, v[2:3]
	v_mad_co_u64_u32 v[21:22], null, s23, s6, v[10:11]
	v_mov_b32_e32 v2, v0
	s_delay_alu instid0(VALU_DEP_3) | instskip(SKIP_1) | instid1(VALU_DEP_4)
	v_mov_b32_e32 v10, v20
	v_mov_b32_e32 v20, 0
	;; [unrolled: 1-line block ×3, first 2 shown]
.LBB131_26:                             ;   Parent Loop BB131_5 Depth=1
                                        ; =>  This Inner Loop Header: Depth=2
	global_load_b64 v[21:22], v[9:10], off
	global_load_b64 v[23:24], v[11:12], off offset:-4
	v_add_nc_u32_e32 v2, 0x400, v2
	v_add_co_u32 v9, vcc_lo, 0x2000, v9
	s_wait_alu 0xfffd
	v_add_co_ci_u32_e64 v10, null, 0, v10, vcc_lo
	v_add_co_u32 v11, vcc_lo, v11, s24
	v_cmp_le_i32_e64 s5, s20, v2
	s_wait_alu 0xfffd
	v_add_co_ci_u32_e64 v12, null, s25, v12, vcc_lo
	s_wait_alu 0xfffe
	s_delay_alu instid0(VALU_DEP_2) | instskip(SKIP_3) | instid1(VALU_DEP_2)
	s_or_b32 s35, s5, s35
	s_wait_loadcnt 0x0
	v_mul_f32_e32 v25, v24, v22
	v_mul_f32_e32 v22, v23, v22
	v_fma_f32 v23, v23, v21, -v25
	s_delay_alu instid0(VALU_DEP_2) | instskip(NEXT) | instid1(VALU_DEP_1)
	v_fmac_f32_e32 v22, v24, v21
	v_dual_add_f32 v20, v20, v23 :: v_dual_add_f32 v19, v19, v22
	s_wait_alu 0xfffe
	s_and_not1_b32 exec_lo, exec_lo, s35
	s_cbranch_execnz .LBB131_26
; %bb.27:                               ;   in Loop: Header=BB131_5 Depth=1
	s_or_b32 exec_lo, exec_lo, s35
	s_delay_alu instid0(SALU_CYCLE_1)
	s_or_b32 exec_lo, exec_lo, s34
	s_and_saveexec_b32 s5, s2
	s_cbranch_execz .LBB131_18
.LBB131_28:                             ;   in Loop: Header=BB131_5 Depth=1
	s_mul_u64 s[34:35], s[18:19], s[6:7]
	s_mul_u64 s[46:47], s[38:39], s[6:7]
	s_wait_alu 0xfffe
	s_lshl_b64 s[34:35], s[34:35], 3
	s_lshl_b64 s[46:47], s[46:47], 3
	s_wait_alu 0xfffe
	v_add_co_u32 v2, vcc_lo, v13, s34
	s_wait_alu 0xfffd
	v_add_co_ci_u32_e64 v12, null, s35, v14, vcc_lo
	s_add_nc_u64 s[34:35], s[14:15], s[46:47]
	s_wait_alu 0xfffe
	v_add_co_u32 v9, vcc_lo, s34, v7
	s_wait_alu 0xfffd
	v_add_co_ci_u32_e64 v10, null, s35, v8, vcc_lo
	v_add_co_u32 v11, vcc_lo, v2, s28
	s_wait_alu 0xfffd
	v_add_co_ci_u32_e64 v12, null, s29, v12, vcc_lo
	global_load_b64 v[9:10], v[9:10], off
	global_load_b64 v[11:12], v[11:12], off
	s_wait_loadcnt 0x0
	v_mul_f32_e32 v2, v10, v12
	v_mul_f32_e32 v12, v9, v12
	s_delay_alu instid0(VALU_DEP_2) | instskip(NEXT) | instid1(VALU_DEP_2)
	v_fma_f32 v2, v9, v11, -v2
	v_fmac_f32_e32 v12, v10, v11
	s_delay_alu instid0(VALU_DEP_1)
	v_dual_add_f32 v20, v20, v2 :: v_dual_add_f32 v19, v19, v12
	s_or_b32 exec_lo, exec_lo, s5
	s_and_saveexec_b32 s5, s3
	s_cbranch_execnz .LBB131_19
	s_branch .LBB131_20
.LBB131_29:                             ;   in Loop: Header=BB131_5 Depth=1
	ds_load_b64 v[9:10], v15
	s_wait_alu 0xfffe
	s_or_b32 exec_lo, exec_lo, s5
	s_and_saveexec_b32 s5, s3
	s_cbranch_execz .LBB131_24
.LBB131_30:                             ;   in Loop: Header=BB131_5 Depth=1
	s_wait_dscnt 0x0
	ds_bpermute_b32 v20, v18, v9
	ds_bpermute_b32 v21, v18, v10
	s_wait_dscnt 0x0
	v_dual_add_f32 v9, v9, v20 :: v_dual_add_f32 v10, v10, v21
	ds_bpermute_b32 v20, v2, v9
	ds_bpermute_b32 v2, v2, v10
	s_wait_dscnt 0x0
	v_dual_add_f32 v9, v9, v20 :: v_dual_add_f32 v2, v10, v2
	;; [unrolled: 4-line block ×5, first 2 shown]
	s_wait_alu 0xfffe
	s_or_b32 exec_lo, exec_lo, s5
	s_and_saveexec_b32 s5, s0
	s_cbranch_execz .LBB131_3
.LBB131_31:                             ;   in Loop: Header=BB131_5 Depth=1
	s_cmp_neq_f32 s21, 0
	s_wait_dscnt 0x0
	v_mul_f32_e32 v11, s37, v10
	v_mul_f32_e32 v2, s44, v10
	s_cselect_b32 s34, -1, 0
	s_cmp_neq_f32 s36, 0
	s_delay_alu instid0(VALU_DEP_2) | instskip(NEXT) | instid1(VALU_DEP_2)
	v_fmac_f32_e32 v11, s44, v9
	v_fma_f32 v10, v9, s37, -v2
	s_cselect_b32 s35, -1, 0
	s_wait_alu 0xfffe
	s_or_b32 s34, s34, s35
	s_wait_alu 0xfffe
	s_and_not1_b32 vcc_lo, exec_lo, s34
	s_wait_alu 0xfffe
	s_cbranch_vccnz .LBB131_2
; %bb.32:                               ;   in Loop: Header=BB131_5 Depth=1
	s_add_nc_u64 s[34:35], s[30:31], s[26:27]
	global_load_b64 v[19:20], v1, s[34:35]
	s_wait_loadcnt 0x0
	v_mul_f32_e32 v9, s21, v20
	s_delay_alu instid0(VALU_DEP_1) | instskip(NEXT) | instid1(VALU_DEP_1)
	v_dual_mul_f32 v2, s36, v20 :: v_dual_fmac_f32 v9, s36, v19
	v_xor_b32_e32 v2, 0x80000000, v2
	s_delay_alu instid0(VALU_DEP_1) | instskip(NEXT) | instid1(VALU_DEP_1)
	v_dual_add_f32 v11, v11, v9 :: v_dual_fmac_f32 v2, s21, v19
	v_add_f32_e32 v10, v10, v2
	s_branch .LBB131_2
.LBB131_33:
	s_endpgm
	.section	.rodata,"a",@progbits
	.p2align	6, 0x0
	.amdhsa_kernel _ZL32rocblas_gemvt_warp_reduce_kernelILb0ELi1024El19rocblas_complex_numIfEPKS1_S1_EviiT3_lPKT2_lT1_lS7_lS8_lS4_lPT4_lS8_li
		.amdhsa_group_segment_fixed_size 256
		.amdhsa_private_segment_fixed_size 0
		.amdhsa_kernarg_size 140
		.amdhsa_user_sgpr_count 2
		.amdhsa_user_sgpr_dispatch_ptr 0
		.amdhsa_user_sgpr_queue_ptr 0
		.amdhsa_user_sgpr_kernarg_segment_ptr 1
		.amdhsa_user_sgpr_dispatch_id 0
		.amdhsa_user_sgpr_private_segment_size 0
		.amdhsa_wavefront_size32 1
		.amdhsa_uses_dynamic_stack 0
		.amdhsa_enable_private_segment 0
		.amdhsa_system_sgpr_workgroup_id_x 1
		.amdhsa_system_sgpr_workgroup_id_y 0
		.amdhsa_system_sgpr_workgroup_id_z 1
		.amdhsa_system_sgpr_workgroup_info 0
		.amdhsa_system_vgpr_workitem_id 0
		.amdhsa_next_free_vgpr 26
		.amdhsa_next_free_sgpr 52
		.amdhsa_reserve_vcc 1
		.amdhsa_float_round_mode_32 0
		.amdhsa_float_round_mode_16_64 0
		.amdhsa_float_denorm_mode_32 3
		.amdhsa_float_denorm_mode_16_64 3
		.amdhsa_fp16_overflow 0
		.amdhsa_workgroup_processor_mode 1
		.amdhsa_memory_ordered 1
		.amdhsa_forward_progress 1
		.amdhsa_inst_pref_size 16
		.amdhsa_round_robin_scheduling 0
		.amdhsa_exception_fp_ieee_invalid_op 0
		.amdhsa_exception_fp_denorm_src 0
		.amdhsa_exception_fp_ieee_div_zero 0
		.amdhsa_exception_fp_ieee_overflow 0
		.amdhsa_exception_fp_ieee_underflow 0
		.amdhsa_exception_fp_ieee_inexact 0
		.amdhsa_exception_int_div_zero 0
	.end_amdhsa_kernel
	.section	.text._ZL32rocblas_gemvt_warp_reduce_kernelILb0ELi1024El19rocblas_complex_numIfEPKS1_S1_EviiT3_lPKT2_lT1_lS7_lS8_lS4_lPT4_lS8_li,"axG",@progbits,_ZL32rocblas_gemvt_warp_reduce_kernelILb0ELi1024El19rocblas_complex_numIfEPKS1_S1_EviiT3_lPKT2_lT1_lS7_lS8_lS4_lPT4_lS8_li,comdat
.Lfunc_end131:
	.size	_ZL32rocblas_gemvt_warp_reduce_kernelILb0ELi1024El19rocblas_complex_numIfEPKS1_S1_EviiT3_lPKT2_lT1_lS7_lS8_lS4_lPT4_lS8_li, .Lfunc_end131-_ZL32rocblas_gemvt_warp_reduce_kernelILb0ELi1024El19rocblas_complex_numIfEPKS1_S1_EviiT3_lPKT2_lT1_lS7_lS8_lS4_lPT4_lS8_li
                                        ; -- End function
	.set _ZL32rocblas_gemvt_warp_reduce_kernelILb0ELi1024El19rocblas_complex_numIfEPKS1_S1_EviiT3_lPKT2_lT1_lS7_lS8_lS4_lPT4_lS8_li.num_vgpr, 26
	.set _ZL32rocblas_gemvt_warp_reduce_kernelILb0ELi1024El19rocblas_complex_numIfEPKS1_S1_EviiT3_lPKT2_lT1_lS7_lS8_lS4_lPT4_lS8_li.num_agpr, 0
	.set _ZL32rocblas_gemvt_warp_reduce_kernelILb0ELi1024El19rocblas_complex_numIfEPKS1_S1_EviiT3_lPKT2_lT1_lS7_lS8_lS4_lPT4_lS8_li.numbered_sgpr, 52
	.set _ZL32rocblas_gemvt_warp_reduce_kernelILb0ELi1024El19rocblas_complex_numIfEPKS1_S1_EviiT3_lPKT2_lT1_lS7_lS8_lS4_lPT4_lS8_li.num_named_barrier, 0
	.set _ZL32rocblas_gemvt_warp_reduce_kernelILb0ELi1024El19rocblas_complex_numIfEPKS1_S1_EviiT3_lPKT2_lT1_lS7_lS8_lS4_lPT4_lS8_li.private_seg_size, 0
	.set _ZL32rocblas_gemvt_warp_reduce_kernelILb0ELi1024El19rocblas_complex_numIfEPKS1_S1_EviiT3_lPKT2_lT1_lS7_lS8_lS4_lPT4_lS8_li.uses_vcc, 1
	.set _ZL32rocblas_gemvt_warp_reduce_kernelILb0ELi1024El19rocblas_complex_numIfEPKS1_S1_EviiT3_lPKT2_lT1_lS7_lS8_lS4_lPT4_lS8_li.uses_flat_scratch, 0
	.set _ZL32rocblas_gemvt_warp_reduce_kernelILb0ELi1024El19rocblas_complex_numIfEPKS1_S1_EviiT3_lPKT2_lT1_lS7_lS8_lS4_lPT4_lS8_li.has_dyn_sized_stack, 0
	.set _ZL32rocblas_gemvt_warp_reduce_kernelILb0ELi1024El19rocblas_complex_numIfEPKS1_S1_EviiT3_lPKT2_lT1_lS7_lS8_lS4_lPT4_lS8_li.has_recursion, 0
	.set _ZL32rocblas_gemvt_warp_reduce_kernelILb0ELi1024El19rocblas_complex_numIfEPKS1_S1_EviiT3_lPKT2_lT1_lS7_lS8_lS4_lPT4_lS8_li.has_indirect_call, 0
	.section	.AMDGPU.csdata,"",@progbits
; Kernel info:
; codeLenInByte = 1968
; TotalNumSgprs: 54
; NumVgprs: 26
; ScratchSize: 0
; MemoryBound: 0
; FloatMode: 240
; IeeeMode: 1
; LDSByteSize: 256 bytes/workgroup (compile time only)
; SGPRBlocks: 0
; VGPRBlocks: 3
; NumSGPRsForWavesPerEU: 54
; NumVGPRsForWavesPerEU: 26
; Occupancy: 16
; WaveLimiterHint : 0
; COMPUTE_PGM_RSRC2:SCRATCH_EN: 0
; COMPUTE_PGM_RSRC2:USER_SGPR: 2
; COMPUTE_PGM_RSRC2:TRAP_HANDLER: 0
; COMPUTE_PGM_RSRC2:TGID_X_EN: 1
; COMPUTE_PGM_RSRC2:TGID_Y_EN: 0
; COMPUTE_PGM_RSRC2:TGID_Z_EN: 1
; COMPUTE_PGM_RSRC2:TIDIG_COMP_CNT: 0
	.section	.text._ZL32rocblas_gemvt_warp_reduce_kernelILb0ELi1024Ei19rocblas_complex_numIfES1_S1_EviiT3_lPKT2_lT1_lS5_lS6_lS2_lPT4_lS6_li,"axG",@progbits,_ZL32rocblas_gemvt_warp_reduce_kernelILb0ELi1024Ei19rocblas_complex_numIfES1_S1_EviiT3_lPKT2_lT1_lS5_lS6_lS2_lPT4_lS6_li,comdat
	.globl	_ZL32rocblas_gemvt_warp_reduce_kernelILb0ELi1024Ei19rocblas_complex_numIfES1_S1_EviiT3_lPKT2_lT1_lS5_lS6_lS2_lPT4_lS6_li ; -- Begin function _ZL32rocblas_gemvt_warp_reduce_kernelILb0ELi1024Ei19rocblas_complex_numIfES1_S1_EviiT3_lPKT2_lT1_lS5_lS6_lS2_lPT4_lS6_li
	.p2align	8
	.type	_ZL32rocblas_gemvt_warp_reduce_kernelILb0ELi1024Ei19rocblas_complex_numIfES1_S1_EviiT3_lPKT2_lT1_lS5_lS6_lS2_lPT4_lS6_li,@function
_ZL32rocblas_gemvt_warp_reduce_kernelILb0ELi1024Ei19rocblas_complex_numIfES1_S1_EviiT3_lPKT2_lT1_lS5_lS6_lS2_lPT4_lS6_li: ; @_ZL32rocblas_gemvt_warp_reduce_kernelILb0ELi1024Ei19rocblas_complex_numIfES1_S1_EviiT3_lPKT2_lT1_lS5_lS6_lS2_lPT4_lS6_li
; %bb.0:
	s_load_b32 s33, s[0:1], 0x88
	s_lshr_b32 s24, ttmp7, 16
	s_wait_kmcnt 0x0
	s_cmp_ge_u32 s24, s33
	s_cbranch_scc1 .LBB132_31
; %bb.1:
	s_clause 0x6
	s_load_b96 s[20:22], s[0:1], 0x40
	s_load_b128 s[16:19], s[0:1], 0x68
	s_load_b128 s[4:7], s[0:1], 0x18
	s_load_b64 s[26:27], s[0:1], 0x8
	s_load_b128 s[8:11], s[0:1], 0x50
	s_load_b32 s3, s[0:1], 0x28
	s_load_b32 s23, s[0:1], 0x78
	v_dual_mov_b32 v1, 0 :: v_dual_and_b32 v2, 31, v0
	v_lshrrev_b32_e32 v3, 2, v0
	v_mbcnt_lo_u32_b32 v16, -1, 0
	s_mov_b32 s25, 0
	s_delay_alu instid0(VALU_DEP_2) | instskip(NEXT) | instid1(VALU_DEP_2)
	v_and_b32_e32 v12, 0xf8, v3
	v_lshl_or_b32 v17, v16, 2, 64
	s_wait_kmcnt 0x0
	s_lshl_b64 s[20:21], s[20:21], 3
	s_lshl_b64 s[18:19], s[18:19], 3
	;; [unrolled: 1-line block ×3, first 2 shown]
	s_clause 0x2
	s_load_b128 s[12:15], s[0:1], 0x30
	s_load_b32 s38, s[0:1], 0x0
	s_load_b64 s[6:7], s[0:1], 0x80
	s_cmp_neq_f32 s26, 0
	s_mul_i32 s34, s3, ttmp9
	s_mul_i32 s30, s23, ttmp9
	s_add_nc_u64 s[16:17], s[16:17], s[18:19]
	s_cselect_b32 s1, -1, 0
	s_cmp_neq_f32 s27, 0
	s_add_nc_u64 s[18:19], s[4:5], s[28:29]
	v_mul_lo_u32 v13, v0, s22
	v_cmp_eq_u32_e64 s0, 0, v0
	s_cselect_b32 s2, -1, 0
	s_delay_alu instid0(SALU_CYCLE_1)
	s_or_b32 s37, s1, s2
	s_cmp_neq_f32 s10, 1.0
	v_cmp_eq_u32_e64 s2, 0, v2
	v_cmp_gt_u32_e64 s1, 32, v0
	s_cselect_b32 s39, -1, 0
	s_cmp_neq_f32 s11, 0
	s_wait_kmcnt 0x0
	v_cmp_gt_i32_e32 vcc_lo, s38, v0
	v_lshlrev_b32_e32 v11, 3, v2
	s_add_nc_u64 s[14:15], s[14:15], s[20:21]
	s_cselect_b32 s23, -1, 0
	s_or_b32 s31, s26, s27
	v_cndmask_b32_e32 v2, 0, v0, vcc_lo
	s_bitset0_b32 s31, 31
	s_delay_alu instid0(SALU_CYCLE_1)
	s_cmp_eq_u32 s31, 0
	s_cselect_b32 s36, -1, 0
	s_cmp_neq_f32 s10, 0
	v_lshlrev_b32_e32 v2, 3, v2
	s_cselect_b32 s40, -1, 0
	s_ashr_i32 s3, s38, 31
	s_delay_alu instid0(VALU_DEP_1)
	v_add_co_u32 v3, s18, s18, v2
	s_lshr_b32 s3, s3, 22
	s_wait_alu 0xf1ff
	v_add_co_ci_u32_e64 v4, null, s19, 0, s18
	s_add_co_i32 s3, s38, s3
	s_ashr_i32 s35, s34, 31
	s_and_b32 s18, s3, 0xfffffc00
	s_lshl_b64 s[20:21], s[34:35], 3
	s_wait_alu 0xfffe
	v_or_b32_e32 v6, s18, v0
	s_add_nc_u64 s[28:29], s[28:29], s[20:21]
	v_add_co_u32 v14, vcc_lo, v3, s20
	s_wait_alu 0xfffd
	v_add_co_ci_u32_e64 v15, null, s21, v4, vcc_lo
	v_mul_lo_u32 v5, s22, v6
	s_add_nc_u64 s[20:21], s[4:5], s[28:29]
	v_cmp_gt_i32_e64 s4, s38, v6
	s_wait_alu 0xfffe
	v_add_co_u32 v3, s5, s20, v2
	v_cmp_gt_i32_e64 s3, s18, v0
	v_add_co_ci_u32_e64 v4, null, s21, 0, s5
	v_ashrrev_i32_e32 v6, 31, v5
	s_ashr_i32 s31, s30, 31
	s_or_b32 s39, s37, s39
	s_ashr_i32 s19, s18, 31
	s_lshl_b32 s37, s22, 10
	v_lshlrev_b64_e32 v[5:6], 3, v[5:6]
	s_wait_alu 0xfffe
	s_or_b32 s5, s39, s23
	s_or_b32 s38, s40, s23
	s_lshl_b64 s[20:21], s[12:13], 3
	s_lshl_b64 s[22:23], s[30:31], 3
	;; [unrolled: 1-line block ×3, first 2 shown]
	s_branch .LBB132_5
.LBB132_2:                              ;   in Loop: Header=BB132_5 Depth=1
	global_store_b64 v1, v[8:9], s[30:31]
.LBB132_3:                              ;   in Loop: Header=BB132_5 Depth=1
	s_wait_alu 0xfffe
	s_or_b32 exec_lo, exec_lo, s19
.LBB132_4:                              ;   in Loop: Header=BB132_5 Depth=1
	s_add_co_i32 s24, s24, 0x10000
	s_wait_alu 0xfffe
	s_cmp_lt_u32 s24, s33
	s_cbranch_scc0 .LBB132_31
.LBB132_5:                              ; =>This Loop Header: Depth=1
                                        ;     Child Loop BB132_24 Depth 2
	s_wait_alu 0xfffe
	s_and_not1_b32 vcc_lo, exec_lo, s5
	s_wait_alu 0xfffe
	s_cbranch_vccnz .LBB132_4
; %bb.6:                                ;   in Loop: Header=BB132_5 Depth=1
	s_mul_u64 s[30:31], s[6:7], s[24:25]
	s_and_not1_b32 vcc_lo, exec_lo, s36
	s_lshl_b64 s[30:31], s[30:31], 3
	s_mov_b32 s19, -1
	s_add_nc_u64 s[30:31], s[16:17], s[30:31]
	s_wait_alu 0xfffe
	s_cbranch_vccnz .LBB132_13
; %bb.7:                                ;   in Loop: Header=BB132_5 Depth=1
	s_and_saveexec_b32 s19, s0
	s_cbranch_execz .LBB132_12
; %bb.8:                                ;   in Loop: Header=BB132_5 Depth=1
	s_and_not1_b32 vcc_lo, exec_lo, s38
	s_add_nc_u64 s[34:35], s[30:31], s[22:23]
	s_wait_alu 0xfffe
	s_cbranch_vccnz .LBB132_10
; %bb.9:                                ;   in Loop: Header=BB132_5 Depth=1
	global_load_b64 v[9:10], v1, s[34:35]
	s_wait_loadcnt 0x0
	v_mul_f32_e32 v2, s11, v10
	s_wait_dscnt 0x0
	v_mul_f32_e32 v8, s10, v10
	s_delay_alu instid0(VALU_DEP_2) | instskip(NEXT) | instid1(VALU_DEP_2)
	v_xor_b32_e32 v7, 0x80000000, v2
	v_fmac_f32_e32 v8, s11, v9
	s_delay_alu instid0(VALU_DEP_2)
	v_fmac_f32_e32 v7, s10, v9
	s_branch .LBB132_11
.LBB132_10:                             ;   in Loop: Header=BB132_5 Depth=1
	s_wait_dscnt 0x0
	v_dual_mov_b32 v7, 0 :: v_dual_mov_b32 v8, 0
.LBB132_11:                             ;   in Loop: Header=BB132_5 Depth=1
	global_store_b64 v1, v[7:8], s[34:35]
.LBB132_12:                             ;   in Loop: Header=BB132_5 Depth=1
	s_wait_alu 0xfffe
	s_or_b32 exec_lo, exec_lo, s19
	s_mov_b32 s19, 0
.LBB132_13:                             ;   in Loop: Header=BB132_5 Depth=1
	s_wait_alu 0xfffe
	s_and_not1_b32 vcc_lo, exec_lo, s19
	s_wait_alu 0xfffe
	s_cbranch_vccnz .LBB132_4
; %bb.14:                               ;   in Loop: Header=BB132_5 Depth=1
	s_mul_u64 s[34:35], s[8:9], s[24:25]
	v_dual_mov_b32 v18, 0 :: v_dual_mov_b32 v19, 0
	s_wait_alu 0xfffe
	s_lshl_b64 s[34:35], s[34:35], 3
	s_wait_alu 0xfffe
	s_add_nc_u64 s[34:35], s[14:15], s[34:35]
	s_and_saveexec_b32 s19, s3
	s_cbranch_execnz .LBB132_23
; %bb.15:                               ;   in Loop: Header=BB132_5 Depth=1
	s_wait_alu 0xfffe
	s_or_b32 exec_lo, exec_lo, s19
	s_and_saveexec_b32 s19, s4
	s_cbranch_execnz .LBB132_26
.LBB132_16:                             ;   in Loop: Header=BB132_5 Depth=1
	s_wait_alu 0xfffe
	s_or_b32 exec_lo, exec_lo, s19
	s_and_saveexec_b32 s19, s1
.LBB132_17:                             ;   in Loop: Header=BB132_5 Depth=1
	v_mov_b32_e32 v2, v1
	ds_store_b64 v11, v[1:2]
.LBB132_18:                             ;   in Loop: Header=BB132_5 Depth=1
	s_wait_alu 0xfffe
	s_or_b32 exec_lo, exec_lo, s19
	s_wait_dscnt 0x0
	ds_bpermute_b32 v7, v17, v19
	ds_bpermute_b32 v8, v17, v18
	v_cmp_gt_u32_e32 vcc_lo, 24, v16
	s_wait_storecnt_dscnt 0x0
	s_barrier_signal -1
	s_barrier_wait -1
	global_inv scope:SCOPE_SE
	s_wait_alu 0xfffd
	v_cndmask_b32_e64 v2, 0, 8, vcc_lo
	v_cmp_gt_u32_e32 vcc_lo, 28, v16
	s_delay_alu instid0(VALU_DEP_2) | instskip(SKIP_3) | instid1(VALU_DEP_2)
	v_add_lshl_u32 v2, v2, v16, 2
	s_wait_alu 0xfffd
	v_cndmask_b32_e64 v9, 0, 4, vcc_lo
	v_cmp_gt_u32_e32 vcc_lo, 30, v16
	v_add_lshl_u32 v9, v9, v16, 2
	v_dual_add_f32 v7, v19, v7 :: v_dual_add_f32 v8, v18, v8
	ds_bpermute_b32 v10, v2, v7
	ds_bpermute_b32 v18, v2, v8
	s_wait_dscnt 0x0
	v_add_f32_e32 v8, v8, v18
	ds_bpermute_b32 v19, v9, v8
	v_add_f32_e32 v7, v7, v10
	s_wait_alu 0xfffd
	v_cndmask_b32_e64 v10, 0, 2, vcc_lo
	v_cmp_ne_u32_e32 vcc_lo, 31, v16
	s_delay_alu instid0(VALU_DEP_2)
	v_add_lshl_u32 v10, v10, v16, 2
	s_wait_dscnt 0x0
	v_add_f32_e32 v8, v8, v19
	ds_bpermute_b32 v18, v9, v7
	ds_bpermute_b32 v20, v10, v8
	s_wait_dscnt 0x1
	v_add_f32_e32 v7, v7, v18
	s_wait_alu 0xfffd
	v_add_co_ci_u32_e64 v18, null, 0, v16, vcc_lo
	s_wait_dscnt 0x0
	v_add_f32_e32 v8, v8, v20
	ds_bpermute_b32 v19, v10, v7
	v_lshlrev_b32_e32 v18, 2, v18
	ds_bpermute_b32 v20, v18, v8
	s_wait_dscnt 0x1
	v_add_f32_e32 v7, v7, v19
	ds_bpermute_b32 v19, v18, v7
	s_and_saveexec_b32 s19, s2
	s_cbranch_execz .LBB132_20
; %bb.19:                               ;   in Loop: Header=BB132_5 Depth=1
	s_wait_dscnt 0x0
	v_dual_add_f32 v8, v8, v20 :: v_dual_add_f32 v7, v7, v19
	ds_store_b64 v12, v[7:8]
.LBB132_20:                             ;   in Loop: Header=BB132_5 Depth=1
	s_wait_alu 0xfffe
	s_or_b32 exec_lo, exec_lo, s19
	v_dual_mov_b32 v8, 0 :: v_dual_mov_b32 v7, 0
	s_wait_loadcnt_dscnt 0x0
	s_barrier_signal -1
	s_barrier_wait -1
	global_inv scope:SCOPE_SE
	s_and_saveexec_b32 s19, s1
	s_cbranch_execnz .LBB132_27
; %bb.21:                               ;   in Loop: Header=BB132_5 Depth=1
	s_wait_alu 0xfffe
	s_or_b32 exec_lo, exec_lo, s19
	s_and_saveexec_b32 s19, s1
	s_cbranch_execnz .LBB132_28
.LBB132_22:                             ;   in Loop: Header=BB132_5 Depth=1
	s_wait_alu 0xfffe
	s_or_b32 exec_lo, exec_lo, s19
	s_and_saveexec_b32 s19, s0
	s_cbranch_execz .LBB132_3
	s_branch .LBB132_29
.LBB132_23:                             ;   in Loop: Header=BB132_5 Depth=1
	s_wait_dscnt 0x0
	v_mad_co_u64_u32 v[7:8], null, s20, s24, v[3:4]
	v_dual_mov_b32 v18, 0 :: v_dual_mov_b32 v19, 0
	s_mov_b32 s39, 0
	s_delay_alu instid0(VALU_DEP_2) | instskip(NEXT) | instid1(VALU_DEP_1)
	v_mov_b32_e32 v2, v8
	v_mad_co_u64_u32 v[8:9], null, s21, s24, v[2:3]
	v_dual_mov_b32 v2, v0 :: v_dual_mov_b32 v9, v13
.LBB132_24:                             ;   Parent Loop BB132_5 Depth=1
                                        ; =>  This Inner Loop Header: Depth=2
	s_delay_alu instid0(VALU_DEP_1) | instskip(NEXT) | instid1(VALU_DEP_1)
	v_ashrrev_i32_e32 v10, 31, v9
	v_lshlrev_b64_e32 v[20:21], 3, v[9:10]
	v_add_nc_u32_e32 v9, s37, v9
	s_wait_alu 0xfffe
	s_delay_alu instid0(VALU_DEP_2) | instskip(SKIP_1) | instid1(VALU_DEP_3)
	v_add_co_u32 v20, vcc_lo, s34, v20
	s_wait_alu 0xfffd
	v_add_co_ci_u32_e64 v21, null, s35, v21, vcc_lo
	global_load_b64 v[22:23], v[7:8], off
	global_load_b64 v[20:21], v[20:21], off
	v_add_nc_u32_e32 v2, 0x400, v2
	v_add_co_u32 v7, vcc_lo, 0x2000, v7
	s_wait_alu 0xfffd
	v_add_co_ci_u32_e64 v8, null, 0, v8, vcc_lo
	s_wait_loadcnt 0x0
	v_mul_f32_e32 v10, v21, v23
	v_mul_f32_e32 v23, v20, v23
	v_cmp_le_i32_e32 vcc_lo, s18, v2
	s_delay_alu instid0(VALU_DEP_3) | instskip(NEXT) | instid1(VALU_DEP_3)
	v_fma_f32 v10, v20, v22, -v10
	v_fmac_f32_e32 v23, v21, v22
	s_or_b32 s39, vcc_lo, s39
	s_delay_alu instid0(VALU_DEP_1)
	v_dual_add_f32 v19, v19, v10 :: v_dual_add_f32 v18, v18, v23
	s_wait_alu 0xfffe
	s_and_not1_b32 exec_lo, exec_lo, s39
	s_cbranch_execnz .LBB132_24
; %bb.25:                               ;   in Loop: Header=BB132_5 Depth=1
	s_or_b32 exec_lo, exec_lo, s39
	s_delay_alu instid0(SALU_CYCLE_1)
	s_or_b32 exec_lo, exec_lo, s19
	s_and_saveexec_b32 s19, s4
	s_cbranch_execz .LBB132_16
.LBB132_26:                             ;   in Loop: Header=BB132_5 Depth=1
	s_mul_u64 s[40:41], s[12:13], s[24:25]
	s_wait_alu 0xfffe
	s_lshl_b64 s[40:41], s[40:41], 3
	s_wait_alu 0xfffe
	v_add_co_u32 v2, vcc_lo, v14, s40
	s_wait_alu 0xfffd
	v_add_co_ci_u32_e64 v10, null, s41, v15, vcc_lo
	s_wait_dscnt 0x0
	v_add_co_u32 v7, vcc_lo, s34, v5
	s_wait_alu 0xfffd
	v_add_co_ci_u32_e64 v8, null, s35, v6, vcc_lo
	v_add_co_u32 v9, vcc_lo, v2, s28
	s_wait_alu 0xfffd
	v_add_co_ci_u32_e64 v10, null, s29, v10, vcc_lo
	global_load_b64 v[7:8], v[7:8], off
	global_load_b64 v[9:10], v[9:10], off
	s_wait_loadcnt 0x0
	v_mul_f32_e32 v2, v8, v10
	v_mul_f32_e32 v10, v7, v10
	s_delay_alu instid0(VALU_DEP_2) | instskip(NEXT) | instid1(VALU_DEP_1)
	v_fma_f32 v2, v7, v9, -v2
	v_dual_fmac_f32 v10, v8, v9 :: v_dual_add_f32 v19, v19, v2
	s_delay_alu instid0(VALU_DEP_1)
	v_add_f32_e32 v18, v18, v10
	s_or_b32 exec_lo, exec_lo, s19
	s_and_saveexec_b32 s19, s1
	s_cbranch_execnz .LBB132_17
	s_branch .LBB132_18
.LBB132_27:                             ;   in Loop: Header=BB132_5 Depth=1
	ds_load_b64 v[7:8], v11
	s_wait_alu 0xfffe
	s_or_b32 exec_lo, exec_lo, s19
	s_and_saveexec_b32 s19, s1
	s_cbranch_execz .LBB132_22
.LBB132_28:                             ;   in Loop: Header=BB132_5 Depth=1
	s_wait_dscnt 0x0
	ds_bpermute_b32 v19, v17, v7
	ds_bpermute_b32 v20, v17, v8
	s_wait_dscnt 0x0
	v_dual_add_f32 v7, v7, v19 :: v_dual_add_f32 v8, v8, v20
	ds_bpermute_b32 v19, v2, v7
	ds_bpermute_b32 v2, v2, v8
	s_wait_dscnt 0x0
	v_dual_add_f32 v7, v7, v19 :: v_dual_add_f32 v2, v8, v2
	;; [unrolled: 4-line block ×5, first 2 shown]
	s_wait_alu 0xfffe
	s_or_b32 exec_lo, exec_lo, s19
	s_and_saveexec_b32 s19, s0
	s_cbranch_execz .LBB132_3
.LBB132_29:                             ;   in Loop: Header=BB132_5 Depth=1
	s_wait_dscnt 0x0
	v_mul_f32_e32 v9, s26, v8
	v_mul_f32_e32 v2, s27, v8
	s_and_not1_b32 vcc_lo, exec_lo, s38
	s_add_nc_u64 s[30:31], s[30:31], s[22:23]
	s_delay_alu instid0(VALU_DEP_2) | instskip(NEXT) | instid1(VALU_DEP_2)
	v_fmac_f32_e32 v9, s27, v7
	v_fma_f32 v8, v7, s26, -v2
	s_wait_alu 0xfffe
	s_cbranch_vccnz .LBB132_2
; %bb.30:                               ;   in Loop: Header=BB132_5 Depth=1
	global_load_b64 v[18:19], v1, s[30:31]
	s_wait_loadcnt 0x0
	v_mul_f32_e32 v7, s10, v19
	s_delay_alu instid0(VALU_DEP_1) | instskip(NEXT) | instid1(VALU_DEP_1)
	v_dual_mul_f32 v2, s11, v19 :: v_dual_fmac_f32 v7, s11, v18
	v_xor_b32_e32 v2, 0x80000000, v2
	s_delay_alu instid0(VALU_DEP_1) | instskip(NEXT) | instid1(VALU_DEP_1)
	v_dual_add_f32 v9, v9, v7 :: v_dual_fmac_f32 v2, s10, v18
	v_add_f32_e32 v8, v8, v2
	s_branch .LBB132_2
.LBB132_31:
	s_endpgm
	.section	.rodata,"a",@progbits
	.p2align	6, 0x0
	.amdhsa_kernel _ZL32rocblas_gemvt_warp_reduce_kernelILb0ELi1024Ei19rocblas_complex_numIfES1_S1_EviiT3_lPKT2_lT1_lS5_lS6_lS2_lPT4_lS6_li
		.amdhsa_group_segment_fixed_size 256
		.amdhsa_private_segment_fixed_size 0
		.amdhsa_kernarg_size 140
		.amdhsa_user_sgpr_count 2
		.amdhsa_user_sgpr_dispatch_ptr 0
		.amdhsa_user_sgpr_queue_ptr 0
		.amdhsa_user_sgpr_kernarg_segment_ptr 1
		.amdhsa_user_sgpr_dispatch_id 0
		.amdhsa_user_sgpr_private_segment_size 0
		.amdhsa_wavefront_size32 1
		.amdhsa_uses_dynamic_stack 0
		.amdhsa_enable_private_segment 0
		.amdhsa_system_sgpr_workgroup_id_x 1
		.amdhsa_system_sgpr_workgroup_id_y 0
		.amdhsa_system_sgpr_workgroup_id_z 1
		.amdhsa_system_sgpr_workgroup_info 0
		.amdhsa_system_vgpr_workitem_id 0
		.amdhsa_next_free_vgpr 24
		.amdhsa_next_free_sgpr 42
		.amdhsa_reserve_vcc 1
		.amdhsa_float_round_mode_32 0
		.amdhsa_float_round_mode_16_64 0
		.amdhsa_float_denorm_mode_32 3
		.amdhsa_float_denorm_mode_16_64 3
		.amdhsa_fp16_overflow 0
		.amdhsa_workgroup_processor_mode 1
		.amdhsa_memory_ordered 1
		.amdhsa_forward_progress 1
		.amdhsa_inst_pref_size 15
		.amdhsa_round_robin_scheduling 0
		.amdhsa_exception_fp_ieee_invalid_op 0
		.amdhsa_exception_fp_denorm_src 0
		.amdhsa_exception_fp_ieee_div_zero 0
		.amdhsa_exception_fp_ieee_overflow 0
		.amdhsa_exception_fp_ieee_underflow 0
		.amdhsa_exception_fp_ieee_inexact 0
		.amdhsa_exception_int_div_zero 0
	.end_amdhsa_kernel
	.section	.text._ZL32rocblas_gemvt_warp_reduce_kernelILb0ELi1024Ei19rocblas_complex_numIfES1_S1_EviiT3_lPKT2_lT1_lS5_lS6_lS2_lPT4_lS6_li,"axG",@progbits,_ZL32rocblas_gemvt_warp_reduce_kernelILb0ELi1024Ei19rocblas_complex_numIfES1_S1_EviiT3_lPKT2_lT1_lS5_lS6_lS2_lPT4_lS6_li,comdat
.Lfunc_end132:
	.size	_ZL32rocblas_gemvt_warp_reduce_kernelILb0ELi1024Ei19rocblas_complex_numIfES1_S1_EviiT3_lPKT2_lT1_lS5_lS6_lS2_lPT4_lS6_li, .Lfunc_end132-_ZL32rocblas_gemvt_warp_reduce_kernelILb0ELi1024Ei19rocblas_complex_numIfES1_S1_EviiT3_lPKT2_lT1_lS5_lS6_lS2_lPT4_lS6_li
                                        ; -- End function
	.set _ZL32rocblas_gemvt_warp_reduce_kernelILb0ELi1024Ei19rocblas_complex_numIfES1_S1_EviiT3_lPKT2_lT1_lS5_lS6_lS2_lPT4_lS6_li.num_vgpr, 24
	.set _ZL32rocblas_gemvt_warp_reduce_kernelILb0ELi1024Ei19rocblas_complex_numIfES1_S1_EviiT3_lPKT2_lT1_lS5_lS6_lS2_lPT4_lS6_li.num_agpr, 0
	.set _ZL32rocblas_gemvt_warp_reduce_kernelILb0ELi1024Ei19rocblas_complex_numIfES1_S1_EviiT3_lPKT2_lT1_lS5_lS6_lS2_lPT4_lS6_li.numbered_sgpr, 42
	.set _ZL32rocblas_gemvt_warp_reduce_kernelILb0ELi1024Ei19rocblas_complex_numIfES1_S1_EviiT3_lPKT2_lT1_lS5_lS6_lS2_lPT4_lS6_li.num_named_barrier, 0
	.set _ZL32rocblas_gemvt_warp_reduce_kernelILb0ELi1024Ei19rocblas_complex_numIfES1_S1_EviiT3_lPKT2_lT1_lS5_lS6_lS2_lPT4_lS6_li.private_seg_size, 0
	.set _ZL32rocblas_gemvt_warp_reduce_kernelILb0ELi1024Ei19rocblas_complex_numIfES1_S1_EviiT3_lPKT2_lT1_lS5_lS6_lS2_lPT4_lS6_li.uses_vcc, 1
	.set _ZL32rocblas_gemvt_warp_reduce_kernelILb0ELi1024Ei19rocblas_complex_numIfES1_S1_EviiT3_lPKT2_lT1_lS5_lS6_lS2_lPT4_lS6_li.uses_flat_scratch, 0
	.set _ZL32rocblas_gemvt_warp_reduce_kernelILb0ELi1024Ei19rocblas_complex_numIfES1_S1_EviiT3_lPKT2_lT1_lS5_lS6_lS2_lPT4_lS6_li.has_dyn_sized_stack, 0
	.set _ZL32rocblas_gemvt_warp_reduce_kernelILb0ELi1024Ei19rocblas_complex_numIfES1_S1_EviiT3_lPKT2_lT1_lS5_lS6_lS2_lPT4_lS6_li.has_recursion, 0
	.set _ZL32rocblas_gemvt_warp_reduce_kernelILb0ELi1024Ei19rocblas_complex_numIfES1_S1_EviiT3_lPKT2_lT1_lS5_lS6_lS2_lPT4_lS6_li.has_indirect_call, 0
	.section	.AMDGPU.csdata,"",@progbits
; Kernel info:
; codeLenInByte = 1848
; TotalNumSgprs: 44
; NumVgprs: 24
; ScratchSize: 0
; MemoryBound: 0
; FloatMode: 240
; IeeeMode: 1
; LDSByteSize: 256 bytes/workgroup (compile time only)
; SGPRBlocks: 0
; VGPRBlocks: 2
; NumSGPRsForWavesPerEU: 44
; NumVGPRsForWavesPerEU: 24
; Occupancy: 16
; WaveLimiterHint : 1
; COMPUTE_PGM_RSRC2:SCRATCH_EN: 0
; COMPUTE_PGM_RSRC2:USER_SGPR: 2
; COMPUTE_PGM_RSRC2:TRAP_HANDLER: 0
; COMPUTE_PGM_RSRC2:TGID_X_EN: 1
; COMPUTE_PGM_RSRC2:TGID_Y_EN: 0
; COMPUTE_PGM_RSRC2:TGID_Z_EN: 1
; COMPUTE_PGM_RSRC2:TIDIG_COMP_CNT: 0
	.section	.text._ZL32rocblas_gemvt_warp_reduce_kernelILb0ELi1024El19rocblas_complex_numIfES1_S1_EviiT3_lPKT2_lT1_lS5_lS6_lS2_lPT4_lS6_li,"axG",@progbits,_ZL32rocblas_gemvt_warp_reduce_kernelILb0ELi1024El19rocblas_complex_numIfES1_S1_EviiT3_lPKT2_lT1_lS5_lS6_lS2_lPT4_lS6_li,comdat
	.globl	_ZL32rocblas_gemvt_warp_reduce_kernelILb0ELi1024El19rocblas_complex_numIfES1_S1_EviiT3_lPKT2_lT1_lS5_lS6_lS2_lPT4_lS6_li ; -- Begin function _ZL32rocblas_gemvt_warp_reduce_kernelILb0ELi1024El19rocblas_complex_numIfES1_S1_EviiT3_lPKT2_lT1_lS5_lS6_lS2_lPT4_lS6_li
	.p2align	8
	.type	_ZL32rocblas_gemvt_warp_reduce_kernelILb0ELi1024El19rocblas_complex_numIfES1_S1_EviiT3_lPKT2_lT1_lS5_lS6_lS2_lPT4_lS6_li,@function
_ZL32rocblas_gemvt_warp_reduce_kernelILb0ELi1024El19rocblas_complex_numIfES1_S1_EviiT3_lPKT2_lT1_lS5_lS6_lS2_lPT4_lS6_li: ; @_ZL32rocblas_gemvt_warp_reduce_kernelILb0ELi1024El19rocblas_complex_numIfES1_S1_EviiT3_lPKT2_lT1_lS5_lS6_lS2_lPT4_lS6_li
; %bb.0:
	s_load_b32 s33, s[0:1], 0x88
	s_lshr_b32 s6, ttmp7, 16
	s_wait_kmcnt 0x0
	s_cmp_ge_u32 s6, s33
	s_cbranch_scc1 .LBB133_31
; %bb.1:
	s_clause 0x4
	s_load_b512 s[8:23], s[0:1], 0x18
	s_load_b256 s[24:31], s[0:1], 0x68
	s_load_b64 s[34:35], s[0:1], 0x8
	s_load_b64 s[36:37], s[0:1], 0x58
	s_load_b32 s40, s[0:1], 0x0
	v_dual_mov_b32 v1, 0 :: v_dual_and_b32 v2, 31, v0
	v_lshrrev_b32_e32 v3, 2, v0
	s_mov_b32 s4, ttmp9
	v_mbcnt_lo_u32_b32 v17, -1, 0
	v_cmp_eq_u32_e64 s0, 0, v0
	v_cmp_gt_u32_e64 s1, 32, v0
	v_and_b32_e32 v14, 0xf8, v3
	s_mov_b32 s7, 0
	v_lshl_or_b32 v18, v17, 2, 64
	s_wait_kmcnt 0x0
	s_lshl_b64 s[18:19], s[18:19], 3
	s_lshl_b64 s[38:39], s[26:27], 3
	;; [unrolled: 1-line block ×3, first 2 shown]
	s_cmp_neq_f32 s34, 0
	v_cmp_gt_i32_e32 vcc_lo, s40, v0
	v_lshlrev_b32_e32 v13, 3, v2
	s_add_nc_u64 s[10:11], s[16:17], s[18:19]
	s_cselect_b32 s2, -1, 0
	s_cmp_neq_f32 s35, 0
	v_cndmask_b32_e32 v4, 0, v0, vcc_lo
	s_add_nc_u64 s[16:17], s[24:25], s[38:39]
	s_add_nc_u64 s[18:19], s[8:9], s[26:27]
	s_cselect_b32 s3, -1, 0
	s_delay_alu instid0(SALU_CYCLE_1)
	s_or_b32 s3, s2, s3
	s_cmp_neq_f32 s36, 1.0
	v_cmp_eq_u32_e64 s2, 0, v2
	v_mad_co_u64_u32 v[2:3], null, s20, v0, 0
	s_cselect_b32 s41, -1, 0
	s_cmp_neq_f32 s37, 0
	v_lshlrev_b32_e32 v9, 3, v4
	s_cselect_b32 s42, -1, 0
	s_or_b32 s5, s34, s35
	v_mad_co_u64_u32 v[3:4], null, s21, v0, v[3:4]
	s_bitset0_b32 s5, 31
	v_add_co_u32 v4, s18, s18, v9
	s_cmp_eq_u32 s5, 0
	s_wait_alu 0xf1ff
	v_add_co_ci_u32_e64 v5, null, s19, 0, s18
	s_cselect_b32 s38, -1, 0
	s_cmp_neq_f32 s36, 0
	s_cselect_b32 s43, -1, 0
	s_ashr_i32 s5, s40, 31
	s_wait_alu 0xfffe
	s_or_b32 s39, s3, s41
	s_lshr_b32 s5, s5, 22
	s_or_b32 s39, s39, s42
	s_add_co_i32 s5, s40, s5
	s_delay_alu instid0(SALU_CYCLE_1)
	s_and_b32 s18, s5, 0xfffffc00
	s_ashr_i32 s5, ttmp9, 31
	s_wait_alu 0xfffe
	v_or_b32_e32 v6, s18, v0
	s_mul_u64 s[12:13], s[12:13], s[4:5]
	s_mul_u64 s[24:25], s[28:29], s[4:5]
	s_lshl_b64 s[4:5], s[12:13], 3
	s_ashr_i32 s19, s18, 31
	v_add_co_u32 v15, vcc_lo, v4, s4
	v_mul_lo_u32 v10, s21, v6
	v_mad_co_u64_u32 v[7:8], null, s20, v6, 0
	s_wait_alu 0xfffd
	v_add_co_ci_u32_e64 v16, null, s5, v5, vcc_lo
	s_add_nc_u64 s[12:13], s[4:5], s[26:27]
	v_cmp_gt_i32_e64 s4, s40, v6
	v_lshlrev_b64_e32 v[5:6], 3, v[2:3]
	s_wait_alu 0xfffe
	s_mul_i32 s5, s20, s19
	s_add_nc_u64 s[8:9], s[8:9], s[12:13]
	s_wait_alu 0xfffe
	v_add3_u32 v8, v8, s5, v10
	v_add_co_u32 v3, s5, s8, v9
	v_add_co_u32 v2, vcc_lo, s10, v5
	s_wait_alu 0xfffd
	v_add_co_ci_u32_e64 v6, null, s11, v6, vcc_lo
	v_lshlrev_b64_e32 v[7:8], 3, v[7:8]
	s_delay_alu instid0(VALU_DEP_3)
	v_add_co_u32 v5, vcc_lo, v2, 4
	v_cmp_gt_i32_e64 s3, s18, v0
	s_wait_alu 0xf1ff
	v_add_co_ci_u32_e64 v4, null, s9, 0, s5
	s_wait_alu 0xfffd
	v_add_co_ci_u32_e64 v6, null, 0, v6, vcc_lo
	s_lshl_b64 s[8:9], s[14:15], 3
	s_lshl_b64 s[12:13], s[22:23], 3
	s_or_b32 s40, s43, s42
	s_lshl_b64 s[20:21], s[20:21], 13
	s_lshl_b64 s[24:25], s[24:25], 3
	;; [unrolled: 1-line block ×3, first 2 shown]
	s_branch .LBB133_5
.LBB133_2:                              ;   in Loop: Header=BB133_5 Depth=1
	global_store_b64 v1, v[10:11], s[28:29]
.LBB133_3:                              ;   in Loop: Header=BB133_5 Depth=1
	s_wait_alu 0xfffe
	s_or_b32 exec_lo, exec_lo, s5
.LBB133_4:                              ;   in Loop: Header=BB133_5 Depth=1
	s_add_co_i32 s6, s6, 0x10000
	s_wait_alu 0xfffe
	s_cmp_lt_u32 s6, s33
	s_cbranch_scc0 .LBB133_31
.LBB133_5:                              ; =>This Loop Header: Depth=1
                                        ;     Child Loop BB133_24 Depth 2
	s_and_not1_b32 vcc_lo, exec_lo, s39
	s_wait_alu 0xfffe
	s_cbranch_vccnz .LBB133_4
; %bb.6:                                ;   in Loop: Header=BB133_5 Depth=1
	s_mul_u64 s[28:29], s[30:31], s[6:7]
	s_and_not1_b32 vcc_lo, exec_lo, s38
	s_lshl_b64 s[28:29], s[28:29], 3
	s_mov_b32 s5, -1
	s_add_nc_u64 s[28:29], s[16:17], s[28:29]
	s_wait_alu 0xfffe
	s_cbranch_vccnz .LBB133_13
; %bb.7:                                ;   in Loop: Header=BB133_5 Depth=1
	s_and_saveexec_b32 s5, s0
	s_cbranch_execz .LBB133_12
; %bb.8:                                ;   in Loop: Header=BB133_5 Depth=1
	s_and_not1_b32 vcc_lo, exec_lo, s40
	s_wait_alu 0xfffe
	s_cbranch_vccnz .LBB133_10
; %bb.9:                                ;   in Loop: Header=BB133_5 Depth=1
	s_add_nc_u64 s[42:43], s[28:29], s[24:25]
	global_load_b64 v[11:12], v1, s[42:43]
	s_wait_loadcnt 0x0
	v_mul_f32_e32 v2, s37, v12
	s_wait_dscnt 0x0
	v_mul_f32_e32 v10, s36, v12
	s_delay_alu instid0(VALU_DEP_2) | instskip(NEXT) | instid1(VALU_DEP_2)
	v_xor_b32_e32 v9, 0x80000000, v2
	v_fmac_f32_e32 v10, s37, v11
	s_delay_alu instid0(VALU_DEP_2)
	v_fmac_f32_e32 v9, s36, v11
	s_branch .LBB133_11
.LBB133_10:                             ;   in Loop: Header=BB133_5 Depth=1
	s_wait_dscnt 0x0
	v_dual_mov_b32 v9, 0 :: v_dual_mov_b32 v10, 0
.LBB133_11:                             ;   in Loop: Header=BB133_5 Depth=1
	s_add_nc_u64 s[42:43], s[28:29], s[24:25]
	global_store_b64 v1, v[9:10], s[42:43]
.LBB133_12:                             ;   in Loop: Header=BB133_5 Depth=1
	s_wait_alu 0xfffe
	s_or_b32 exec_lo, exec_lo, s5
	s_mov_b32 s5, 0
.LBB133_13:                             ;   in Loop: Header=BB133_5 Depth=1
	s_wait_alu 0xfffe
	s_and_not1_b32 vcc_lo, exec_lo, s5
	s_wait_alu 0xfffe
	s_cbranch_vccnz .LBB133_4
; %bb.14:                               ;   in Loop: Header=BB133_5 Depth=1
	v_dual_mov_b32 v19, 0 :: v_dual_mov_b32 v20, 0
	s_and_saveexec_b32 s19, s3
	s_cbranch_execnz .LBB133_23
; %bb.15:                               ;   in Loop: Header=BB133_5 Depth=1
	s_wait_alu 0xfffe
	s_or_b32 exec_lo, exec_lo, s19
	s_and_saveexec_b32 s5, s4
	s_cbranch_execnz .LBB133_26
.LBB133_16:                             ;   in Loop: Header=BB133_5 Depth=1
	s_wait_alu 0xfffe
	s_or_b32 exec_lo, exec_lo, s5
	s_and_saveexec_b32 s5, s1
.LBB133_17:                             ;   in Loop: Header=BB133_5 Depth=1
	v_mov_b32_e32 v2, v1
	ds_store_b64 v13, v[1:2]
.LBB133_18:                             ;   in Loop: Header=BB133_5 Depth=1
	s_wait_alu 0xfffe
	s_or_b32 exec_lo, exec_lo, s5
	s_wait_dscnt 0x0
	ds_bpermute_b32 v9, v18, v20
	ds_bpermute_b32 v10, v18, v19
	v_cmp_gt_u32_e32 vcc_lo, 24, v17
	s_wait_storecnt_dscnt 0x0
	s_barrier_signal -1
	s_barrier_wait -1
	global_inv scope:SCOPE_SE
	s_wait_alu 0xfffd
	v_cndmask_b32_e64 v2, 0, 8, vcc_lo
	v_cmp_gt_u32_e32 vcc_lo, 28, v17
	s_delay_alu instid0(VALU_DEP_2) | instskip(SKIP_3) | instid1(VALU_DEP_2)
	v_add_lshl_u32 v2, v2, v17, 2
	s_wait_alu 0xfffd
	v_cndmask_b32_e64 v11, 0, 4, vcc_lo
	v_cmp_gt_u32_e32 vcc_lo, 30, v17
	v_add_lshl_u32 v11, v11, v17, 2
	v_dual_add_f32 v9, v20, v9 :: v_dual_add_f32 v10, v19, v10
	ds_bpermute_b32 v12, v2, v9
	ds_bpermute_b32 v19, v2, v10
	s_wait_dscnt 0x0
	v_dual_add_f32 v9, v9, v12 :: v_dual_add_f32 v10, v10, v19
	s_wait_alu 0xfffd
	v_cndmask_b32_e64 v12, 0, 2, vcc_lo
	v_cmp_ne_u32_e32 vcc_lo, 31, v17
	ds_bpermute_b32 v19, v11, v9
	ds_bpermute_b32 v20, v11, v10
	v_add_lshl_u32 v12, v12, v17, 2
	s_wait_dscnt 0x0
	v_dual_add_f32 v9, v9, v19 :: v_dual_add_f32 v10, v10, v20
	s_wait_alu 0xfffd
	v_add_co_ci_u32_e64 v19, null, 0, v17, vcc_lo
	ds_bpermute_b32 v20, v12, v9
	ds_bpermute_b32 v21, v12, v10
	v_lshlrev_b32_e32 v19, 2, v19
	s_wait_dscnt 0x0
	v_dual_add_f32 v9, v9, v20 :: v_dual_add_f32 v10, v10, v21
	ds_bpermute_b32 v20, v19, v9
	ds_bpermute_b32 v21, v19, v10
	s_and_saveexec_b32 s5, s2
	s_cbranch_execz .LBB133_20
; %bb.19:                               ;   in Loop: Header=BB133_5 Depth=1
	s_wait_dscnt 0x0
	v_dual_add_f32 v10, v10, v21 :: v_dual_add_f32 v9, v9, v20
	ds_store_b64 v14, v[9:10]
.LBB133_20:                             ;   in Loop: Header=BB133_5 Depth=1
	s_wait_alu 0xfffe
	s_or_b32 exec_lo, exec_lo, s5
	v_dual_mov_b32 v10, 0 :: v_dual_mov_b32 v9, 0
	s_wait_loadcnt_dscnt 0x0
	s_barrier_signal -1
	s_barrier_wait -1
	global_inv scope:SCOPE_SE
	s_and_saveexec_b32 s5, s1
	s_cbranch_execnz .LBB133_27
; %bb.21:                               ;   in Loop: Header=BB133_5 Depth=1
	s_wait_alu 0xfffe
	s_or_b32 exec_lo, exec_lo, s5
	s_and_saveexec_b32 s5, s1
	s_cbranch_execnz .LBB133_28
.LBB133_22:                             ;   in Loop: Header=BB133_5 Depth=1
	s_wait_alu 0xfffe
	s_or_b32 exec_lo, exec_lo, s5
	s_and_saveexec_b32 s5, s0
	s_cbranch_execz .LBB133_3
	s_branch .LBB133_29
.LBB133_23:                             ;   in Loop: Header=BB133_5 Depth=1
	s_wait_dscnt 0x0
	v_mad_co_u64_u32 v[9:10], null, s8, s6, v[3:4]
	v_mad_co_u64_u32 v[11:12], null, s12, s6, v[5:6]
	s_mov_b32 s41, 0
	v_dual_mov_b32 v19, 0 :: v_dual_mov_b32 v2, v10
	v_mov_b32_e32 v10, v12
	s_delay_alu instid0(VALU_DEP_2) | instskip(NEXT) | instid1(VALU_DEP_2)
	v_mad_co_u64_u32 v[20:21], null, s9, s6, v[2:3]
	v_mad_co_u64_u32 v[21:22], null, s13, s6, v[10:11]
	v_mov_b32_e32 v2, v0
	s_delay_alu instid0(VALU_DEP_3) | instskip(SKIP_1) | instid1(VALU_DEP_4)
	v_mov_b32_e32 v10, v20
	v_mov_b32_e32 v20, 0
	;; [unrolled: 1-line block ×3, first 2 shown]
.LBB133_24:                             ;   Parent Loop BB133_5 Depth=1
                                        ; =>  This Inner Loop Header: Depth=2
	global_load_b64 v[21:22], v[9:10], off
	global_load_b64 v[23:24], v[11:12], off offset:-4
	v_add_nc_u32_e32 v2, 0x400, v2
	v_add_co_u32 v9, vcc_lo, 0x2000, v9
	s_wait_alu 0xfffd
	v_add_co_ci_u32_e64 v10, null, 0, v10, vcc_lo
	v_add_co_u32 v11, vcc_lo, v11, s20
	v_cmp_le_i32_e64 s5, s18, v2
	s_wait_alu 0xfffd
	v_add_co_ci_u32_e64 v12, null, s21, v12, vcc_lo
	s_wait_alu 0xfffe
	s_delay_alu instid0(VALU_DEP_2) | instskip(SKIP_3) | instid1(VALU_DEP_2)
	s_or_b32 s41, s5, s41
	s_wait_loadcnt 0x0
	v_mul_f32_e32 v25, v24, v22
	v_mul_f32_e32 v22, v23, v22
	v_fma_f32 v23, v23, v21, -v25
	s_delay_alu instid0(VALU_DEP_2) | instskip(NEXT) | instid1(VALU_DEP_1)
	v_fmac_f32_e32 v22, v24, v21
	v_dual_add_f32 v20, v20, v23 :: v_dual_add_f32 v19, v19, v22
	s_wait_alu 0xfffe
	s_and_not1_b32 exec_lo, exec_lo, s41
	s_cbranch_execnz .LBB133_24
; %bb.25:                               ;   in Loop: Header=BB133_5 Depth=1
	s_or_b32 exec_lo, exec_lo, s41
	s_delay_alu instid0(SALU_CYCLE_1)
	s_or_b32 exec_lo, exec_lo, s19
	s_and_saveexec_b32 s5, s4
	s_cbranch_execz .LBB133_16
.LBB133_26:                             ;   in Loop: Header=BB133_5 Depth=1
	s_mul_u64 s[42:43], s[14:15], s[6:7]
	s_mul_u64 s[44:45], s[22:23], s[6:7]
	s_wait_alu 0xfffe
	s_lshl_b64 s[42:43], s[42:43], 3
	s_lshl_b64 s[44:45], s[44:45], 3
	s_wait_alu 0xfffe
	v_add_co_u32 v2, vcc_lo, v15, s42
	s_wait_alu 0xfffd
	v_add_co_ci_u32_e64 v12, null, s43, v16, vcc_lo
	s_add_nc_u64 s[42:43], s[10:11], s[44:45]
	s_wait_dscnt 0x0
	s_wait_alu 0xfffe
	v_add_co_u32 v9, vcc_lo, s42, v7
	s_wait_alu 0xfffd
	v_add_co_ci_u32_e64 v10, null, s43, v8, vcc_lo
	v_add_co_u32 v11, vcc_lo, v2, s26
	s_wait_alu 0xfffd
	v_add_co_ci_u32_e64 v12, null, s27, v12, vcc_lo
	global_load_b64 v[9:10], v[9:10], off
	global_load_b64 v[11:12], v[11:12], off
	s_wait_loadcnt 0x0
	v_mul_f32_e32 v2, v10, v12
	v_mul_f32_e32 v12, v9, v12
	s_delay_alu instid0(VALU_DEP_2) | instskip(NEXT) | instid1(VALU_DEP_2)
	v_fma_f32 v2, v9, v11, -v2
	v_fmac_f32_e32 v12, v10, v11
	s_delay_alu instid0(VALU_DEP_1)
	v_dual_add_f32 v20, v20, v2 :: v_dual_add_f32 v19, v19, v12
	s_or_b32 exec_lo, exec_lo, s5
	s_and_saveexec_b32 s5, s1
	s_cbranch_execnz .LBB133_17
	s_branch .LBB133_18
.LBB133_27:                             ;   in Loop: Header=BB133_5 Depth=1
	ds_load_b64 v[9:10], v13
	s_wait_alu 0xfffe
	s_or_b32 exec_lo, exec_lo, s5
	s_and_saveexec_b32 s5, s1
	s_cbranch_execz .LBB133_22
.LBB133_28:                             ;   in Loop: Header=BB133_5 Depth=1
	s_wait_dscnt 0x0
	ds_bpermute_b32 v20, v18, v9
	ds_bpermute_b32 v21, v18, v10
	s_wait_dscnt 0x0
	v_dual_add_f32 v9, v9, v20 :: v_dual_add_f32 v10, v10, v21
	ds_bpermute_b32 v20, v2, v9
	ds_bpermute_b32 v2, v2, v10
	s_wait_dscnt 0x0
	v_dual_add_f32 v9, v9, v20 :: v_dual_add_f32 v2, v10, v2
	;; [unrolled: 4-line block ×5, first 2 shown]
	s_wait_alu 0xfffe
	s_or_b32 exec_lo, exec_lo, s5
	s_and_saveexec_b32 s5, s0
	s_cbranch_execz .LBB133_3
.LBB133_29:                             ;   in Loop: Header=BB133_5 Depth=1
	s_wait_dscnt 0x0
	v_mul_f32_e32 v11, s34, v10
	v_mul_f32_e32 v2, s35, v10
	s_and_not1_b32 vcc_lo, exec_lo, s40
	s_add_nc_u64 s[28:29], s[28:29], s[24:25]
	s_delay_alu instid0(VALU_DEP_2) | instskip(NEXT) | instid1(VALU_DEP_2)
	v_fmac_f32_e32 v11, s35, v9
	v_fma_f32 v10, v9, s34, -v2
	s_wait_alu 0xfffe
	s_cbranch_vccnz .LBB133_2
; %bb.30:                               ;   in Loop: Header=BB133_5 Depth=1
	global_load_b64 v[19:20], v1, s[28:29]
	s_wait_loadcnt 0x0
	v_mul_f32_e32 v9, s36, v20
	s_delay_alu instid0(VALU_DEP_1) | instskip(NEXT) | instid1(VALU_DEP_1)
	v_dual_mul_f32 v2, s37, v20 :: v_dual_fmac_f32 v9, s37, v19
	v_xor_b32_e32 v2, 0x80000000, v2
	s_delay_alu instid0(VALU_DEP_1) | instskip(NEXT) | instid1(VALU_DEP_1)
	v_dual_add_f32 v11, v11, v9 :: v_dual_fmac_f32 v2, s36, v19
	v_add_f32_e32 v10, v10, v2
	s_branch .LBB133_2
.LBB133_31:
	s_endpgm
	.section	.rodata,"a",@progbits
	.p2align	6, 0x0
	.amdhsa_kernel _ZL32rocblas_gemvt_warp_reduce_kernelILb0ELi1024El19rocblas_complex_numIfES1_S1_EviiT3_lPKT2_lT1_lS5_lS6_lS2_lPT4_lS6_li
		.amdhsa_group_segment_fixed_size 256
		.amdhsa_private_segment_fixed_size 0
		.amdhsa_kernarg_size 140
		.amdhsa_user_sgpr_count 2
		.amdhsa_user_sgpr_dispatch_ptr 0
		.amdhsa_user_sgpr_queue_ptr 0
		.amdhsa_user_sgpr_kernarg_segment_ptr 1
		.amdhsa_user_sgpr_dispatch_id 0
		.amdhsa_user_sgpr_private_segment_size 0
		.amdhsa_wavefront_size32 1
		.amdhsa_uses_dynamic_stack 0
		.amdhsa_enable_private_segment 0
		.amdhsa_system_sgpr_workgroup_id_x 1
		.amdhsa_system_sgpr_workgroup_id_y 0
		.amdhsa_system_sgpr_workgroup_id_z 1
		.amdhsa_system_sgpr_workgroup_info 0
		.amdhsa_system_vgpr_workitem_id 0
		.amdhsa_next_free_vgpr 26
		.amdhsa_next_free_sgpr 46
		.amdhsa_reserve_vcc 1
		.amdhsa_float_round_mode_32 0
		.amdhsa_float_round_mode_16_64 0
		.amdhsa_float_denorm_mode_32 3
		.amdhsa_float_denorm_mode_16_64 3
		.amdhsa_fp16_overflow 0
		.amdhsa_workgroup_processor_mode 1
		.amdhsa_memory_ordered 1
		.amdhsa_forward_progress 1
		.amdhsa_inst_pref_size 15
		.amdhsa_round_robin_scheduling 0
		.amdhsa_exception_fp_ieee_invalid_op 0
		.amdhsa_exception_fp_denorm_src 0
		.amdhsa_exception_fp_ieee_div_zero 0
		.amdhsa_exception_fp_ieee_overflow 0
		.amdhsa_exception_fp_ieee_underflow 0
		.amdhsa_exception_fp_ieee_inexact 0
		.amdhsa_exception_int_div_zero 0
	.end_amdhsa_kernel
	.section	.text._ZL32rocblas_gemvt_warp_reduce_kernelILb0ELi1024El19rocblas_complex_numIfES1_S1_EviiT3_lPKT2_lT1_lS5_lS6_lS2_lPT4_lS6_li,"axG",@progbits,_ZL32rocblas_gemvt_warp_reduce_kernelILb0ELi1024El19rocblas_complex_numIfES1_S1_EviiT3_lPKT2_lT1_lS5_lS6_lS2_lPT4_lS6_li,comdat
.Lfunc_end133:
	.size	_ZL32rocblas_gemvt_warp_reduce_kernelILb0ELi1024El19rocblas_complex_numIfES1_S1_EviiT3_lPKT2_lT1_lS5_lS6_lS2_lPT4_lS6_li, .Lfunc_end133-_ZL32rocblas_gemvt_warp_reduce_kernelILb0ELi1024El19rocblas_complex_numIfES1_S1_EviiT3_lPKT2_lT1_lS5_lS6_lS2_lPT4_lS6_li
                                        ; -- End function
	.set _ZL32rocblas_gemvt_warp_reduce_kernelILb0ELi1024El19rocblas_complex_numIfES1_S1_EviiT3_lPKT2_lT1_lS5_lS6_lS2_lPT4_lS6_li.num_vgpr, 26
	.set _ZL32rocblas_gemvt_warp_reduce_kernelILb0ELi1024El19rocblas_complex_numIfES1_S1_EviiT3_lPKT2_lT1_lS5_lS6_lS2_lPT4_lS6_li.num_agpr, 0
	.set _ZL32rocblas_gemvt_warp_reduce_kernelILb0ELi1024El19rocblas_complex_numIfES1_S1_EviiT3_lPKT2_lT1_lS5_lS6_lS2_lPT4_lS6_li.numbered_sgpr, 46
	.set _ZL32rocblas_gemvt_warp_reduce_kernelILb0ELi1024El19rocblas_complex_numIfES1_S1_EviiT3_lPKT2_lT1_lS5_lS6_lS2_lPT4_lS6_li.num_named_barrier, 0
	.set _ZL32rocblas_gemvt_warp_reduce_kernelILb0ELi1024El19rocblas_complex_numIfES1_S1_EviiT3_lPKT2_lT1_lS5_lS6_lS2_lPT4_lS6_li.private_seg_size, 0
	.set _ZL32rocblas_gemvt_warp_reduce_kernelILb0ELi1024El19rocblas_complex_numIfES1_S1_EviiT3_lPKT2_lT1_lS5_lS6_lS2_lPT4_lS6_li.uses_vcc, 1
	.set _ZL32rocblas_gemvt_warp_reduce_kernelILb0ELi1024El19rocblas_complex_numIfES1_S1_EviiT3_lPKT2_lT1_lS5_lS6_lS2_lPT4_lS6_li.uses_flat_scratch, 0
	.set _ZL32rocblas_gemvt_warp_reduce_kernelILb0ELi1024El19rocblas_complex_numIfES1_S1_EviiT3_lPKT2_lT1_lS5_lS6_lS2_lPT4_lS6_li.has_dyn_sized_stack, 0
	.set _ZL32rocblas_gemvt_warp_reduce_kernelILb0ELi1024El19rocblas_complex_numIfES1_S1_EviiT3_lPKT2_lT1_lS5_lS6_lS2_lPT4_lS6_li.has_recursion, 0
	.set _ZL32rocblas_gemvt_warp_reduce_kernelILb0ELi1024El19rocblas_complex_numIfES1_S1_EviiT3_lPKT2_lT1_lS5_lS6_lS2_lPT4_lS6_li.has_indirect_call, 0
	.section	.AMDGPU.csdata,"",@progbits
; Kernel info:
; codeLenInByte = 1872
; TotalNumSgprs: 48
; NumVgprs: 26
; ScratchSize: 0
; MemoryBound: 0
; FloatMode: 240
; IeeeMode: 1
; LDSByteSize: 256 bytes/workgroup (compile time only)
; SGPRBlocks: 0
; VGPRBlocks: 3
; NumSGPRsForWavesPerEU: 48
; NumVGPRsForWavesPerEU: 26
; Occupancy: 16
; WaveLimiterHint : 1
; COMPUTE_PGM_RSRC2:SCRATCH_EN: 0
; COMPUTE_PGM_RSRC2:USER_SGPR: 2
; COMPUTE_PGM_RSRC2:TRAP_HANDLER: 0
; COMPUTE_PGM_RSRC2:TGID_X_EN: 1
; COMPUTE_PGM_RSRC2:TGID_Y_EN: 0
; COMPUTE_PGM_RSRC2:TGID_Z_EN: 1
; COMPUTE_PGM_RSRC2:TIDIG_COMP_CNT: 0
	.section	.text._ZL22rocblas_gemvtsm_kernelILb1ELi256E19rocblas_complex_numIfEPKS1_S1_EviiT2_lPKT1_lilS7_lilS4_lPT3_lil,"axG",@progbits,_ZL22rocblas_gemvtsm_kernelILb1ELi256E19rocblas_complex_numIfEPKS1_S1_EviiT2_lPKT1_lilS7_lilS4_lPT3_lil,comdat
	.globl	_ZL22rocblas_gemvtsm_kernelILb1ELi256E19rocblas_complex_numIfEPKS1_S1_EviiT2_lPKT1_lilS7_lilS4_lPT3_lil ; -- Begin function _ZL22rocblas_gemvtsm_kernelILb1ELi256E19rocblas_complex_numIfEPKS1_S1_EviiT2_lPKT1_lilS7_lilS4_lPT3_lil
	.p2align	8
	.type	_ZL22rocblas_gemvtsm_kernelILb1ELi256E19rocblas_complex_numIfEPKS1_S1_EviiT2_lPKT1_lilS7_lilS4_lPT3_lil,@function
_ZL22rocblas_gemvtsm_kernelILb1ELi256E19rocblas_complex_numIfEPKS1_S1_EviiT2_lPKT1_lilS7_lilS4_lPT3_lil: ; @_ZL22rocblas_gemvtsm_kernelILb1ELi256E19rocblas_complex_numIfEPKS1_S1_EviiT2_lPKT1_lilS7_lilS4_lPT3_lil
; %bb.0:
	s_clause 0x1
	s_load_b256 s[4:11], s[0:1], 0x8
	s_load_b256 s[12:19], s[0:1], 0x50
	s_mov_b32 s24, ttmp9
	s_mov_b32 s25, 0
	s_wait_kmcnt 0x0
	s_mul_u64 s[2:3], s[6:7], s[24:25]
	s_delay_alu instid0(SALU_CYCLE_1) | instskip(NEXT) | instid1(SALU_CYCLE_1)
	s_lshl_b64 s[2:3], s[2:3], 3
	s_add_nc_u64 s[2:3], s[4:5], s[2:3]
	s_load_b64 s[26:27], s[2:3], 0x0
	s_mul_u64 s[2:3], s[16:17], s[24:25]
	s_delay_alu instid0(SALU_CYCLE_1) | instskip(NEXT) | instid1(SALU_CYCLE_1)
	s_lshl_b64 s[2:3], s[2:3], 3
	s_add_nc_u64 s[2:3], s[14:15], s[2:3]
	s_load_b64 s[2:3], s[2:3], 0x0
	s_wait_kmcnt 0x0
	s_cmp_neq_f32 s26, 0
	s_cselect_b32 s4, -1, 0
	s_cmp_neq_f32 s27, 0
	s_cselect_b32 s5, -1, 0
	s_delay_alu instid0(SALU_CYCLE_1) | instskip(NEXT) | instid1(SALU_CYCLE_1)
	s_or_b32 s4, s4, s5
	s_and_b32 vcc_lo, exec_lo, s4
	s_mov_b32 s4, -1
	s_cbranch_vccnz .LBB134_2
; %bb.1:
	s_cmp_neq_f32 s2, 1.0
	s_cselect_b32 s4, -1, 0
	s_cmp_neq_f32 s3, 0
	s_cselect_b32 s5, -1, 0
	s_delay_alu instid0(SALU_CYCLE_1)
	s_or_b32 s4, s4, s5
.LBB134_2:
	s_delay_alu instid0(SALU_CYCLE_1)
	s_and_not1_b32 vcc_lo, exec_lo, s4
	s_cbranch_vccnz .LBB134_36
; %bb.3:
	s_clause 0x2
	s_load_b64 s[4:5], s[0:1], 0x80
	s_load_b96 s[20:22], s[0:1], 0x70
	s_load_b64 s[14:15], s[0:1], 0x0
	s_or_b32 s6, s26, s27
	s_delay_alu instid0(SALU_CYCLE_1) | instskip(NEXT) | instid1(SALU_CYCLE_1)
	s_bitset0_b32 s6, 31
	s_cmp_lg_u32 s6, 0
	s_wait_kmcnt 0x0
	s_mul_u64 s[16:17], s[4:5], s[24:25]
	s_mov_b32 s4, -1
	s_cbranch_scc1 .LBB134_18
; %bb.4:
	s_cmp_neq_f32 s2, 0
	s_cselect_b32 s4, -1, 0
	s_cmp_neq_f32 s3, 0
	s_cselect_b32 s5, -1, 0
	s_delay_alu instid0(SALU_CYCLE_1)
	s_or_b32 s4, s4, s5
	s_cmp_gt_i32 s15, 0
	s_cselect_b32 s6, -1, 0
	s_and_b32 vcc_lo, exec_lo, s4
	s_mov_b32 s4, -1
	s_cbranch_vccnz .LBB134_11
; %bb.5:
	s_and_not1_b32 vcc_lo, exec_lo, s6
	s_cbranch_vccnz .LBB134_10
; %bb.6:
	v_mad_co_i64_i32 v[1:2], null, s22, v0, 0
	s_lshl_b64 s[4:5], s[20:21], 3
	s_lshl_b64 s[28:29], s[16:17], 3
	s_add_nc_u64 s[4:5], s[18:19], s[4:5]
	v_mov_b32_e32 v3, 0
	s_add_nc_u64 s[4:5], s[4:5], s[28:29]
	s_ashr_i32 s31, s22, 31
	v_lshlrev_b64_e32 v[1:2], 3, v[1:2]
	s_mov_b32 s30, s22
	s_mov_b32 s7, 0
	s_delay_alu instid0(VALU_DEP_1) | instskip(NEXT) | instid1(VALU_DEP_1)
	v_add_co_u32 v1, vcc_lo, s4, v1
	v_add_co_ci_u32_e64 v2, null, s5, v2, vcc_lo
	s_lshl_b64 s[4:5], s[30:31], 11
	v_add_co_u32 v1, vcc_lo, v1, 4
	s_wait_alu 0xfffd
	v_add_co_ci_u32_e64 v2, null, 0, v2, vcc_lo
	s_branch .LBB134_8
.LBB134_7:                              ;   in Loop: Header=BB134_8 Depth=1
	s_wait_alu 0xfffe
	s_or_b32 exec_lo, exec_lo, s23
	v_add_co_u32 v1, vcc_lo, v1, s4
	s_wait_alu 0xfffd
	v_add_co_ci_u32_e64 v2, null, s5, v2, vcc_lo
	s_addk_co_i32 s7, 0x100
	s_wait_alu 0xfffe
	s_cmp_ge_i32 s7, s15
	s_cbranch_scc1 .LBB134_10
.LBB134_8:                              ; =>This Inner Loop Header: Depth=1
	v_add_nc_u32_e32 v4, s7, v0
	s_mov_b32 s23, exec_lo
	s_delay_alu instid0(VALU_DEP_1)
	v_cmpx_gt_i32_e64 s15, v4
	s_cbranch_execz .LBB134_7
; %bb.9:                                ;   in Loop: Header=BB134_8 Depth=1
	v_mov_b32_e32 v4, v3
	global_store_b64 v[1:2], v[3:4], off offset:-4
	s_branch .LBB134_7
.LBB134_10:
	s_mov_b32 s4, 0
.LBB134_11:
	s_wait_alu 0xfffe
	s_and_not1_b32 vcc_lo, exec_lo, s4
	s_wait_alu 0xfffe
	s_cbranch_vccnz .LBB134_17
; %bb.12:
	s_and_not1_b32 vcc_lo, exec_lo, s6
	s_wait_alu 0xfffe
	s_cbranch_vccnz .LBB134_17
; %bb.13:
	v_mad_co_i64_i32 v[1:2], null, s22, v0, 0
	s_lshl_b64 s[4:5], s[20:21], 3
	s_lshl_b64 s[6:7], s[16:17], 3
	s_wait_alu 0xfffe
	s_add_nc_u64 s[4:5], s[18:19], s[4:5]
	s_ashr_i32 s29, s22, 31
	s_wait_alu 0xfffe
	s_add_nc_u64 s[4:5], s[4:5], s[6:7]
	s_mov_b32 s28, s22
	v_lshlrev_b64_e32 v[1:2], 3, v[1:2]
	s_mov_b32 s6, 0
	s_wait_alu 0xfffe
	s_delay_alu instid0(VALU_DEP_1) | instskip(SKIP_1) | instid1(VALU_DEP_2)
	v_add_co_u32 v1, vcc_lo, s4, v1
	s_wait_alu 0xfffd
	v_add_co_ci_u32_e64 v2, null, s5, v2, vcc_lo
	s_lshl_b64 s[4:5], s[28:29], 11
	v_add_co_u32 v1, vcc_lo, v1, 4
	s_wait_alu 0xfffd
	v_add_co_ci_u32_e64 v2, null, 0, v2, vcc_lo
	s_branch .LBB134_15
.LBB134_14:                             ;   in Loop: Header=BB134_15 Depth=1
	s_wait_alu 0xfffe
	s_or_b32 exec_lo, exec_lo, s7
	v_add_co_u32 v1, vcc_lo, v1, s4
	s_wait_alu 0xfffd
	v_add_co_ci_u32_e64 v2, null, s5, v2, vcc_lo
	s_addk_co_i32 s6, 0x100
	s_wait_alu 0xfffe
	s_cmp_ge_i32 s6, s15
	s_cbranch_scc1 .LBB134_17
.LBB134_15:                             ; =>This Inner Loop Header: Depth=1
	v_add_nc_u32_e32 v3, s6, v0
	s_mov_b32 s7, exec_lo
	s_delay_alu instid0(VALU_DEP_1)
	v_cmpx_gt_i32_e64 s15, v3
	s_cbranch_execz .LBB134_14
; %bb.16:                               ;   in Loop: Header=BB134_15 Depth=1
	global_load_b64 v[3:4], v[1:2], off offset:-4
	s_wait_loadcnt 0x0
	v_mul_f32_e32 v5, s2, v4
	s_delay_alu instid0(VALU_DEP_1) | instskip(NEXT) | instid1(VALU_DEP_1)
	v_dual_mul_f32 v6, s3, v4 :: v_dual_fmac_f32 v5, s3, v3
	v_fma_f32 v4, s2, v3, -v6
	global_store_b64 v[1:2], v[4:5], off offset:-4
	s_branch .LBB134_14
.LBB134_17:
	s_mov_b32 s4, 0
.LBB134_18:
	s_wait_alu 0xfffe
	s_and_not1_b32 vcc_lo, exec_lo, s4
	s_wait_alu 0xfffe
	s_cbranch_vccnz .LBB134_36
; %bb.19:
	s_clause 0x1
	s_load_b128 s[4:7], s[0:1], 0x30
	s_load_b64 s[28:29], s[0:1], 0x40
	s_mov_b32 s23, exec_lo
	v_cmpx_gt_i32_e64 s14, v0
	s_cbranch_execz .LBB134_21
; %bb.20:
	s_load_b32 s30, s[0:1], 0x48
	s_mul_u64 s[12:13], s[12:13], s[24:25]
	s_wait_kmcnt 0x0
	s_lshl_b64 s[28:29], s[28:29], 3
	s_lshl_b64 s[12:13], s[12:13], 3
	s_delay_alu instid0(SALU_CYCLE_1) | instskip(SKIP_3) | instid1(VALU_DEP_1)
	s_add_nc_u64 s[6:7], s[6:7], s[12:13]
	s_wait_alu 0xfffe
	s_add_nc_u64 s[6:7], s[6:7], s[28:29]
	v_mad_co_i64_i32 v[1:2], null, s30, v0, 0
	v_lshlrev_b64_e32 v[1:2], 3, v[1:2]
	s_wait_alu 0xfffe
	s_delay_alu instid0(VALU_DEP_1) | instskip(SKIP_1) | instid1(VALU_DEP_2)
	v_add_co_u32 v1, vcc_lo, s6, v1
	s_wait_alu 0xfffd
	v_add_co_ci_u32_e64 v2, null, s7, v2, vcc_lo
	global_load_b64 v[1:2], v[1:2], off
	s_wait_loadcnt 0x0
	v_mul_f32_e32 v3, s26, v2
	s_delay_alu instid0(VALU_DEP_1) | instskip(NEXT) | instid1(VALU_DEP_1)
	v_dual_mul_f32 v4, s27, v2 :: v_dual_fmac_f32 v3, s27, v1
	v_fma_f32 v2, v1, s26, -v4
	v_lshlrev_b32_e32 v1, 3, v0
	ds_store_b64 v1, v[2:3]
.LBB134_21:
	s_wait_alu 0xfffe
	s_or_b32 exec_lo, exec_lo, s23
	s_cmp_lt_i32 s15, 1
	s_wait_storecnt_dscnt 0x0
	s_barrier_signal -1
	s_barrier_wait -1
	global_inv scope:SCOPE_SE
	s_cbranch_scc1 .LBB134_36
; %bb.22:
	s_wait_kmcnt 0x0
	s_load_b32 s6, s[0:1], 0x28
	s_lshl_b64 s[0:1], s[16:17], 3
	s_lshl_b64 s[20:21], s[20:21], 3
	s_ashr_i32 s12, s22, 31
	s_add_nc_u64 s[0:1], s[18:19], s[0:1]
	s_mul_u64 s[4:5], s[4:5], s[24:25]
	s_add_nc_u64 s[0:1], s[0:1], s[20:21]
	s_mov_b32 s13, s22
	s_wait_kmcnt 0x0
	s_ashr_i32 s7, s6, 31
	s_cmp_neq_f32 s2, 0
	v_mad_co_i64_i32 v[1:2], null, s6, v0, 0
	s_cselect_b32 s16, -1, 0
	s_cmp_neq_f32 s3, 0
	v_lshlrev_b64_e32 v[1:2], 3, v[1:2]
	s_cselect_b32 s17, -1, 0
	s_delay_alu instid0(SALU_CYCLE_1)
	s_or_b32 s16, s16, s17
	s_cmp_gt_i32 s14, 0
	s_cselect_b32 s17, -1, 0
	s_and_b32 s18, s14, 7
	s_cmp_gt_u32 s14, 7
	s_cselect_b32 s19, -1, 0
	s_and_b32 s14, s14, 0x7ffffff8
	s_cmp_lg_u32 s18, 0
	s_cselect_b32 s20, -1, 0
	s_lshl_b64 s[10:11], s[10:11], 3
	s_wait_alu 0xfffe
	s_lshl_b64 s[4:5], s[4:5], 3
	s_add_nc_u64 s[8:9], s[8:9], s[10:11]
	s_lshl_b64 s[6:7], s[6:7], 11
	s_wait_alu 0xfffe
	s_add_nc_u64 s[4:5], s[8:9], s[4:5]
	s_mov_b32 s8, 0
	s_wait_alu 0xfffe
	v_add_co_u32 v9, vcc_lo, s4, v1
	s_wait_alu 0xfffd
	v_add_co_ci_u32_e64 v10, null, s5, v2, vcc_lo
	s_mov_b32 s5, 0
	v_add_co_u32 v1, vcc_lo, v9, 60
	s_wait_alu 0xfffd
	v_add_co_ci_u32_e64 v2, null, 0, v10, vcc_lo
	s_branch .LBB134_25
.LBB134_23:                             ;   in Loop: Header=BB134_25 Depth=1
	v_add_co_u32 v3, vcc_lo, s0, v3
	s_wait_alu 0xfffd
	v_add_co_ci_u32_e64 v4, null, s1, v4, vcc_lo
	global_store_b64 v[3:4], v[5:6], off
.LBB134_24:                             ;   in Loop: Header=BB134_25 Depth=1
	s_wait_alu 0xfffe
	s_or_b32 exec_lo, exec_lo, s9
	v_add_co_u32 v1, vcc_lo, v1, s6
	s_wait_alu 0xfffd
	v_add_co_ci_u32_e64 v2, null, s7, v2, vcc_lo
	v_add_co_u32 v9, vcc_lo, v9, s6
	s_wait_alu 0xfffd
	v_add_co_ci_u32_e64 v10, null, s7, v10, vcc_lo
	s_addk_co_i32 s8, 0x100
	s_wait_alu 0xfffe
	s_cmp_ge_i32 s8, s15
	s_cbranch_scc1 .LBB134_36
.LBB134_25:                             ; =>This Loop Header: Depth=1
                                        ;     Child Loop BB134_31 Depth 2
                                        ;     Child Loop BB134_35 Depth 2
	v_add_nc_u32_e32 v3, s8, v0
	s_mov_b32 s9, exec_lo
	s_delay_alu instid0(VALU_DEP_1)
	v_cmpx_gt_i32_e64 s15, v3
	s_cbranch_execz .LBB134_24
; %bb.26:                               ;   in Loop: Header=BB134_25 Depth=1
	v_mad_co_u64_u32 v[6:7], null, v3, s13, 0
	s_and_not1_b32 vcc_lo, exec_lo, s16
	v_mov_b32_e32 v4, v7
	s_delay_alu instid0(VALU_DEP_1) | instskip(SKIP_1) | instid1(VALU_DEP_2)
	v_mad_co_u64_u32 v[3:4], null, v3, s12, v[4:5]
	v_mov_b32_e32 v5, 0
	v_mov_b32_e32 v7, v3
	s_delay_alu instid0(VALU_DEP_1)
	v_lshlrev_b64_e32 v[3:4], 3, v[6:7]
	v_mov_b32_e32 v6, 0
	s_wait_alu 0xfffe
	s_cbranch_vccnz .LBB134_28
; %bb.27:                               ;   in Loop: Header=BB134_25 Depth=1
	s_delay_alu instid0(VALU_DEP_2)
	v_add_co_u32 v5, vcc_lo, s0, v3
	s_wait_alu 0xfffd
	v_add_co_ci_u32_e64 v6, null, s1, v4, vcc_lo
	global_load_b64 v[7:8], v[5:6], off
	s_wait_loadcnt 0x0
	v_mul_f32_e32 v6, s2, v8
	s_delay_alu instid0(VALU_DEP_1) | instskip(NEXT) | instid1(VALU_DEP_1)
	v_dual_mul_f32 v5, s3, v8 :: v_dual_fmac_f32 v6, s3, v7
	v_fma_f32 v5, s2, v7, -v5
.LBB134_28:                             ;   in Loop: Header=BB134_25 Depth=1
	s_and_not1_b32 vcc_lo, exec_lo, s17
	s_wait_alu 0xfffe
	s_cbranch_vccnz .LBB134_23
; %bb.29:                               ;   in Loop: Header=BB134_25 Depth=1
	s_and_not1_b32 vcc_lo, exec_lo, s19
	s_mov_b32 s4, 0
	s_wait_alu 0xfffe
	s_cbranch_vccnz .LBB134_33
; %bb.30:                               ;   in Loop: Header=BB134_25 Depth=1
	v_dual_mov_b32 v8, v2 :: v_dual_mov_b32 v7, v1
	s_mov_b32 s10, 0
.LBB134_31:                             ;   Parent Loop BB134_25 Depth=1
                                        ; =>  This Inner Loop Header: Depth=2
	s_clause 0x3
	global_load_b128 v[11:14], v[7:8], off offset:-60
	global_load_b128 v[15:18], v[7:8], off offset:-44
	;; [unrolled: 1-line block ×4, first 2 shown]
	s_wait_alu 0xfffe
	v_mov_b32_e32 v39, s4
	v_add_co_u32 v7, vcc_lo, v7, 64
	s_wait_alu 0xfffd
	v_add_co_ci_u32_e64 v8, null, 0, v8, vcc_lo
	ds_load_b128 v[27:30], v39
	ds_load_b128 v[31:34], v39 offset:16
	ds_load_b128 v[35:38], v39 offset:32
	;; [unrolled: 1-line block ×3, first 2 shown]
	s_add_co_i32 s10, s10, 8
	s_add_co_i32 s4, s4, 64
	s_wait_alu 0xfffe
	s_cmp_eq_u32 s14, s10
	s_wait_loadcnt_dscnt 0x303
	v_dual_mul_f32 v43, v12, v28 :: v_dual_mul_f32 v44, v14, v30
	s_wait_loadcnt_dscnt 0x101
	v_mul_f32_e32 v48, v22, v38
	v_dual_mul_f32 v14, v14, v29 :: v_dual_mul_f32 v45, v16, v32
	s_delay_alu instid0(VALU_DEP_3) | instskip(SKIP_3) | instid1(VALU_DEP_3)
	v_dual_fmac_f32 v43, v11, v27 :: v_dual_mul_f32 v46, v18, v34
	v_dual_mul_f32 v47, v20, v36 :: v_dual_mul_f32 v18, v18, v33
	s_wait_loadcnt_dscnt 0x0
	v_dual_mul_f32 v49, v24, v40 :: v_dual_mul_f32 v22, v22, v37
	v_add_f32_e32 v5, v5, v43
	v_fmac_f32_e32 v44, v13, v29
	v_dual_mul_f32 v50, v26, v42 :: v_dual_fmac_f32 v45, v15, v31
	s_delay_alu instid0(VALU_DEP_4) | instskip(NEXT) | instid1(VALU_DEP_3)
	v_fmac_f32_e32 v49, v23, v39
	v_dual_mul_f32 v16, v16, v31 :: v_dual_add_f32 v5, v5, v44
	v_mul_f32_e32 v12, v12, v27
	v_mul_f32_e32 v20, v20, v35
	v_fmac_f32_e32 v46, v17, v33
	v_dual_mul_f32 v26, v26, v41 :: v_dual_fmac_f32 v47, v19, v35
	v_dual_add_f32 v5, v5, v45 :: v_dual_mul_f32 v24, v24, v39
	v_fma_f32 v11, v11, v28, -v12
	v_fma_f32 v12, v13, v30, -v14
	v_fmac_f32_e32 v48, v21, v37
	s_delay_alu instid0(VALU_DEP_4) | instskip(SKIP_1) | instid1(VALU_DEP_2)
	v_add_f32_e32 v5, v5, v46
	v_fmac_f32_e32 v50, v25, v41
	v_add_f32_e32 v5, v5, v47
	v_add_f32_e32 v6, v6, v11
	v_fma_f32 v11, v15, v32, -v16
	s_delay_alu instid0(VALU_DEP_3) | instskip(NEXT) | instid1(VALU_DEP_3)
	v_add_f32_e32 v5, v5, v48
	v_add_f32_e32 v6, v6, v12
	v_fma_f32 v12, v17, v34, -v18
	s_delay_alu instid0(VALU_DEP_2) | instskip(SKIP_1) | instid1(VALU_DEP_2)
	v_dual_add_f32 v5, v5, v49 :: v_dual_add_f32 v6, v6, v11
	v_fma_f32 v11, v19, v36, -v20
	v_dual_add_f32 v5, v5, v50 :: v_dual_add_f32 v6, v6, v12
	v_fma_f32 v12, v21, v38, -v22
	s_delay_alu instid0(VALU_DEP_2) | instskip(SKIP_1) | instid1(VALU_DEP_2)
	v_add_f32_e32 v6, v6, v11
	v_fma_f32 v11, v23, v40, -v24
	v_add_f32_e32 v6, v6, v12
	v_fma_f32 v12, v25, v42, -v26
	s_delay_alu instid0(VALU_DEP_2) | instskip(NEXT) | instid1(VALU_DEP_1)
	v_add_f32_e32 v6, v6, v11
	v_add_f32_e32 v6, v6, v12
	s_cbranch_scc0 .LBB134_31
; %bb.32:                               ;   in Loop: Header=BB134_25 Depth=1
	s_mov_b32 s4, s14
.LBB134_33:                             ;   in Loop: Header=BB134_25 Depth=1
	s_and_not1_b32 vcc_lo, exec_lo, s20
	s_wait_alu 0xfffe
	s_cbranch_vccnz .LBB134_23
; %bb.34:                               ;   in Loop: Header=BB134_25 Depth=1
	s_lshl_b64 s[10:11], s[4:5], 3
	s_lshl_b32 s4, s4, 3
	s_wait_alu 0xfffe
	v_add_co_u32 v7, vcc_lo, v9, s10
	s_wait_alu 0xfffd
	v_add_co_ci_u32_e64 v8, null, s11, v10, vcc_lo
	s_mov_b32 s10, s18
.LBB134_35:                             ;   Parent Loop BB134_25 Depth=1
                                        ; =>  This Inner Loop Header: Depth=2
	global_load_b64 v[11:12], v[7:8], off
	s_wait_alu 0xfffe
	v_mov_b32_e32 v13, s4
	v_add_co_u32 v7, vcc_lo, v7, 8
	s_wait_alu 0xfffd
	v_add_co_ci_u32_e64 v8, null, 0, v8, vcc_lo
	ds_load_b64 v[13:14], v13
	s_add_co_i32 s10, s10, -1
	s_add_co_i32 s4, s4, 8
	s_wait_alu 0xfffe
	s_cmp_lg_u32 s10, 0
	s_wait_loadcnt_dscnt 0x0
	v_mul_f32_e32 v15, v12, v14
	s_delay_alu instid0(VALU_DEP_1) | instskip(NEXT) | instid1(VALU_DEP_1)
	v_fmac_f32_e32 v15, v11, v13
	v_dual_mul_f32 v12, v12, v13 :: v_dual_add_f32 v5, v5, v15
	s_delay_alu instid0(VALU_DEP_1) | instskip(NEXT) | instid1(VALU_DEP_1)
	v_fma_f32 v11, v11, v14, -v12
	v_add_f32_e32 v6, v6, v11
	s_cbranch_scc1 .LBB134_35
	s_branch .LBB134_23
.LBB134_36:
	s_endpgm
	.section	.rodata,"a",@progbits
	.p2align	6, 0x0
	.amdhsa_kernel _ZL22rocblas_gemvtsm_kernelILb1ELi256E19rocblas_complex_numIfEPKS1_S1_EviiT2_lPKT1_lilS7_lilS4_lPT3_lil
		.amdhsa_group_segment_fixed_size 512
		.amdhsa_private_segment_fixed_size 0
		.amdhsa_kernarg_size 136
		.amdhsa_user_sgpr_count 2
		.amdhsa_user_sgpr_dispatch_ptr 0
		.amdhsa_user_sgpr_queue_ptr 0
		.amdhsa_user_sgpr_kernarg_segment_ptr 1
		.amdhsa_user_sgpr_dispatch_id 0
		.amdhsa_user_sgpr_private_segment_size 0
		.amdhsa_wavefront_size32 1
		.amdhsa_uses_dynamic_stack 0
		.amdhsa_enable_private_segment 0
		.amdhsa_system_sgpr_workgroup_id_x 1
		.amdhsa_system_sgpr_workgroup_id_y 0
		.amdhsa_system_sgpr_workgroup_id_z 0
		.amdhsa_system_sgpr_workgroup_info 0
		.amdhsa_system_vgpr_workitem_id 0
		.amdhsa_next_free_vgpr 51
		.amdhsa_next_free_sgpr 32
		.amdhsa_reserve_vcc 1
		.amdhsa_float_round_mode_32 0
		.amdhsa_float_round_mode_16_64 0
		.amdhsa_float_denorm_mode_32 3
		.amdhsa_float_denorm_mode_16_64 3
		.amdhsa_fp16_overflow 0
		.amdhsa_workgroup_processor_mode 1
		.amdhsa_memory_ordered 1
		.amdhsa_forward_progress 1
		.amdhsa_inst_pref_size 16
		.amdhsa_round_robin_scheduling 0
		.amdhsa_exception_fp_ieee_invalid_op 0
		.amdhsa_exception_fp_denorm_src 0
		.amdhsa_exception_fp_ieee_div_zero 0
		.amdhsa_exception_fp_ieee_overflow 0
		.amdhsa_exception_fp_ieee_underflow 0
		.amdhsa_exception_fp_ieee_inexact 0
		.amdhsa_exception_int_div_zero 0
	.end_amdhsa_kernel
	.section	.text._ZL22rocblas_gemvtsm_kernelILb1ELi256E19rocblas_complex_numIfEPKS1_S1_EviiT2_lPKT1_lilS7_lilS4_lPT3_lil,"axG",@progbits,_ZL22rocblas_gemvtsm_kernelILb1ELi256E19rocblas_complex_numIfEPKS1_S1_EviiT2_lPKT1_lilS7_lilS4_lPT3_lil,comdat
.Lfunc_end134:
	.size	_ZL22rocblas_gemvtsm_kernelILb1ELi256E19rocblas_complex_numIfEPKS1_S1_EviiT2_lPKT1_lilS7_lilS4_lPT3_lil, .Lfunc_end134-_ZL22rocblas_gemvtsm_kernelILb1ELi256E19rocblas_complex_numIfEPKS1_S1_EviiT2_lPKT1_lilS7_lilS4_lPT3_lil
                                        ; -- End function
	.set _ZL22rocblas_gemvtsm_kernelILb1ELi256E19rocblas_complex_numIfEPKS1_S1_EviiT2_lPKT1_lilS7_lilS4_lPT3_lil.num_vgpr, 51
	.set _ZL22rocblas_gemvtsm_kernelILb1ELi256E19rocblas_complex_numIfEPKS1_S1_EviiT2_lPKT1_lilS7_lilS4_lPT3_lil.num_agpr, 0
	.set _ZL22rocblas_gemvtsm_kernelILb1ELi256E19rocblas_complex_numIfEPKS1_S1_EviiT2_lPKT1_lilS7_lilS4_lPT3_lil.numbered_sgpr, 32
	.set _ZL22rocblas_gemvtsm_kernelILb1ELi256E19rocblas_complex_numIfEPKS1_S1_EviiT2_lPKT1_lilS7_lilS4_lPT3_lil.num_named_barrier, 0
	.set _ZL22rocblas_gemvtsm_kernelILb1ELi256E19rocblas_complex_numIfEPKS1_S1_EviiT2_lPKT1_lilS7_lilS4_lPT3_lil.private_seg_size, 0
	.set _ZL22rocblas_gemvtsm_kernelILb1ELi256E19rocblas_complex_numIfEPKS1_S1_EviiT2_lPKT1_lilS7_lilS4_lPT3_lil.uses_vcc, 1
	.set _ZL22rocblas_gemvtsm_kernelILb1ELi256E19rocblas_complex_numIfEPKS1_S1_EviiT2_lPKT1_lilS7_lilS4_lPT3_lil.uses_flat_scratch, 0
	.set _ZL22rocblas_gemvtsm_kernelILb1ELi256E19rocblas_complex_numIfEPKS1_S1_EviiT2_lPKT1_lilS7_lilS4_lPT3_lil.has_dyn_sized_stack, 0
	.set _ZL22rocblas_gemvtsm_kernelILb1ELi256E19rocblas_complex_numIfEPKS1_S1_EviiT2_lPKT1_lilS7_lilS4_lPT3_lil.has_recursion, 0
	.set _ZL22rocblas_gemvtsm_kernelILb1ELi256E19rocblas_complex_numIfEPKS1_S1_EviiT2_lPKT1_lilS7_lilS4_lPT3_lil.has_indirect_call, 0
	.section	.AMDGPU.csdata,"",@progbits
; Kernel info:
; codeLenInByte = 1984
; TotalNumSgprs: 34
; NumVgprs: 51
; ScratchSize: 0
; MemoryBound: 0
; FloatMode: 240
; IeeeMode: 1
; LDSByteSize: 512 bytes/workgroup (compile time only)
; SGPRBlocks: 0
; VGPRBlocks: 6
; NumSGPRsForWavesPerEU: 34
; NumVGPRsForWavesPerEU: 51
; Occupancy: 16
; WaveLimiterHint : 1
; COMPUTE_PGM_RSRC2:SCRATCH_EN: 0
; COMPUTE_PGM_RSRC2:USER_SGPR: 2
; COMPUTE_PGM_RSRC2:TRAP_HANDLER: 0
; COMPUTE_PGM_RSRC2:TGID_X_EN: 1
; COMPUTE_PGM_RSRC2:TGID_Y_EN: 0
; COMPUTE_PGM_RSRC2:TGID_Z_EN: 0
; COMPUTE_PGM_RSRC2:TIDIG_COMP_CNT: 0
	.section	.text._ZL22rocblas_gemvtsm_kernelILb1ELi256E19rocblas_complex_numIfES1_S1_EviiT2_lPKT1_lilS5_lilS2_lPT3_lil,"axG",@progbits,_ZL22rocblas_gemvtsm_kernelILb1ELi256E19rocblas_complex_numIfES1_S1_EviiT2_lPKT1_lilS5_lilS2_lPT3_lil,comdat
	.globl	_ZL22rocblas_gemvtsm_kernelILb1ELi256E19rocblas_complex_numIfES1_S1_EviiT2_lPKT1_lilS5_lilS2_lPT3_lil ; -- Begin function _ZL22rocblas_gemvtsm_kernelILb1ELi256E19rocblas_complex_numIfES1_S1_EviiT2_lPKT1_lilS5_lilS2_lPT3_lil
	.p2align	8
	.type	_ZL22rocblas_gemvtsm_kernelILb1ELi256E19rocblas_complex_numIfES1_S1_EviiT2_lPKT1_lilS5_lilS2_lPT3_lil,@function
_ZL22rocblas_gemvtsm_kernelILb1ELi256E19rocblas_complex_numIfES1_S1_EviiT2_lPKT1_lilS5_lilS2_lPT3_lil: ; @_ZL22rocblas_gemvtsm_kernelILb1ELi256E19rocblas_complex_numIfES1_S1_EviiT2_lPKT1_lilS5_lilS2_lPT3_lil
; %bb.0:
	s_clause 0x1
	s_load_b128 s[4:7], s[0:1], 0x0
	s_load_b64 s[2:3], s[0:1], 0x58
	s_wait_kmcnt 0x0
	s_cmp_neq_f32 s6, 0
	s_cselect_b32 s8, -1, 0
	s_cmp_neq_f32 s7, 0
	s_cselect_b32 s9, -1, 0
	s_delay_alu instid0(SALU_CYCLE_1) | instskip(NEXT) | instid1(SALU_CYCLE_1)
	s_or_b32 s8, s8, s9
	s_and_b32 vcc_lo, exec_lo, s8
	s_mov_b32 s8, -1
	s_cbranch_vccnz .LBB135_2
; %bb.1:
	s_cmp_neq_f32 s2, 1.0
	s_cselect_b32 s8, -1, 0
	s_cmp_neq_f32 s3, 0
	s_cselect_b32 s9, -1, 0
	s_delay_alu instid0(SALU_CYCLE_1)
	s_or_b32 s8, s8, s9
.LBB135_2:
	s_delay_alu instid0(SALU_CYCLE_1)
	s_and_not1_b32 vcc_lo, exec_lo, s8
	s_cbranch_vccnz .LBB135_36
; %bb.3:
	s_clause 0x2
	s_load_b64 s[12:13], s[0:1], 0x80
	s_load_b128 s[8:11], s[0:1], 0x68
	s_load_b32 s16, s[0:1], 0x78
	s_or_b32 s14, s6, s7
	s_mov_b32 s18, ttmp9
	s_bitset0_b32 s14, 31
	s_mov_b32 s19, 0
	s_cmp_lg_u32 s14, 0
	s_wait_kmcnt 0x0
	s_mul_u64 s[20:21], s[12:13], s[18:19]
	s_mov_b32 s12, -1
	s_cbranch_scc1 .LBB135_18
; %bb.4:
	s_cmp_neq_f32 s2, 0
	s_cselect_b32 s12, -1, 0
	s_cmp_neq_f32 s3, 0
	s_cselect_b32 s13, -1, 0
	s_delay_alu instid0(SALU_CYCLE_1)
	s_or_b32 s12, s12, s13
	s_cmp_gt_i32 s5, 0
	s_cselect_b32 s14, -1, 0
	s_and_b32 vcc_lo, exec_lo, s12
	s_mov_b32 s12, -1
	s_cbranch_vccnz .LBB135_11
; %bb.5:
	s_and_not1_b32 vcc_lo, exec_lo, s14
	s_cbranch_vccnz .LBB135_10
; %bb.6:
	v_mad_co_i64_i32 v[1:2], null, s16, v0, 0
	s_lshl_b64 s[12:13], s[10:11], 3
	s_lshl_b64 s[22:23], s[20:21], 3
	s_add_nc_u64 s[12:13], s[8:9], s[12:13]
	v_mov_b32_e32 v3, 0
	s_add_nc_u64 s[12:13], s[12:13], s[22:23]
	s_ashr_i32 s17, s16, 31
	v_lshlrev_b64_e32 v[1:2], 3, v[1:2]
	s_mov_b32 s15, 0
	s_delay_alu instid0(VALU_DEP_1) | instskip(NEXT) | instid1(VALU_DEP_1)
	v_add_co_u32 v1, vcc_lo, s12, v1
	v_add_co_ci_u32_e64 v2, null, s13, v2, vcc_lo
	s_wait_alu 0xfffe
	s_lshl_b64 s[12:13], s[16:17], 11
	s_delay_alu instid0(VALU_DEP_2)
	v_add_co_u32 v1, vcc_lo, v1, 4
	s_wait_alu 0xfffd
	v_add_co_ci_u32_e64 v2, null, 0, v2, vcc_lo
	s_branch .LBB135_8
.LBB135_7:                              ;   in Loop: Header=BB135_8 Depth=1
	s_wait_alu 0xfffe
	s_or_b32 exec_lo, exec_lo, s17
	v_add_co_u32 v1, vcc_lo, v1, s12
	s_wait_alu 0xfffd
	v_add_co_ci_u32_e64 v2, null, s13, v2, vcc_lo
	s_addk_co_i32 s15, 0x100
	s_wait_alu 0xfffe
	s_cmp_ge_i32 s15, s5
	s_cbranch_scc1 .LBB135_10
.LBB135_8:                              ; =>This Inner Loop Header: Depth=1
	v_add_nc_u32_e32 v4, s15, v0
	s_mov_b32 s17, exec_lo
	s_delay_alu instid0(VALU_DEP_1)
	v_cmpx_gt_i32_e64 s5, v4
	s_cbranch_execz .LBB135_7
; %bb.9:                                ;   in Loop: Header=BB135_8 Depth=1
	v_mov_b32_e32 v4, v3
	global_store_b64 v[1:2], v[3:4], off offset:-4
	s_branch .LBB135_7
.LBB135_10:
	s_mov_b32 s12, 0
.LBB135_11:
	s_wait_alu 0xfffe
	s_and_not1_b32 vcc_lo, exec_lo, s12
	s_wait_alu 0xfffe
	s_cbranch_vccnz .LBB135_17
; %bb.12:
	s_and_not1_b32 vcc_lo, exec_lo, s14
	s_wait_alu 0xfffe
	s_cbranch_vccnz .LBB135_17
; %bb.13:
	v_mad_co_i64_i32 v[1:2], null, s16, v0, 0
	s_lshl_b64 s[12:13], s[10:11], 3
	s_lshl_b64 s[14:15], s[20:21], 3
	s_wait_alu 0xfffe
	s_add_nc_u64 s[12:13], s[8:9], s[12:13]
	s_ashr_i32 s17, s16, 31
	s_wait_alu 0xfffe
	s_add_nc_u64 s[12:13], s[12:13], s[14:15]
	s_mov_b32 s14, 0
	v_lshlrev_b64_e32 v[1:2], 3, v[1:2]
	s_wait_alu 0xfffe
	s_delay_alu instid0(VALU_DEP_1) | instskip(SKIP_1) | instid1(VALU_DEP_2)
	v_add_co_u32 v1, vcc_lo, s12, v1
	s_wait_alu 0xfffd
	v_add_co_ci_u32_e64 v2, null, s13, v2, vcc_lo
	s_lshl_b64 s[12:13], s[16:17], 11
	v_add_co_u32 v1, vcc_lo, v1, 4
	s_wait_alu 0xfffd
	v_add_co_ci_u32_e64 v2, null, 0, v2, vcc_lo
	s_branch .LBB135_15
.LBB135_14:                             ;   in Loop: Header=BB135_15 Depth=1
	s_wait_alu 0xfffe
	s_or_b32 exec_lo, exec_lo, s15
	v_add_co_u32 v1, vcc_lo, v1, s12
	s_wait_alu 0xfffd
	v_add_co_ci_u32_e64 v2, null, s13, v2, vcc_lo
	s_addk_co_i32 s14, 0x100
	s_wait_alu 0xfffe
	s_cmp_ge_i32 s14, s5
	s_cbranch_scc1 .LBB135_17
.LBB135_15:                             ; =>This Inner Loop Header: Depth=1
	v_add_nc_u32_e32 v3, s14, v0
	s_mov_b32 s15, exec_lo
	s_delay_alu instid0(VALU_DEP_1)
	v_cmpx_gt_i32_e64 s5, v3
	s_cbranch_execz .LBB135_14
; %bb.16:                               ;   in Loop: Header=BB135_15 Depth=1
	global_load_b64 v[3:4], v[1:2], off offset:-4
	s_wait_loadcnt 0x0
	v_mul_f32_e32 v5, s2, v4
	s_delay_alu instid0(VALU_DEP_1) | instskip(NEXT) | instid1(VALU_DEP_1)
	v_dual_mul_f32 v6, s3, v4 :: v_dual_fmac_f32 v5, s3, v3
	v_fma_f32 v4, s2, v3, -v6
	global_store_b64 v[1:2], v[4:5], off offset:-4
	s_branch .LBB135_14
.LBB135_17:
	s_mov_b32 s12, 0
.LBB135_18:
	s_wait_alu 0xfffe
	s_and_not1_b32 vcc_lo, exec_lo, s12
	s_wait_alu 0xfffe
	s_cbranch_vccnz .LBB135_36
; %bb.19:
	s_clause 0x1
	s_load_b128 s[12:15], s[0:1], 0x30
	s_load_b64 s[22:23], s[0:1], 0x40
	s_mov_b32 s17, exec_lo
	v_cmpx_gt_i32_e64 s4, v0
	s_cbranch_execz .LBB135_21
; %bb.20:
	s_clause 0x1
	s_load_b32 s26, s[0:1], 0x48
	s_load_b64 s[24:25], s[0:1], 0x50
	s_wait_kmcnt 0x0
	s_lshl_b64 s[22:23], s[22:23], 3
	v_mad_co_i64_i32 v[1:2], null, s26, v0, 0
	s_mul_u64 s[24:25], s[24:25], s[18:19]
	s_delay_alu instid0(SALU_CYCLE_1) | instskip(NEXT) | instid1(SALU_CYCLE_1)
	s_lshl_b64 s[24:25], s[24:25], 3
	s_add_nc_u64 s[14:15], s[14:15], s[24:25]
	s_wait_alu 0xfffe
	s_add_nc_u64 s[14:15], s[14:15], s[22:23]
	v_lshlrev_b64_e32 v[1:2], 3, v[1:2]
	s_wait_alu 0xfffe
	s_delay_alu instid0(VALU_DEP_1) | instskip(SKIP_1) | instid1(VALU_DEP_2)
	v_add_co_u32 v1, vcc_lo, s14, v1
	s_wait_alu 0xfffd
	v_add_co_ci_u32_e64 v2, null, s15, v2, vcc_lo
	global_load_b64 v[1:2], v[1:2], off
	s_wait_loadcnt 0x0
	v_mul_f32_e32 v3, s6, v2
	s_delay_alu instid0(VALU_DEP_1) | instskip(NEXT) | instid1(VALU_DEP_1)
	v_dual_mul_f32 v4, s7, v2 :: v_dual_fmac_f32 v3, s7, v1
	v_fma_f32 v2, v1, s6, -v4
	v_lshlrev_b32_e32 v1, 3, v0
	ds_store_b64 v1, v[2:3]
.LBB135_21:
	s_wait_alu 0xfffe
	s_or_b32 exec_lo, exec_lo, s17
	s_cmp_lt_i32 s5, 1
	s_wait_storecnt_dscnt 0x0
	s_barrier_signal -1
	s_barrier_wait -1
	global_inv scope:SCOPE_SE
	s_cbranch_scc1 .LBB135_36
; %bb.22:
	s_load_b32 s24, s[0:1], 0x28
	s_lshl_b64 s[6:7], s[20:21], 3
	s_wait_kmcnt 0x0
	s_lshl_b64 s[14:15], s[10:11], 3
	s_ashr_i32 s10, s16, 31
	s_load_b128 s[20:23], s[0:1], 0x18
	s_mul_u64 s[18:19], s[12:13], s[18:19]
	s_add_nc_u64 s[0:1], s[8:9], s[6:7]
	s_mov_b32 s17, 0
	s_add_nc_u64 s[0:1], s[0:1], s[14:15]
	s_ashr_i32 s25, s24, 31
	s_cmp_neq_f32 s2, 0
	v_mad_co_i64_i32 v[1:2], null, s24, v0, 0
	s_cselect_b32 s11, -1, 0
	s_cmp_neq_f32 s3, 0
	v_lshlrev_b64_e32 v[1:2], 3, v[1:2]
	s_cselect_b32 s12, -1, 0
	s_wait_alu 0xfffe
	s_or_b32 s11, s11, s12
	s_cmp_gt_i32 s4, 0
	s_cselect_b32 s12, -1, 0
	s_and_b32 s13, s4, 7
	s_cmp_gt_u32 s4, 7
	s_cselect_b32 s14, -1, 0
	s_and_b32 s4, s4, 0x7ffffff8
	s_wait_alu 0xfffe
	s_cmp_lg_u32 s13, 0
	s_cselect_b32 s15, -1, 0
	s_wait_kmcnt 0x0
	s_lshl_b64 s[6:7], s[22:23], 3
	s_lshl_b64 s[8:9], s[18:19], 3
	s_wait_alu 0xfffe
	s_add_nc_u64 s[6:7], s[20:21], s[6:7]
	s_wait_alu 0xfffe
	s_add_nc_u64 s[6:7], s[6:7], s[8:9]
	s_lshl_b64 s[8:9], s[24:25], 11
	s_wait_alu 0xfffe
	v_add_co_u32 v9, vcc_lo, s6, v1
	s_wait_alu 0xfffd
	v_add_co_ci_u32_e64 v10, null, s7, v2, vcc_lo
	s_mov_b32 s7, 0
	v_add_co_u32 v1, vcc_lo, v9, 60
	s_wait_alu 0xfffd
	v_add_co_ci_u32_e64 v2, null, 0, v10, vcc_lo
	s_branch .LBB135_25
.LBB135_23:                             ;   in Loop: Header=BB135_25 Depth=1
	v_add_co_u32 v3, vcc_lo, s0, v3
	s_wait_alu 0xfffd
	v_add_co_ci_u32_e64 v4, null, s1, v4, vcc_lo
	global_store_b64 v[3:4], v[5:6], off
.LBB135_24:                             ;   in Loop: Header=BB135_25 Depth=1
	s_or_b32 exec_lo, exec_lo, s18
	v_add_co_u32 v1, vcc_lo, v1, s8
	s_wait_alu 0xfffd
	v_add_co_ci_u32_e64 v2, null, s9, v2, vcc_lo
	v_add_co_u32 v9, vcc_lo, v9, s8
	s_wait_alu 0xfffd
	v_add_co_ci_u32_e64 v10, null, s9, v10, vcc_lo
	s_addk_co_i32 s17, 0x100
	s_wait_alu 0xfffe
	s_cmp_ge_i32 s17, s5
	s_cbranch_scc1 .LBB135_36
.LBB135_25:                             ; =>This Loop Header: Depth=1
                                        ;     Child Loop BB135_31 Depth 2
                                        ;     Child Loop BB135_35 Depth 2
	v_add_nc_u32_e32 v3, s17, v0
	s_mov_b32 s18, exec_lo
	s_delay_alu instid0(VALU_DEP_1)
	v_cmpx_gt_i32_e64 s5, v3
	s_cbranch_execz .LBB135_24
; %bb.26:                               ;   in Loop: Header=BB135_25 Depth=1
	v_mad_co_u64_u32 v[6:7], null, v3, s16, 0
	s_and_not1_b32 vcc_lo, exec_lo, s11
	v_mov_b32_e32 v4, v7
	s_delay_alu instid0(VALU_DEP_1) | instskip(SKIP_1) | instid1(VALU_DEP_2)
	v_mad_co_u64_u32 v[3:4], null, v3, s10, v[4:5]
	v_mov_b32_e32 v5, 0
	v_mov_b32_e32 v7, v3
	s_delay_alu instid0(VALU_DEP_1)
	v_lshlrev_b64_e32 v[3:4], 3, v[6:7]
	v_mov_b32_e32 v6, 0
	s_wait_alu 0xfffe
	s_cbranch_vccnz .LBB135_28
; %bb.27:                               ;   in Loop: Header=BB135_25 Depth=1
	s_delay_alu instid0(VALU_DEP_2)
	v_add_co_u32 v5, vcc_lo, s0, v3
	s_wait_alu 0xfffd
	v_add_co_ci_u32_e64 v6, null, s1, v4, vcc_lo
	global_load_b64 v[7:8], v[5:6], off
	s_wait_loadcnt 0x0
	v_mul_f32_e32 v6, s2, v8
	s_delay_alu instid0(VALU_DEP_1) | instskip(NEXT) | instid1(VALU_DEP_1)
	v_dual_mul_f32 v5, s3, v8 :: v_dual_fmac_f32 v6, s3, v7
	v_fma_f32 v5, s2, v7, -v5
.LBB135_28:                             ;   in Loop: Header=BB135_25 Depth=1
	s_and_not1_b32 vcc_lo, exec_lo, s12
	s_wait_alu 0xfffe
	s_cbranch_vccnz .LBB135_23
; %bb.29:                               ;   in Loop: Header=BB135_25 Depth=1
	s_and_not1_b32 vcc_lo, exec_lo, s14
	s_mov_b32 s6, 0
	s_wait_alu 0xfffe
	s_cbranch_vccnz .LBB135_33
; %bb.30:                               ;   in Loop: Header=BB135_25 Depth=1
	v_dual_mov_b32 v8, v2 :: v_dual_mov_b32 v7, v1
	s_mov_b32 s19, 0
.LBB135_31:                             ;   Parent Loop BB135_25 Depth=1
                                        ; =>  This Inner Loop Header: Depth=2
	s_clause 0x3
	global_load_b128 v[11:14], v[7:8], off offset:-60
	global_load_b128 v[15:18], v[7:8], off offset:-44
	;; [unrolled: 1-line block ×4, first 2 shown]
	s_wait_alu 0xfffe
	v_mov_b32_e32 v39, s6
	v_add_co_u32 v7, vcc_lo, v7, 64
	s_wait_alu 0xfffd
	v_add_co_ci_u32_e64 v8, null, 0, v8, vcc_lo
	ds_load_b128 v[27:30], v39
	ds_load_b128 v[31:34], v39 offset:16
	ds_load_b128 v[35:38], v39 offset:32
	;; [unrolled: 1-line block ×3, first 2 shown]
	s_add_co_i32 s19, s19, 8
	s_add_co_i32 s6, s6, 64
	s_cmp_eq_u32 s4, s19
	s_wait_loadcnt_dscnt 0x303
	v_dual_mul_f32 v43, v12, v28 :: v_dual_mul_f32 v44, v14, v30
	s_wait_loadcnt_dscnt 0x101
	v_mul_f32_e32 v48, v22, v38
	v_dual_mul_f32 v14, v14, v29 :: v_dual_mul_f32 v45, v16, v32
	s_delay_alu instid0(VALU_DEP_3) | instskip(SKIP_3) | instid1(VALU_DEP_3)
	v_dual_fmac_f32 v43, v11, v27 :: v_dual_mul_f32 v46, v18, v34
	v_dual_mul_f32 v47, v20, v36 :: v_dual_mul_f32 v18, v18, v33
	s_wait_loadcnt_dscnt 0x0
	v_dual_mul_f32 v49, v24, v40 :: v_dual_mul_f32 v22, v22, v37
	v_add_f32_e32 v5, v5, v43
	v_fmac_f32_e32 v44, v13, v29
	v_dual_mul_f32 v50, v26, v42 :: v_dual_fmac_f32 v45, v15, v31
	s_delay_alu instid0(VALU_DEP_4) | instskip(NEXT) | instid1(VALU_DEP_3)
	v_fmac_f32_e32 v49, v23, v39
	v_dual_mul_f32 v16, v16, v31 :: v_dual_add_f32 v5, v5, v44
	v_mul_f32_e32 v12, v12, v27
	v_mul_f32_e32 v20, v20, v35
	v_fmac_f32_e32 v46, v17, v33
	v_dual_mul_f32 v26, v26, v41 :: v_dual_fmac_f32 v47, v19, v35
	v_dual_add_f32 v5, v5, v45 :: v_dual_mul_f32 v24, v24, v39
	v_fma_f32 v11, v11, v28, -v12
	v_fma_f32 v12, v13, v30, -v14
	v_fmac_f32_e32 v48, v21, v37
	s_delay_alu instid0(VALU_DEP_4) | instskip(SKIP_1) | instid1(VALU_DEP_2)
	v_add_f32_e32 v5, v5, v46
	v_fmac_f32_e32 v50, v25, v41
	v_add_f32_e32 v5, v5, v47
	v_add_f32_e32 v6, v6, v11
	v_fma_f32 v11, v15, v32, -v16
	s_delay_alu instid0(VALU_DEP_3) | instskip(NEXT) | instid1(VALU_DEP_3)
	v_add_f32_e32 v5, v5, v48
	v_add_f32_e32 v6, v6, v12
	v_fma_f32 v12, v17, v34, -v18
	s_delay_alu instid0(VALU_DEP_2) | instskip(SKIP_1) | instid1(VALU_DEP_2)
	v_dual_add_f32 v5, v5, v49 :: v_dual_add_f32 v6, v6, v11
	v_fma_f32 v11, v19, v36, -v20
	v_dual_add_f32 v5, v5, v50 :: v_dual_add_f32 v6, v6, v12
	v_fma_f32 v12, v21, v38, -v22
	s_delay_alu instid0(VALU_DEP_2) | instskip(SKIP_1) | instid1(VALU_DEP_2)
	v_add_f32_e32 v6, v6, v11
	v_fma_f32 v11, v23, v40, -v24
	v_add_f32_e32 v6, v6, v12
	v_fma_f32 v12, v25, v42, -v26
	s_delay_alu instid0(VALU_DEP_2) | instskip(NEXT) | instid1(VALU_DEP_1)
	v_add_f32_e32 v6, v6, v11
	v_add_f32_e32 v6, v6, v12
	s_cbranch_scc0 .LBB135_31
; %bb.32:                               ;   in Loop: Header=BB135_25 Depth=1
	s_mov_b32 s6, s4
.LBB135_33:                             ;   in Loop: Header=BB135_25 Depth=1
	s_and_not1_b32 vcc_lo, exec_lo, s15
	s_wait_alu 0xfffe
	s_cbranch_vccnz .LBB135_23
; %bb.34:                               ;   in Loop: Header=BB135_25 Depth=1
	s_lshl_b64 s[20:21], s[6:7], 3
	s_lshl_b32 s6, s6, 3
	s_wait_alu 0xfffe
	v_add_co_u32 v7, vcc_lo, v9, s20
	s_wait_alu 0xfffd
	v_add_co_ci_u32_e64 v8, null, s21, v10, vcc_lo
	s_mov_b32 s19, s13
.LBB135_35:                             ;   Parent Loop BB135_25 Depth=1
                                        ; =>  This Inner Loop Header: Depth=2
	global_load_b64 v[11:12], v[7:8], off
	s_wait_alu 0xfffe
	v_mov_b32_e32 v13, s6
	v_add_co_u32 v7, vcc_lo, v7, 8
	s_wait_alu 0xfffd
	v_add_co_ci_u32_e64 v8, null, 0, v8, vcc_lo
	ds_load_b64 v[13:14], v13
	s_add_co_i32 s19, s19, -1
	s_add_co_i32 s6, s6, 8
	s_cmp_lg_u32 s19, 0
	s_wait_loadcnt_dscnt 0x0
	v_mul_f32_e32 v15, v12, v14
	s_delay_alu instid0(VALU_DEP_1) | instskip(NEXT) | instid1(VALU_DEP_1)
	v_fmac_f32_e32 v15, v11, v13
	v_dual_mul_f32 v12, v12, v13 :: v_dual_add_f32 v5, v5, v15
	s_delay_alu instid0(VALU_DEP_1) | instskip(NEXT) | instid1(VALU_DEP_1)
	v_fma_f32 v11, v11, v14, -v12
	v_add_f32_e32 v6, v6, v11
	s_cbranch_scc1 .LBB135_35
	s_branch .LBB135_23
.LBB135_36:
	s_endpgm
	.section	.rodata,"a",@progbits
	.p2align	6, 0x0
	.amdhsa_kernel _ZL22rocblas_gemvtsm_kernelILb1ELi256E19rocblas_complex_numIfES1_S1_EviiT2_lPKT1_lilS5_lilS2_lPT3_lil
		.amdhsa_group_segment_fixed_size 512
		.amdhsa_private_segment_fixed_size 0
		.amdhsa_kernarg_size 136
		.amdhsa_user_sgpr_count 2
		.amdhsa_user_sgpr_dispatch_ptr 0
		.amdhsa_user_sgpr_queue_ptr 0
		.amdhsa_user_sgpr_kernarg_segment_ptr 1
		.amdhsa_user_sgpr_dispatch_id 0
		.amdhsa_user_sgpr_private_segment_size 0
		.amdhsa_wavefront_size32 1
		.amdhsa_uses_dynamic_stack 0
		.amdhsa_enable_private_segment 0
		.amdhsa_system_sgpr_workgroup_id_x 1
		.amdhsa_system_sgpr_workgroup_id_y 0
		.amdhsa_system_sgpr_workgroup_id_z 0
		.amdhsa_system_sgpr_workgroup_info 0
		.amdhsa_system_vgpr_workitem_id 0
		.amdhsa_next_free_vgpr 51
		.amdhsa_next_free_sgpr 27
		.amdhsa_reserve_vcc 1
		.amdhsa_float_round_mode_32 0
		.amdhsa_float_round_mode_16_64 0
		.amdhsa_float_denorm_mode_32 3
		.amdhsa_float_denorm_mode_16_64 3
		.amdhsa_fp16_overflow 0
		.amdhsa_workgroup_processor_mode 1
		.amdhsa_memory_ordered 1
		.amdhsa_forward_progress 1
		.amdhsa_inst_pref_size 16
		.amdhsa_round_robin_scheduling 0
		.amdhsa_exception_fp_ieee_invalid_op 0
		.amdhsa_exception_fp_denorm_src 0
		.amdhsa_exception_fp_ieee_div_zero 0
		.amdhsa_exception_fp_ieee_overflow 0
		.amdhsa_exception_fp_ieee_underflow 0
		.amdhsa_exception_fp_ieee_inexact 0
		.amdhsa_exception_int_div_zero 0
	.end_amdhsa_kernel
	.section	.text._ZL22rocblas_gemvtsm_kernelILb1ELi256E19rocblas_complex_numIfES1_S1_EviiT2_lPKT1_lilS5_lilS2_lPT3_lil,"axG",@progbits,_ZL22rocblas_gemvtsm_kernelILb1ELi256E19rocblas_complex_numIfES1_S1_EviiT2_lPKT1_lilS5_lilS2_lPT3_lil,comdat
.Lfunc_end135:
	.size	_ZL22rocblas_gemvtsm_kernelILb1ELi256E19rocblas_complex_numIfES1_S1_EviiT2_lPKT1_lilS5_lilS2_lPT3_lil, .Lfunc_end135-_ZL22rocblas_gemvtsm_kernelILb1ELi256E19rocblas_complex_numIfES1_S1_EviiT2_lPKT1_lilS5_lilS2_lPT3_lil
                                        ; -- End function
	.set _ZL22rocblas_gemvtsm_kernelILb1ELi256E19rocblas_complex_numIfES1_S1_EviiT2_lPKT1_lilS5_lilS2_lPT3_lil.num_vgpr, 51
	.set _ZL22rocblas_gemvtsm_kernelILb1ELi256E19rocblas_complex_numIfES1_S1_EviiT2_lPKT1_lilS5_lilS2_lPT3_lil.num_agpr, 0
	.set _ZL22rocblas_gemvtsm_kernelILb1ELi256E19rocblas_complex_numIfES1_S1_EviiT2_lPKT1_lilS5_lilS2_lPT3_lil.numbered_sgpr, 27
	.set _ZL22rocblas_gemvtsm_kernelILb1ELi256E19rocblas_complex_numIfES1_S1_EviiT2_lPKT1_lilS5_lilS2_lPT3_lil.num_named_barrier, 0
	.set _ZL22rocblas_gemvtsm_kernelILb1ELi256E19rocblas_complex_numIfES1_S1_EviiT2_lPKT1_lilS5_lilS2_lPT3_lil.private_seg_size, 0
	.set _ZL22rocblas_gemvtsm_kernelILb1ELi256E19rocblas_complex_numIfES1_S1_EviiT2_lPKT1_lilS5_lilS2_lPT3_lil.uses_vcc, 1
	.set _ZL22rocblas_gemvtsm_kernelILb1ELi256E19rocblas_complex_numIfES1_S1_EviiT2_lPKT1_lilS5_lilS2_lPT3_lil.uses_flat_scratch, 0
	.set _ZL22rocblas_gemvtsm_kernelILb1ELi256E19rocblas_complex_numIfES1_S1_EviiT2_lPKT1_lilS5_lilS2_lPT3_lil.has_dyn_sized_stack, 0
	.set _ZL22rocblas_gemvtsm_kernelILb1ELi256E19rocblas_complex_numIfES1_S1_EviiT2_lPKT1_lilS5_lilS2_lPT3_lil.has_recursion, 0
	.set _ZL22rocblas_gemvtsm_kernelILb1ELi256E19rocblas_complex_numIfES1_S1_EviiT2_lPKT1_lilS5_lilS2_lPT3_lil.has_indirect_call, 0
	.section	.AMDGPU.csdata,"",@progbits
; Kernel info:
; codeLenInByte = 1936
; TotalNumSgprs: 29
; NumVgprs: 51
; ScratchSize: 0
; MemoryBound: 0
; FloatMode: 240
; IeeeMode: 1
; LDSByteSize: 512 bytes/workgroup (compile time only)
; SGPRBlocks: 0
; VGPRBlocks: 6
; NumSGPRsForWavesPerEU: 29
; NumVGPRsForWavesPerEU: 51
; Occupancy: 16
; WaveLimiterHint : 1
; COMPUTE_PGM_RSRC2:SCRATCH_EN: 0
; COMPUTE_PGM_RSRC2:USER_SGPR: 2
; COMPUTE_PGM_RSRC2:TRAP_HANDLER: 0
; COMPUTE_PGM_RSRC2:TGID_X_EN: 1
; COMPUTE_PGM_RSRC2:TGID_Y_EN: 0
; COMPUTE_PGM_RSRC2:TGID_Z_EN: 0
; COMPUTE_PGM_RSRC2:TIDIG_COMP_CNT: 0
	.section	.text._ZL23rocblas_gemvt_sn_kernelILb1ELi256ELi4Ei19rocblas_complex_numIfEPKS1_S1_EviiT4_lPKT3_lilS7_lilPT5_i,"axG",@progbits,_ZL23rocblas_gemvt_sn_kernelILb1ELi256ELi4Ei19rocblas_complex_numIfEPKS1_S1_EviiT4_lPKT3_lilS7_lilPT5_i,comdat
	.globl	_ZL23rocblas_gemvt_sn_kernelILb1ELi256ELi4Ei19rocblas_complex_numIfEPKS1_S1_EviiT4_lPKT3_lilS7_lilPT5_i ; -- Begin function _ZL23rocblas_gemvt_sn_kernelILb1ELi256ELi4Ei19rocblas_complex_numIfEPKS1_S1_EviiT4_lPKT3_lilS7_lilPT5_i
	.p2align	8
	.type	_ZL23rocblas_gemvt_sn_kernelILb1ELi256ELi4Ei19rocblas_complex_numIfEPKS1_S1_EviiT4_lPKT3_lilS7_lilPT5_i,@function
_ZL23rocblas_gemvt_sn_kernelILb1ELi256ELi4Ei19rocblas_complex_numIfEPKS1_S1_EviiT4_lPKT3_lilS7_lilPT5_i: ; @_ZL23rocblas_gemvt_sn_kernelILb1ELi256ELi4Ei19rocblas_complex_numIfEPKS1_S1_EviiT4_lPKT3_lilS7_lilPT5_i
; %bb.0:
	s_load_b32 s11, s[0:1], 0x60
	s_lshr_b32 s28, ttmp7, 16
	s_wait_kmcnt 0x0
	s_cmp_ge_u32 s28, s11
	s_cbranch_scc1 .LBB136_80
; %bb.1:
	s_clause 0x6
	s_load_b96 s[8:10], s[0:1], 0x40
	s_load_b256 s[12:19], s[0:1], 0x8
	s_load_b64 s[34:35], s[0:1], 0x0
	s_load_b128 s[20:23], s[0:1], 0x30
	s_load_b32 s36, s[0:1], 0x68
	s_load_b32 s33, s[0:1], 0x28
	s_load_b128 s[24:27], s[0:1], 0x50
	v_cmp_eq_u32_e64 s0, 0, v0
	s_mov_b32 s39, 0
	v_mbcnt_lo_u32_b32 v36, -1, 0
	s_mov_b32 s30, ttmp9
	s_mov_b32 s31, s39
	s_mov_b32 s37, s39
	s_wait_kmcnt 0x0
	s_lshl_b64 s[2:3], s[8:9], 3
	s_lshl_b64 s[4:5], s[18:19], 3
	s_ashr_i32 s7, s35, 31
	s_cmp_gt_i32 s35, 0
	s_add_nc_u64 s[18:19], s[22:23], s[2:3]
	s_add_nc_u64 s[2:3], s[16:17], s[4:5]
	s_cselect_b32 s1, -1, 0
	s_lshl_b32 s4, ttmp9, 10
	s_lshr_b32 s5, s7, 30
	v_lshl_or_b32 v2, v0, 2, s4
	s_ashr_i32 s4, s34, 31
	s_and_b32 s58, s0, s1
	s_wait_alu 0xfffe
	s_lshr_b32 s4, s4, 30
	s_add_co_i32 s1, s35, s5
	v_mul_lo_u32 v1, s10, v2
	v_ashrrev_i32_e32 v3, 31, v2
	s_wait_alu 0xfffe
	s_add_co_i32 s4, s34, s4
	s_and_b32 s59, s1, -4
	s_wait_alu 0xfffe
	s_and_b32 s1, s4, -4
	v_add_nc_u32_e32 v5, 4, v2
	v_lshlrev_b64_e32 v[3:4], 3, v[2:3]
	s_sub_co_i32 s60, s34, s1
	v_add_nc_u32_e32 v7, s10, v1
	v_add_nc_u32_e32 v2, s60, v2
	v_cmp_gt_u32_e64 s5, 8, v0
	s_cmp_gt_i32 s59, 0
	v_add_co_u32 v31, vcc_lo, s2, v3
	v_lshrrev_b32_e32 v3, 2, v0
	v_add_nc_u32_e32 v9, s10, v7
	v_add_co_ci_u32_e64 v32, null, s3, v4, vcc_lo
	v_cmp_gt_u32_e64 s3, 32, v0
	s_delay_alu instid0(VALU_DEP_4) | instskip(NEXT) | instid1(VALU_DEP_4)
	v_and_b32_e32 v33, 56, v3
	v_add_nc_u32_e32 v11, s10, v9
	v_mov_b32_e32 v3, 0
	v_cmp_ge_i32_e64 s2, s34, v2
	v_and_b32_e32 v2, 31, v0
	v_ashrrev_i32_e32 v8, 31, v7
	v_ashrrev_i32_e32 v10, 31, v9
	;; [unrolled: 1-line block ×3, first 2 shown]
	s_cselect_b32 s61, -1, 0
	v_cmp_eq_u32_e64 s4, 0, v2
	v_lshlrev_b32_e32 v0, 3, v2
	v_ashrrev_i32_e32 v2, 31, v1
	s_cmp_gt_i32 s60, 0
	v_add_co_u32 v34, vcc_lo, v31, 4
	s_mov_b32 s6, s35
	v_cmp_ge_i32_e64 s1, s34, v5
	s_cselect_b32 s34, -1, 0
	s_lshl_b64 s[22:23], s[30:31], 3
	v_lshlrev_b64_e32 v[5:6], 3, v[1:2]
	v_lshlrev_b64_e32 v[7:8], 3, v[7:8]
	;; [unrolled: 1-line block ×4, first 2 shown]
	s_wait_alu 0xfffd
	v_add_co_ci_u32_e64 v35, null, 0, v32, vcc_lo
	v_lshl_or_b32 v2, v36, 2, 64
	s_mul_u64 s[16:17], s[6:7], s[36:37]
	s_add_nc_u64 s[6:7], s[26:27], s[22:23]
	s_wait_alu 0xfffe
	s_and_b32 s31, s34, s2
	s_add_nc_u64 s[40:41], s[6:7], 4
	s_lshl_b64 s[42:43], s[16:17], 3
	s_lshl_b64 s[44:45], s[36:37], 3
	s_lshl_b32 s62, s33, 2
	s_lshl_b32 s63, s33, 1
	s_mul_i32 s64, s33, 3
	s_or_b32 s65, 0, 4
	s_lshl_b64 s[46:47], s[20:21], 3
	s_branch .LBB136_3
.LBB136_2:                              ;   in Loop: Header=BB136_3 Depth=1
	s_add_co_i32 s28, s28, 0x10000
	s_delay_alu instid0(SALU_CYCLE_1)
	s_cmp_lt_u32 s28, s11
	s_cbranch_scc0 .LBB136_80
.LBB136_3:                              ; =>This Loop Header: Depth=1
                                        ;     Child Loop BB136_6 Depth 2
                                        ;     Child Loop BB136_12 Depth 2
                                        ;       Child Loop BB136_43 Depth 3
                                        ;       Child Loop BB136_45 Depth 3
                                        ;     Child Loop BB136_61 Depth 2
                                        ;       Child Loop BB136_73 Depth 3
                                        ;       Child Loop BB136_75 Depth 3
	s_mov_b32 s29, s39
	s_delay_alu instid0(SALU_CYCLE_1)
	s_mul_u64 s[6:7], s[14:15], s[28:29]
	s_wait_alu 0xfffe
	s_lshl_b64 s[6:7], s[6:7], 3
	s_wait_alu 0xfffe
	s_add_nc_u64 s[6:7], s[12:13], s[6:7]
	global_load_b64 v[13:14], v3, s[6:7]
	s_mov_b32 s6, -1
	s_wait_loadcnt 0x0
	v_or_b32_e32 v4, v13, v14
	s_delay_alu instid0(VALU_DEP_1) | instskip(NEXT) | instid1(VALU_DEP_1)
	v_and_b32_e32 v4, 0x7fffffff, v4
	v_cmp_ne_u32_e32 vcc_lo, 0, v4
	s_cbranch_vccnz .LBB136_8
; %bb.4:                                ;   in Loop: Header=BB136_3 Depth=1
	s_and_saveexec_b32 s8, s58
	s_cbranch_execz .LBB136_7
; %bb.5:                                ;   in Loop: Header=BB136_3 Depth=1
	s_mul_u64 s[6:7], s[42:43], s[28:29]
	s_mov_b32 s9, s35
	s_wait_alu 0xfffe
	s_add_nc_u64 s[6:7], s[40:41], s[6:7]
.LBB136_6:                              ;   Parent Loop BB136_3 Depth=1
                                        ; =>  This Inner Loop Header: Depth=2
	v_mov_b32_e32 v4, v3
	s_add_co_i32 s9, s9, -1
	s_wait_alu 0xfffe
	s_cmp_eq_u32 s9, 0
	global_store_b64 v3, v[3:4], s[6:7] offset:-4
	s_add_nc_u64 s[6:7], s[6:7], s[44:45]
	s_cbranch_scc0 .LBB136_6
.LBB136_7:                              ;   in Loop: Header=BB136_3 Depth=1
	s_wait_alu 0xfffe
	s_or_b32 exec_lo, exec_lo, s8
	s_mov_b32 s6, 0
.LBB136_8:                              ;   in Loop: Header=BB136_3 Depth=1
	s_wait_alu 0xfffe
	s_and_not1_b32 vcc_lo, exec_lo, s6
	s_wait_alu 0xfffe
	s_cbranch_vccnz .LBB136_2
; %bb.9:                                ;   in Loop: Header=BB136_3 Depth=1
	s_mul_u64 s[6:7], s[24:25], s[28:29]
	s_mul_u64 s[8:9], s[20:21], s[28:29]
	s_wait_alu 0xfffe
	s_lshl_b64 s[6:7], s[6:7], 3
	s_mul_u64 s[52:53], s[16:17], s[28:29]
	s_wait_alu 0xfffe
	s_add_nc_u64 s[48:49], s[18:19], s[6:7]
	s_lshl_b64 s[6:7], s[8:9], 3
	v_cmp_gt_u32_e64 s9, 24, v36
	s_wait_alu 0xfffe
	v_add_co_u32 v37, vcc_lo, v31, s6
	s_wait_alu 0xfffd
	v_add_co_ci_u32_e64 v38, null, s7, v32, vcc_lo
	v_cmp_gt_u32_e64 s8, 28, v36
	v_cmp_gt_u32_e64 s7, 30, v36
	v_cmp_ne_u32_e64 s6, 31, v36
	s_lshl_b64 s[52:53], s[52:53], 3
	s_mul_u64 s[50:51], s[46:47], s[28:29]
	s_and_not1_b32 vcc_lo, exec_lo, s61
	s_wait_alu 0xfffe
	s_add_nc_u64 s[52:53], s[26:27], s[52:53]
	s_cbranch_vccnz .LBB136_57
; %bb.10:                               ;   in Loop: Header=BB136_3 Depth=1
	v_cndmask_b32_e64 v15, 0, 4, s8
	v_cndmask_b32_e64 v16, 0, 2, s7
	v_add_co_ci_u32_e64 v17, null, 0, v36, s6
	v_cndmask_b32_e64 v4, 0, 8, s9
	s_delay_alu instid0(VALU_DEP_4)
	v_add_lshl_u32 v40, v15, v36, 2
	v_add_co_u32 v15, vcc_lo, s48, v5
	v_add_lshl_u32 v41, v16, v36, 2
	v_lshlrev_b32_e32 v42, 2, v17
	s_wait_alu 0xfffd
	v_add_co_ci_u32_e64 v16, null, s49, v6, vcc_lo
	v_add_co_u32 v17, vcc_lo, s48, v7
	s_wait_alu 0xfffd
	v_add_co_ci_u32_e64 v18, null, s49, v8, vcc_lo
	v_add_co_u32 v19, vcc_lo, s48, v9
	;; [unrolled: 3-line block ×4, first 2 shown]
	v_add_lshl_u32 v39, v4, v36, 2
	s_wait_alu 0xfffd
	v_add_co_ci_u32_e64 v44, null, s51, v35, vcc_lo
	s_mov_b32 s6, 0
	s_mov_b32 s66, s64
	;; [unrolled: 1-line block ×5, first 2 shown]
	s_branch .LBB136_12
.LBB136_11:                             ;   in Loop: Header=BB136_12 Depth=2
	s_wait_alu 0xfffe
	s_or_b32 exec_lo, exec_lo, s7
	s_add_co_i32 s29, s29, 4
	s_add_co_i32 s68, s68, s62
	;; [unrolled: 1-line block ×5, first 2 shown]
	s_cmp_ge_i32 s29, s59
	s_cbranch_scc1 .LBB136_58
.LBB136_12:                             ;   Parent Loop BB136_3 Depth=1
                                        ; =>  This Loop Header: Depth=2
                                        ;       Child Loop BB136_43 Depth 3
                                        ;       Child Loop BB136_45 Depth 3
                                        ; implicit-def: $vgpr45
                                        ; implicit-def: $vgpr46
                                        ; implicit-def: $vgpr25
                                        ; implicit-def: $vgpr26
                                        ; implicit-def: $vgpr27
                                        ; implicit-def: $vgpr28
                                        ; implicit-def: $vgpr30
                                        ; implicit-def: $vgpr29
	s_and_saveexec_b32 s7, s1
	s_wait_alu 0xfffe
	s_xor_b32 s7, exec_lo, s7
	s_cbranch_execnz .LBB136_39
; %bb.13:                               ;   in Loop: Header=BB136_12 Depth=2
	s_wait_alu 0xfffe
	s_and_not1_saveexec_b32 s38, s7
	s_cbranch_execnz .LBB136_40
.LBB136_14:                             ;   in Loop: Header=BB136_12 Depth=2
	s_or_b32 exec_lo, exec_lo, s38
	s_and_saveexec_b32 s7, s3
.LBB136_15:                             ;   in Loop: Header=BB136_12 Depth=2
	v_mov_b32_e32 v4, v3
	ds_store_b64 v0, v[3:4]
.LBB136_16:                             ;   in Loop: Header=BB136_12 Depth=2
	s_wait_alu 0xfffe
	s_or_b32 exec_lo, exec_lo, s7
	ds_bpermute_b32 v4, v2, v45
	s_wait_dscnt 0x1
	ds_bpermute_b32 v23, v2, v46
	s_wait_storecnt_dscnt 0x0
	s_barrier_signal -1
	s_barrier_wait -1
	global_inv scope:SCOPE_SE
	v_dual_add_f32 v4, v45, v4 :: v_dual_add_f32 v23, v46, v23
	ds_bpermute_b32 v24, v39, v4
	ds_bpermute_b32 v45, v39, v23
	s_wait_dscnt 0x0
	v_dual_add_f32 v4, v4, v24 :: v_dual_add_f32 v23, v23, v45
	ds_bpermute_b32 v24, v40, v4
	ds_bpermute_b32 v45, v40, v23
	s_wait_dscnt 0x0
	;; [unrolled: 4-line block ×3, first 2 shown]
	v_dual_add_f32 v4, v4, v24 :: v_dual_add_f32 v23, v23, v45
	ds_bpermute_b32 v24, v42, v4
	ds_bpermute_b32 v45, v42, v23
	s_and_saveexec_b32 s7, s4
	s_cbranch_execz .LBB136_18
; %bb.17:                               ;   in Loop: Header=BB136_12 Depth=2
	s_wait_dscnt 0x0
	v_dual_add_f32 v46, v23, v45 :: v_dual_add_f32 v45, v4, v24
	ds_store_b64 v33, v[45:46]
.LBB136_18:                             ;   in Loop: Header=BB136_12 Depth=2
	s_wait_alu 0xfffe
	s_or_b32 exec_lo, exec_lo, s7
	s_wait_dscnt 0x1
	v_dual_mov_b32 v24, 0 :: v_dual_mov_b32 v23, 0
	s_wait_loadcnt_dscnt 0x0
	s_barrier_signal -1
	s_barrier_wait -1
	global_inv scope:SCOPE_SE
	s_and_saveexec_b32 s7, s5
	s_cbranch_execnz .LBB136_46
; %bb.19:                               ;   in Loop: Header=BB136_12 Depth=2
	s_wait_alu 0xfffe
	s_or_b32 exec_lo, exec_lo, s7
	s_and_saveexec_b32 s7, s3
	s_cbranch_execnz .LBB136_47
.LBB136_20:                             ;   in Loop: Header=BB136_12 Depth=2
	s_wait_alu 0xfffe
	s_or_b32 exec_lo, exec_lo, s7
	s_and_saveexec_b32 s7, s3
.LBB136_21:                             ;   in Loop: Header=BB136_12 Depth=2
	v_mov_b32_e32 v4, v3
	ds_store_b64 v0, v[3:4]
.LBB136_22:                             ;   in Loop: Header=BB136_12 Depth=2
	s_wait_alu 0xfffe
	s_or_b32 exec_lo, exec_lo, s7
	ds_bpermute_b32 v4, v2, v25
	ds_bpermute_b32 v45, v2, v26
	s_wait_loadcnt_dscnt 0x0
	s_barrier_signal -1
	s_barrier_wait -1
	global_inv scope:SCOPE_SE
	v_dual_add_f32 v4, v25, v4 :: v_dual_add_f32 v25, v26, v45
	ds_bpermute_b32 v26, v39, v4
	ds_bpermute_b32 v45, v39, v25
	s_wait_dscnt 0x0
	v_dual_add_f32 v4, v4, v26 :: v_dual_add_f32 v25, v25, v45
	ds_bpermute_b32 v26, v40, v4
	ds_bpermute_b32 v45, v40, v25
	s_wait_dscnt 0x0
	;; [unrolled: 4-line block ×3, first 2 shown]
	v_dual_add_f32 v4, v4, v26 :: v_dual_add_f32 v25, v25, v45
	ds_bpermute_b32 v26, v42, v4
	ds_bpermute_b32 v45, v42, v25
	s_and_saveexec_b32 s7, s4
	s_cbranch_execz .LBB136_24
; %bb.23:                               ;   in Loop: Header=BB136_12 Depth=2
	s_wait_dscnt 0x0
	v_dual_add_f32 v46, v25, v45 :: v_dual_add_f32 v45, v4, v26
	ds_store_b64 v33, v[45:46]
.LBB136_24:                             ;   in Loop: Header=BB136_12 Depth=2
	s_wait_alu 0xfffe
	s_or_b32 exec_lo, exec_lo, s7
	s_wait_dscnt 0x1
	v_dual_mov_b32 v26, 0 :: v_dual_mov_b32 v25, 0
	s_wait_loadcnt_dscnt 0x0
	s_barrier_signal -1
	s_barrier_wait -1
	global_inv scope:SCOPE_SE
	s_and_saveexec_b32 s7, s5
	s_cbranch_execnz .LBB136_48
; %bb.25:                               ;   in Loop: Header=BB136_12 Depth=2
	s_wait_alu 0xfffe
	s_or_b32 exec_lo, exec_lo, s7
	s_and_saveexec_b32 s7, s3
	s_cbranch_execnz .LBB136_49
.LBB136_26:                             ;   in Loop: Header=BB136_12 Depth=2
	s_wait_alu 0xfffe
	s_or_b32 exec_lo, exec_lo, s7
	s_and_saveexec_b32 s7, s3
.LBB136_27:                             ;   in Loop: Header=BB136_12 Depth=2
	v_mov_b32_e32 v4, v3
	ds_store_b64 v0, v[3:4]
.LBB136_28:                             ;   in Loop: Header=BB136_12 Depth=2
	s_wait_alu 0xfffe
	s_or_b32 exec_lo, exec_lo, s7
	ds_bpermute_b32 v4, v2, v27
	ds_bpermute_b32 v45, v2, v28
	s_wait_loadcnt_dscnt 0x0
	s_barrier_signal -1
	s_barrier_wait -1
	global_inv scope:SCOPE_SE
	v_dual_add_f32 v4, v27, v4 :: v_dual_add_f32 v27, v28, v45
	ds_bpermute_b32 v28, v39, v4
	ds_bpermute_b32 v45, v39, v27
	s_wait_dscnt 0x0
	v_dual_add_f32 v4, v4, v28 :: v_dual_add_f32 v27, v27, v45
	ds_bpermute_b32 v28, v40, v4
	ds_bpermute_b32 v45, v40, v27
	s_wait_dscnt 0x0
	;; [unrolled: 4-line block ×3, first 2 shown]
	v_dual_add_f32 v4, v4, v28 :: v_dual_add_f32 v27, v27, v45
	ds_bpermute_b32 v28, v42, v4
	ds_bpermute_b32 v45, v42, v27
	s_and_saveexec_b32 s7, s4
	s_cbranch_execz .LBB136_30
; %bb.29:                               ;   in Loop: Header=BB136_12 Depth=2
	s_wait_dscnt 0x0
	v_dual_add_f32 v46, v27, v45 :: v_dual_add_f32 v45, v4, v28
	ds_store_b64 v33, v[45:46]
.LBB136_30:                             ;   in Loop: Header=BB136_12 Depth=2
	s_wait_alu 0xfffe
	s_or_b32 exec_lo, exec_lo, s7
	s_wait_dscnt 0x1
	v_dual_mov_b32 v28, 0 :: v_dual_mov_b32 v27, 0
	s_wait_loadcnt_dscnt 0x0
	s_barrier_signal -1
	s_barrier_wait -1
	global_inv scope:SCOPE_SE
	s_and_saveexec_b32 s7, s5
	s_cbranch_execnz .LBB136_50
; %bb.31:                               ;   in Loop: Header=BB136_12 Depth=2
	s_wait_alu 0xfffe
	s_or_b32 exec_lo, exec_lo, s7
	s_and_saveexec_b32 s7, s3
	s_cbranch_execnz .LBB136_51
.LBB136_32:                             ;   in Loop: Header=BB136_12 Depth=2
	s_wait_alu 0xfffe
	s_or_b32 exec_lo, exec_lo, s7
	s_and_saveexec_b32 s7, s3
.LBB136_33:                             ;   in Loop: Header=BB136_12 Depth=2
	v_mov_b32_e32 v4, v3
	ds_store_b64 v0, v[3:4]
.LBB136_34:                             ;   in Loop: Header=BB136_12 Depth=2
	s_wait_alu 0xfffe
	s_or_b32 exec_lo, exec_lo, s7
	ds_bpermute_b32 v4, v2, v30
	ds_bpermute_b32 v45, v2, v29
	s_wait_loadcnt_dscnt 0x0
	s_barrier_signal -1
	s_barrier_wait -1
	global_inv scope:SCOPE_SE
	v_dual_add_f32 v4, v30, v4 :: v_dual_add_f32 v29, v29, v45
	ds_bpermute_b32 v30, v39, v4
	ds_bpermute_b32 v45, v39, v29
	s_wait_dscnt 0x0
	v_dual_add_f32 v4, v4, v30 :: v_dual_add_f32 v29, v29, v45
	ds_bpermute_b32 v30, v40, v4
	ds_bpermute_b32 v45, v40, v29
	s_wait_dscnt 0x0
	;; [unrolled: 4-line block ×3, first 2 shown]
	v_dual_add_f32 v4, v4, v30 :: v_dual_add_f32 v29, v29, v45
	ds_bpermute_b32 v30, v42, v4
	ds_bpermute_b32 v45, v42, v29
	s_and_saveexec_b32 s7, s4
	s_cbranch_execz .LBB136_36
; %bb.35:                               ;   in Loop: Header=BB136_12 Depth=2
	s_wait_dscnt 0x0
	v_dual_add_f32 v46, v29, v45 :: v_dual_add_f32 v45, v4, v30
	ds_store_b64 v33, v[45:46]
.LBB136_36:                             ;   in Loop: Header=BB136_12 Depth=2
	s_wait_alu 0xfffe
	s_or_b32 exec_lo, exec_lo, s7
	s_wait_dscnt 0x1
	v_dual_mov_b32 v30, 0 :: v_dual_mov_b32 v29, 0
	s_wait_loadcnt_dscnt 0x0
	s_barrier_signal -1
	s_barrier_wait -1
	global_inv scope:SCOPE_SE
	s_and_saveexec_b32 s7, s5
	s_cbranch_execnz .LBB136_52
; %bb.37:                               ;   in Loop: Header=BB136_12 Depth=2
	s_wait_alu 0xfffe
	s_or_b32 exec_lo, exec_lo, s7
	s_and_saveexec_b32 s7, s3
	s_cbranch_execnz .LBB136_53
.LBB136_38:                             ;   in Loop: Header=BB136_12 Depth=2
	s_wait_alu 0xfffe
	s_or_b32 exec_lo, exec_lo, s7
	s_and_saveexec_b32 s7, s0
	s_cbranch_execz .LBB136_11
	s_branch .LBB136_54
.LBB136_39:                             ;   in Loop: Header=BB136_12 Depth=2
	s_mul_i32 s8, s29, s33
	global_load_b64 v[47:48], v[15:16], off
	s_wait_alu 0xfffe
	s_ashr_i32 s9, s8, 31
	s_wait_alu 0xfffe
	s_lshl_b64 s[54:55], s[8:9], 3
	s_add_co_i32 s8, s8, s33
	s_wait_alu 0xfffe
	v_add_co_u32 v27, vcc_lo, v37, s54
	s_ashr_i32 s9, s8, 31
	s_wait_alu 0xfffd
	v_add_co_ci_u32_e64 v28, null, s55, v38, vcc_lo
	s_wait_alu 0xfffe
	s_lshl_b64 s[54:55], s[8:9], 3
	s_add_co_i32 s8, s8, s33
	s_wait_alu 0xfffe
	v_add_co_u32 v45, vcc_lo, v37, s54
	s_ashr_i32 s9, s8, 31
	s_wait_alu 0xfffd
	v_add_co_ci_u32_e64 v46, null, s55, v38, vcc_lo
	s_wait_alu 0xfffe
	s_lshl_b64 s[54:55], s[8:9], 3
	s_add_co_i32 s8, s8, s33
	s_wait_alu 0xfffe
	v_add_co_u32 v67, vcc_lo, v37, s54
	s_wait_dscnt 0x0
	s_clause 0x1
	global_load_b128 v[23:26], v[27:28], off offset:16
	global_load_b128 v[27:30], v[27:28], off
	s_wait_alu 0xfffd
	v_add_co_ci_u32_e64 v68, null, s55, v38, vcc_lo
	s_ashr_i32 s9, s8, 31
	s_clause 0x2
	global_load_b64 v[49:50], v[17:18], off
	global_load_b64 v[51:52], v[19:20], off
	;; [unrolled: 1-line block ×3, first 2 shown]
	s_wait_alu 0xfffe
	s_lshl_b64 s[8:9], s[8:9], 3
	s_clause 0x2
	global_load_b128 v[55:58], v[45:46], off
	global_load_b128 v[59:62], v[45:46], off offset:16
	global_load_b128 v[63:66], v[67:68], off
	s_wait_alu 0xfffe
	v_add_co_u32 v45, vcc_lo, v37, s8
	global_load_b128 v[67:70], v[67:68], off offset:16
	s_wait_alu 0xfffd
	v_add_co_ci_u32_e64 v46, null, s9, v38, vcc_lo
	s_clause 0x1
	global_load_b128 v[71:74], v[45:46], off
	global_load_b128 v[75:78], v[45:46], off offset:16
	s_wait_loadcnt 0x8
	scratch_store_b128 off, v[47:50], off
	s_wait_loadcnt 0x6
	scratch_store_b128 off, v[51:54], off offset:16
	v_dual_mul_f32 v4, v28, v48 :: v_dual_mul_f32 v45, v30, v50
	v_dual_mul_f32 v28, v28, v47 :: v_dual_mul_f32 v79, v54, v26
	s_wait_loadcnt 0x5
	v_dual_mul_f32 v46, v52, v24 :: v_dual_mul_f32 v81, v58, v50
	s_wait_loadcnt 0x4
	;; [unrolled: 2-line block ×4, first 2 shown]
	v_dual_mul_f32 v56, v56, v47 :: v_dual_mul_f32 v87, v54, v70
	v_fmac_f32_e32 v4, v27, v47
	v_fma_f32 v27, v27, v48, -v28
	v_mul_f32_e32 v26, v53, v26
	v_mul_f32_e32 v30, v30, v49
	v_dual_mul_f32 v82, v52, v60 :: v_dual_fmac_f32 v45, v29, v49
	v_dual_mul_f32 v60, v51, v60 :: v_dual_fmac_f32 v79, v53, v25
	v_fmac_f32_e32 v46, v51, v23
	v_fma_f32 v23, v52, v23, -v24
	v_add_f32_e32 v27, 0, v27
	v_fma_f32 v24, v54, v25, -v26
	s_wait_loadcnt 0x1
	v_dual_mul_f32 v25, v72, v48 :: v_dual_mul_f32 v58, v58, v49
	v_mul_f32_e32 v84, v64, v48
	v_fma_f32 v28, v29, v50, -v30
	v_mul_f32_e32 v29, v74, v50
	s_delay_alu instid0(VALU_DEP_4) | instskip(SKIP_1) | instid1(VALU_DEP_4)
	v_dual_fmac_f32 v25, v71, v47 :: v_dual_mul_f32 v86, v52, v68
	v_dual_fmac_f32 v83, v53, v61 :: v_dual_mul_f32 v26, v72, v47
	v_add_f32_e32 v27, v27, v28
	s_wait_loadcnt 0x0
	s_delay_alu instid0(VALU_DEP_3)
	v_dual_mul_f32 v72, v52, v76 :: v_dual_add_f32 v25, 0, v25
	v_dual_fmac_f32 v29, v73, v49 :: v_dual_fmac_f32 v80, v55, v47
	v_fma_f32 v55, v55, v48, -v56
	v_mul_f32_e32 v66, v66, v49
	v_dual_mul_f32 v64, v64, v47 :: v_dual_fmac_f32 v81, v57, v49
	v_dual_mul_f32 v68, v51, v68 :: v_dual_fmac_f32 v85, v65, v49
	v_fma_f32 v56, v57, v50, -v58
	v_fma_f32 v57, v52, v59, -v60
	v_dual_fmac_f32 v86, v51, v67 :: v_dual_fmac_f32 v87, v53, v69
	v_dual_add_f32 v4, 0, v4 :: v_dual_add_f32 v55, 0, v55
	v_fma_f32 v60, v65, v50, -v66
	v_add_f32_e32 v25, v25, v29
	v_dual_mul_f32 v62, v53, v62 :: v_dual_add_f32 v65, 0, v80
	v_fmac_f32_e32 v82, v51, v59
	v_add_f32_e32 v4, v4, v45
	v_dual_mul_f32 v30, v74, v49 :: v_dual_add_f32 v45, v55, v56
	s_delay_alu instid0(VALU_DEP_4)
	v_add_f32_e32 v28, v65, v81
	v_fmac_f32_e32 v84, v63, v47
	v_fma_f32 v59, v63, v48, -v64
	v_fma_f32 v26, v71, v48, -v26
	v_add_f32_e32 v4, v4, v46
	v_mul_f32_e32 v70, v53, v70
	v_add_f32_e32 v66, 0, v84
	v_mul_f32_e32 v74, v51, v76
	v_dual_mul_f32 v76, v54, v78 :: v_dual_add_f32 v23, v27, v23
	v_mul_f32_e32 v78, v53, v78
	v_fma_f32 v30, v73, v50, -v30
	v_fmac_f32_e32 v72, v51, v75
	v_add_f32_e32 v59, 0, v59
	v_dual_add_f32 v27, v28, v82 :: v_dual_add_f32 v28, v45, v57
	v_add_f32_e32 v45, v4, v79
	v_fma_f32 v64, v54, v77, -v78
	v_add_f32_e32 v26, 0, v26
	v_fma_f32 v58, v54, v61, -v62
	v_fma_f32 v61, v52, v67, -v68
	v_add_f32_e32 v56, v59, v60
	v_add_f32_e32 v4, v25, v72
	v_dual_add_f32 v26, v26, v30 :: v_dual_add_f32 v25, v27, v83
	v_add_f32_e32 v55, v66, v85
	v_fma_f32 v63, v52, v75, -v74
	v_fma_f32 v62, v54, v69, -v70
	v_fmac_f32_e32 v76, v53, v77
	s_delay_alu instid0(VALU_DEP_4) | instskip(NEXT) | instid1(VALU_DEP_4)
	v_dual_add_f32 v30, v56, v61 :: v_dual_add_f32 v29, v55, v86
	v_dual_add_f32 v46, v23, v24 :: v_dual_add_f32 v23, v26, v63
	v_add_f32_e32 v26, v28, v58
	s_delay_alu instid0(VALU_DEP_3) | instskip(SKIP_1) | instid1(VALU_DEP_4)
	v_dual_add_f32 v28, v30, v62 :: v_dual_add_f32 v27, v29, v87
	v_add_f32_e32 v30, v4, v76
	v_add_f32_e32 v29, v23, v64
	s_and_not1_saveexec_b32 s38, s7
	s_cbranch_execz .LBB136_14
.LBB136_40:                             ;   in Loop: Header=BB136_12 Depth=2
	v_dual_mov_b32 v45, 0 :: v_dual_mov_b32 v46, 0
	v_dual_mov_b32 v25, 0 :: v_dual_mov_b32 v26, 0
	;; [unrolled: 1-line block ×3, first 2 shown]
	s_wait_dscnt 0x0
	v_dual_mov_b32 v30, 0 :: v_dual_mov_b32 v29, 0
	s_and_saveexec_b32 s69, s2
	s_cbranch_execz .LBB136_56
; %bb.41:                               ;   in Loop: Header=BB136_12 Depth=2
	s_and_not1_b32 vcc_lo, exec_lo, s34
	s_wait_alu 0xfffe
	s_cbranch_vccnz .LBB136_55
; %bb.42:                               ;   in Loop: Header=BB136_12 Depth=2
	v_mov_b32_e32 v23, v1
	s_mov_b32 s7, 0
	s_mov_b32 s8, s60
.LBB136_43:                             ;   Parent Loop BB136_3 Depth=1
                                        ;     Parent Loop BB136_12 Depth=2
                                        ; =>    This Inner Loop Header: Depth=3
	s_delay_alu instid0(VALU_DEP_1) | instskip(SKIP_2) | instid1(VALU_DEP_1)
	v_ashrrev_i32_e32 v24, 31, v23
	s_wait_alu 0xfffe
	s_add_co_i32 s8, s8, -1
	v_lshlrev_b64_e32 v[24:25], 3, v[23:24]
	v_add_nc_u32_e32 v23, s10, v23
	s_delay_alu instid0(VALU_DEP_2) | instskip(SKIP_1) | instid1(VALU_DEP_3)
	v_add_co_u32 v24, vcc_lo, s48, v24
	s_wait_alu 0xfffd
	v_add_co_ci_u32_e64 v25, null, s49, v25, vcc_lo
	global_load_b64 v[24:25], v[24:25], off
	s_wait_loadcnt 0x0
	scratch_store_b64 off, v[24:25], s7
	s_add_co_i32 s7, s7, 8
	s_wait_alu 0xfffe
	s_cmp_eq_u32 s8, 0
	s_cbranch_scc0 .LBB136_43
; %bb.44:                               ;   in Loop: Header=BB136_12 Depth=2
	s_ashr_i32 s7, s6, 31
	v_dual_mov_b32 v29, 0 :: v_dual_mov_b32 v30, 0
	s_wait_alu 0xfffe
	s_lshl_b64 s[8:9], s[6:7], 3
	v_dual_mov_b32 v28, 0 :: v_dual_mov_b32 v27, 0
	s_wait_alu 0xfffe
	v_add_co_u32 v23, vcc_lo, v43, s8
	s_wait_alu 0xfffd
	v_add_co_ci_u32_e64 v24, null, s9, v44, vcc_lo
	v_dual_mov_b32 v26, 0 :: v_dual_mov_b32 v25, 0
	v_dual_mov_b32 v46, 0 :: v_dual_mov_b32 v45, 0
	s_mov_b32 s7, s65
	s_mov_b32 s8, s66
	;; [unrolled: 1-line block ×5, first 2 shown]
.LBB136_45:                             ;   Parent Loop BB136_3 Depth=1
                                        ;     Parent Loop BB136_12 Depth=2
                                        ; =>    This Inner Loop Header: Depth=3
	s_ashr_i32 s57, s56, 31
	s_wait_alu 0xfffe
	s_ashr_i32 s55, s54, 31
	s_lshl_b64 s[72:73], s[56:57], 3
	s_ashr_i32 s9, s8, 31
	s_wait_alu 0xfffe
	s_lshl_b64 s[74:75], s[54:55], 3
	v_add_co_u32 v51, vcc_lo, v37, s72
	s_lshl_b64 s[76:77], s[8:9], 3
	s_wait_alu 0xfffd
	v_add_co_ci_u32_e64 v52, null, s73, v38, vcc_lo
	s_wait_alu 0xfffe
	v_add_co_u32 v53, vcc_lo, v37, s74
	s_wait_alu 0xfffd
	v_add_co_ci_u32_e64 v54, null, s75, v38, vcc_lo
	v_add_co_u32 v55, vcc_lo, v37, s76
	s_wait_alu 0xfffd
	v_add_co_ci_u32_e64 v56, null, s77, v38, vcc_lo
	scratch_load_b64 v[47:48], off, s7 offset:-4
	global_load_b64 v[49:50], v[23:24], off offset:-4
	s_clause 0x2
	global_load_b64 v[51:52], v[51:52], off
	global_load_b64 v[53:54], v[53:54], off
	;; [unrolled: 1-line block ×3, first 2 shown]
	v_add_co_u32 v23, vcc_lo, v23, 8
	s_wait_alu 0xfffd
	v_add_co_ci_u32_e64 v24, null, 0, v24, vcc_lo
	s_add_co_i32 s70, s70, -1
	s_add_co_i32 s7, s7, 8
	s_add_co_i32 s56, s56, 1
	;; [unrolled: 1-line block ×4, first 2 shown]
	s_cmp_lg_u32 s70, 0
	s_wait_loadcnt 0x1
	v_mul_f32_e32 v57, v48, v54
	s_wait_loadcnt 0x0
	v_mul_f32_e32 v58, v48, v56
	v_mul_f32_e32 v56, v47, v56
	v_mul_f32_e32 v4, v48, v50
	v_mul_f32_e32 v54, v47, v54
	v_fmac_f32_e32 v57, v47, v53
	v_fmac_f32_e32 v58, v47, v55
	s_delay_alu instid0(VALU_DEP_4) | instskip(SKIP_1) | instid1(VALU_DEP_3)
	v_fmac_f32_e32 v4, v47, v49
	v_mul_f32_e32 v50, v47, v50
	v_dual_add_f32 v27, v27, v57 :: v_dual_add_f32 v30, v30, v58
	s_delay_alu instid0(VALU_DEP_3) | instskip(NEXT) | instid1(VALU_DEP_3)
	v_add_f32_e32 v45, v45, v4
	v_fma_f32 v49, v48, v49, -v50
	v_mul_f32_e32 v50, v48, v52
	v_mul_f32_e32 v52, v47, v52
	s_delay_alu instid0(VALU_DEP_3) | instskip(NEXT) | instid1(VALU_DEP_3)
	v_add_f32_e32 v46, v46, v49
	v_fmac_f32_e32 v50, v47, v51
	v_fma_f32 v47, v48, v55, -v56
	v_fma_f32 v49, v48, v53, -v54
	s_delay_alu instid0(VALU_DEP_3) | instskip(NEXT) | instid1(VALU_DEP_3)
	v_add_f32_e32 v25, v25, v50
	v_add_f32_e32 v29, v29, v47
	v_fma_f32 v4, v48, v51, -v52
	s_delay_alu instid0(VALU_DEP_4) | instskip(NEXT) | instid1(VALU_DEP_2)
	v_add_f32_e32 v28, v28, v49
	v_add_f32_e32 v26, v26, v4
	s_cbranch_scc1 .LBB136_45
	s_branch .LBB136_56
.LBB136_46:                             ;   in Loop: Header=BB136_12 Depth=2
	ds_load_b64 v[23:24], v0
	s_wait_alu 0xfffe
	s_or_b32 exec_lo, exec_lo, s7
	s_and_saveexec_b32 s7, s3
	s_cbranch_execz .LBB136_20
.LBB136_47:                             ;   in Loop: Header=BB136_12 Depth=2
	s_wait_dscnt 0x0
	ds_bpermute_b32 v4, v40, v23
	ds_bpermute_b32 v45, v40, v24
	s_wait_dscnt 0x0
	v_dual_add_f32 v4, v23, v4 :: v_dual_add_f32 v23, v24, v45
	ds_bpermute_b32 v24, v41, v4
	ds_bpermute_b32 v45, v41, v23
	s_wait_dscnt 0x1
	v_add_f32_e32 v4, v4, v24
	s_wait_dscnt 0x0
	v_add_f32_e32 v24, v23, v45
	ds_bpermute_b32 v23, v42, v4
	s_wait_dscnt 0x0
	v_add_f32_e32 v23, v4, v23
	ds_bpermute_b32 v45, v42, v24
	s_wait_dscnt 0x0
	v_add_f32_e32 v24, v24, v45
	s_wait_alu 0xfffe
	s_or_b32 exec_lo, exec_lo, s7
	s_and_saveexec_b32 s7, s3
	s_cbranch_execnz .LBB136_21
	s_branch .LBB136_22
.LBB136_48:                             ;   in Loop: Header=BB136_12 Depth=2
	ds_load_b64 v[25:26], v0
	s_wait_alu 0xfffe
	s_or_b32 exec_lo, exec_lo, s7
	s_and_saveexec_b32 s7, s3
	s_cbranch_execz .LBB136_26
.LBB136_49:                             ;   in Loop: Header=BB136_12 Depth=2
	s_wait_dscnt 0x0
	ds_bpermute_b32 v4, v40, v25
	ds_bpermute_b32 v45, v40, v26
	s_wait_dscnt 0x0
	v_dual_add_f32 v4, v25, v4 :: v_dual_add_f32 v25, v26, v45
	ds_bpermute_b32 v26, v41, v4
	ds_bpermute_b32 v45, v41, v25
	s_wait_dscnt 0x1
	v_add_f32_e32 v4, v4, v26
	s_wait_dscnt 0x0
	v_add_f32_e32 v26, v25, v45
	ds_bpermute_b32 v25, v42, v4
	ds_bpermute_b32 v45, v42, v26
	s_wait_dscnt 0x1
	v_add_f32_e32 v25, v4, v25
	s_wait_dscnt 0x0
	v_add_f32_e32 v26, v26, v45
	s_wait_alu 0xfffe
	s_or_b32 exec_lo, exec_lo, s7
	s_and_saveexec_b32 s7, s3
	s_cbranch_execnz .LBB136_27
	s_branch .LBB136_28
.LBB136_50:                             ;   in Loop: Header=BB136_12 Depth=2
	ds_load_b64 v[27:28], v0
	s_wait_alu 0xfffe
	s_or_b32 exec_lo, exec_lo, s7
	s_and_saveexec_b32 s7, s3
	s_cbranch_execz .LBB136_32
.LBB136_51:                             ;   in Loop: Header=BB136_12 Depth=2
	s_wait_dscnt 0x0
	ds_bpermute_b32 v4, v40, v27
	ds_bpermute_b32 v45, v40, v28
	s_wait_dscnt 0x0
	v_dual_add_f32 v4, v27, v4 :: v_dual_add_f32 v27, v28, v45
	ds_bpermute_b32 v28, v41, v4
	ds_bpermute_b32 v45, v41, v27
	s_wait_dscnt 0x1
	v_add_f32_e32 v4, v4, v28
	s_wait_dscnt 0x0
	v_add_f32_e32 v28, v27, v45
	ds_bpermute_b32 v27, v42, v4
	s_wait_dscnt 0x0
	v_add_f32_e32 v27, v4, v27
	ds_bpermute_b32 v45, v42, v28
	s_wait_dscnt 0x0
	v_add_f32_e32 v28, v28, v45
	s_wait_alu 0xfffe
	s_or_b32 exec_lo, exec_lo, s7
	s_and_saveexec_b32 s7, s3
	s_cbranch_execnz .LBB136_33
	s_branch .LBB136_34
.LBB136_52:                             ;   in Loop: Header=BB136_12 Depth=2
	ds_load_b64 v[29:30], v0
	s_wait_alu 0xfffe
	s_or_b32 exec_lo, exec_lo, s7
	s_and_saveexec_b32 s7, s3
	s_cbranch_execz .LBB136_38
.LBB136_53:                             ;   in Loop: Header=BB136_12 Depth=2
	s_wait_dscnt 0x0
	ds_bpermute_b32 v4, v40, v29
	ds_bpermute_b32 v45, v40, v30
	s_wait_dscnt 0x0
	v_dual_add_f32 v4, v29, v4 :: v_dual_add_f32 v29, v30, v45
	ds_bpermute_b32 v30, v41, v4
	ds_bpermute_b32 v45, v41, v29
	s_wait_dscnt 0x1
	v_add_f32_e32 v4, v4, v30
	s_wait_dscnt 0x0
	v_add_f32_e32 v30, v29, v45
	ds_bpermute_b32 v29, v42, v4
	ds_bpermute_b32 v45, v42, v30
	s_wait_dscnt 0x1
	v_add_f32_e32 v29, v4, v29
	s_wait_dscnt 0x0
	v_add_f32_e32 v30, v30, v45
	s_wait_alu 0xfffe
	s_or_b32 exec_lo, exec_lo, s7
	s_and_saveexec_b32 s7, s0
	s_cbranch_execz .LBB136_11
.LBB136_54:                             ;   in Loop: Header=BB136_12 Depth=2
	v_mul_f32_e32 v4, v24, v14
	v_dual_mul_f32 v46, v24, v13 :: v_dual_mul_f32 v47, v26, v14
	s_mul_i32 s8, s29, s36
	v_mul_f32_e32 v24, v26, v13
	s_wait_alu 0xfffe
	s_add_co_i32 s38, s8, s30
	v_fma_f32 v45, v23, v13, -v4
	s_lshl_b64 s[8:9], s[38:39], 3
	v_fmac_f32_e32 v46, v23, v14
	s_add_co_i32 s38, s38, s36
	v_fma_f32 v23, v25, v13, -v47
	v_fmac_f32_e32 v24, v25, v14
	v_mul_f32_e32 v4, v28, v14
	s_lshl_b64 s[54:55], s[38:39], 3
	s_wait_alu 0xfffe
	s_add_nc_u64 s[8:9], s[52:53], s[8:9]
	s_add_nc_u64 s[54:55], s[52:53], s[54:55]
	s_clause 0x1
	global_store_b64 v3, v[45:46], s[8:9]
	global_store_b64 v3, v[23:24], s[54:55]
	v_mul_f32_e32 v24, v28, v13
	v_fma_f32 v23, v27, v13, -v4
	s_wait_dscnt 0x0
	v_mul_f32_e32 v4, v30, v14
	v_mul_f32_e32 v26, v30, v13
	s_add_co_i32 s38, s38, s36
	v_fmac_f32_e32 v24, v27, v14
	s_lshl_b64 s[8:9], s[38:39], 3
	s_add_co_i32 s38, s38, s36
	v_fma_f32 v25, v29, v13, -v4
	v_fmac_f32_e32 v26, v29, v14
	s_lshl_b64 s[54:55], s[38:39], 3
	s_wait_alu 0xfffe
	s_add_nc_u64 s[8:9], s[52:53], s[8:9]
	s_add_nc_u64 s[54:55], s[52:53], s[54:55]
	s_clause 0x1
	global_store_b64 v3, v[23:24], s[8:9]
	global_store_b64 v3, v[25:26], s[54:55]
	s_branch .LBB136_11
.LBB136_55:                             ;   in Loop: Header=BB136_12 Depth=2
	v_dual_mov_b32 v45, 0 :: v_dual_mov_b32 v46, 0
	v_dual_mov_b32 v25, 0 :: v_dual_mov_b32 v26, 0
	;; [unrolled: 1-line block ×4, first 2 shown]
.LBB136_56:                             ;   in Loop: Header=BB136_12 Depth=2
	s_or_b32 exec_lo, exec_lo, s69
	s_delay_alu instid0(SALU_CYCLE_1)
	s_or_b32 exec_lo, exec_lo, s38
	s_and_saveexec_b32 s7, s3
	s_cbranch_execnz .LBB136_15
	s_branch .LBB136_16
.LBB136_57:                             ;   in Loop: Header=BB136_3 Depth=1
	s_mov_b32 s29, 0
.LBB136_58:                             ;   in Loop: Header=BB136_3 Depth=1
	s_delay_alu instid0(SALU_CYCLE_1)
	s_cmp_ge_i32 s29, s35
	s_cbranch_scc1 .LBB136_2
; %bb.59:                               ;   in Loop: Header=BB136_3 Depth=1
	v_cmp_gt_u32_e32 vcc_lo, 24, v36
	s_wait_alu 0xfffe
	s_add_nc_u64 s[6:7], s[52:53], s[22:23]
	s_mul_i32 s8, s33, s29
	s_mov_b32 s38, s29
	s_wait_alu 0xfffd
	v_cndmask_b32_e64 v4, 0, 8, vcc_lo
	v_cmp_gt_u32_e32 vcc_lo, 28, v36
	s_delay_alu instid0(VALU_DEP_2) | instskip(SKIP_3) | instid1(VALU_DEP_2)
	v_add_lshl_u32 v25, v4, v36, 2
	s_wait_alu 0xfffd
	v_cndmask_b32_e64 v15, 0, 4, vcc_lo
	v_cmp_gt_u32_e32 vcc_lo, 30, v36
	v_add_lshl_u32 v26, v15, v36, 2
	s_wait_alu 0xfffd
	v_cndmask_b32_e64 v16, 0, 2, vcc_lo
	v_cmp_ne_u32_e32 vcc_lo, 31, v36
	s_delay_alu instid0(VALU_DEP_2)
	v_add_lshl_u32 v27, v16, v36, 2
	s_wait_alu 0xfffd
	v_add_co_ci_u32_e64 v17, null, 0, v36, vcc_lo
	v_add_co_u32 v15, vcc_lo, s48, v5
	s_wait_alu 0xfffd
	v_add_co_ci_u32_e64 v16, null, s49, v6, vcc_lo
	s_delay_alu instid0(VALU_DEP_3)
	v_lshlrev_b32_e32 v28, 2, v17
	v_add_co_u32 v17, vcc_lo, s48, v7
	s_wait_alu 0xfffd
	v_add_co_ci_u32_e64 v18, null, s49, v8, vcc_lo
	v_add_co_u32 v19, vcc_lo, s48, v9
	s_wait_alu 0xfffd
	v_add_co_ci_u32_e64 v20, null, s49, v10, vcc_lo
	;; [unrolled: 3-line block ×3, first 2 shown]
	s_wait_dscnt 0x0
	v_add_co_u32 v29, vcc_lo, v34, s50
	s_wait_alu 0xfffd
	v_add_co_ci_u32_e64 v30, null, s51, v35, vcc_lo
	s_branch .LBB136_61
.LBB136_60:                             ;   in Loop: Header=BB136_61 Depth=2
	s_wait_alu 0xfffe
	s_or_b32 exec_lo, exec_lo, s9
	s_add_co_i32 s38, s38, 1
	s_add_co_i32 s8, s8, s33
	s_cmp_lt_i32 s38, s35
	s_cbranch_scc0 .LBB136_2
.LBB136_61:                             ;   Parent Loop BB136_3 Depth=1
                                        ; =>  This Loop Header: Depth=2
                                        ;       Child Loop BB136_73 Depth 3
                                        ;       Child Loop BB136_75 Depth 3
                                        ; implicit-def: $vgpr39
                                        ; implicit-def: $vgpr40
	s_and_saveexec_b32 s9, s1
	s_wait_alu 0xfffe
	s_xor_b32 s9, exec_lo, s9
	s_cbranch_execnz .LBB136_70
; %bb.62:                               ;   in Loop: Header=BB136_61 Depth=2
	s_wait_alu 0xfffe
	s_and_not1_saveexec_b32 s29, s9
	s_cbranch_execnz .LBB136_71
.LBB136_63:                             ;   in Loop: Header=BB136_61 Depth=2
	s_or_b32 exec_lo, exec_lo, s29
	s_and_saveexec_b32 s9, s3
.LBB136_64:                             ;   in Loop: Header=BB136_61 Depth=2
	v_mov_b32_e32 v4, v3
	ds_store_b64 v0, v[3:4]
.LBB136_65:                             ;   in Loop: Header=BB136_61 Depth=2
	s_wait_alu 0xfffe
	s_or_b32 exec_lo, exec_lo, s9
	ds_bpermute_b32 v4, v2, v39
	s_wait_dscnt 0x1
	ds_bpermute_b32 v23, v2, v40
	s_wait_storecnt 0x0
	s_wait_loadcnt_dscnt 0x0
	s_barrier_signal -1
	s_barrier_wait -1
	global_inv scope:SCOPE_SE
	v_dual_add_f32 v4, v39, v4 :: v_dual_add_f32 v23, v40, v23
	ds_bpermute_b32 v24, v25, v4
	ds_bpermute_b32 v39, v25, v23
	s_wait_dscnt 0x0
	v_dual_add_f32 v4, v4, v24 :: v_dual_add_f32 v23, v23, v39
	ds_bpermute_b32 v24, v26, v4
	ds_bpermute_b32 v39, v26, v23
	s_wait_dscnt 0x0
	;; [unrolled: 4-line block ×3, first 2 shown]
	v_dual_add_f32 v4, v4, v24 :: v_dual_add_f32 v23, v23, v39
	ds_bpermute_b32 v24, v28, v4
	ds_bpermute_b32 v39, v28, v23
	s_and_saveexec_b32 s9, s4
	s_cbranch_execz .LBB136_67
; %bb.66:                               ;   in Loop: Header=BB136_61 Depth=2
	s_wait_dscnt 0x0
	v_dual_add_f32 v40, v23, v39 :: v_dual_add_f32 v39, v4, v24
	ds_store_b64 v33, v[39:40]
.LBB136_67:                             ;   in Loop: Header=BB136_61 Depth=2
	s_wait_alu 0xfffe
	s_or_b32 exec_lo, exec_lo, s9
	s_wait_dscnt 0x1
	v_dual_mov_b32 v24, 0 :: v_dual_mov_b32 v23, 0
	s_wait_loadcnt_dscnt 0x0
	s_barrier_signal -1
	s_barrier_wait -1
	global_inv scope:SCOPE_SE
	s_and_saveexec_b32 s9, s5
	s_cbranch_execnz .LBB136_77
; %bb.68:                               ;   in Loop: Header=BB136_61 Depth=2
	s_wait_alu 0xfffe
	s_or_b32 exec_lo, exec_lo, s9
	s_and_saveexec_b32 s9, s3
	s_cbranch_execnz .LBB136_78
.LBB136_69:                             ;   in Loop: Header=BB136_61 Depth=2
	s_wait_alu 0xfffe
	s_or_b32 exec_lo, exec_lo, s9
	s_and_saveexec_b32 s9, s0
	s_cbranch_execz .LBB136_60
	s_branch .LBB136_79
.LBB136_70:                             ;   in Loop: Header=BB136_61 Depth=2
	s_mul_i32 s50, s38, s33
	s_wait_alu 0xfffe
	s_ashr_i32 s51, s50, 31
	s_wait_alu 0xfffe
	s_lshl_b64 s[50:51], s[50:51], 3
	s_wait_dscnt 0x0
	s_wait_alu 0xfffe
	v_add_co_u32 v23, vcc_lo, v37, s50
	s_wait_alu 0xfffd
	v_add_co_ci_u32_e64 v24, null, s51, v38, vcc_lo
	global_load_b128 v[39:42], v[23:24], off
	s_clause 0x1
	global_load_b64 v[43:44], v[15:16], off
	global_load_b64 v[45:46], v[17:18], off
	global_load_b128 v[47:50], v[23:24], off offset:16
	s_clause 0x1
	global_load_b64 v[51:52], v[19:20], off
	global_load_b64 v[53:54], v[21:22], off
	s_wait_loadcnt 0x3
	scratch_store_b128 off, v[43:46], off
	s_wait_loadcnt 0x0
	scratch_store_b128 off, v[51:54], off offset:16
	v_dual_mul_f32 v23, v40, v43 :: v_dual_mul_f32 v24, v42, v46
	v_mul_f32_e32 v4, v40, v44
	s_delay_alu instid0(VALU_DEP_2) | instskip(SKIP_2) | instid1(VALU_DEP_4)
	v_fma_f32 v23, v39, v44, -v23
	v_mul_f32_e32 v40, v42, v45
	v_mul_f32_e32 v42, v48, v52
	v_dual_fmac_f32 v4, v39, v43 :: v_dual_mul_f32 v39, v50, v54
	s_delay_alu instid0(VALU_DEP_4) | instskip(NEXT) | instid1(VALU_DEP_4)
	v_add_f32_e32 v23, 0, v23
	v_fma_f32 v40, v41, v46, -v40
	s_delay_alu instid0(VALU_DEP_3) | instskip(NEXT) | instid1(VALU_DEP_4)
	v_dual_mul_f32 v48, v48, v51 :: v_dual_fmac_f32 v39, v49, v53
	v_add_f32_e32 v4, 0, v4
	s_delay_alu instid0(VALU_DEP_3) | instskip(SKIP_1) | instid1(VALU_DEP_4)
	v_dual_add_f32 v23, v23, v40 :: v_dual_fmac_f32 v24, v41, v45
	v_dual_mul_f32 v41, v50, v53 :: v_dual_fmac_f32 v42, v47, v51
	v_fma_f32 v47, v47, v52, -v48
	s_delay_alu instid0(VALU_DEP_1) | instskip(NEXT) | instid1(VALU_DEP_3)
	v_dual_add_f32 v23, v23, v47 :: v_dual_add_f32 v4, v4, v24
	v_fma_f32 v24, v49, v54, -v41
	s_delay_alu instid0(VALU_DEP_2) | instskip(NEXT) | instid1(VALU_DEP_1)
	v_add_f32_e32 v4, v4, v42
	v_dual_add_f32 v40, v23, v24 :: v_dual_add_f32 v39, v4, v39
	s_and_not1_saveexec_b32 s29, s9
	s_cbranch_execz .LBB136_63
.LBB136_71:                             ;   in Loop: Header=BB136_61 Depth=2
	v_dual_mov_b32 v39, 0 :: v_dual_mov_b32 v40, 0
	s_and_saveexec_b32 s50, s31
	s_cbranch_execz .LBB136_76
; %bb.72:                               ;   in Loop: Header=BB136_61 Depth=2
	s_wait_dscnt 0x0
	v_mov_b32_e32 v23, v1
	s_mov_b32 s9, 0
	s_mov_b32 s51, s60
.LBB136_73:                             ;   Parent Loop BB136_3 Depth=1
                                        ;     Parent Loop BB136_61 Depth=2
                                        ; =>    This Inner Loop Header: Depth=3
	s_delay_alu instid0(VALU_DEP_1) | instskip(SKIP_2) | instid1(VALU_DEP_1)
	v_ashrrev_i32_e32 v24, 31, v23
	s_wait_alu 0xfffe
	s_add_co_i32 s51, s51, -1
	v_lshlrev_b64_e32 v[39:40], 3, v[23:24]
	v_add_nc_u32_e32 v23, s10, v23
	s_delay_alu instid0(VALU_DEP_2) | instskip(SKIP_1) | instid1(VALU_DEP_3)
	v_add_co_u32 v39, vcc_lo, s48, v39
	s_wait_alu 0xfffd
	v_add_co_ci_u32_e64 v40, null, s49, v40, vcc_lo
	global_load_b64 v[39:40], v[39:40], off
	s_wait_loadcnt 0x0
	scratch_store_b64 off, v[39:40], s9
	s_add_co_i32 s9, s9, 8
	s_wait_alu 0xfffe
	s_cmp_eq_u32 s51, 0
	s_cbranch_scc0 .LBB136_73
; %bb.74:                               ;   in Loop: Header=BB136_61 Depth=2
	s_ashr_i32 s9, s8, 31
	v_dual_mov_b32 v39, 0 :: v_dual_mov_b32 v40, 0
	s_wait_alu 0xfffe
	s_lshl_b64 s[52:53], s[8:9], 3
	s_mov_b32 s9, s65
	s_wait_alu 0xfffe
	v_add_co_u32 v23, vcc_lo, v29, s52
	s_wait_alu 0xfffd
	v_add_co_ci_u32_e64 v24, null, s53, v30, vcc_lo
	s_mov_b32 s51, s60
.LBB136_75:                             ;   Parent Loop BB136_3 Depth=1
                                        ;     Parent Loop BB136_61 Depth=2
                                        ; =>    This Inner Loop Header: Depth=3
	global_load_b64 v[41:42], v[23:24], off offset:-4
	scratch_load_b64 v[43:44], off, s9 offset:-4
	v_add_co_u32 v23, vcc_lo, v23, 8
	s_wait_alu 0xfffd
	v_add_co_ci_u32_e64 v24, null, 0, v24, vcc_lo
	s_wait_alu 0xfffe
	s_add_co_i32 s51, s51, -1
	s_add_co_i32 s9, s9, 8
	s_wait_alu 0xfffe
	s_cmp_lg_u32 s51, 0
	s_wait_loadcnt 0x0
	v_mul_f32_e32 v4, v42, v44
	s_delay_alu instid0(VALU_DEP_1) | instskip(NEXT) | instid1(VALU_DEP_1)
	v_fmac_f32_e32 v4, v41, v43
	v_dual_mul_f32 v42, v42, v43 :: v_dual_add_f32 v39, v39, v4
	s_delay_alu instid0(VALU_DEP_1) | instskip(NEXT) | instid1(VALU_DEP_1)
	v_fma_f32 v41, v41, v44, -v42
	v_add_f32_e32 v40, v40, v41
	s_cbranch_scc1 .LBB136_75
.LBB136_76:                             ;   in Loop: Header=BB136_61 Depth=2
	s_wait_alu 0xfffe
	s_or_b32 exec_lo, exec_lo, s50
	s_delay_alu instid0(SALU_CYCLE_1)
	s_or_b32 exec_lo, exec_lo, s29
	s_and_saveexec_b32 s9, s3
	s_cbranch_execnz .LBB136_64
	s_branch .LBB136_65
.LBB136_77:                             ;   in Loop: Header=BB136_61 Depth=2
	ds_load_b64 v[23:24], v0
	s_wait_alu 0xfffe
	s_or_b32 exec_lo, exec_lo, s9
	s_and_saveexec_b32 s9, s3
	s_cbranch_execz .LBB136_69
.LBB136_78:                             ;   in Loop: Header=BB136_61 Depth=2
	s_wait_dscnt 0x0
	ds_bpermute_b32 v4, v26, v23
	ds_bpermute_b32 v39, v26, v24
	s_wait_dscnt 0x0
	v_dual_add_f32 v4, v23, v4 :: v_dual_add_f32 v23, v24, v39
	ds_bpermute_b32 v24, v27, v4
	ds_bpermute_b32 v39, v27, v23
	s_wait_dscnt 0x1
	v_add_f32_e32 v4, v4, v24
	s_wait_dscnt 0x0
	v_add_f32_e32 v24, v23, v39
	ds_bpermute_b32 v23, v28, v4
	ds_bpermute_b32 v39, v28, v24
	s_wait_dscnt 0x1
	v_add_f32_e32 v23, v4, v23
	s_wait_dscnt 0x0
	v_add_f32_e32 v24, v24, v39
	s_wait_alu 0xfffe
	s_or_b32 exec_lo, exec_lo, s9
	s_and_saveexec_b32 s9, s0
	s_cbranch_execz .LBB136_60
.LBB136_79:                             ;   in Loop: Header=BB136_61 Depth=2
	s_wait_dscnt 0x0
	v_mul_f32_e32 v4, v24, v14
	v_mul_f32_e32 v40, v24, v13
	s_mul_u64 s[50:51], s[38:39], s[36:37]
	s_wait_alu 0xfffe
	s_lshl_b64 s[50:51], s[50:51], 3
	v_fma_f32 v39, v23, v13, -v4
	v_fmac_f32_e32 v40, v23, v14
	s_wait_alu 0xfffe
	s_add_nc_u64 s[50:51], s[6:7], s[50:51]
	global_store_b64 v3, v[39:40], s[50:51]
	s_branch .LBB136_60
.LBB136_80:
	s_endpgm
	.section	.rodata,"a",@progbits
	.p2align	6, 0x0
	.amdhsa_kernel _ZL23rocblas_gemvt_sn_kernelILb1ELi256ELi4Ei19rocblas_complex_numIfEPKS1_S1_EviiT4_lPKT3_lilS7_lilPT5_i
		.amdhsa_group_segment_fixed_size 256
		.amdhsa_private_segment_fixed_size 48
		.amdhsa_kernarg_size 360
		.amdhsa_user_sgpr_count 2
		.amdhsa_user_sgpr_dispatch_ptr 0
		.amdhsa_user_sgpr_queue_ptr 0
		.amdhsa_user_sgpr_kernarg_segment_ptr 1
		.amdhsa_user_sgpr_dispatch_id 0
		.amdhsa_user_sgpr_private_segment_size 0
		.amdhsa_wavefront_size32 1
		.amdhsa_uses_dynamic_stack 0
		.amdhsa_enable_private_segment 1
		.amdhsa_system_sgpr_workgroup_id_x 1
		.amdhsa_system_sgpr_workgroup_id_y 0
		.amdhsa_system_sgpr_workgroup_id_z 1
		.amdhsa_system_sgpr_workgroup_info 0
		.amdhsa_system_vgpr_workitem_id 0
		.amdhsa_next_free_vgpr 88
		.amdhsa_next_free_sgpr 78
		.amdhsa_reserve_vcc 1
		.amdhsa_float_round_mode_32 0
		.amdhsa_float_round_mode_16_64 0
		.amdhsa_float_denorm_mode_32 3
		.amdhsa_float_denorm_mode_16_64 3
		.amdhsa_fp16_overflow 0
		.amdhsa_workgroup_processor_mode 1
		.amdhsa_memory_ordered 1
		.amdhsa_forward_progress 1
		.amdhsa_inst_pref_size 46
		.amdhsa_round_robin_scheduling 0
		.amdhsa_exception_fp_ieee_invalid_op 0
		.amdhsa_exception_fp_denorm_src 0
		.amdhsa_exception_fp_ieee_div_zero 0
		.amdhsa_exception_fp_ieee_overflow 0
		.amdhsa_exception_fp_ieee_underflow 0
		.amdhsa_exception_fp_ieee_inexact 0
		.amdhsa_exception_int_div_zero 0
	.end_amdhsa_kernel
	.section	.text._ZL23rocblas_gemvt_sn_kernelILb1ELi256ELi4Ei19rocblas_complex_numIfEPKS1_S1_EviiT4_lPKT3_lilS7_lilPT5_i,"axG",@progbits,_ZL23rocblas_gemvt_sn_kernelILb1ELi256ELi4Ei19rocblas_complex_numIfEPKS1_S1_EviiT4_lPKT3_lilS7_lilPT5_i,comdat
.Lfunc_end136:
	.size	_ZL23rocblas_gemvt_sn_kernelILb1ELi256ELi4Ei19rocblas_complex_numIfEPKS1_S1_EviiT4_lPKT3_lilS7_lilPT5_i, .Lfunc_end136-_ZL23rocblas_gemvt_sn_kernelILb1ELi256ELi4Ei19rocblas_complex_numIfEPKS1_S1_EviiT4_lPKT3_lilS7_lilPT5_i
                                        ; -- End function
	.set _ZL23rocblas_gemvt_sn_kernelILb1ELi256ELi4Ei19rocblas_complex_numIfEPKS1_S1_EviiT4_lPKT3_lilS7_lilPT5_i.num_vgpr, 88
	.set _ZL23rocblas_gemvt_sn_kernelILb1ELi256ELi4Ei19rocblas_complex_numIfEPKS1_S1_EviiT4_lPKT3_lilS7_lilPT5_i.num_agpr, 0
	.set _ZL23rocblas_gemvt_sn_kernelILb1ELi256ELi4Ei19rocblas_complex_numIfEPKS1_S1_EviiT4_lPKT3_lilS7_lilPT5_i.numbered_sgpr, 78
	.set _ZL23rocblas_gemvt_sn_kernelILb1ELi256ELi4Ei19rocblas_complex_numIfEPKS1_S1_EviiT4_lPKT3_lilS7_lilPT5_i.num_named_barrier, 0
	.set _ZL23rocblas_gemvt_sn_kernelILb1ELi256ELi4Ei19rocblas_complex_numIfEPKS1_S1_EviiT4_lPKT3_lilS7_lilPT5_i.private_seg_size, 48
	.set _ZL23rocblas_gemvt_sn_kernelILb1ELi256ELi4Ei19rocblas_complex_numIfEPKS1_S1_EviiT4_lPKT3_lilS7_lilPT5_i.uses_vcc, 1
	.set _ZL23rocblas_gemvt_sn_kernelILb1ELi256ELi4Ei19rocblas_complex_numIfEPKS1_S1_EviiT4_lPKT3_lilS7_lilPT5_i.uses_flat_scratch, 0
	.set _ZL23rocblas_gemvt_sn_kernelILb1ELi256ELi4Ei19rocblas_complex_numIfEPKS1_S1_EviiT4_lPKT3_lilS7_lilPT5_i.has_dyn_sized_stack, 0
	.set _ZL23rocblas_gemvt_sn_kernelILb1ELi256ELi4Ei19rocblas_complex_numIfEPKS1_S1_EviiT4_lPKT3_lilS7_lilPT5_i.has_recursion, 0
	.set _ZL23rocblas_gemvt_sn_kernelILb1ELi256ELi4Ei19rocblas_complex_numIfEPKS1_S1_EviiT4_lPKT3_lilS7_lilPT5_i.has_indirect_call, 0
	.section	.AMDGPU.csdata,"",@progbits
; Kernel info:
; codeLenInByte = 5820
; TotalNumSgprs: 80
; NumVgprs: 88
; ScratchSize: 48
; MemoryBound: 0
; FloatMode: 240
; IeeeMode: 1
; LDSByteSize: 256 bytes/workgroup (compile time only)
; SGPRBlocks: 0
; VGPRBlocks: 10
; NumSGPRsForWavesPerEU: 80
; NumVGPRsForWavesPerEU: 88
; Occupancy: 16
; WaveLimiterHint : 0
; COMPUTE_PGM_RSRC2:SCRATCH_EN: 1
; COMPUTE_PGM_RSRC2:USER_SGPR: 2
; COMPUTE_PGM_RSRC2:TRAP_HANDLER: 0
; COMPUTE_PGM_RSRC2:TGID_X_EN: 1
; COMPUTE_PGM_RSRC2:TGID_Y_EN: 0
; COMPUTE_PGM_RSRC2:TGID_Z_EN: 1
; COMPUTE_PGM_RSRC2:TIDIG_COMP_CNT: 0
	.section	.text._ZL23rocblas_gemvt_sn_kernelILb1ELi256ELi4El19rocblas_complex_numIfEPKS1_S1_EviiT4_lPKT3_lilS7_lilPT5_i,"axG",@progbits,_ZL23rocblas_gemvt_sn_kernelILb1ELi256ELi4El19rocblas_complex_numIfEPKS1_S1_EviiT4_lPKT3_lilS7_lilPT5_i,comdat
	.globl	_ZL23rocblas_gemvt_sn_kernelILb1ELi256ELi4El19rocblas_complex_numIfEPKS1_S1_EviiT4_lPKT3_lilS7_lilPT5_i ; -- Begin function _ZL23rocblas_gemvt_sn_kernelILb1ELi256ELi4El19rocblas_complex_numIfEPKS1_S1_EviiT4_lPKT3_lilS7_lilPT5_i
	.p2align	8
	.type	_ZL23rocblas_gemvt_sn_kernelILb1ELi256ELi4El19rocblas_complex_numIfEPKS1_S1_EviiT4_lPKT3_lilS7_lilPT5_i,@function
_ZL23rocblas_gemvt_sn_kernelILb1ELi256ELi4El19rocblas_complex_numIfEPKS1_S1_EviiT4_lPKT3_lilS7_lilPT5_i: ; @_ZL23rocblas_gemvt_sn_kernelILb1ELi256ELi4El19rocblas_complex_numIfEPKS1_S1_EviiT4_lPKT3_lilS7_lilPT5_i
; %bb.0:
	s_load_b32 s33, s[0:1], 0x60
	s_lshr_b32 s10, ttmp7, 16
	s_wait_kmcnt 0x0
	s_cmp_ge_u32 s10, s33
	s_cbranch_scc1 .LBB137_80
; %bb.1:
	s_clause 0x6
	s_load_b32 s30, s[0:1], 0x28
	s_load_b96 s[4:6], s[0:1], 0x40
	s_load_b256 s[12:19], s[0:1], 0x8
	s_load_b64 s[34:35], s[0:1], 0x0
	s_load_b128 s[20:23], s[0:1], 0x30
	s_load_b32 s36, s[0:1], 0x68
	s_load_b128 s[24:27], s[0:1], 0x50
	v_cmp_eq_u32_e64 s0, 0, v0
	v_mbcnt_lo_u32_b32 v40, -1, 0
	s_mov_b32 s28, ttmp9
	s_mov_b32 s29, 0
	s_delay_alu instid0(SALU_CYCLE_1) | instskip(NEXT) | instid1(VALU_DEP_1)
	s_mov_b32 s37, s29
	v_lshl_or_b32 v41, v40, 2, 64
	s_wait_kmcnt 0x0
	s_ashr_i32 s31, s30, 31
	s_ashr_i32 s9, s6, 31
	s_lshl_b64 s[2:3], s[4:5], 3
	s_lshl_b64 s[4:5], s[18:19], 3
	s_ashr_i32 s39, s35, 31
	s_cmp_gt_i32 s35, 0
	s_add_nc_u64 s[18:19], s[22:23], s[2:3]
	s_cselect_b32 s1, -1, 0
	s_lshl_b32 s7, ttmp9, 10
	s_add_nc_u64 s[2:3], s[16:17], s[4:5]
	v_lshl_or_b32 v1, v0, 2, s7
	s_lshr_b32 s4, s39, 30
	s_ashr_i32 s5, s34, 31
	s_and_b32 s60, s0, s1
	s_add_co_i32 s1, s35, s4
	v_ashrrev_i32_e32 v2, 31, v1
	s_lshr_b32 s4, s5, 30
	s_and_b32 s61, s1, -4
	s_add_co_i32 s1, s34, s4
	v_add_nc_u32_e32 v4, 4, v1
	v_lshlrev_b64_e32 v[2:3], 3, v[1:2]
	s_and_b32 s1, s1, -4
	v_cmp_gt_u32_e64 s5, 8, v0
	s_sub_co_i32 s62, s34, s1
	v_cmp_ge_i32_e64 s1, s34, v4
	v_or_b32_e32 v4, 2, v1
	v_add_co_u32 v34, vcc_lo, s2, v2
	v_add_nc_u32_e32 v2, s62, v1
	v_add_co_ci_u32_e64 v35, null, s3, v3, vcc_lo
	v_and_b32_e32 v3, 31, v0
	v_cmp_gt_u32_e64 s3, 32, v0
	s_delay_alu instid0(VALU_DEP_4)
	v_cmp_ge_i32_e64 s2, s34, v2
	v_lshrrev_b32_e32 v2, 2, v0
	v_or_b32_e32 v0, 1, v1
	v_mad_co_i64_i32 v[8:9], null, s6, v4, 0
	v_mov_b32_e32 v4, 0
	v_cmp_eq_u32_e64 s4, 0, v3
	v_lshlrev_b32_e32 v36, 3, v3
	v_and_b32_e32 v37, 56, v2
	v_mad_co_i64_i32 v[2:3], null, s6, v1, 0
	v_mad_co_i64_i32 v[5:6], null, s6, v0, 0
	v_or_b32_e32 v0, 3, v1
	s_cmp_gt_i32 s61, 0
	s_mov_b32 s38, s35
	s_cselect_b32 s63, -1, 0
	s_cmp_gt_i32 s62, 0
	v_mad_co_i64_i32 v[10:11], null, s6, v0, 0
	v_lshlrev_b64_e32 v[0:1], 3, v[2:3]
	s_cselect_b32 s34, -1, 0
	s_lshl_b64 s[22:23], s[28:29], 3
	v_lshlrev_b64_e32 v[6:7], 3, v[5:6]
	v_lshlrev_b64_e32 v[8:9], 3, v[8:9]
	s_mov_b32 s8, s6
	v_add_co_u32 v2, vcc_lo, s18, v0
	s_wait_alu 0xfffd
	v_add_co_ci_u32_e64 v3, null, s19, v1, vcc_lo
	v_add_co_u32 v38, vcc_lo, v34, 4
	v_lshlrev_b64_e32 v[10:11], 3, v[10:11]
	s_wait_alu 0xfffd
	v_add_co_ci_u32_e64 v39, null, 0, v35, vcc_lo
	s_mul_u64 s[16:17], s[38:39], s[36:37]
	s_add_nc_u64 s[6:7], s[26:27], s[22:23]
	s_wait_alu 0xfffe
	s_and_b32 s64, s34, s2
	s_add_nc_u64 s[38:39], s[6:7], 4
	s_lshl_b64 s[40:41], s[16:17], 3
	s_lshl_b64 s[42:43], s[36:37], 3
	;; [unrolled: 1-line block ×4, first 2 shown]
	s_or_b32 s65, 0, 4
	s_lshl_b64 s[48:49], s[20:21], 3
	s_lshl_b64 s[50:51], s[30:31], 5
	;; [unrolled: 1-line block ×3, first 2 shown]
	s_branch .LBB137_3
.LBB137_2:                              ;   in Loop: Header=BB137_3 Depth=1
	s_add_co_i32 s10, s10, 0x10000
	s_wait_alu 0xfffe
	s_cmp_lt_u32 s10, s33
	s_cbranch_scc0 .LBB137_80
.LBB137_3:                              ; =>This Loop Header: Depth=1
                                        ;     Child Loop BB137_6 Depth 2
                                        ;     Child Loop BB137_12 Depth 2
                                        ;       Child Loop BB137_43 Depth 3
                                        ;       Child Loop BB137_45 Depth 3
                                        ;     Child Loop BB137_61 Depth 2
                                        ;       Child Loop BB137_73 Depth 3
                                        ;       Child Loop BB137_75 Depth 3
	s_mov_b32 s11, s29
	s_wait_alu 0xfffe
	s_mul_u64 s[6:7], s[14:15], s[10:11]
	s_wait_alu 0xfffe
	s_lshl_b64 s[6:7], s[6:7], 3
	s_wait_alu 0xfffe
	s_add_nc_u64 s[6:7], s[12:13], s[6:7]
	global_load_b64 v[12:13], v4, s[6:7]
	s_mov_b32 s6, -1
	s_wait_loadcnt 0x0
	v_or_b32_e32 v5, v12, v13
	s_delay_alu instid0(VALU_DEP_1) | instskip(NEXT) | instid1(VALU_DEP_1)
	v_and_b32_e32 v5, 0x7fffffff, v5
	v_cmp_ne_u32_e32 vcc_lo, 0, v5
	s_cbranch_vccnz .LBB137_8
; %bb.4:                                ;   in Loop: Header=BB137_3 Depth=1
	s_and_saveexec_b32 s8, s60
	s_cbranch_execz .LBB137_7
; %bb.5:                                ;   in Loop: Header=BB137_3 Depth=1
	s_mul_u64 s[6:7], s[40:41], s[10:11]
	s_mov_b32 s9, s35
	s_wait_alu 0xfffe
	s_add_nc_u64 s[6:7], s[38:39], s[6:7]
.LBB137_6:                              ;   Parent Loop BB137_3 Depth=1
                                        ; =>  This Inner Loop Header: Depth=2
	v_mov_b32_e32 v5, v4
	s_add_co_i32 s9, s9, -1
	s_wait_alu 0xfffe
	s_cmp_eq_u32 s9, 0
	global_store_b64 v4, v[4:5], s[6:7] offset:-4
	s_add_nc_u64 s[6:7], s[6:7], s[42:43]
	s_cbranch_scc0 .LBB137_6
.LBB137_7:                              ;   in Loop: Header=BB137_3 Depth=1
	s_wait_alu 0xfffe
	s_or_b32 exec_lo, exec_lo, s8
	s_mov_b32 s6, 0
.LBB137_8:                              ;   in Loop: Header=BB137_3 Depth=1
	s_wait_alu 0xfffe
	s_and_not1_b32 vcc_lo, exec_lo, s6
	s_wait_alu 0xfffe
	s_cbranch_vccnz .LBB137_2
; %bb.9:                                ;   in Loop: Header=BB137_3 Depth=1
	v_mad_co_u64_u32 v[14:15], null, s44, s10, v[2:3]
	s_mul_u64 s[66:67], s[20:21], s[10:11]
	s_mul_u64 s[54:55], s[24:25], s[10:11]
	s_wait_alu 0xfffe
	s_lshl_b64 s[66:67], s[66:67], 3
	s_mul_u64 s[58:59], s[16:17], s[10:11]
	s_wait_alu 0xfffe
	v_add_co_u32 v42, vcc_lo, v34, s66
	v_mov_b32_e32 v5, v15
	s_lshl_b64 s[54:55], s[54:55], 3
	s_lshl_b64 s[68:69], s[58:59], 3
	v_cmp_gt_u32_e64 s7, 24, v40
	v_cmp_gt_u32_e64 s8, 28, v40
	v_mad_co_u64_u32 v[15:16], null, s45, s10, v[5:6]
	v_cmp_gt_u32_e64 s6, 30, v40
	s_wait_alu 0xfffd
	v_add_co_ci_u32_e64 v43, null, s67, v35, vcc_lo
	v_cmp_ne_u32_e64 s9, 31, v40
	s_add_nc_u64 s[58:59], s[18:19], s[54:55]
	s_add_nc_u64 s[54:55], s[26:27], s[68:69]
	s_mul_u64 s[56:57], s[48:49], s[10:11]
	s_and_not1_b32 vcc_lo, exec_lo, s63
	s_add_nc_u64 s[54:55], s[54:55], s[22:23]
	s_wait_alu 0xfffe
	s_cbranch_vccnz .LBB137_57
; %bb.10:                               ;   in Loop: Header=BB137_3 Depth=1
	v_cndmask_b32_e64 v18, 0, 4, s8
	v_cndmask_b32_e64 v19, 0, 2, s6
	v_add_co_ci_u32_e64 v20, null, 0, v40, s9
	v_add_co_u32 v16, vcc_lo, v34, s56
	s_wait_alu 0xfffd
	v_add_co_ci_u32_e64 v17, null, s57, v35, vcc_lo
	v_add_lshl_u32 v45, v18, v40, 2
	v_add_co_u32 v18, vcc_lo, s58, v0
	v_add_lshl_u32 v46, v19, v40, 2
	v_lshlrev_b32_e32 v47, 2, v20
	s_wait_alu 0xfffd
	v_add_co_ci_u32_e64 v19, null, s59, v1, vcc_lo
	v_add_co_u32 v20, vcc_lo, s58, v6
	v_cndmask_b32_e64 v5, 0, 8, s7
	s_wait_alu 0xfffd
	v_add_co_ci_u32_e64 v21, null, s59, v7, vcc_lo
	v_add_co_u32 v22, vcc_lo, s58, v8
	s_wait_alu 0xfffd
	v_add_co_ci_u32_e64 v23, null, s59, v9, vcc_lo
	v_add_co_u32 v24, vcc_lo, s58, v10
	v_add_lshl_u32 v44, v5, v40, 2
	s_wait_alu 0xfffd
	v_add_co_ci_u32_e64 v25, null, s59, v11, vcc_lo
	s_mov_b32 s28, 0
	s_branch .LBB137_12
.LBB137_11:                             ;   in Loop: Header=BB137_12 Depth=2
	s_wait_alu 0xfffe
	s_or_b32 exec_lo, exec_lo, s6
	v_add_co_u32 v16, vcc_lo, v16, s50
	s_wait_alu 0xfffd
	v_add_co_ci_u32_e64 v17, null, s51, v17, vcc_lo
	s_add_co_i32 s28, s28, 4
	s_delay_alu instid0(SALU_CYCLE_1)
	s_cmp_ge_i32 s28, s61
	s_cbranch_scc1 .LBB137_58
.LBB137_12:                             ;   Parent Loop BB137_3 Depth=1
                                        ; =>  This Loop Header: Depth=2
                                        ;       Child Loop BB137_43 Depth 3
                                        ;       Child Loop BB137_45 Depth 3
                                        ; implicit-def: $vgpr48
                                        ; implicit-def: $vgpr49
                                        ; implicit-def: $vgpr28
                                        ; implicit-def: $vgpr29
                                        ; implicit-def: $vgpr30
                                        ; implicit-def: $vgpr31
                                        ; implicit-def: $vgpr33
                                        ; implicit-def: $vgpr32
	s_and_saveexec_b32 s6, s1
	s_wait_alu 0xfffe
	s_xor_b32 s6, exec_lo, s6
	s_cbranch_execnz .LBB137_39
; %bb.13:                               ;   in Loop: Header=BB137_12 Depth=2
	s_wait_alu 0xfffe
	s_and_not1_saveexec_b32 s6, s6
	s_cbranch_execnz .LBB137_40
.LBB137_14:                             ;   in Loop: Header=BB137_12 Depth=2
	s_wait_alu 0xfffe
	s_or_b32 exec_lo, exec_lo, s6
	s_and_saveexec_b32 s6, s3
.LBB137_15:                             ;   in Loop: Header=BB137_12 Depth=2
	v_mov_b32_e32 v5, v4
	ds_store_b64 v36, v[4:5]
.LBB137_16:                             ;   in Loop: Header=BB137_12 Depth=2
	s_wait_alu 0xfffe
	s_or_b32 exec_lo, exec_lo, s6
	ds_bpermute_b32 v5, v41, v48
	s_wait_dscnt 0x1
	ds_bpermute_b32 v26, v41, v49
	s_wait_storecnt_dscnt 0x0
	s_barrier_signal -1
	s_barrier_wait -1
	global_inv scope:SCOPE_SE
	v_dual_add_f32 v5, v48, v5 :: v_dual_add_f32 v26, v49, v26
	ds_bpermute_b32 v27, v44, v5
	ds_bpermute_b32 v48, v44, v26
	s_wait_dscnt 0x0
	v_dual_add_f32 v5, v5, v27 :: v_dual_add_f32 v26, v26, v48
	ds_bpermute_b32 v27, v45, v5
	ds_bpermute_b32 v48, v45, v26
	s_wait_dscnt 0x0
	v_dual_add_f32 v5, v5, v27 :: v_dual_add_f32 v26, v26, v48
	ds_bpermute_b32 v27, v46, v5
	ds_bpermute_b32 v48, v46, v26
	s_wait_dscnt 0x0
	v_dual_add_f32 v5, v5, v27 :: v_dual_add_f32 v26, v26, v48
	ds_bpermute_b32 v27, v47, v5
	ds_bpermute_b32 v48, v47, v26
	s_and_saveexec_b32 s6, s4
	s_cbranch_execz .LBB137_18
; %bb.17:                               ;   in Loop: Header=BB137_12 Depth=2
	s_wait_dscnt 0x0
	v_dual_add_f32 v49, v26, v48 :: v_dual_add_f32 v48, v5, v27
	ds_store_b64 v37, v[48:49]
.LBB137_18:                             ;   in Loop: Header=BB137_12 Depth=2
	s_wait_alu 0xfffe
	s_or_b32 exec_lo, exec_lo, s6
	s_wait_dscnt 0x1
	v_dual_mov_b32 v27, 0 :: v_dual_mov_b32 v26, 0
	s_wait_loadcnt_dscnt 0x0
	s_barrier_signal -1
	s_barrier_wait -1
	global_inv scope:SCOPE_SE
	s_and_saveexec_b32 s6, s5
	s_cbranch_execnz .LBB137_46
; %bb.19:                               ;   in Loop: Header=BB137_12 Depth=2
	s_wait_alu 0xfffe
	s_or_b32 exec_lo, exec_lo, s6
	s_and_saveexec_b32 s6, s3
	s_cbranch_execnz .LBB137_47
.LBB137_20:                             ;   in Loop: Header=BB137_12 Depth=2
	s_wait_alu 0xfffe
	s_or_b32 exec_lo, exec_lo, s6
	s_and_saveexec_b32 s6, s3
.LBB137_21:                             ;   in Loop: Header=BB137_12 Depth=2
	v_mov_b32_e32 v5, v4
	ds_store_b64 v36, v[4:5]
.LBB137_22:                             ;   in Loop: Header=BB137_12 Depth=2
	s_wait_alu 0xfffe
	s_or_b32 exec_lo, exec_lo, s6
	ds_bpermute_b32 v5, v41, v28
	ds_bpermute_b32 v48, v41, v29
	s_wait_loadcnt_dscnt 0x0
	s_barrier_signal -1
	s_barrier_wait -1
	global_inv scope:SCOPE_SE
	v_dual_add_f32 v5, v28, v5 :: v_dual_add_f32 v28, v29, v48
	ds_bpermute_b32 v29, v44, v5
	ds_bpermute_b32 v48, v44, v28
	s_wait_dscnt 0x0
	v_dual_add_f32 v5, v5, v29 :: v_dual_add_f32 v28, v28, v48
	ds_bpermute_b32 v29, v45, v5
	ds_bpermute_b32 v48, v45, v28
	s_wait_dscnt 0x0
	;; [unrolled: 4-line block ×3, first 2 shown]
	v_dual_add_f32 v5, v5, v29 :: v_dual_add_f32 v28, v28, v48
	ds_bpermute_b32 v29, v47, v5
	ds_bpermute_b32 v48, v47, v28
	s_and_saveexec_b32 s6, s4
	s_cbranch_execz .LBB137_24
; %bb.23:                               ;   in Loop: Header=BB137_12 Depth=2
	s_wait_dscnt 0x0
	v_dual_add_f32 v49, v28, v48 :: v_dual_add_f32 v48, v5, v29
	ds_store_b64 v37, v[48:49]
.LBB137_24:                             ;   in Loop: Header=BB137_12 Depth=2
	s_wait_alu 0xfffe
	s_or_b32 exec_lo, exec_lo, s6
	s_wait_dscnt 0x1
	v_dual_mov_b32 v29, 0 :: v_dual_mov_b32 v28, 0
	s_wait_loadcnt_dscnt 0x0
	s_barrier_signal -1
	s_barrier_wait -1
	global_inv scope:SCOPE_SE
	s_and_saveexec_b32 s6, s5
	s_cbranch_execnz .LBB137_48
; %bb.25:                               ;   in Loop: Header=BB137_12 Depth=2
	s_wait_alu 0xfffe
	s_or_b32 exec_lo, exec_lo, s6
	s_and_saveexec_b32 s6, s3
	s_cbranch_execnz .LBB137_49
.LBB137_26:                             ;   in Loop: Header=BB137_12 Depth=2
	s_wait_alu 0xfffe
	s_or_b32 exec_lo, exec_lo, s6
	s_and_saveexec_b32 s6, s3
.LBB137_27:                             ;   in Loop: Header=BB137_12 Depth=2
	v_mov_b32_e32 v5, v4
	ds_store_b64 v36, v[4:5]
.LBB137_28:                             ;   in Loop: Header=BB137_12 Depth=2
	s_wait_alu 0xfffe
	s_or_b32 exec_lo, exec_lo, s6
	ds_bpermute_b32 v5, v41, v30
	ds_bpermute_b32 v48, v41, v31
	s_wait_loadcnt_dscnt 0x0
	s_barrier_signal -1
	s_barrier_wait -1
	global_inv scope:SCOPE_SE
	v_dual_add_f32 v5, v30, v5 :: v_dual_add_f32 v30, v31, v48
	ds_bpermute_b32 v31, v44, v5
	ds_bpermute_b32 v48, v44, v30
	s_wait_dscnt 0x0
	v_dual_add_f32 v5, v5, v31 :: v_dual_add_f32 v30, v30, v48
	ds_bpermute_b32 v31, v45, v5
	ds_bpermute_b32 v48, v45, v30
	s_wait_dscnt 0x0
	v_dual_add_f32 v5, v5, v31 :: v_dual_add_f32 v30, v30, v48
	ds_bpermute_b32 v31, v46, v5
	ds_bpermute_b32 v48, v46, v30
	s_wait_dscnt 0x0
	v_dual_add_f32 v5, v5, v31 :: v_dual_add_f32 v30, v30, v48
	ds_bpermute_b32 v31, v47, v5
	ds_bpermute_b32 v48, v47, v30
	s_and_saveexec_b32 s6, s4
	s_cbranch_execz .LBB137_30
; %bb.29:                               ;   in Loop: Header=BB137_12 Depth=2
	s_wait_dscnt 0x0
	v_dual_add_f32 v49, v30, v48 :: v_dual_add_f32 v48, v5, v31
	ds_store_b64 v37, v[48:49]
.LBB137_30:                             ;   in Loop: Header=BB137_12 Depth=2
	s_wait_alu 0xfffe
	s_or_b32 exec_lo, exec_lo, s6
	s_wait_dscnt 0x1
	v_dual_mov_b32 v31, 0 :: v_dual_mov_b32 v30, 0
	s_wait_loadcnt_dscnt 0x0
	s_barrier_signal -1
	s_barrier_wait -1
	global_inv scope:SCOPE_SE
	s_and_saveexec_b32 s6, s5
	s_cbranch_execnz .LBB137_50
; %bb.31:                               ;   in Loop: Header=BB137_12 Depth=2
	s_wait_alu 0xfffe
	s_or_b32 exec_lo, exec_lo, s6
	s_and_saveexec_b32 s6, s3
	s_cbranch_execnz .LBB137_51
.LBB137_32:                             ;   in Loop: Header=BB137_12 Depth=2
	s_wait_alu 0xfffe
	s_or_b32 exec_lo, exec_lo, s6
	s_and_saveexec_b32 s6, s3
.LBB137_33:                             ;   in Loop: Header=BB137_12 Depth=2
	v_mov_b32_e32 v5, v4
	ds_store_b64 v36, v[4:5]
.LBB137_34:                             ;   in Loop: Header=BB137_12 Depth=2
	s_wait_alu 0xfffe
	s_or_b32 exec_lo, exec_lo, s6
	ds_bpermute_b32 v5, v41, v33
	ds_bpermute_b32 v48, v41, v32
	s_wait_loadcnt_dscnt 0x0
	s_barrier_signal -1
	s_barrier_wait -1
	global_inv scope:SCOPE_SE
	v_dual_add_f32 v5, v33, v5 :: v_dual_add_f32 v32, v32, v48
	ds_bpermute_b32 v33, v44, v5
	ds_bpermute_b32 v48, v44, v32
	s_wait_dscnt 0x0
	v_dual_add_f32 v5, v5, v33 :: v_dual_add_f32 v32, v32, v48
	ds_bpermute_b32 v33, v45, v5
	ds_bpermute_b32 v48, v45, v32
	s_wait_dscnt 0x0
	;; [unrolled: 4-line block ×3, first 2 shown]
	v_dual_add_f32 v5, v5, v33 :: v_dual_add_f32 v32, v32, v48
	ds_bpermute_b32 v33, v47, v5
	ds_bpermute_b32 v48, v47, v32
	s_and_saveexec_b32 s6, s4
	s_cbranch_execz .LBB137_36
; %bb.35:                               ;   in Loop: Header=BB137_12 Depth=2
	s_wait_dscnt 0x0
	v_dual_add_f32 v49, v32, v48 :: v_dual_add_f32 v48, v5, v33
	ds_store_b64 v37, v[48:49]
.LBB137_36:                             ;   in Loop: Header=BB137_12 Depth=2
	s_wait_alu 0xfffe
	s_or_b32 exec_lo, exec_lo, s6
	s_wait_dscnt 0x1
	v_dual_mov_b32 v33, 0 :: v_dual_mov_b32 v32, 0
	s_wait_loadcnt_dscnt 0x0
	s_barrier_signal -1
	s_barrier_wait -1
	global_inv scope:SCOPE_SE
	s_and_saveexec_b32 s6, s5
	s_cbranch_execnz .LBB137_52
; %bb.37:                               ;   in Loop: Header=BB137_12 Depth=2
	s_wait_alu 0xfffe
	s_or_b32 exec_lo, exec_lo, s6
	s_and_saveexec_b32 s6, s3
	s_cbranch_execnz .LBB137_53
.LBB137_38:                             ;   in Loop: Header=BB137_12 Depth=2
	s_wait_alu 0xfffe
	s_or_b32 exec_lo, exec_lo, s6
	s_and_saveexec_b32 s6, s0
	s_cbranch_execz .LBB137_11
	s_branch .LBB137_54
.LBB137_39:                             ;   in Loop: Header=BB137_12 Depth=2
	s_wait_dscnt 0x0
	s_clause 0x1
	global_load_b64 v[26:27], v[18:19], off
	global_load_b64 v[28:29], v[20:21], off
	s_mul_u64 s[8:9], s[28:29], s[30:31]
	s_wait_alu 0xfffe
	s_lshl_b64 s[8:9], s[8:9], 3
	s_wait_alu 0xfffe
	v_add_co_u32 v52, vcc_lo, v42, s8
	s_wait_alu 0xfffd
	v_add_co_ci_u32_e64 v53, null, s9, v43, vcc_lo
	s_or_b32 s8, s28, 1
	s_mov_b32 s9, s29
	s_wait_alu 0xfffe
	s_mul_u64 s[8:9], s[8:9], s[30:31]
	s_wait_alu 0xfffe
	s_lshl_b64 s[8:9], s[8:9], 3
	s_wait_loadcnt 0x0
	scratch_store_b128 off, v[26:29], off
	s_clause 0x1
	global_load_b64 v[30:31], v[22:23], off
	global_load_b64 v[32:33], v[24:25], off
	s_wait_loadcnt 0x0
	scratch_store_b128 off, v[30:33], off offset:16
	s_clause 0x1
	global_load_b128 v[48:51], v[52:53], off offset:16
	global_load_b128 v[52:55], v[52:53], off
	s_wait_loadcnt 0x0
	v_mul_f32_e32 v5, v53, v27
	v_mul_f32_e32 v53, v53, v26
	s_delay_alu instid0(VALU_DEP_2) | instskip(NEXT) | instid1(VALU_DEP_2)
	v_fmac_f32_e32 v5, v52, v26
	v_fma_f32 v52, v52, v27, -v53
	s_delay_alu instid0(VALU_DEP_1)
	v_add_f32_e32 v80, 0, v52
	s_wait_alu 0xfffe
	v_add_co_u32 v52, vcc_lo, v42, s8
	s_wait_alu 0xfffd
	v_add_co_ci_u32_e64 v53, null, s9, v43, vcc_lo
	s_or_b32 s8, s28, 2
	s_clause 0x1
	global_load_b128 v[56:59], v[52:53], off offset:16
	global_load_b128 v[60:63], v[52:53], off
	s_mov_b32 s9, s29
	s_wait_alu 0xfffe
	s_mul_u64 s[8:9], s[8:9], s[30:31]
	s_wait_alu 0xfffe
	s_lshl_b64 s[8:9], s[8:9], 3
	s_wait_loadcnt 0x0
	v_mul_f32_e32 v52, v61, v27
	v_mul_f32_e32 v53, v61, v26
	s_delay_alu instid0(VALU_DEP_2) | instskip(NEXT) | instid1(VALU_DEP_2)
	v_dual_add_f32 v5, 0, v5 :: v_dual_fmac_f32 v52, v60, v26
	v_fma_f32 v53, v60, v27, -v53
	s_delay_alu instid0(VALU_DEP_2) | instskip(SKIP_2) | instid1(VALU_DEP_3)
	v_add_f32_e32 v60, 0, v52
	s_wait_alu 0xfffe
	v_add_co_u32 v52, vcc_lo, v42, s8
	v_add_f32_e32 v61, 0, v53
	s_wait_alu 0xfffd
	v_add_co_ci_u32_e64 v53, null, s9, v43, vcc_lo
	s_clause 0x1
	global_load_b128 v[64:67], v[52:53], off offset:16
	global_load_b128 v[68:71], v[52:53], off
	s_or_b32 s8, s28, 3
	s_mov_b32 s9, s29
	s_wait_alu 0xfffe
	s_mul_u64 s[8:9], s[8:9], s[30:31]
	s_wait_alu 0xfffe
	s_lshl_b64 s[8:9], s[8:9], 3
	s_wait_loadcnt 0x0
	v_mul_f32_e32 v52, v69, v27
	v_mul_f32_e32 v53, v69, v26
	s_delay_alu instid0(VALU_DEP_1) | instskip(NEXT) | instid1(VALU_DEP_1)
	v_fma_f32 v53, v68, v27, -v53
	v_dual_fmac_f32 v52, v68, v26 :: v_dual_add_f32 v69, 0, v53
	s_delay_alu instid0(VALU_DEP_1)
	v_add_f32_e32 v68, 0, v52
	s_wait_alu 0xfffe
	v_add_co_u32 v52, vcc_lo, v42, s8
	s_wait_alu 0xfffd
	v_add_co_ci_u32_e64 v53, null, s9, v43, vcc_lo
	s_clause 0x1
	global_load_b128 v[72:75], v[52:53], off offset:16
	global_load_b128 v[76:79], v[52:53], off
	v_mul_f32_e32 v53, v55, v28
	s_delay_alu instid0(VALU_DEP_1) | instskip(SKIP_2) | instid1(VALU_DEP_1)
	v_fma_f32 v53, v54, v29, -v53
	s_wait_loadcnt 0x0
	v_mul_f32_e32 v52, v77, v27
	v_fmac_f32_e32 v52, v76, v26
	v_mul_f32_e32 v26, v77, v26
	s_delay_alu instid0(VALU_DEP_1) | instskip(NEXT) | instid1(VALU_DEP_3)
	v_fma_f32 v26, v76, v27, -v26
	v_dual_add_f32 v27, 0, v52 :: v_dual_mul_f32 v52, v55, v29
	s_delay_alu instid0(VALU_DEP_1) | instskip(NEXT) | instid1(VALU_DEP_1)
	v_fmac_f32_e32 v52, v54, v28
	v_dual_add_f32 v26, 0, v26 :: v_dual_add_f32 v5, v5, v52
	v_add_f32_e32 v52, v80, v53
	v_mul_f32_e32 v53, v63, v29
	s_delay_alu instid0(VALU_DEP_1) | instskip(NEXT) | instid1(VALU_DEP_1)
	v_fmac_f32_e32 v53, v62, v28
	v_dual_add_f32 v53, v60, v53 :: v_dual_mul_f32 v60, v71, v28
	s_delay_alu instid0(VALU_DEP_1) | instskip(NEXT) | instid1(VALU_DEP_1)
	v_fma_f32 v60, v70, v29, -v60
	v_dual_mul_f32 v55, v71, v29 :: v_dual_add_f32 v60, v69, v60
	s_delay_alu instid0(VALU_DEP_1) | instskip(NEXT) | instid1(VALU_DEP_1)
	v_fmac_f32_e32 v55, v70, v28
	v_dual_mul_f32 v54, v63, v28 :: v_dual_add_f32 v55, v68, v55
	s_delay_alu instid0(VALU_DEP_1) | instskip(NEXT) | instid1(VALU_DEP_1)
	v_fma_f32 v54, v62, v29, -v54
	v_dual_add_f32 v54, v61, v54 :: v_dual_mul_f32 v61, v79, v29
	s_delay_alu instid0(VALU_DEP_1) | instskip(SKIP_1) | instid1(VALU_DEP_1)
	v_fmac_f32_e32 v61, v78, v28
	v_mul_f32_e32 v28, v79, v28
	v_fma_f32 v28, v78, v29, -v28
	v_mul_f32_e32 v29, v30, v49
	s_delay_alu instid0(VALU_DEP_2) | instskip(SKIP_1) | instid1(VALU_DEP_3)
	v_add_f32_e32 v26, v26, v28
	v_mul_f32_e32 v28, v31, v49
	v_fma_f32 v29, v31, v48, -v29
	v_mul_f32_e32 v49, v30, v65
	s_delay_alu instid0(VALU_DEP_3) | instskip(NEXT) | instid1(VALU_DEP_1)
	v_fmac_f32_e32 v28, v30, v48
	v_dual_mul_f32 v48, v30, v57 :: v_dual_add_f32 v5, v5, v28
	s_delay_alu instid0(VALU_DEP_4) | instskip(SKIP_1) | instid1(VALU_DEP_3)
	v_add_f32_e32 v28, v52, v29
	v_mul_f32_e32 v29, v31, v57
	v_fma_f32 v48, v31, v56, -v48
	v_add_f32_e32 v27, v27, v61
	s_delay_alu instid0(VALU_DEP_3) | instskip(NEXT) | instid1(VALU_DEP_3)
	v_fmac_f32_e32 v29, v30, v56
	v_add_f32_e32 v52, v54, v48
	v_mul_f32_e32 v48, v31, v65
	s_delay_alu instid0(VALU_DEP_1) | instskip(NEXT) | instid1(VALU_DEP_1)
	v_dual_add_f32 v29, v53, v29 :: v_dual_fmac_f32 v48, v30, v64
	v_add_f32_e32 v53, v55, v48
	v_mul_f32_e32 v48, v31, v73
	s_delay_alu instid0(VALU_DEP_1) | instskip(NEXT) | instid1(VALU_DEP_1)
	v_fmac_f32_e32 v48, v30, v72
	v_dual_mul_f32 v30, v30, v73 :: v_dual_add_f32 v27, v27, v48
	s_delay_alu instid0(VALU_DEP_1) | instskip(NEXT) | instid1(VALU_DEP_1)
	v_fma_f32 v30, v31, v72, -v30
	v_add_f32_e32 v26, v26, v30
	v_mul_f32_e32 v30, v33, v51
	v_fma_f32 v49, v31, v64, -v49
	v_mul_f32_e32 v31, v32, v51
	s_delay_alu instid0(VALU_DEP_2) | instskip(NEXT) | instid1(VALU_DEP_4)
	v_add_f32_e32 v54, v60, v49
	v_fmac_f32_e32 v30, v32, v50
	s_delay_alu instid0(VALU_DEP_3) | instskip(NEXT) | instid1(VALU_DEP_2)
	v_fma_f32 v31, v33, v50, -v31
	v_add_f32_e32 v48, v5, v30
	v_mul_f32_e32 v5, v33, v59
	s_delay_alu instid0(VALU_DEP_3) | instskip(SKIP_1) | instid1(VALU_DEP_3)
	v_add_f32_e32 v49, v28, v31
	v_mul_f32_e32 v28, v32, v59
	v_fmac_f32_e32 v5, v32, v58
	s_delay_alu instid0(VALU_DEP_2) | instskip(NEXT) | instid1(VALU_DEP_2)
	v_fma_f32 v30, v33, v58, -v28
	v_add_f32_e32 v28, v29, v5
	v_mul_f32_e32 v5, v33, v67
	s_delay_alu instid0(VALU_DEP_3) | instskip(SKIP_1) | instid1(VALU_DEP_3)
	v_add_f32_e32 v29, v52, v30
	v_mul_f32_e32 v30, v32, v67
	v_fmac_f32_e32 v5, v32, v66
	s_delay_alu instid0(VALU_DEP_2) | instskip(NEXT) | instid1(VALU_DEP_2)
	v_fma_f32 v31, v33, v66, -v30
	v_add_f32_e32 v30, v53, v5
	v_mul_f32_e32 v5, v33, v75
	s_delay_alu instid0(VALU_DEP_3) | instskip(NEXT) | instid1(VALU_DEP_2)
	v_add_f32_e32 v31, v54, v31
	v_fmac_f32_e32 v5, v32, v74
	v_mul_f32_e32 v32, v32, v75
	s_delay_alu instid0(VALU_DEP_1) | instskip(NEXT) | instid1(VALU_DEP_1)
	v_fma_f32 v32, v33, v74, -v32
	v_dual_add_f32 v33, v27, v5 :: v_dual_add_f32 v32, v26, v32
	s_and_not1_saveexec_b32 s6, s6
	s_cbranch_execz .LBB137_14
.LBB137_40:                             ;   in Loop: Header=BB137_12 Depth=2
	v_dual_mov_b32 v48, 0 :: v_dual_mov_b32 v49, 0
	v_dual_mov_b32 v28, 0 :: v_dual_mov_b32 v29, 0
	;; [unrolled: 1-line block ×3, first 2 shown]
	s_wait_dscnt 0x0
	v_dual_mov_b32 v33, 0 :: v_dual_mov_b32 v32, 0
	s_and_saveexec_b32 s7, s2
	s_cbranch_execz .LBB137_56
; %bb.41:                               ;   in Loop: Header=BB137_12 Depth=2
	s_and_not1_b32 vcc_lo, exec_lo, s34
	s_wait_alu 0xfffe
	s_cbranch_vccnz .LBB137_55
; %bb.42:                               ;   in Loop: Header=BB137_12 Depth=2
	v_dual_mov_b32 v27, v15 :: v_dual_mov_b32 v26, v14
	s_mov_b32 s8, 0
	s_mov_b32 s9, s62
.LBB137_43:                             ;   Parent Loop BB137_3 Depth=1
                                        ;     Parent Loop BB137_12 Depth=2
                                        ; =>    This Inner Loop Header: Depth=3
	global_load_b64 v[28:29], v[26:27], off
	v_add_co_u32 v26, vcc_lo, v26, s46
	s_wait_alu 0xfffd
	v_add_co_ci_u32_e64 v27, null, s47, v27, vcc_lo
	s_wait_alu 0xfffe
	s_add_co_i32 s9, s9, -1
	s_wait_loadcnt 0x0
	scratch_store_b64 off, v[28:29], s8
	s_add_co_i32 s8, s8, 8
	s_wait_alu 0xfffe
	s_cmp_eq_u32 s9, 0
	s_cbranch_scc0 .LBB137_43
; %bb.44:                               ;   in Loop: Header=BB137_12 Depth=2
	v_dual_mov_b32 v32, 0 :: v_dual_mov_b32 v27, v17
	v_dual_mov_b32 v26, v16 :: v_dual_mov_b32 v33, 0
	;; [unrolled: 1-line block ×5, first 2 shown]
	s_mov_b32 s8, s65
	s_mov_b32 s9, s62
.LBB137_45:                             ;   Parent Loop BB137_3 Depth=1
                                        ;     Parent Loop BB137_12 Depth=2
                                        ; =>    This Inner Loop Header: Depth=3
	scratch_load_b64 v[50:51], off, s8 offset:-4
	v_add_co_u32 v52, vcc_lo, v26, s52
	global_load_b64 v[54:55], v[26:27], off
	s_wait_alu 0xfffd
	v_add_co_ci_u32_e64 v53, null, s53, v27, vcc_lo
	v_add_co_u32 v56, vcc_lo, v52, s52
	s_wait_alu 0xfffe
	s_add_co_i32 s9, s9, -1
	s_wait_alu 0xfffd
	v_add_co_ci_u32_e64 v57, null, s53, v53, vcc_lo
	v_add_co_u32 v58, vcc_lo, v56, s52
	s_add_co_i32 s8, s8, 8
	s_wait_alu 0xfffd
	v_add_co_ci_u32_e64 v59, null, s53, v57, vcc_lo
	s_clause 0x2
	global_load_b64 v[52:53], v[52:53], off
	global_load_b64 v[56:57], v[56:57], off
	;; [unrolled: 1-line block ×3, first 2 shown]
	v_add_co_u32 v26, vcc_lo, v26, 8
	s_wait_alu 0xfffd
	v_add_co_ci_u32_e64 v27, null, 0, v27, vcc_lo
	s_wait_alu 0xfffe
	s_cmp_lg_u32 s9, 0
	s_wait_loadcnt 0x3
	v_mul_f32_e32 v5, v51, v55
	s_delay_alu instid0(VALU_DEP_1) | instskip(NEXT) | instid1(VALU_DEP_1)
	v_fmac_f32_e32 v5, v50, v54
	v_dual_mul_f32 v55, v50, v55 :: v_dual_add_f32 v48, v48, v5
	s_delay_alu instid0(VALU_DEP_1) | instskip(SKIP_1) | instid1(VALU_DEP_1)
	v_fma_f32 v54, v51, v54, -v55
	s_wait_loadcnt 0x0
	v_dual_add_f32 v49, v49, v54 :: v_dual_mul_f32 v54, v51, v59
	s_delay_alu instid0(VALU_DEP_1) | instskip(NEXT) | instid1(VALU_DEP_1)
	v_dual_mul_f32 v55, v51, v53 :: v_dual_fmac_f32 v54, v50, v58
	v_fmac_f32_e32 v55, v50, v52
	v_mul_f32_e32 v53, v50, v53
	s_delay_alu instid0(VALU_DEP_2) | instskip(NEXT) | instid1(VALU_DEP_2)
	v_dual_add_f32 v33, v33, v54 :: v_dual_add_f32 v28, v28, v55
	v_fma_f32 v5, v51, v52, -v53
	v_mul_f32_e32 v52, v51, v57
	v_mul_f32_e32 v53, v50, v57
	;; [unrolled: 1-line block ×3, first 2 shown]
	s_delay_alu instid0(VALU_DEP_3) | instskip(NEXT) | instid1(VALU_DEP_3)
	v_fmac_f32_e32 v52, v50, v56
	v_fma_f32 v53, v51, v56, -v53
	s_delay_alu instid0(VALU_DEP_3) | instskip(NEXT) | instid1(VALU_DEP_3)
	v_fma_f32 v50, v51, v58, -v57
	v_dual_add_f32 v29, v29, v5 :: v_dual_add_f32 v30, v30, v52
	s_delay_alu instid0(VALU_DEP_2)
	v_dual_add_f32 v31, v31, v53 :: v_dual_add_f32 v32, v32, v50
	s_cbranch_scc1 .LBB137_45
	s_branch .LBB137_56
.LBB137_46:                             ;   in Loop: Header=BB137_12 Depth=2
	ds_load_b64 v[26:27], v36
	s_wait_alu 0xfffe
	s_or_b32 exec_lo, exec_lo, s6
	s_and_saveexec_b32 s6, s3
	s_cbranch_execz .LBB137_20
.LBB137_47:                             ;   in Loop: Header=BB137_12 Depth=2
	s_wait_dscnt 0x0
	ds_bpermute_b32 v5, v45, v26
	ds_bpermute_b32 v48, v45, v27
	s_wait_dscnt 0x0
	v_dual_add_f32 v5, v26, v5 :: v_dual_add_f32 v26, v27, v48
	ds_bpermute_b32 v27, v46, v5
	ds_bpermute_b32 v48, v46, v26
	s_wait_dscnt 0x1
	v_add_f32_e32 v5, v5, v27
	s_wait_dscnt 0x0
	v_add_f32_e32 v27, v26, v48
	ds_bpermute_b32 v26, v47, v5
	s_wait_dscnt 0x0
	v_add_f32_e32 v26, v5, v26
	ds_bpermute_b32 v48, v47, v27
	s_wait_dscnt 0x0
	v_add_f32_e32 v27, v27, v48
	s_wait_alu 0xfffe
	s_or_b32 exec_lo, exec_lo, s6
	s_and_saveexec_b32 s6, s3
	s_cbranch_execnz .LBB137_21
	s_branch .LBB137_22
.LBB137_48:                             ;   in Loop: Header=BB137_12 Depth=2
	ds_load_b64 v[28:29], v36
	s_wait_alu 0xfffe
	s_or_b32 exec_lo, exec_lo, s6
	s_and_saveexec_b32 s6, s3
	s_cbranch_execz .LBB137_26
.LBB137_49:                             ;   in Loop: Header=BB137_12 Depth=2
	s_wait_dscnt 0x0
	ds_bpermute_b32 v5, v45, v28
	ds_bpermute_b32 v48, v45, v29
	s_wait_dscnt 0x0
	v_dual_add_f32 v5, v28, v5 :: v_dual_add_f32 v28, v29, v48
	ds_bpermute_b32 v29, v46, v5
	ds_bpermute_b32 v48, v46, v28
	s_wait_dscnt 0x1
	v_add_f32_e32 v5, v5, v29
	s_wait_dscnt 0x0
	v_add_f32_e32 v29, v28, v48
	ds_bpermute_b32 v28, v47, v5
	ds_bpermute_b32 v48, v47, v29
	s_wait_dscnt 0x1
	v_add_f32_e32 v28, v5, v28
	s_wait_dscnt 0x0
	v_add_f32_e32 v29, v29, v48
	s_wait_alu 0xfffe
	s_or_b32 exec_lo, exec_lo, s6
	s_and_saveexec_b32 s6, s3
	s_cbranch_execnz .LBB137_27
	s_branch .LBB137_28
.LBB137_50:                             ;   in Loop: Header=BB137_12 Depth=2
	ds_load_b64 v[30:31], v36
	s_wait_alu 0xfffe
	s_or_b32 exec_lo, exec_lo, s6
	s_and_saveexec_b32 s6, s3
	s_cbranch_execz .LBB137_32
.LBB137_51:                             ;   in Loop: Header=BB137_12 Depth=2
	s_wait_dscnt 0x0
	ds_bpermute_b32 v5, v45, v30
	ds_bpermute_b32 v48, v45, v31
	s_wait_dscnt 0x0
	v_dual_add_f32 v5, v30, v5 :: v_dual_add_f32 v30, v31, v48
	ds_bpermute_b32 v31, v46, v5
	ds_bpermute_b32 v48, v46, v30
	s_wait_dscnt 0x1
	v_add_f32_e32 v5, v5, v31
	s_wait_dscnt 0x0
	v_add_f32_e32 v31, v30, v48
	ds_bpermute_b32 v30, v47, v5
	s_wait_dscnt 0x0
	v_add_f32_e32 v30, v5, v30
	ds_bpermute_b32 v48, v47, v31
	s_wait_dscnt 0x0
	v_add_f32_e32 v31, v31, v48
	s_wait_alu 0xfffe
	s_or_b32 exec_lo, exec_lo, s6
	s_and_saveexec_b32 s6, s3
	s_cbranch_execnz .LBB137_33
	s_branch .LBB137_34
.LBB137_52:                             ;   in Loop: Header=BB137_12 Depth=2
	ds_load_b64 v[32:33], v36
	s_wait_alu 0xfffe
	s_or_b32 exec_lo, exec_lo, s6
	s_and_saveexec_b32 s6, s3
	s_cbranch_execz .LBB137_38
.LBB137_53:                             ;   in Loop: Header=BB137_12 Depth=2
	s_wait_dscnt 0x0
	ds_bpermute_b32 v5, v45, v32
	ds_bpermute_b32 v48, v45, v33
	s_wait_dscnt 0x0
	v_dual_add_f32 v5, v32, v5 :: v_dual_add_f32 v32, v33, v48
	ds_bpermute_b32 v33, v46, v5
	ds_bpermute_b32 v48, v46, v32
	s_wait_dscnt 0x1
	v_add_f32_e32 v5, v5, v33
	s_wait_dscnt 0x0
	v_add_f32_e32 v33, v32, v48
	ds_bpermute_b32 v32, v47, v5
	ds_bpermute_b32 v48, v47, v33
	s_wait_dscnt 0x1
	v_add_f32_e32 v32, v5, v32
	s_wait_dscnt 0x0
	v_add_f32_e32 v33, v33, v48
	s_wait_alu 0xfffe
	s_or_b32 exec_lo, exec_lo, s6
	s_and_saveexec_b32 s6, s0
	s_cbranch_execz .LBB137_11
.LBB137_54:                             ;   in Loop: Header=BB137_12 Depth=2
	v_mul_f32_e32 v5, v27, v13
	v_dual_mul_f32 v49, v27, v12 :: v_dual_mul_f32 v50, v29, v13
	v_mul_f32_e32 v27, v29, v12
	s_or_b32 s66, s28, 1
	s_mov_b32 s67, s29
	s_mul_u64 s[8:9], s[28:29], s[36:37]
	v_fma_f32 v48, v26, v12, -v5
	s_wait_alu 0xfffe
	s_mul_u64 s[66:67], s[66:67], s[36:37]
	v_fmac_f32_e32 v49, v26, v13
	s_lshl_b64 s[8:9], s[8:9], 3
	v_fma_f32 v26, v28, v12, -v50
	v_fmac_f32_e32 v27, v28, v13
	v_mul_f32_e32 v5, v31, v13
	s_wait_alu 0xfffe
	s_lshl_b64 s[66:67], s[66:67], 3
	s_add_nc_u64 s[8:9], s[54:55], s[8:9]
	s_wait_alu 0xfffe
	s_add_nc_u64 s[66:67], s[54:55], s[66:67]
	s_clause 0x1
	global_store_b64 v4, v[48:49], s[8:9]
	global_store_b64 v4, v[26:27], s[66:67]
	v_mul_f32_e32 v27, v31, v12
	v_fma_f32 v26, v30, v12, -v5
	s_wait_dscnt 0x0
	v_mul_f32_e32 v5, v33, v13
	v_mul_f32_e32 v29, v33, v12
	s_or_b32 s8, s28, 2
	s_mov_b32 s9, s29
	s_or_b32 s66, s28, 3
	s_mov_b32 s67, s29
	s_wait_alu 0xfffe
	s_mul_u64 s[8:9], s[8:9], s[36:37]
	s_mul_u64 s[66:67], s[66:67], s[36:37]
	v_fmac_f32_e32 v27, v30, v13
	s_wait_alu 0xfffe
	s_lshl_b64 s[8:9], s[8:9], 3
	v_fma_f32 v28, v32, v12, -v5
	v_fmac_f32_e32 v29, v32, v13
	s_lshl_b64 s[66:67], s[66:67], 3
	s_wait_alu 0xfffe
	s_add_nc_u64 s[8:9], s[54:55], s[8:9]
	s_add_nc_u64 s[66:67], s[54:55], s[66:67]
	s_clause 0x1
	global_store_b64 v4, v[26:27], s[8:9]
	global_store_b64 v4, v[28:29], s[66:67]
	s_branch .LBB137_11
.LBB137_55:                             ;   in Loop: Header=BB137_12 Depth=2
	v_dual_mov_b32 v48, 0 :: v_dual_mov_b32 v49, 0
	v_dual_mov_b32 v28, 0 :: v_dual_mov_b32 v29, 0
	;; [unrolled: 1-line block ×4, first 2 shown]
.LBB137_56:                             ;   in Loop: Header=BB137_12 Depth=2
	s_wait_alu 0xfffe
	s_or_b32 exec_lo, exec_lo, s7
	s_delay_alu instid0(SALU_CYCLE_1)
	s_or_b32 exec_lo, exec_lo, s6
	s_and_saveexec_b32 s6, s3
	s_cbranch_execnz .LBB137_15
	s_branch .LBB137_16
.LBB137_57:                             ;   in Loop: Header=BB137_3 Depth=1
	s_mov_b32 s28, 0
.LBB137_58:                             ;   in Loop: Header=BB137_3 Depth=1
	s_delay_alu instid0(SALU_CYCLE_1)
	s_cmp_ge_i32 s28, s35
	s_cbranch_scc1 .LBB137_2
; %bb.59:                               ;   in Loop: Header=BB137_3 Depth=1
	v_cmp_gt_u32_e32 vcc_lo, 24, v40
	s_mul_u64 s[6:7], s[52:53], s[28:29]
	s_wait_alu 0xfffe
	s_add_nc_u64 s[6:7], s[6:7], s[56:57]
	s_wait_alu 0xfffd
	v_cndmask_b32_e64 v5, 0, 8, vcc_lo
	v_cmp_gt_u32_e32 vcc_lo, 28, v40
	s_delay_alu instid0(VALU_DEP_2) | instskip(SKIP_3) | instid1(VALU_DEP_2)
	v_add_lshl_u32 v28, v5, v40, 2
	s_wait_alu 0xfffd
	v_cndmask_b32_e64 v16, 0, 4, vcc_lo
	v_cmp_gt_u32_e32 vcc_lo, 30, v40
	v_add_lshl_u32 v29, v16, v40, 2
	s_wait_alu 0xfffd
	v_cndmask_b32_e64 v17, 0, 2, vcc_lo
	v_cmp_ne_u32_e32 vcc_lo, 31, v40
	s_delay_alu instid0(VALU_DEP_2)
	v_add_lshl_u32 v30, v17, v40, 2
	s_wait_alu 0xfffd
	v_add_co_ci_u32_e64 v18, null, 0, v40, vcc_lo
	v_add_co_u32 v16, vcc_lo, s58, v0
	s_wait_alu 0xfffd
	v_add_co_ci_u32_e64 v17, null, s59, v1, vcc_lo
	s_delay_alu instid0(VALU_DEP_3)
	v_lshlrev_b32_e32 v31, 2, v18
	v_add_co_u32 v18, vcc_lo, s58, v6
	s_wait_alu 0xfffd
	v_add_co_ci_u32_e64 v19, null, s59, v7, vcc_lo
	v_add_co_u32 v20, vcc_lo, s58, v8
	s_wait_alu 0xfffd
	v_add_co_ci_u32_e64 v21, null, s59, v9, vcc_lo
	;; [unrolled: 3-line block ×3, first 2 shown]
	s_wait_alu 0xfffe
	v_add_co_u32 v24, vcc_lo, v38, s6
	s_wait_alu 0xfffd
	v_add_co_ci_u32_e64 v25, null, s7, v39, vcc_lo
	s_branch .LBB137_61
.LBB137_60:                             ;   in Loop: Header=BB137_61 Depth=2
	s_wait_alu 0xfffe
	s_or_b32 exec_lo, exec_lo, s6
	v_add_co_u32 v24, vcc_lo, v24, s52
	s_wait_alu 0xfffd
	v_add_co_ci_u32_e64 v25, null, s53, v25, vcc_lo
	s_add_co_i32 s28, s28, 1
	s_delay_alu instid0(SALU_CYCLE_1)
	s_cmp_lt_i32 s28, s35
	s_cbranch_scc0 .LBB137_2
.LBB137_61:                             ;   Parent Loop BB137_3 Depth=1
                                        ; =>  This Loop Header: Depth=2
                                        ;       Child Loop BB137_73 Depth 3
                                        ;       Child Loop BB137_75 Depth 3
                                        ; implicit-def: $vgpr32
                                        ; implicit-def: $vgpr33
	s_and_saveexec_b32 s6, s1
	s_wait_alu 0xfffe
	s_xor_b32 s6, exec_lo, s6
	s_cbranch_execnz .LBB137_70
; %bb.62:                               ;   in Loop: Header=BB137_61 Depth=2
	s_wait_alu 0xfffe
	s_and_not1_saveexec_b32 s6, s6
	s_cbranch_execnz .LBB137_71
.LBB137_63:                             ;   in Loop: Header=BB137_61 Depth=2
	s_wait_alu 0xfffe
	s_or_b32 exec_lo, exec_lo, s6
	s_and_saveexec_b32 s6, s3
.LBB137_64:                             ;   in Loop: Header=BB137_61 Depth=2
	v_mov_b32_e32 v5, v4
	ds_store_b64 v36, v[4:5]
.LBB137_65:                             ;   in Loop: Header=BB137_61 Depth=2
	s_wait_alu 0xfffe
	s_or_b32 exec_lo, exec_lo, s6
	s_wait_dscnt 0x0
	ds_bpermute_b32 v5, v41, v32
	ds_bpermute_b32 v26, v41, v33
	s_wait_storecnt 0x0
	s_wait_loadcnt_dscnt 0x0
	s_barrier_signal -1
	s_barrier_wait -1
	global_inv scope:SCOPE_SE
	v_dual_add_f32 v5, v32, v5 :: v_dual_add_f32 v26, v33, v26
	ds_bpermute_b32 v27, v28, v5
	ds_bpermute_b32 v32, v28, v26
	s_wait_dscnt 0x0
	v_dual_add_f32 v5, v5, v27 :: v_dual_add_f32 v26, v26, v32
	ds_bpermute_b32 v27, v29, v5
	ds_bpermute_b32 v32, v29, v26
	s_wait_dscnt 0x0
	;; [unrolled: 4-line block ×3, first 2 shown]
	v_dual_add_f32 v5, v5, v27 :: v_dual_add_f32 v26, v26, v32
	ds_bpermute_b32 v27, v31, v5
	ds_bpermute_b32 v32, v31, v26
	s_and_saveexec_b32 s6, s4
	s_cbranch_execz .LBB137_67
; %bb.66:                               ;   in Loop: Header=BB137_61 Depth=2
	s_wait_dscnt 0x0
	v_dual_add_f32 v33, v26, v32 :: v_dual_add_f32 v32, v5, v27
	ds_store_b64 v37, v[32:33]
.LBB137_67:                             ;   in Loop: Header=BB137_61 Depth=2
	s_wait_alu 0xfffe
	s_or_b32 exec_lo, exec_lo, s6
	s_wait_dscnt 0x1
	v_dual_mov_b32 v27, 0 :: v_dual_mov_b32 v26, 0
	s_wait_loadcnt_dscnt 0x0
	s_barrier_signal -1
	s_barrier_wait -1
	global_inv scope:SCOPE_SE
	s_and_saveexec_b32 s6, s5
	s_cbranch_execnz .LBB137_77
; %bb.68:                               ;   in Loop: Header=BB137_61 Depth=2
	s_wait_alu 0xfffe
	s_or_b32 exec_lo, exec_lo, s6
	s_and_saveexec_b32 s6, s3
	s_cbranch_execnz .LBB137_78
.LBB137_69:                             ;   in Loop: Header=BB137_61 Depth=2
	s_wait_alu 0xfffe
	s_or_b32 exec_lo, exec_lo, s6
	s_and_saveexec_b32 s6, s0
	s_cbranch_execz .LBB137_60
	s_branch .LBB137_79
.LBB137_70:                             ;   in Loop: Header=BB137_61 Depth=2
	s_mul_u64 s[8:9], s[28:29], s[30:31]
	s_wait_alu 0xfffe
	s_lshl_b64 s[8:9], s[8:9], 3
	s_wait_dscnt 0x0
	s_wait_alu 0xfffe
	v_add_co_u32 v26, vcc_lo, v42, s8
	s_wait_alu 0xfffd
	v_add_co_ci_u32_e64 v27, null, s9, v43, vcc_lo
	global_load_b128 v[44:47], v[26:27], off
	s_clause 0x1
	global_load_b64 v[48:49], v[16:17], off
	global_load_b64 v[50:51], v[18:19], off
	global_load_b128 v[52:55], v[26:27], off offset:16
	s_clause 0x1
	global_load_b64 v[56:57], v[20:21], off
	global_load_b64 v[58:59], v[22:23], off
	s_wait_loadcnt 0x3
	scratch_store_b128 off, v[48:51], off
	s_wait_loadcnt 0x0
	scratch_store_b128 off, v[56:59], off offset:16
	s_wait_dscnt 0x0
	v_dual_mul_f32 v5, v45, v49 :: v_dual_mul_f32 v32, v47, v50
	v_dual_mul_f32 v26, v45, v48 :: v_dual_mul_f32 v27, v47, v51
	v_mul_f32_e32 v33, v53, v57
	s_delay_alu instid0(VALU_DEP_3) | instskip(NEXT) | instid1(VALU_DEP_4)
	v_fmac_f32_e32 v5, v44, v48
	v_fma_f32 v32, v46, v51, -v32
	s_delay_alu instid0(VALU_DEP_4) | instskip(SKIP_1) | instid1(VALU_DEP_2)
	v_fma_f32 v26, v44, v49, -v26
	v_dual_mul_f32 v44, v55, v59 :: v_dual_mul_f32 v45, v53, v56
	v_dual_fmac_f32 v33, v52, v56 :: v_dual_add_f32 v26, 0, v26
	s_delay_alu instid0(VALU_DEP_2) | instskip(SKIP_2) | instid1(VALU_DEP_4)
	v_fmac_f32_e32 v44, v54, v58
	v_fmac_f32_e32 v27, v46, v50
	v_dual_mul_f32 v46, v55, v58 :: v_dual_add_f32 v5, 0, v5
	v_add_f32_e32 v26, v26, v32
	v_fma_f32 v45, v52, v57, -v45
	s_delay_alu instid0(VALU_DEP_3) | instskip(NEXT) | instid1(VALU_DEP_4)
	v_add_f32_e32 v5, v5, v27
	v_fma_f32 v27, v54, v59, -v46
	s_delay_alu instid0(VALU_DEP_3) | instskip(NEXT) | instid1(VALU_DEP_3)
	v_add_f32_e32 v26, v26, v45
	v_add_f32_e32 v5, v5, v33
	s_delay_alu instid0(VALU_DEP_1)
	v_dual_add_f32 v33, v26, v27 :: v_dual_add_f32 v32, v5, v44
	s_and_not1_saveexec_b32 s6, s6
	s_cbranch_execz .LBB137_63
.LBB137_71:                             ;   in Loop: Header=BB137_61 Depth=2
	s_wait_dscnt 0x0
	v_dual_mov_b32 v32, 0 :: v_dual_mov_b32 v33, 0
	s_and_saveexec_b32 s7, s64
	s_cbranch_execz .LBB137_76
; %bb.72:                               ;   in Loop: Header=BB137_61 Depth=2
	v_dual_mov_b32 v27, v15 :: v_dual_mov_b32 v26, v14
	s_mov_b32 s8, 0
	s_mov_b32 s9, s62
.LBB137_73:                             ;   Parent Loop BB137_3 Depth=1
                                        ;     Parent Loop BB137_61 Depth=2
                                        ; =>    This Inner Loop Header: Depth=3
	global_load_b64 v[32:33], v[26:27], off
	v_add_co_u32 v26, vcc_lo, v26, s46
	s_wait_alu 0xfffd
	v_add_co_ci_u32_e64 v27, null, s47, v27, vcc_lo
	s_wait_alu 0xfffe
	s_add_co_i32 s9, s9, -1
	s_wait_loadcnt 0x0
	scratch_store_b64 off, v[32:33], s8
	s_add_co_i32 s8, s8, 8
	s_wait_alu 0xfffe
	s_cmp_eq_u32 s9, 0
	s_cbranch_scc0 .LBB137_73
; %bb.74:                               ;   in Loop: Header=BB137_61 Depth=2
	v_dual_mov_b32 v32, 0 :: v_dual_mov_b32 v27, v25
	v_dual_mov_b32 v26, v24 :: v_dual_mov_b32 v33, 0
	s_mov_b32 s8, s65
	s_mov_b32 s9, s62
.LBB137_75:                             ;   Parent Loop BB137_3 Depth=1
                                        ;     Parent Loop BB137_61 Depth=2
                                        ; =>    This Inner Loop Header: Depth=3
	global_load_b64 v[44:45], v[26:27], off offset:-4
	scratch_load_b64 v[46:47], off, s8 offset:-4
	v_add_co_u32 v26, vcc_lo, v26, 8
	s_wait_alu 0xfffd
	v_add_co_ci_u32_e64 v27, null, 0, v27, vcc_lo
	s_wait_alu 0xfffe
	s_add_co_i32 s9, s9, -1
	s_add_co_i32 s8, s8, 8
	s_wait_alu 0xfffe
	s_cmp_lg_u32 s9, 0
	s_wait_loadcnt 0x0
	v_mul_f32_e32 v5, v45, v47
	s_delay_alu instid0(VALU_DEP_1) | instskip(NEXT) | instid1(VALU_DEP_1)
	v_fmac_f32_e32 v5, v44, v46
	v_dual_mul_f32 v45, v45, v46 :: v_dual_add_f32 v32, v32, v5
	s_delay_alu instid0(VALU_DEP_1) | instskip(NEXT) | instid1(VALU_DEP_1)
	v_fma_f32 v44, v44, v47, -v45
	v_add_f32_e32 v33, v33, v44
	s_cbranch_scc1 .LBB137_75
.LBB137_76:                             ;   in Loop: Header=BB137_61 Depth=2
	s_wait_alu 0xfffe
	s_or_b32 exec_lo, exec_lo, s7
	s_delay_alu instid0(SALU_CYCLE_1)
	s_or_b32 exec_lo, exec_lo, s6
	s_and_saveexec_b32 s6, s3
	s_cbranch_execnz .LBB137_64
	s_branch .LBB137_65
.LBB137_77:                             ;   in Loop: Header=BB137_61 Depth=2
	ds_load_b64 v[26:27], v36
	s_wait_alu 0xfffe
	s_or_b32 exec_lo, exec_lo, s6
	s_and_saveexec_b32 s6, s3
	s_cbranch_execz .LBB137_69
.LBB137_78:                             ;   in Loop: Header=BB137_61 Depth=2
	s_wait_dscnt 0x0
	ds_bpermute_b32 v5, v29, v26
	ds_bpermute_b32 v32, v29, v27
	s_wait_dscnt 0x0
	v_dual_add_f32 v5, v26, v5 :: v_dual_add_f32 v26, v27, v32
	ds_bpermute_b32 v27, v30, v5
	ds_bpermute_b32 v32, v30, v26
	s_wait_dscnt 0x1
	v_add_f32_e32 v5, v5, v27
	s_wait_dscnt 0x0
	v_add_f32_e32 v27, v26, v32
	ds_bpermute_b32 v26, v31, v5
	s_wait_dscnt 0x0
	v_add_f32_e32 v26, v5, v26
	ds_bpermute_b32 v32, v31, v27
	s_wait_dscnt 0x0
	v_add_f32_e32 v27, v27, v32
	s_wait_alu 0xfffe
	s_or_b32 exec_lo, exec_lo, s6
	s_and_saveexec_b32 s6, s0
	s_cbranch_execz .LBB137_60
.LBB137_79:                             ;   in Loop: Header=BB137_61 Depth=2
	s_wait_dscnt 0x0
	v_mul_f32_e32 v5, v27, v13
	v_mul_f32_e32 v33, v27, v12
	s_mul_u64 s[8:9], s[28:29], s[36:37]
	s_wait_alu 0xfffe
	s_lshl_b64 s[8:9], s[8:9], 3
	v_fma_f32 v32, v26, v12, -v5
	v_fmac_f32_e32 v33, v26, v13
	s_wait_alu 0xfffe
	s_add_nc_u64 s[8:9], s[54:55], s[8:9]
	global_store_b64 v4, v[32:33], s[8:9]
	s_branch .LBB137_60
.LBB137_80:
	s_endpgm
	.section	.rodata,"a",@progbits
	.p2align	6, 0x0
	.amdhsa_kernel _ZL23rocblas_gemvt_sn_kernelILb1ELi256ELi4El19rocblas_complex_numIfEPKS1_S1_EviiT4_lPKT3_lilS7_lilPT5_i
		.amdhsa_group_segment_fixed_size 256
		.amdhsa_private_segment_fixed_size 48
		.amdhsa_kernarg_size 360
		.amdhsa_user_sgpr_count 2
		.amdhsa_user_sgpr_dispatch_ptr 0
		.amdhsa_user_sgpr_queue_ptr 0
		.amdhsa_user_sgpr_kernarg_segment_ptr 1
		.amdhsa_user_sgpr_dispatch_id 0
		.amdhsa_user_sgpr_private_segment_size 0
		.amdhsa_wavefront_size32 1
		.amdhsa_uses_dynamic_stack 0
		.amdhsa_enable_private_segment 1
		.amdhsa_system_sgpr_workgroup_id_x 1
		.amdhsa_system_sgpr_workgroup_id_y 0
		.amdhsa_system_sgpr_workgroup_id_z 1
		.amdhsa_system_sgpr_workgroup_info 0
		.amdhsa_system_vgpr_workitem_id 0
		.amdhsa_next_free_vgpr 81
		.amdhsa_next_free_sgpr 70
		.amdhsa_reserve_vcc 1
		.amdhsa_float_round_mode_32 0
		.amdhsa_float_round_mode_16_64 0
		.amdhsa_float_denorm_mode_32 3
		.amdhsa_float_denorm_mode_16_64 3
		.amdhsa_fp16_overflow 0
		.amdhsa_workgroup_processor_mode 1
		.amdhsa_memory_ordered 1
		.amdhsa_forward_progress 1
		.amdhsa_inst_pref_size 47
		.amdhsa_round_robin_scheduling 0
		.amdhsa_exception_fp_ieee_invalid_op 0
		.amdhsa_exception_fp_denorm_src 0
		.amdhsa_exception_fp_ieee_div_zero 0
		.amdhsa_exception_fp_ieee_overflow 0
		.amdhsa_exception_fp_ieee_underflow 0
		.amdhsa_exception_fp_ieee_inexact 0
		.amdhsa_exception_int_div_zero 0
	.end_amdhsa_kernel
	.section	.text._ZL23rocblas_gemvt_sn_kernelILb1ELi256ELi4El19rocblas_complex_numIfEPKS1_S1_EviiT4_lPKT3_lilS7_lilPT5_i,"axG",@progbits,_ZL23rocblas_gemvt_sn_kernelILb1ELi256ELi4El19rocblas_complex_numIfEPKS1_S1_EviiT4_lPKT3_lilS7_lilPT5_i,comdat
.Lfunc_end137:
	.size	_ZL23rocblas_gemvt_sn_kernelILb1ELi256ELi4El19rocblas_complex_numIfEPKS1_S1_EviiT4_lPKT3_lilS7_lilPT5_i, .Lfunc_end137-_ZL23rocblas_gemvt_sn_kernelILb1ELi256ELi4El19rocblas_complex_numIfEPKS1_S1_EviiT4_lPKT3_lilS7_lilPT5_i
                                        ; -- End function
	.set _ZL23rocblas_gemvt_sn_kernelILb1ELi256ELi4El19rocblas_complex_numIfEPKS1_S1_EviiT4_lPKT3_lilS7_lilPT5_i.num_vgpr, 81
	.set _ZL23rocblas_gemvt_sn_kernelILb1ELi256ELi4El19rocblas_complex_numIfEPKS1_S1_EviiT4_lPKT3_lilS7_lilPT5_i.num_agpr, 0
	.set _ZL23rocblas_gemvt_sn_kernelILb1ELi256ELi4El19rocblas_complex_numIfEPKS1_S1_EviiT4_lPKT3_lilS7_lilPT5_i.numbered_sgpr, 70
	.set _ZL23rocblas_gemvt_sn_kernelILb1ELi256ELi4El19rocblas_complex_numIfEPKS1_S1_EviiT4_lPKT3_lilS7_lilPT5_i.num_named_barrier, 0
	.set _ZL23rocblas_gemvt_sn_kernelILb1ELi256ELi4El19rocblas_complex_numIfEPKS1_S1_EviiT4_lPKT3_lilS7_lilPT5_i.private_seg_size, 48
	.set _ZL23rocblas_gemvt_sn_kernelILb1ELi256ELi4El19rocblas_complex_numIfEPKS1_S1_EviiT4_lPKT3_lilS7_lilPT5_i.uses_vcc, 1
	.set _ZL23rocblas_gemvt_sn_kernelILb1ELi256ELi4El19rocblas_complex_numIfEPKS1_S1_EviiT4_lPKT3_lilS7_lilPT5_i.uses_flat_scratch, 0
	.set _ZL23rocblas_gemvt_sn_kernelILb1ELi256ELi4El19rocblas_complex_numIfEPKS1_S1_EviiT4_lPKT3_lilS7_lilPT5_i.has_dyn_sized_stack, 0
	.set _ZL23rocblas_gemvt_sn_kernelILb1ELi256ELi4El19rocblas_complex_numIfEPKS1_S1_EviiT4_lPKT3_lilS7_lilPT5_i.has_recursion, 0
	.set _ZL23rocblas_gemvt_sn_kernelILb1ELi256ELi4El19rocblas_complex_numIfEPKS1_S1_EviiT4_lPKT3_lilS7_lilPT5_i.has_indirect_call, 0
	.section	.AMDGPU.csdata,"",@progbits
; Kernel info:
; codeLenInByte = 5896
; TotalNumSgprs: 72
; NumVgprs: 81
; ScratchSize: 48
; MemoryBound: 0
; FloatMode: 240
; IeeeMode: 1
; LDSByteSize: 256 bytes/workgroup (compile time only)
; SGPRBlocks: 0
; VGPRBlocks: 10
; NumSGPRsForWavesPerEU: 72
; NumVGPRsForWavesPerEU: 81
; Occupancy: 16
; WaveLimiterHint : 0
; COMPUTE_PGM_RSRC2:SCRATCH_EN: 1
; COMPUTE_PGM_RSRC2:USER_SGPR: 2
; COMPUTE_PGM_RSRC2:TRAP_HANDLER: 0
; COMPUTE_PGM_RSRC2:TGID_X_EN: 1
; COMPUTE_PGM_RSRC2:TGID_Y_EN: 0
; COMPUTE_PGM_RSRC2:TGID_Z_EN: 1
; COMPUTE_PGM_RSRC2:TIDIG_COMP_CNT: 0
	.section	.text._ZL23rocblas_gemvt_sn_kernelILb1ELi256ELi4Ei19rocblas_complex_numIfES1_S1_EviiT4_lPKT3_lilS5_lilPT5_i,"axG",@progbits,_ZL23rocblas_gemvt_sn_kernelILb1ELi256ELi4Ei19rocblas_complex_numIfES1_S1_EviiT4_lPKT3_lilS5_lilPT5_i,comdat
	.globl	_ZL23rocblas_gemvt_sn_kernelILb1ELi256ELi4Ei19rocblas_complex_numIfES1_S1_EviiT4_lPKT3_lilS5_lilPT5_i ; -- Begin function _ZL23rocblas_gemvt_sn_kernelILb1ELi256ELi4Ei19rocblas_complex_numIfES1_S1_EviiT4_lPKT3_lilS5_lilPT5_i
	.p2align	8
	.type	_ZL23rocblas_gemvt_sn_kernelILb1ELi256ELi4Ei19rocblas_complex_numIfES1_S1_EviiT4_lPKT3_lilS5_lilPT5_i,@function
_ZL23rocblas_gemvt_sn_kernelILb1ELi256ELi4Ei19rocblas_complex_numIfES1_S1_EviiT4_lPKT3_lilS5_lilPT5_i: ; @_ZL23rocblas_gemvt_sn_kernelILb1ELi256ELi4Ei19rocblas_complex_numIfES1_S1_EviiT4_lPKT3_lilS5_lilPT5_i
; %bb.0:
	s_load_b32 s11, s[0:1], 0x60
	s_lshr_b32 s24, ttmp7, 16
	s_wait_kmcnt 0x0
	s_cmp_ge_u32 s24, s11
	s_cbranch_scc1 .LBB138_80
; %bb.1:
	s_clause 0x6
	s_load_b96 s[8:10], s[0:1], 0x40
	s_load_b128 s[4:7], s[0:1], 0x18
	s_load_b128 s[12:15], s[0:1], 0x0
	;; [unrolled: 1-line block ×3, first 2 shown]
	s_load_b32 s28, s[0:1], 0x68
	s_load_b32 s33, s[0:1], 0x28
	s_load_b128 s[20:23], s[0:1], 0x50
	v_cmp_eq_u32_e64 s0, 0, v0
	s_mov_b32 s31, 0
	v_mbcnt_lo_u32_b32 v34, -1, 0
	s_mov_b32 s26, ttmp9
	s_mov_b32 s27, s31
	s_mov_b32 s29, s31
	s_wait_kmcnt 0x0
	s_lshl_b64 s[2:3], s[8:9], 3
	s_lshl_b64 s[6:7], s[6:7], 3
	s_or_b32 s1, s14, s15
	s_ashr_i32 s9, s13, 31
	s_bitset0_b32 s1, 31
	s_add_nc_u64 s[18:19], s[18:19], s[2:3]
	s_cmp_eq_u32 s1, 0
	s_add_nc_u64 s[2:3], s[4:5], s[6:7]
	s_cselect_b32 s56, -1, 0
	s_cmp_gt_i32 s13, 0
	s_mov_b32 s8, s13
	s_cselect_b32 s1, -1, 0
	s_lshl_b32 s4, ttmp9, 10
	s_ashr_i32 s6, s12, 31
	v_lshl_or_b32 v2, v0, 2, s4
	s_and_b32 s57, s0, s1
	s_lshr_b32 s1, s6, 30
	s_lshr_b32 s5, s9, 30
	s_add_co_i32 s1, s12, s1
	v_mul_lo_u32 v1, s10, v2
	v_ashrrev_i32_e32 v3, 31, v2
	s_and_b32 s1, s1, -4
	v_add_nc_u32_e32 v5, 4, v2
	s_sub_co_i32 s59, s12, s1
	s_wait_alu 0xfffe
	s_add_co_i32 s4, s13, s5
	v_lshlrev_b64_e32 v[3:4], 3, v[2:3]
	v_add_nc_u32_e32 v2, s59, v2
	v_add_nc_u32_e32 v7, s10, v1
	s_wait_alu 0xfffe
	s_and_b32 s58, s4, -4
	v_cmp_gt_u32_e64 s5, 8, v0
	s_wait_alu 0xfffe
	s_cmp_gt_i32 s58, 0
	v_add_co_u32 v29, vcc_lo, s2, v3
	v_lshrrev_b32_e32 v3, 2, v0
	v_add_nc_u32_e32 v9, s10, v7
	v_add_co_ci_u32_e64 v30, null, s3, v4, vcc_lo
	v_cmp_gt_u32_e64 s3, 32, v0
	s_delay_alu instid0(VALU_DEP_4) | instskip(NEXT) | instid1(VALU_DEP_4)
	v_and_b32_e32 v31, 56, v3
	v_add_nc_u32_e32 v11, s10, v9
	v_mov_b32_e32 v3, 0
	v_cmp_ge_i32_e64 s2, s12, v2
	v_and_b32_e32 v2, 31, v0
	v_ashrrev_i32_e32 v8, 31, v7
	v_ashrrev_i32_e32 v10, 31, v9
	;; [unrolled: 1-line block ×3, first 2 shown]
	s_cselect_b32 s60, -1, 0
	v_cmp_eq_u32_e64 s4, 0, v2
	v_lshlrev_b32_e32 v0, 3, v2
	v_ashrrev_i32_e32 v2, 31, v1
	s_cmp_gt_i32 s59, 0
	v_add_co_u32 v32, vcc_lo, v29, 4
	v_cmp_ge_i32_e64 s1, s12, v5
	s_cselect_b32 s12, -1, 0
	s_lshl_b64 s[36:37], s[26:27], 3
	v_lshlrev_b64_e32 v[5:6], 3, v[1:2]
	v_lshlrev_b64_e32 v[7:8], 3, v[7:8]
	;; [unrolled: 1-line block ×4, first 2 shown]
	s_wait_alu 0xfffd
	v_add_co_ci_u32_e64 v33, null, 0, v30, vcc_lo
	v_lshl_or_b32 v2, v34, 2, 64
	s_mul_u64 s[34:35], s[8:9], s[28:29]
	s_add_nc_u64 s[6:7], s[22:23], s[36:37]
	s_wait_alu 0xfffe
	s_and_b32 s27, s12, s2
	s_add_nc_u64 s[38:39], s[6:7], 4
	s_lshl_b64 s[40:41], s[34:35], 3
	s_lshl_b64 s[42:43], s[28:29], 3
	s_lshl_b32 s61, s33, 2
	s_lshl_b32 s62, s33, 1
	s_mul_i32 s63, s33, 3
	s_or_b32 s64, 0, 4
	s_lshl_b64 s[44:45], s[16:17], 3
	s_branch .LBB138_3
.LBB138_2:                              ;   in Loop: Header=BB138_3 Depth=1
	s_add_co_i32 s24, s24, 0x10000
	s_delay_alu instid0(SALU_CYCLE_1)
	s_cmp_lt_u32 s24, s11
	s_cbranch_scc0 .LBB138_80
.LBB138_3:                              ; =>This Loop Header: Depth=1
                                        ;     Child Loop BB138_6 Depth 2
                                        ;     Child Loop BB138_12 Depth 2
                                        ;       Child Loop BB138_43 Depth 3
                                        ;       Child Loop BB138_45 Depth 3
                                        ;     Child Loop BB138_61 Depth 2
                                        ;       Child Loop BB138_73 Depth 3
                                        ;       Child Loop BB138_75 Depth 3
	s_mov_b32 s25, s31
	s_and_not1_b32 vcc_lo, exec_lo, s56
	s_mov_b32 s6, -1
	s_wait_alu 0xfffe
	s_cbranch_vccnz .LBB138_8
; %bb.4:                                ;   in Loop: Header=BB138_3 Depth=1
	s_and_saveexec_b32 s8, s57
	s_cbranch_execz .LBB138_7
; %bb.5:                                ;   in Loop: Header=BB138_3 Depth=1
	s_mul_u64 s[6:7], s[40:41], s[24:25]
	s_mov_b32 s9, s13
	s_wait_alu 0xfffe
	s_add_nc_u64 s[6:7], s[38:39], s[6:7]
.LBB138_6:                              ;   Parent Loop BB138_3 Depth=1
                                        ; =>  This Inner Loop Header: Depth=2
	v_mov_b32_e32 v4, v3
	s_add_co_i32 s9, s9, -1
	s_wait_alu 0xfffe
	s_cmp_eq_u32 s9, 0
	global_store_b64 v3, v[3:4], s[6:7] offset:-4
	s_add_nc_u64 s[6:7], s[6:7], s[42:43]
	s_cbranch_scc0 .LBB138_6
.LBB138_7:                              ;   in Loop: Header=BB138_3 Depth=1
	s_wait_alu 0xfffe
	s_or_b32 exec_lo, exec_lo, s8
	s_mov_b32 s6, 0
.LBB138_8:                              ;   in Loop: Header=BB138_3 Depth=1
	s_wait_alu 0xfffe
	s_and_not1_b32 vcc_lo, exec_lo, s6
	s_wait_alu 0xfffe
	s_cbranch_vccnz .LBB138_2
; %bb.9:                                ;   in Loop: Header=BB138_3 Depth=1
	s_mul_u64 s[6:7], s[20:21], s[24:25]
	s_mul_u64 s[8:9], s[16:17], s[24:25]
	s_wait_alu 0xfffe
	s_lshl_b64 s[6:7], s[6:7], 3
	s_mul_u64 s[50:51], s[34:35], s[24:25]
	s_wait_alu 0xfffe
	s_add_nc_u64 s[46:47], s[18:19], s[6:7]
	s_lshl_b64 s[6:7], s[8:9], 3
	v_cmp_gt_u32_e64 s9, 24, v34
	s_wait_alu 0xfffe
	v_add_co_u32 v35, vcc_lo, v29, s6
	s_wait_alu 0xfffd
	v_add_co_ci_u32_e64 v36, null, s7, v30, vcc_lo
	v_cmp_gt_u32_e64 s8, 28, v34
	v_cmp_gt_u32_e64 s7, 30, v34
	v_cmp_ne_u32_e64 s6, 31, v34
	s_lshl_b64 s[50:51], s[50:51], 3
	s_mul_u64 s[48:49], s[44:45], s[24:25]
	s_and_not1_b32 vcc_lo, exec_lo, s60
	s_wait_alu 0xfffe
	s_add_nc_u64 s[50:51], s[22:23], s[50:51]
	s_cbranch_vccnz .LBB138_57
; %bb.10:                               ;   in Loop: Header=BB138_3 Depth=1
	v_cndmask_b32_e64 v13, 0, 4, s8
	v_cndmask_b32_e64 v14, 0, 2, s7
	v_add_co_ci_u32_e64 v15, null, 0, v34, s6
	v_cndmask_b32_e64 v4, 0, 8, s9
	s_delay_alu instid0(VALU_DEP_4)
	v_add_lshl_u32 v38, v13, v34, 2
	v_add_co_u32 v13, vcc_lo, s46, v5
	v_add_lshl_u32 v39, v14, v34, 2
	v_lshlrev_b32_e32 v40, 2, v15
	s_wait_alu 0xfffd
	v_add_co_ci_u32_e64 v14, null, s47, v6, vcc_lo
	v_add_co_u32 v15, vcc_lo, s46, v7
	s_wait_alu 0xfffd
	v_add_co_ci_u32_e64 v16, null, s47, v8, vcc_lo
	v_add_co_u32 v17, vcc_lo, s46, v9
	;; [unrolled: 3-line block ×4, first 2 shown]
	v_add_lshl_u32 v37, v4, v34, 2
	s_wait_alu 0xfffd
	v_add_co_ci_u32_e64 v42, null, s49, v33, vcc_lo
	s_mov_b32 s6, 0
	s_mov_b32 s65, s63
	;; [unrolled: 1-line block ×5, first 2 shown]
	s_branch .LBB138_12
.LBB138_11:                             ;   in Loop: Header=BB138_12 Depth=2
	s_wait_alu 0xfffe
	s_or_b32 exec_lo, exec_lo, s7
	s_add_co_i32 s25, s25, 4
	s_add_co_i32 s67, s67, s61
	;; [unrolled: 1-line block ×5, first 2 shown]
	s_cmp_ge_i32 s25, s58
	s_cbranch_scc1 .LBB138_58
.LBB138_12:                             ;   Parent Loop BB138_3 Depth=1
                                        ; =>  This Loop Header: Depth=2
                                        ;       Child Loop BB138_43 Depth 3
                                        ;       Child Loop BB138_45 Depth 3
                                        ; implicit-def: $vgpr43
                                        ; implicit-def: $vgpr44
                                        ; implicit-def: $vgpr23
                                        ; implicit-def: $vgpr24
                                        ; implicit-def: $vgpr25
                                        ; implicit-def: $vgpr26
                                        ; implicit-def: $vgpr28
                                        ; implicit-def: $vgpr27
	s_and_saveexec_b32 s7, s1
	s_wait_alu 0xfffe
	s_xor_b32 s7, exec_lo, s7
	s_cbranch_execnz .LBB138_39
; %bb.13:                               ;   in Loop: Header=BB138_12 Depth=2
	s_wait_alu 0xfffe
	s_and_not1_saveexec_b32 s30, s7
	s_cbranch_execnz .LBB138_40
.LBB138_14:                             ;   in Loop: Header=BB138_12 Depth=2
	s_or_b32 exec_lo, exec_lo, s30
	s_and_saveexec_b32 s7, s3
.LBB138_15:                             ;   in Loop: Header=BB138_12 Depth=2
	v_mov_b32_e32 v4, v3
	ds_store_b64 v0, v[3:4]
.LBB138_16:                             ;   in Loop: Header=BB138_12 Depth=2
	s_wait_alu 0xfffe
	s_or_b32 exec_lo, exec_lo, s7
	ds_bpermute_b32 v4, v2, v43
	s_wait_dscnt 0x1
	ds_bpermute_b32 v21, v2, v44
	s_wait_storecnt_dscnt 0x0
	s_barrier_signal -1
	s_barrier_wait -1
	global_inv scope:SCOPE_SE
	v_dual_add_f32 v4, v43, v4 :: v_dual_add_f32 v21, v44, v21
	ds_bpermute_b32 v22, v37, v4
	ds_bpermute_b32 v43, v37, v21
	s_wait_dscnt 0x0
	v_dual_add_f32 v4, v4, v22 :: v_dual_add_f32 v21, v21, v43
	ds_bpermute_b32 v22, v38, v4
	ds_bpermute_b32 v43, v38, v21
	s_wait_dscnt 0x0
	;; [unrolled: 4-line block ×3, first 2 shown]
	v_dual_add_f32 v4, v4, v22 :: v_dual_add_f32 v21, v21, v43
	ds_bpermute_b32 v22, v40, v4
	ds_bpermute_b32 v43, v40, v21
	s_and_saveexec_b32 s7, s4
	s_cbranch_execz .LBB138_18
; %bb.17:                               ;   in Loop: Header=BB138_12 Depth=2
	s_wait_dscnt 0x0
	v_dual_add_f32 v44, v21, v43 :: v_dual_add_f32 v43, v4, v22
	ds_store_b64 v31, v[43:44]
.LBB138_18:                             ;   in Loop: Header=BB138_12 Depth=2
	s_wait_alu 0xfffe
	s_or_b32 exec_lo, exec_lo, s7
	s_wait_dscnt 0x1
	v_dual_mov_b32 v22, 0 :: v_dual_mov_b32 v21, 0
	s_wait_loadcnt_dscnt 0x0
	s_barrier_signal -1
	s_barrier_wait -1
	global_inv scope:SCOPE_SE
	s_and_saveexec_b32 s7, s5
	s_cbranch_execnz .LBB138_46
; %bb.19:                               ;   in Loop: Header=BB138_12 Depth=2
	s_wait_alu 0xfffe
	s_or_b32 exec_lo, exec_lo, s7
	s_and_saveexec_b32 s7, s3
	s_cbranch_execnz .LBB138_47
.LBB138_20:                             ;   in Loop: Header=BB138_12 Depth=2
	s_wait_alu 0xfffe
	s_or_b32 exec_lo, exec_lo, s7
	s_and_saveexec_b32 s7, s3
.LBB138_21:                             ;   in Loop: Header=BB138_12 Depth=2
	v_mov_b32_e32 v4, v3
	ds_store_b64 v0, v[3:4]
.LBB138_22:                             ;   in Loop: Header=BB138_12 Depth=2
	s_wait_alu 0xfffe
	s_or_b32 exec_lo, exec_lo, s7
	ds_bpermute_b32 v4, v2, v23
	ds_bpermute_b32 v43, v2, v24
	s_wait_loadcnt_dscnt 0x0
	s_barrier_signal -1
	s_barrier_wait -1
	global_inv scope:SCOPE_SE
	v_dual_add_f32 v4, v23, v4 :: v_dual_add_f32 v23, v24, v43
	ds_bpermute_b32 v24, v37, v4
	ds_bpermute_b32 v43, v37, v23
	s_wait_dscnt 0x0
	v_dual_add_f32 v4, v4, v24 :: v_dual_add_f32 v23, v23, v43
	ds_bpermute_b32 v24, v38, v4
	ds_bpermute_b32 v43, v38, v23
	s_wait_dscnt 0x0
	;; [unrolled: 4-line block ×3, first 2 shown]
	v_dual_add_f32 v4, v4, v24 :: v_dual_add_f32 v23, v23, v43
	ds_bpermute_b32 v24, v40, v4
	ds_bpermute_b32 v43, v40, v23
	s_and_saveexec_b32 s7, s4
	s_cbranch_execz .LBB138_24
; %bb.23:                               ;   in Loop: Header=BB138_12 Depth=2
	s_wait_dscnt 0x0
	v_dual_add_f32 v44, v23, v43 :: v_dual_add_f32 v43, v4, v24
	ds_store_b64 v31, v[43:44]
.LBB138_24:                             ;   in Loop: Header=BB138_12 Depth=2
	s_wait_alu 0xfffe
	s_or_b32 exec_lo, exec_lo, s7
	s_wait_dscnt 0x1
	v_dual_mov_b32 v24, 0 :: v_dual_mov_b32 v23, 0
	s_wait_loadcnt_dscnt 0x0
	s_barrier_signal -1
	s_barrier_wait -1
	global_inv scope:SCOPE_SE
	s_and_saveexec_b32 s7, s5
	s_cbranch_execnz .LBB138_48
; %bb.25:                               ;   in Loop: Header=BB138_12 Depth=2
	s_wait_alu 0xfffe
	s_or_b32 exec_lo, exec_lo, s7
	s_and_saveexec_b32 s7, s3
	s_cbranch_execnz .LBB138_49
.LBB138_26:                             ;   in Loop: Header=BB138_12 Depth=2
	s_wait_alu 0xfffe
	s_or_b32 exec_lo, exec_lo, s7
	s_and_saveexec_b32 s7, s3
.LBB138_27:                             ;   in Loop: Header=BB138_12 Depth=2
	v_mov_b32_e32 v4, v3
	ds_store_b64 v0, v[3:4]
.LBB138_28:                             ;   in Loop: Header=BB138_12 Depth=2
	s_wait_alu 0xfffe
	s_or_b32 exec_lo, exec_lo, s7
	ds_bpermute_b32 v4, v2, v25
	ds_bpermute_b32 v43, v2, v26
	s_wait_loadcnt_dscnt 0x0
	s_barrier_signal -1
	s_barrier_wait -1
	global_inv scope:SCOPE_SE
	v_dual_add_f32 v4, v25, v4 :: v_dual_add_f32 v25, v26, v43
	ds_bpermute_b32 v26, v37, v4
	ds_bpermute_b32 v43, v37, v25
	s_wait_dscnt 0x0
	v_dual_add_f32 v4, v4, v26 :: v_dual_add_f32 v25, v25, v43
	ds_bpermute_b32 v26, v38, v4
	ds_bpermute_b32 v43, v38, v25
	s_wait_dscnt 0x0
	;; [unrolled: 4-line block ×3, first 2 shown]
	v_dual_add_f32 v4, v4, v26 :: v_dual_add_f32 v25, v25, v43
	ds_bpermute_b32 v26, v40, v4
	ds_bpermute_b32 v43, v40, v25
	s_and_saveexec_b32 s7, s4
	s_cbranch_execz .LBB138_30
; %bb.29:                               ;   in Loop: Header=BB138_12 Depth=2
	s_wait_dscnt 0x0
	v_dual_add_f32 v44, v25, v43 :: v_dual_add_f32 v43, v4, v26
	ds_store_b64 v31, v[43:44]
.LBB138_30:                             ;   in Loop: Header=BB138_12 Depth=2
	s_wait_alu 0xfffe
	s_or_b32 exec_lo, exec_lo, s7
	s_wait_dscnt 0x1
	v_dual_mov_b32 v26, 0 :: v_dual_mov_b32 v25, 0
	s_wait_loadcnt_dscnt 0x0
	s_barrier_signal -1
	s_barrier_wait -1
	global_inv scope:SCOPE_SE
	s_and_saveexec_b32 s7, s5
	s_cbranch_execnz .LBB138_50
; %bb.31:                               ;   in Loop: Header=BB138_12 Depth=2
	s_wait_alu 0xfffe
	s_or_b32 exec_lo, exec_lo, s7
	s_and_saveexec_b32 s7, s3
	s_cbranch_execnz .LBB138_51
.LBB138_32:                             ;   in Loop: Header=BB138_12 Depth=2
	s_wait_alu 0xfffe
	s_or_b32 exec_lo, exec_lo, s7
	s_and_saveexec_b32 s7, s3
.LBB138_33:                             ;   in Loop: Header=BB138_12 Depth=2
	v_mov_b32_e32 v4, v3
	ds_store_b64 v0, v[3:4]
.LBB138_34:                             ;   in Loop: Header=BB138_12 Depth=2
	s_wait_alu 0xfffe
	s_or_b32 exec_lo, exec_lo, s7
	ds_bpermute_b32 v4, v2, v28
	ds_bpermute_b32 v43, v2, v27
	s_wait_loadcnt_dscnt 0x0
	s_barrier_signal -1
	s_barrier_wait -1
	global_inv scope:SCOPE_SE
	v_dual_add_f32 v4, v28, v4 :: v_dual_add_f32 v27, v27, v43
	ds_bpermute_b32 v28, v37, v4
	ds_bpermute_b32 v43, v37, v27
	s_wait_dscnt 0x0
	v_dual_add_f32 v4, v4, v28 :: v_dual_add_f32 v27, v27, v43
	ds_bpermute_b32 v28, v38, v4
	ds_bpermute_b32 v43, v38, v27
	s_wait_dscnt 0x0
	;; [unrolled: 4-line block ×3, first 2 shown]
	v_dual_add_f32 v4, v4, v28 :: v_dual_add_f32 v27, v27, v43
	ds_bpermute_b32 v28, v40, v4
	ds_bpermute_b32 v43, v40, v27
	s_and_saveexec_b32 s7, s4
	s_cbranch_execz .LBB138_36
; %bb.35:                               ;   in Loop: Header=BB138_12 Depth=2
	s_wait_dscnt 0x0
	v_dual_add_f32 v44, v27, v43 :: v_dual_add_f32 v43, v4, v28
	ds_store_b64 v31, v[43:44]
.LBB138_36:                             ;   in Loop: Header=BB138_12 Depth=2
	s_wait_alu 0xfffe
	s_or_b32 exec_lo, exec_lo, s7
	s_wait_dscnt 0x1
	v_dual_mov_b32 v28, 0 :: v_dual_mov_b32 v27, 0
	s_wait_loadcnt_dscnt 0x0
	s_barrier_signal -1
	s_barrier_wait -1
	global_inv scope:SCOPE_SE
	s_and_saveexec_b32 s7, s5
	s_cbranch_execnz .LBB138_52
; %bb.37:                               ;   in Loop: Header=BB138_12 Depth=2
	s_wait_alu 0xfffe
	s_or_b32 exec_lo, exec_lo, s7
	s_and_saveexec_b32 s7, s3
	s_cbranch_execnz .LBB138_53
.LBB138_38:                             ;   in Loop: Header=BB138_12 Depth=2
	s_wait_alu 0xfffe
	s_or_b32 exec_lo, exec_lo, s7
	s_and_saveexec_b32 s7, s0
	s_cbranch_execz .LBB138_11
	s_branch .LBB138_54
.LBB138_39:                             ;   in Loop: Header=BB138_12 Depth=2
	s_mul_i32 s8, s25, s33
	global_load_b64 v[45:46], v[13:14], off
	s_wait_alu 0xfffe
	s_ashr_i32 s9, s8, 31
	s_wait_alu 0xfffe
	s_lshl_b64 s[52:53], s[8:9], 3
	s_add_co_i32 s8, s8, s33
	s_wait_alu 0xfffe
	v_add_co_u32 v25, vcc_lo, v35, s52
	s_ashr_i32 s9, s8, 31
	s_wait_alu 0xfffd
	v_add_co_ci_u32_e64 v26, null, s53, v36, vcc_lo
	s_wait_alu 0xfffe
	s_lshl_b64 s[52:53], s[8:9], 3
	s_add_co_i32 s8, s8, s33
	s_wait_alu 0xfffe
	v_add_co_u32 v43, vcc_lo, v35, s52
	s_ashr_i32 s9, s8, 31
	s_wait_alu 0xfffd
	v_add_co_ci_u32_e64 v44, null, s53, v36, vcc_lo
	s_wait_alu 0xfffe
	s_lshl_b64 s[52:53], s[8:9], 3
	s_add_co_i32 s8, s8, s33
	s_wait_alu 0xfffe
	v_add_co_u32 v65, vcc_lo, v35, s52
	s_wait_dscnt 0x0
	s_clause 0x1
	global_load_b128 v[21:24], v[25:26], off offset:16
	global_load_b128 v[25:28], v[25:26], off
	s_wait_alu 0xfffd
	v_add_co_ci_u32_e64 v66, null, s53, v36, vcc_lo
	s_ashr_i32 s9, s8, 31
	s_clause 0x2
	global_load_b64 v[47:48], v[15:16], off
	global_load_b64 v[49:50], v[17:18], off
	;; [unrolled: 1-line block ×3, first 2 shown]
	s_wait_alu 0xfffe
	s_lshl_b64 s[8:9], s[8:9], 3
	s_clause 0x2
	global_load_b128 v[53:56], v[43:44], off
	global_load_b128 v[57:60], v[43:44], off offset:16
	global_load_b128 v[61:64], v[65:66], off
	s_wait_alu 0xfffe
	v_add_co_u32 v43, vcc_lo, v35, s8
	global_load_b128 v[65:68], v[65:66], off offset:16
	s_wait_alu 0xfffd
	v_add_co_ci_u32_e64 v44, null, s9, v36, vcc_lo
	s_clause 0x1
	global_load_b128 v[69:72], v[43:44], off
	global_load_b128 v[73:76], v[43:44], off offset:16
	s_wait_loadcnt 0x8
	scratch_store_b128 off, v[45:48], off
	s_wait_loadcnt 0x6
	scratch_store_b128 off, v[49:52], off offset:16
	v_dual_mul_f32 v4, v26, v46 :: v_dual_mul_f32 v43, v28, v48
	v_dual_mul_f32 v26, v26, v45 :: v_dual_mul_f32 v77, v52, v24
	s_wait_loadcnt 0x5
	v_dual_mul_f32 v44, v50, v22 :: v_dual_mul_f32 v79, v56, v48
	s_wait_loadcnt 0x4
	;; [unrolled: 2-line block ×4, first 2 shown]
	v_dual_mul_f32 v54, v54, v45 :: v_dual_mul_f32 v85, v52, v68
	v_fmac_f32_e32 v4, v25, v45
	v_fma_f32 v25, v25, v46, -v26
	v_mul_f32_e32 v24, v51, v24
	v_mul_f32_e32 v28, v28, v47
	v_dual_mul_f32 v80, v50, v58 :: v_dual_fmac_f32 v43, v27, v47
	v_dual_mul_f32 v58, v49, v58 :: v_dual_fmac_f32 v77, v51, v23
	v_fmac_f32_e32 v44, v49, v21
	v_fma_f32 v21, v50, v21, -v22
	v_add_f32_e32 v25, 0, v25
	v_fma_f32 v22, v52, v23, -v24
	s_wait_loadcnt 0x1
	v_dual_mul_f32 v23, v70, v46 :: v_dual_mul_f32 v56, v56, v47
	v_mul_f32_e32 v82, v62, v46
	v_fma_f32 v26, v27, v48, -v28
	v_mul_f32_e32 v27, v72, v48
	s_delay_alu instid0(VALU_DEP_4)
	v_fmac_f32_e32 v23, v69, v45
	v_mul_f32_e32 v24, v70, v45
	s_wait_loadcnt 0x0
	v_mul_f32_e32 v70, v50, v74
	v_dual_mul_f32 v62, v62, v45 :: v_dual_fmac_f32 v79, v55, v47
	v_fmac_f32_e32 v27, v71, v47
	v_dual_add_f32 v23, 0, v23 :: v_dual_fmac_f32 v78, v53, v45
	v_fma_f32 v53, v53, v46, -v54
	v_mul_f32_e32 v64, v64, v47
	v_dual_mul_f32 v84, v50, v66 :: v_dual_fmac_f32 v81, v51, v59
	v_dual_mul_f32 v66, v49, v66 :: v_dual_fmac_f32 v83, v63, v47
	v_fma_f32 v54, v55, v48, -v56
	v_fma_f32 v55, v50, v57, -v58
	v_dual_fmac_f32 v85, v51, v67 :: v_dual_add_f32 v4, 0, v4
	v_add_f32_e32 v53, 0, v53
	v_fma_f32 v58, v63, v48, -v64
	v_add_f32_e32 v23, v23, v27
	v_dual_mul_f32 v60, v51, v60 :: v_dual_add_f32 v63, 0, v78
	v_fmac_f32_e32 v80, v49, v57
	v_dual_add_f32 v4, v4, v43 :: v_dual_add_f32 v25, v25, v26
	v_dual_mul_f32 v28, v72, v47 :: v_dual_add_f32 v43, v53, v54
	s_delay_alu instid0(VALU_DEP_4)
	v_add_f32_e32 v26, v63, v79
	v_fmac_f32_e32 v82, v61, v45
	v_fma_f32 v57, v61, v46, -v62
	v_fma_f32 v24, v69, v46, -v24
	v_add_f32_e32 v4, v4, v44
	v_mul_f32_e32 v68, v51, v68
	v_add_f32_e32 v64, 0, v82
	v_mul_f32_e32 v72, v49, v74
	v_dual_mul_f32 v74, v52, v76 :: v_dual_add_f32 v21, v25, v21
	v_mul_f32_e32 v76, v51, v76
	v_fma_f32 v28, v71, v48, -v28
	v_fmac_f32_e32 v70, v49, v73
	v_add_f32_e32 v57, 0, v57
	v_dual_add_f32 v25, v26, v80 :: v_dual_add_f32 v26, v43, v55
	v_add_f32_e32 v43, v4, v77
	v_fma_f32 v62, v52, v75, -v76
	v_add_f32_e32 v24, 0, v24
	v_fma_f32 v56, v52, v59, -v60
	v_fmac_f32_e32 v84, v49, v65
	v_fma_f32 v59, v50, v65, -v66
	v_add_f32_e32 v54, v57, v58
	v_add_f32_e32 v24, v24, v28
	v_dual_add_f32 v4, v23, v70 :: v_dual_add_f32 v23, v25, v81
	v_add_f32_e32 v53, v64, v83
	v_fma_f32 v61, v50, v73, -v72
	v_fma_f32 v60, v52, v67, -v68
	v_fmac_f32_e32 v74, v51, v75
	s_delay_alu instid0(VALU_DEP_4) | instskip(NEXT) | instid1(VALU_DEP_4)
	v_dual_add_f32 v28, v54, v59 :: v_dual_add_f32 v27, v53, v84
	v_dual_add_f32 v44, v21, v22 :: v_dual_add_f32 v21, v24, v61
	v_add_f32_e32 v24, v26, v56
	s_delay_alu instid0(VALU_DEP_3) | instskip(SKIP_1) | instid1(VALU_DEP_4)
	v_dual_add_f32 v26, v28, v60 :: v_dual_add_f32 v25, v27, v85
	v_add_f32_e32 v28, v4, v74
	v_add_f32_e32 v27, v21, v62
	s_and_not1_saveexec_b32 s30, s7
	s_cbranch_execz .LBB138_14
.LBB138_40:                             ;   in Loop: Header=BB138_12 Depth=2
	v_dual_mov_b32 v43, 0 :: v_dual_mov_b32 v44, 0
	v_dual_mov_b32 v23, 0 :: v_dual_mov_b32 v24, 0
	;; [unrolled: 1-line block ×3, first 2 shown]
	s_wait_dscnt 0x0
	v_dual_mov_b32 v28, 0 :: v_dual_mov_b32 v27, 0
	s_and_saveexec_b32 s68, s2
	s_cbranch_execz .LBB138_56
; %bb.41:                               ;   in Loop: Header=BB138_12 Depth=2
	s_and_not1_b32 vcc_lo, exec_lo, s12
	s_wait_alu 0xfffe
	s_cbranch_vccnz .LBB138_55
; %bb.42:                               ;   in Loop: Header=BB138_12 Depth=2
	v_mov_b32_e32 v21, v1
	s_mov_b32 s7, 0
	s_mov_b32 s8, s59
.LBB138_43:                             ;   Parent Loop BB138_3 Depth=1
                                        ;     Parent Loop BB138_12 Depth=2
                                        ; =>    This Inner Loop Header: Depth=3
	s_delay_alu instid0(VALU_DEP_1) | instskip(SKIP_2) | instid1(VALU_DEP_1)
	v_ashrrev_i32_e32 v22, 31, v21
	s_wait_alu 0xfffe
	s_add_co_i32 s8, s8, -1
	v_lshlrev_b64_e32 v[22:23], 3, v[21:22]
	v_add_nc_u32_e32 v21, s10, v21
	s_delay_alu instid0(VALU_DEP_2) | instskip(SKIP_1) | instid1(VALU_DEP_3)
	v_add_co_u32 v22, vcc_lo, s46, v22
	s_wait_alu 0xfffd
	v_add_co_ci_u32_e64 v23, null, s47, v23, vcc_lo
	global_load_b64 v[22:23], v[22:23], off
	s_wait_loadcnt 0x0
	scratch_store_b64 off, v[22:23], s7
	s_add_co_i32 s7, s7, 8
	s_wait_alu 0xfffe
	s_cmp_eq_u32 s8, 0
	s_cbranch_scc0 .LBB138_43
; %bb.44:                               ;   in Loop: Header=BB138_12 Depth=2
	s_ashr_i32 s7, s6, 31
	v_dual_mov_b32 v27, 0 :: v_dual_mov_b32 v28, 0
	s_wait_alu 0xfffe
	s_lshl_b64 s[8:9], s[6:7], 3
	v_dual_mov_b32 v26, 0 :: v_dual_mov_b32 v25, 0
	s_wait_alu 0xfffe
	v_add_co_u32 v21, vcc_lo, v41, s8
	s_wait_alu 0xfffd
	v_add_co_ci_u32_e64 v22, null, s9, v42, vcc_lo
	v_dual_mov_b32 v24, 0 :: v_dual_mov_b32 v23, 0
	v_dual_mov_b32 v44, 0 :: v_dual_mov_b32 v43, 0
	s_mov_b32 s7, s64
	s_mov_b32 s8, s65
	s_mov_b32 s52, s66
	s_mov_b32 s54, s67
	s_mov_b32 s69, s59
.LBB138_45:                             ;   Parent Loop BB138_3 Depth=1
                                        ;     Parent Loop BB138_12 Depth=2
                                        ; =>    This Inner Loop Header: Depth=3
	s_ashr_i32 s55, s54, 31
	s_wait_alu 0xfffe
	s_ashr_i32 s53, s52, 31
	s_lshl_b64 s[70:71], s[54:55], 3
	s_ashr_i32 s9, s8, 31
	s_wait_alu 0xfffe
	s_lshl_b64 s[72:73], s[52:53], 3
	v_add_co_u32 v49, vcc_lo, v35, s70
	s_lshl_b64 s[74:75], s[8:9], 3
	s_wait_alu 0xfffd
	v_add_co_ci_u32_e64 v50, null, s71, v36, vcc_lo
	s_wait_alu 0xfffe
	v_add_co_u32 v51, vcc_lo, v35, s72
	s_wait_alu 0xfffd
	v_add_co_ci_u32_e64 v52, null, s73, v36, vcc_lo
	v_add_co_u32 v53, vcc_lo, v35, s74
	s_wait_alu 0xfffd
	v_add_co_ci_u32_e64 v54, null, s75, v36, vcc_lo
	scratch_load_b64 v[45:46], off, s7 offset:-4
	global_load_b64 v[47:48], v[21:22], off offset:-4
	s_clause 0x2
	global_load_b64 v[49:50], v[49:50], off
	global_load_b64 v[51:52], v[51:52], off
	;; [unrolled: 1-line block ×3, first 2 shown]
	v_add_co_u32 v21, vcc_lo, v21, 8
	s_wait_alu 0xfffd
	v_add_co_ci_u32_e64 v22, null, 0, v22, vcc_lo
	s_add_co_i32 s69, s69, -1
	s_add_co_i32 s7, s7, 8
	s_add_co_i32 s54, s54, 1
	;; [unrolled: 1-line block ×4, first 2 shown]
	s_cmp_lg_u32 s69, 0
	s_wait_loadcnt 0x1
	v_mul_f32_e32 v55, v46, v52
	s_wait_loadcnt 0x0
	v_mul_f32_e32 v56, v46, v54
	v_mul_f32_e32 v54, v45, v54
	;; [unrolled: 1-line block ×4, first 2 shown]
	v_fmac_f32_e32 v55, v45, v51
	v_mul_f32_e32 v52, v45, v52
	s_delay_alu instid0(VALU_DEP_4) | instskip(NEXT) | instid1(VALU_DEP_4)
	v_fmac_f32_e32 v4, v45, v47
	v_fma_f32 v47, v46, v47, -v48
	v_mul_f32_e32 v48, v46, v50
	v_mul_f32_e32 v50, v45, v50
	v_add_f32_e32 v25, v25, v55
	v_fmac_f32_e32 v56, v45, v53
	v_add_f32_e32 v44, v44, v47
	v_fmac_f32_e32 v48, v45, v49
	v_fma_f32 v47, v46, v51, -v52
	v_fma_f32 v45, v46, v53, -v54
	v_add_f32_e32 v28, v28, v56
	s_delay_alu instid0(VALU_DEP_4) | instskip(SKIP_3) | instid1(VALU_DEP_2)
	v_add_f32_e32 v23, v23, v48
	v_add_f32_e32 v43, v43, v4
	v_fma_f32 v4, v46, v49, -v50
	v_dual_add_f32 v26, v26, v47 :: v_dual_add_f32 v27, v27, v45
	v_add_f32_e32 v24, v24, v4
	s_cbranch_scc1 .LBB138_45
	s_branch .LBB138_56
.LBB138_46:                             ;   in Loop: Header=BB138_12 Depth=2
	ds_load_b64 v[21:22], v0
	s_wait_alu 0xfffe
	s_or_b32 exec_lo, exec_lo, s7
	s_and_saveexec_b32 s7, s3
	s_cbranch_execz .LBB138_20
.LBB138_47:                             ;   in Loop: Header=BB138_12 Depth=2
	s_wait_dscnt 0x0
	ds_bpermute_b32 v4, v38, v21
	ds_bpermute_b32 v43, v38, v22
	s_wait_dscnt 0x0
	v_dual_add_f32 v4, v21, v4 :: v_dual_add_f32 v21, v22, v43
	ds_bpermute_b32 v22, v39, v4
	ds_bpermute_b32 v43, v39, v21
	s_wait_dscnt 0x1
	v_add_f32_e32 v4, v4, v22
	s_wait_dscnt 0x0
	v_add_f32_e32 v22, v21, v43
	ds_bpermute_b32 v21, v40, v4
	s_wait_dscnt 0x0
	v_add_f32_e32 v21, v4, v21
	ds_bpermute_b32 v43, v40, v22
	s_wait_dscnt 0x0
	v_add_f32_e32 v22, v22, v43
	s_wait_alu 0xfffe
	s_or_b32 exec_lo, exec_lo, s7
	s_and_saveexec_b32 s7, s3
	s_cbranch_execnz .LBB138_21
	s_branch .LBB138_22
.LBB138_48:                             ;   in Loop: Header=BB138_12 Depth=2
	ds_load_b64 v[23:24], v0
	s_wait_alu 0xfffe
	s_or_b32 exec_lo, exec_lo, s7
	s_and_saveexec_b32 s7, s3
	s_cbranch_execz .LBB138_26
.LBB138_49:                             ;   in Loop: Header=BB138_12 Depth=2
	s_wait_dscnt 0x0
	ds_bpermute_b32 v4, v38, v23
	ds_bpermute_b32 v43, v38, v24
	s_wait_dscnt 0x0
	v_dual_add_f32 v4, v23, v4 :: v_dual_add_f32 v23, v24, v43
	ds_bpermute_b32 v24, v39, v4
	ds_bpermute_b32 v43, v39, v23
	s_wait_dscnt 0x1
	v_add_f32_e32 v4, v4, v24
	s_wait_dscnt 0x0
	v_add_f32_e32 v24, v23, v43
	ds_bpermute_b32 v23, v40, v4
	ds_bpermute_b32 v43, v40, v24
	s_wait_dscnt 0x1
	v_add_f32_e32 v23, v4, v23
	s_wait_dscnt 0x0
	v_add_f32_e32 v24, v24, v43
	s_wait_alu 0xfffe
	s_or_b32 exec_lo, exec_lo, s7
	s_and_saveexec_b32 s7, s3
	s_cbranch_execnz .LBB138_27
	s_branch .LBB138_28
.LBB138_50:                             ;   in Loop: Header=BB138_12 Depth=2
	ds_load_b64 v[25:26], v0
	s_wait_alu 0xfffe
	s_or_b32 exec_lo, exec_lo, s7
	s_and_saveexec_b32 s7, s3
	s_cbranch_execz .LBB138_32
.LBB138_51:                             ;   in Loop: Header=BB138_12 Depth=2
	s_wait_dscnt 0x0
	ds_bpermute_b32 v4, v38, v25
	ds_bpermute_b32 v43, v38, v26
	s_wait_dscnt 0x0
	v_dual_add_f32 v4, v25, v4 :: v_dual_add_f32 v25, v26, v43
	ds_bpermute_b32 v26, v39, v4
	ds_bpermute_b32 v43, v39, v25
	s_wait_dscnt 0x1
	v_add_f32_e32 v4, v4, v26
	s_wait_dscnt 0x0
	v_add_f32_e32 v26, v25, v43
	ds_bpermute_b32 v25, v40, v4
	s_wait_dscnt 0x0
	v_add_f32_e32 v25, v4, v25
	ds_bpermute_b32 v43, v40, v26
	s_wait_dscnt 0x0
	v_add_f32_e32 v26, v26, v43
	s_wait_alu 0xfffe
	s_or_b32 exec_lo, exec_lo, s7
	s_and_saveexec_b32 s7, s3
	s_cbranch_execnz .LBB138_33
	s_branch .LBB138_34
.LBB138_52:                             ;   in Loop: Header=BB138_12 Depth=2
	ds_load_b64 v[27:28], v0
	s_wait_alu 0xfffe
	s_or_b32 exec_lo, exec_lo, s7
	s_and_saveexec_b32 s7, s3
	s_cbranch_execz .LBB138_38
.LBB138_53:                             ;   in Loop: Header=BB138_12 Depth=2
	s_wait_dscnt 0x0
	ds_bpermute_b32 v4, v38, v27
	ds_bpermute_b32 v43, v38, v28
	s_wait_dscnt 0x0
	v_dual_add_f32 v4, v27, v4 :: v_dual_add_f32 v27, v28, v43
	ds_bpermute_b32 v28, v39, v4
	ds_bpermute_b32 v43, v39, v27
	s_wait_dscnt 0x1
	v_add_f32_e32 v4, v4, v28
	s_wait_dscnt 0x0
	v_add_f32_e32 v28, v27, v43
	ds_bpermute_b32 v27, v40, v4
	ds_bpermute_b32 v43, v40, v28
	s_wait_dscnt 0x1
	v_add_f32_e32 v27, v4, v27
	s_wait_dscnt 0x0
	v_add_f32_e32 v28, v28, v43
	s_wait_alu 0xfffe
	s_or_b32 exec_lo, exec_lo, s7
	s_and_saveexec_b32 s7, s0
	s_cbranch_execz .LBB138_11
.LBB138_54:                             ;   in Loop: Header=BB138_12 Depth=2
	v_dual_mul_f32 v4, s15, v22 :: v_dual_mul_f32 v45, s15, v24
	v_mul_f32_e32 v44, s14, v22
	s_mul_i32 s8, s25, s28
	v_mul_f32_e32 v22, s14, v24
	s_wait_alu 0xfffe
	s_add_co_i32 s30, s8, s26
	v_fma_f32 v43, v21, s14, -v4
	s_lshl_b64 s[8:9], s[30:31], 3
	v_fmac_f32_e32 v44, s15, v21
	s_add_co_i32 s30, s30, s28
	v_fma_f32 v21, v23, s14, -v45
	v_fmac_f32_e32 v22, s15, v23
	v_mul_f32_e32 v4, s15, v26
	s_lshl_b64 s[52:53], s[30:31], 3
	s_wait_alu 0xfffe
	s_add_nc_u64 s[8:9], s[50:51], s[8:9]
	s_add_nc_u64 s[52:53], s[50:51], s[52:53]
	s_clause 0x1
	global_store_b64 v3, v[43:44], s[8:9]
	global_store_b64 v3, v[21:22], s[52:53]
	v_mul_f32_e32 v22, s14, v26
	v_fma_f32 v21, v25, s14, -v4
	s_wait_dscnt 0x0
	v_mul_f32_e32 v4, s15, v28
	v_mul_f32_e32 v24, s14, v28
	s_add_co_i32 s30, s30, s28
	v_fmac_f32_e32 v22, s15, v25
	s_lshl_b64 s[8:9], s[30:31], 3
	s_add_co_i32 s30, s30, s28
	v_fma_f32 v23, v27, s14, -v4
	v_fmac_f32_e32 v24, s15, v27
	s_lshl_b64 s[52:53], s[30:31], 3
	s_wait_alu 0xfffe
	s_add_nc_u64 s[8:9], s[50:51], s[8:9]
	s_add_nc_u64 s[52:53], s[50:51], s[52:53]
	s_clause 0x1
	global_store_b64 v3, v[21:22], s[8:9]
	global_store_b64 v3, v[23:24], s[52:53]
	s_branch .LBB138_11
.LBB138_55:                             ;   in Loop: Header=BB138_12 Depth=2
	v_dual_mov_b32 v43, 0 :: v_dual_mov_b32 v44, 0
	v_dual_mov_b32 v23, 0 :: v_dual_mov_b32 v24, 0
	;; [unrolled: 1-line block ×4, first 2 shown]
.LBB138_56:                             ;   in Loop: Header=BB138_12 Depth=2
	s_or_b32 exec_lo, exec_lo, s68
	s_delay_alu instid0(SALU_CYCLE_1)
	s_or_b32 exec_lo, exec_lo, s30
	s_and_saveexec_b32 s7, s3
	s_cbranch_execnz .LBB138_15
	s_branch .LBB138_16
.LBB138_57:                             ;   in Loop: Header=BB138_3 Depth=1
	s_mov_b32 s25, 0
.LBB138_58:                             ;   in Loop: Header=BB138_3 Depth=1
	s_delay_alu instid0(SALU_CYCLE_1)
	s_cmp_ge_i32 s25, s13
	s_cbranch_scc1 .LBB138_2
; %bb.59:                               ;   in Loop: Header=BB138_3 Depth=1
	v_cmp_gt_u32_e32 vcc_lo, 24, v34
	s_wait_alu 0xfffe
	s_add_nc_u64 s[6:7], s[50:51], s[36:37]
	s_mul_i32 s8, s33, s25
	s_mov_b32 s30, s25
	s_wait_alu 0xfffd
	v_cndmask_b32_e64 v4, 0, 8, vcc_lo
	v_cmp_gt_u32_e32 vcc_lo, 28, v34
	s_delay_alu instid0(VALU_DEP_2) | instskip(SKIP_3) | instid1(VALU_DEP_2)
	v_add_lshl_u32 v23, v4, v34, 2
	s_wait_alu 0xfffd
	v_cndmask_b32_e64 v13, 0, 4, vcc_lo
	v_cmp_gt_u32_e32 vcc_lo, 30, v34
	v_add_lshl_u32 v24, v13, v34, 2
	s_wait_alu 0xfffd
	v_cndmask_b32_e64 v14, 0, 2, vcc_lo
	v_cmp_ne_u32_e32 vcc_lo, 31, v34
	s_delay_alu instid0(VALU_DEP_2)
	v_add_lshl_u32 v25, v14, v34, 2
	s_wait_alu 0xfffd
	v_add_co_ci_u32_e64 v15, null, 0, v34, vcc_lo
	v_add_co_u32 v13, vcc_lo, s46, v5
	s_wait_alu 0xfffd
	v_add_co_ci_u32_e64 v14, null, s47, v6, vcc_lo
	s_delay_alu instid0(VALU_DEP_3)
	v_lshlrev_b32_e32 v26, 2, v15
	v_add_co_u32 v15, vcc_lo, s46, v7
	s_wait_alu 0xfffd
	v_add_co_ci_u32_e64 v16, null, s47, v8, vcc_lo
	v_add_co_u32 v17, vcc_lo, s46, v9
	s_wait_alu 0xfffd
	v_add_co_ci_u32_e64 v18, null, s47, v10, vcc_lo
	;; [unrolled: 3-line block ×3, first 2 shown]
	s_wait_dscnt 0x0
	v_add_co_u32 v27, vcc_lo, v32, s48
	s_wait_alu 0xfffd
	v_add_co_ci_u32_e64 v28, null, s49, v33, vcc_lo
	s_branch .LBB138_61
.LBB138_60:                             ;   in Loop: Header=BB138_61 Depth=2
	s_wait_alu 0xfffe
	s_or_b32 exec_lo, exec_lo, s9
	s_add_co_i32 s30, s30, 1
	s_add_co_i32 s8, s8, s33
	s_cmp_lt_i32 s30, s13
	s_cbranch_scc0 .LBB138_2
.LBB138_61:                             ;   Parent Loop BB138_3 Depth=1
                                        ; =>  This Loop Header: Depth=2
                                        ;       Child Loop BB138_73 Depth 3
                                        ;       Child Loop BB138_75 Depth 3
                                        ; implicit-def: $vgpr37
                                        ; implicit-def: $vgpr38
	s_and_saveexec_b32 s9, s1
	s_wait_alu 0xfffe
	s_xor_b32 s9, exec_lo, s9
	s_cbranch_execnz .LBB138_70
; %bb.62:                               ;   in Loop: Header=BB138_61 Depth=2
	s_wait_alu 0xfffe
	s_and_not1_saveexec_b32 s25, s9
	s_cbranch_execnz .LBB138_71
.LBB138_63:                             ;   in Loop: Header=BB138_61 Depth=2
	s_or_b32 exec_lo, exec_lo, s25
	s_and_saveexec_b32 s9, s3
.LBB138_64:                             ;   in Loop: Header=BB138_61 Depth=2
	v_mov_b32_e32 v4, v3
	ds_store_b64 v0, v[3:4]
.LBB138_65:                             ;   in Loop: Header=BB138_61 Depth=2
	s_wait_alu 0xfffe
	s_or_b32 exec_lo, exec_lo, s9
	ds_bpermute_b32 v4, v2, v37
	s_wait_dscnt 0x1
	ds_bpermute_b32 v21, v2, v38
	s_wait_storecnt 0x0
	s_wait_loadcnt_dscnt 0x0
	s_barrier_signal -1
	s_barrier_wait -1
	global_inv scope:SCOPE_SE
	v_dual_add_f32 v4, v37, v4 :: v_dual_add_f32 v21, v38, v21
	ds_bpermute_b32 v22, v23, v4
	ds_bpermute_b32 v37, v23, v21
	s_wait_dscnt 0x0
	v_dual_add_f32 v4, v4, v22 :: v_dual_add_f32 v21, v21, v37
	ds_bpermute_b32 v22, v24, v4
	ds_bpermute_b32 v37, v24, v21
	s_wait_dscnt 0x0
	v_dual_add_f32 v4, v4, v22 :: v_dual_add_f32 v21, v21, v37
	ds_bpermute_b32 v22, v25, v4
	ds_bpermute_b32 v37, v25, v21
	s_wait_dscnt 0x0
	v_dual_add_f32 v4, v4, v22 :: v_dual_add_f32 v21, v21, v37
	ds_bpermute_b32 v22, v26, v4
	ds_bpermute_b32 v37, v26, v21
	s_and_saveexec_b32 s9, s4
	s_cbranch_execz .LBB138_67
; %bb.66:                               ;   in Loop: Header=BB138_61 Depth=2
	s_wait_dscnt 0x0
	v_dual_add_f32 v38, v21, v37 :: v_dual_add_f32 v37, v4, v22
	ds_store_b64 v31, v[37:38]
.LBB138_67:                             ;   in Loop: Header=BB138_61 Depth=2
	s_wait_alu 0xfffe
	s_or_b32 exec_lo, exec_lo, s9
	s_wait_dscnt 0x1
	v_dual_mov_b32 v22, 0 :: v_dual_mov_b32 v21, 0
	s_wait_loadcnt_dscnt 0x0
	s_barrier_signal -1
	s_barrier_wait -1
	global_inv scope:SCOPE_SE
	s_and_saveexec_b32 s9, s5
	s_cbranch_execnz .LBB138_77
; %bb.68:                               ;   in Loop: Header=BB138_61 Depth=2
	s_wait_alu 0xfffe
	s_or_b32 exec_lo, exec_lo, s9
	s_and_saveexec_b32 s9, s3
	s_cbranch_execnz .LBB138_78
.LBB138_69:                             ;   in Loop: Header=BB138_61 Depth=2
	s_wait_alu 0xfffe
	s_or_b32 exec_lo, exec_lo, s9
	s_and_saveexec_b32 s9, s0
	s_cbranch_execz .LBB138_60
	s_branch .LBB138_79
.LBB138_70:                             ;   in Loop: Header=BB138_61 Depth=2
	s_mul_i32 s48, s30, s33
	s_wait_alu 0xfffe
	s_ashr_i32 s49, s48, 31
	s_wait_alu 0xfffe
	s_lshl_b64 s[48:49], s[48:49], 3
	s_wait_dscnt 0x0
	s_wait_alu 0xfffe
	v_add_co_u32 v21, vcc_lo, v35, s48
	s_wait_alu 0xfffd
	v_add_co_ci_u32_e64 v22, null, s49, v36, vcc_lo
	global_load_b128 v[37:40], v[21:22], off
	s_clause 0x1
	global_load_b64 v[41:42], v[13:14], off
	global_load_b64 v[43:44], v[15:16], off
	global_load_b128 v[45:48], v[21:22], off offset:16
	s_clause 0x1
	global_load_b64 v[49:50], v[17:18], off
	global_load_b64 v[51:52], v[19:20], off
	s_wait_loadcnt 0x3
	scratch_store_b128 off, v[41:44], off
	s_wait_loadcnt 0x0
	scratch_store_b128 off, v[49:52], off offset:16
	v_dual_mul_f32 v21, v38, v41 :: v_dual_mul_f32 v22, v40, v44
	v_mul_f32_e32 v4, v38, v42
	s_delay_alu instid0(VALU_DEP_2) | instskip(SKIP_2) | instid1(VALU_DEP_4)
	v_fma_f32 v21, v37, v42, -v21
	v_mul_f32_e32 v38, v40, v43
	v_mul_f32_e32 v40, v46, v50
	v_dual_fmac_f32 v4, v37, v41 :: v_dual_mul_f32 v37, v48, v52
	s_delay_alu instid0(VALU_DEP_4) | instskip(NEXT) | instid1(VALU_DEP_4)
	v_add_f32_e32 v21, 0, v21
	v_fma_f32 v38, v39, v44, -v38
	s_delay_alu instid0(VALU_DEP_3) | instskip(NEXT) | instid1(VALU_DEP_2)
	v_dual_mul_f32 v46, v46, v49 :: v_dual_fmac_f32 v37, v47, v51
	v_dual_add_f32 v4, 0, v4 :: v_dual_add_f32 v21, v21, v38
	v_fmac_f32_e32 v22, v39, v43
	v_dual_mul_f32 v39, v48, v51 :: v_dual_fmac_f32 v40, v45, v49
	s_delay_alu instid0(VALU_DEP_4) | instskip(NEXT) | instid1(VALU_DEP_1)
	v_fma_f32 v45, v45, v50, -v46
	v_dual_add_f32 v21, v21, v45 :: v_dual_add_f32 v4, v4, v22
	s_delay_alu instid0(VALU_DEP_3) | instskip(NEXT) | instid1(VALU_DEP_2)
	v_fma_f32 v22, v47, v52, -v39
	v_add_f32_e32 v4, v4, v40
	s_delay_alu instid0(VALU_DEP_1)
	v_dual_add_f32 v38, v21, v22 :: v_dual_add_f32 v37, v4, v37
	s_and_not1_saveexec_b32 s25, s9
	s_cbranch_execz .LBB138_63
.LBB138_71:                             ;   in Loop: Header=BB138_61 Depth=2
	v_dual_mov_b32 v37, 0 :: v_dual_mov_b32 v38, 0
	s_and_saveexec_b32 s48, s27
	s_cbranch_execz .LBB138_76
; %bb.72:                               ;   in Loop: Header=BB138_61 Depth=2
	s_wait_dscnt 0x0
	v_mov_b32_e32 v21, v1
	s_mov_b32 s9, 0
	s_mov_b32 s49, s59
.LBB138_73:                             ;   Parent Loop BB138_3 Depth=1
                                        ;     Parent Loop BB138_61 Depth=2
                                        ; =>    This Inner Loop Header: Depth=3
	s_delay_alu instid0(VALU_DEP_1) | instskip(SKIP_2) | instid1(VALU_DEP_1)
	v_ashrrev_i32_e32 v22, 31, v21
	s_wait_alu 0xfffe
	s_add_co_i32 s49, s49, -1
	v_lshlrev_b64_e32 v[37:38], 3, v[21:22]
	v_add_nc_u32_e32 v21, s10, v21
	s_delay_alu instid0(VALU_DEP_2) | instskip(SKIP_1) | instid1(VALU_DEP_3)
	v_add_co_u32 v37, vcc_lo, s46, v37
	s_wait_alu 0xfffd
	v_add_co_ci_u32_e64 v38, null, s47, v38, vcc_lo
	global_load_b64 v[37:38], v[37:38], off
	s_wait_loadcnt 0x0
	scratch_store_b64 off, v[37:38], s9
	s_add_co_i32 s9, s9, 8
	s_wait_alu 0xfffe
	s_cmp_eq_u32 s49, 0
	s_cbranch_scc0 .LBB138_73
; %bb.74:                               ;   in Loop: Header=BB138_61 Depth=2
	s_ashr_i32 s9, s8, 31
	v_dual_mov_b32 v37, 0 :: v_dual_mov_b32 v38, 0
	s_wait_alu 0xfffe
	s_lshl_b64 s[50:51], s[8:9], 3
	s_mov_b32 s9, s64
	s_wait_alu 0xfffe
	v_add_co_u32 v21, vcc_lo, v27, s50
	s_wait_alu 0xfffd
	v_add_co_ci_u32_e64 v22, null, s51, v28, vcc_lo
	s_mov_b32 s49, s59
.LBB138_75:                             ;   Parent Loop BB138_3 Depth=1
                                        ;     Parent Loop BB138_61 Depth=2
                                        ; =>    This Inner Loop Header: Depth=3
	global_load_b64 v[39:40], v[21:22], off offset:-4
	scratch_load_b64 v[41:42], off, s9 offset:-4
	v_add_co_u32 v21, vcc_lo, v21, 8
	s_wait_alu 0xfffd
	v_add_co_ci_u32_e64 v22, null, 0, v22, vcc_lo
	s_wait_alu 0xfffe
	s_add_co_i32 s49, s49, -1
	s_add_co_i32 s9, s9, 8
	s_wait_alu 0xfffe
	s_cmp_lg_u32 s49, 0
	s_wait_loadcnt 0x0
	v_mul_f32_e32 v4, v40, v42
	s_delay_alu instid0(VALU_DEP_1) | instskip(NEXT) | instid1(VALU_DEP_1)
	v_fmac_f32_e32 v4, v39, v41
	v_dual_mul_f32 v40, v40, v41 :: v_dual_add_f32 v37, v37, v4
	s_delay_alu instid0(VALU_DEP_1) | instskip(NEXT) | instid1(VALU_DEP_1)
	v_fma_f32 v39, v39, v42, -v40
	v_add_f32_e32 v38, v38, v39
	s_cbranch_scc1 .LBB138_75
.LBB138_76:                             ;   in Loop: Header=BB138_61 Depth=2
	s_wait_alu 0xfffe
	s_or_b32 exec_lo, exec_lo, s48
	s_delay_alu instid0(SALU_CYCLE_1)
	s_or_b32 exec_lo, exec_lo, s25
	s_and_saveexec_b32 s9, s3
	s_cbranch_execnz .LBB138_64
	s_branch .LBB138_65
.LBB138_77:                             ;   in Loop: Header=BB138_61 Depth=2
	ds_load_b64 v[21:22], v0
	s_wait_alu 0xfffe
	s_or_b32 exec_lo, exec_lo, s9
	s_and_saveexec_b32 s9, s3
	s_cbranch_execz .LBB138_69
.LBB138_78:                             ;   in Loop: Header=BB138_61 Depth=2
	s_wait_dscnt 0x0
	ds_bpermute_b32 v4, v24, v21
	ds_bpermute_b32 v37, v24, v22
	s_wait_dscnt 0x0
	v_dual_add_f32 v4, v21, v4 :: v_dual_add_f32 v21, v22, v37
	ds_bpermute_b32 v22, v25, v4
	ds_bpermute_b32 v37, v25, v21
	s_wait_dscnt 0x1
	v_add_f32_e32 v4, v4, v22
	s_wait_dscnt 0x0
	v_add_f32_e32 v22, v21, v37
	ds_bpermute_b32 v21, v26, v4
	ds_bpermute_b32 v37, v26, v22
	s_wait_dscnt 0x1
	v_add_f32_e32 v21, v4, v21
	s_wait_dscnt 0x0
	v_add_f32_e32 v22, v22, v37
	s_wait_alu 0xfffe
	s_or_b32 exec_lo, exec_lo, s9
	s_and_saveexec_b32 s9, s0
	s_cbranch_execz .LBB138_60
.LBB138_79:                             ;   in Loop: Header=BB138_61 Depth=2
	s_wait_dscnt 0x0
	v_mul_f32_e32 v4, s15, v22
	v_mul_f32_e32 v38, s14, v22
	s_mul_u64 s[48:49], s[30:31], s[28:29]
	s_wait_alu 0xfffe
	s_lshl_b64 s[48:49], s[48:49], 3
	v_fma_f32 v37, v21, s14, -v4
	v_fmac_f32_e32 v38, s15, v21
	s_wait_alu 0xfffe
	s_add_nc_u64 s[48:49], s[6:7], s[48:49]
	global_store_b64 v3, v[37:38], s[48:49]
	s_branch .LBB138_60
.LBB138_80:
	s_endpgm
	.section	.rodata,"a",@progbits
	.p2align	6, 0x0
	.amdhsa_kernel _ZL23rocblas_gemvt_sn_kernelILb1ELi256ELi4Ei19rocblas_complex_numIfES1_S1_EviiT4_lPKT3_lilS5_lilPT5_i
		.amdhsa_group_segment_fixed_size 256
		.amdhsa_private_segment_fixed_size 48
		.amdhsa_kernarg_size 360
		.amdhsa_user_sgpr_count 2
		.amdhsa_user_sgpr_dispatch_ptr 0
		.amdhsa_user_sgpr_queue_ptr 0
		.amdhsa_user_sgpr_kernarg_segment_ptr 1
		.amdhsa_user_sgpr_dispatch_id 0
		.amdhsa_user_sgpr_private_segment_size 0
		.amdhsa_wavefront_size32 1
		.amdhsa_uses_dynamic_stack 0
		.amdhsa_enable_private_segment 1
		.amdhsa_system_sgpr_workgroup_id_x 1
		.amdhsa_system_sgpr_workgroup_id_y 0
		.amdhsa_system_sgpr_workgroup_id_z 1
		.amdhsa_system_sgpr_workgroup_info 0
		.amdhsa_system_vgpr_workitem_id 0
		.amdhsa_next_free_vgpr 86
		.amdhsa_next_free_sgpr 76
		.amdhsa_reserve_vcc 1
		.amdhsa_float_round_mode_32 0
		.amdhsa_float_round_mode_16_64 0
		.amdhsa_float_denorm_mode_32 3
		.amdhsa_float_denorm_mode_16_64 3
		.amdhsa_fp16_overflow 0
		.amdhsa_workgroup_processor_mode 1
		.amdhsa_memory_ordered 1
		.amdhsa_forward_progress 1
		.amdhsa_inst_pref_size 46
		.amdhsa_round_robin_scheduling 0
		.amdhsa_exception_fp_ieee_invalid_op 0
		.amdhsa_exception_fp_denorm_src 0
		.amdhsa_exception_fp_ieee_div_zero 0
		.amdhsa_exception_fp_ieee_overflow 0
		.amdhsa_exception_fp_ieee_underflow 0
		.amdhsa_exception_fp_ieee_inexact 0
		.amdhsa_exception_int_div_zero 0
	.end_amdhsa_kernel
	.section	.text._ZL23rocblas_gemvt_sn_kernelILb1ELi256ELi4Ei19rocblas_complex_numIfES1_S1_EviiT4_lPKT3_lilS5_lilPT5_i,"axG",@progbits,_ZL23rocblas_gemvt_sn_kernelILb1ELi256ELi4Ei19rocblas_complex_numIfES1_S1_EviiT4_lPKT3_lilS5_lilPT5_i,comdat
.Lfunc_end138:
	.size	_ZL23rocblas_gemvt_sn_kernelILb1ELi256ELi4Ei19rocblas_complex_numIfES1_S1_EviiT4_lPKT3_lilS5_lilPT5_i, .Lfunc_end138-_ZL23rocblas_gemvt_sn_kernelILb1ELi256ELi4Ei19rocblas_complex_numIfES1_S1_EviiT4_lPKT3_lilS5_lilPT5_i
                                        ; -- End function
	.set _ZL23rocblas_gemvt_sn_kernelILb1ELi256ELi4Ei19rocblas_complex_numIfES1_S1_EviiT4_lPKT3_lilS5_lilPT5_i.num_vgpr, 86
	.set _ZL23rocblas_gemvt_sn_kernelILb1ELi256ELi4Ei19rocblas_complex_numIfES1_S1_EviiT4_lPKT3_lilS5_lilPT5_i.num_agpr, 0
	.set _ZL23rocblas_gemvt_sn_kernelILb1ELi256ELi4Ei19rocblas_complex_numIfES1_S1_EviiT4_lPKT3_lilS5_lilPT5_i.numbered_sgpr, 76
	.set _ZL23rocblas_gemvt_sn_kernelILb1ELi256ELi4Ei19rocblas_complex_numIfES1_S1_EviiT4_lPKT3_lilS5_lilPT5_i.num_named_barrier, 0
	.set _ZL23rocblas_gemvt_sn_kernelILb1ELi256ELi4Ei19rocblas_complex_numIfES1_S1_EviiT4_lPKT3_lilS5_lilPT5_i.private_seg_size, 48
	.set _ZL23rocblas_gemvt_sn_kernelILb1ELi256ELi4Ei19rocblas_complex_numIfES1_S1_EviiT4_lPKT3_lilS5_lilPT5_i.uses_vcc, 1
	.set _ZL23rocblas_gemvt_sn_kernelILb1ELi256ELi4Ei19rocblas_complex_numIfES1_S1_EviiT4_lPKT3_lilS5_lilPT5_i.uses_flat_scratch, 0
	.set _ZL23rocblas_gemvt_sn_kernelILb1ELi256ELi4Ei19rocblas_complex_numIfES1_S1_EviiT4_lPKT3_lilS5_lilPT5_i.has_dyn_sized_stack, 0
	.set _ZL23rocblas_gemvt_sn_kernelILb1ELi256ELi4Ei19rocblas_complex_numIfES1_S1_EviiT4_lPKT3_lilS5_lilPT5_i.has_recursion, 0
	.set _ZL23rocblas_gemvt_sn_kernelILb1ELi256ELi4Ei19rocblas_complex_numIfES1_S1_EviiT4_lPKT3_lilS5_lilPT5_i.has_indirect_call, 0
	.section	.AMDGPU.csdata,"",@progbits
; Kernel info:
; codeLenInByte = 5768
; TotalNumSgprs: 78
; NumVgprs: 86
; ScratchSize: 48
; MemoryBound: 0
; FloatMode: 240
; IeeeMode: 1
; LDSByteSize: 256 bytes/workgroup (compile time only)
; SGPRBlocks: 0
; VGPRBlocks: 10
; NumSGPRsForWavesPerEU: 78
; NumVGPRsForWavesPerEU: 86
; Occupancy: 16
; WaveLimiterHint : 1
; COMPUTE_PGM_RSRC2:SCRATCH_EN: 1
; COMPUTE_PGM_RSRC2:USER_SGPR: 2
; COMPUTE_PGM_RSRC2:TRAP_HANDLER: 0
; COMPUTE_PGM_RSRC2:TGID_X_EN: 1
; COMPUTE_PGM_RSRC2:TGID_Y_EN: 0
; COMPUTE_PGM_RSRC2:TGID_Z_EN: 1
; COMPUTE_PGM_RSRC2:TIDIG_COMP_CNT: 0
	.section	.text._ZL23rocblas_gemvt_sn_kernelILb1ELi256ELi4El19rocblas_complex_numIfES1_S1_EviiT4_lPKT3_lilS5_lilPT5_i,"axG",@progbits,_ZL23rocblas_gemvt_sn_kernelILb1ELi256ELi4El19rocblas_complex_numIfES1_S1_EviiT4_lPKT3_lilS5_lilPT5_i,comdat
	.globl	_ZL23rocblas_gemvt_sn_kernelILb1ELi256ELi4El19rocblas_complex_numIfES1_S1_EviiT4_lPKT3_lilS5_lilPT5_i ; -- Begin function _ZL23rocblas_gemvt_sn_kernelILb1ELi256ELi4El19rocblas_complex_numIfES1_S1_EviiT4_lPKT3_lilS5_lilPT5_i
	.p2align	8
	.type	_ZL23rocblas_gemvt_sn_kernelILb1ELi256ELi4El19rocblas_complex_numIfES1_S1_EviiT4_lPKT3_lilS5_lilPT5_i,@function
_ZL23rocblas_gemvt_sn_kernelILb1ELi256ELi4El19rocblas_complex_numIfES1_S1_EviiT4_lPKT3_lilS5_lilPT5_i: ; @_ZL23rocblas_gemvt_sn_kernelILb1ELi256ELi4El19rocblas_complex_numIfES1_S1_EviiT4_lPKT3_lilS5_lilPT5_i
; %bb.0:
	s_load_b32 s33, s[0:1], 0x60
	s_lshr_b32 s10, ttmp7, 16
	s_wait_kmcnt 0x0
	s_cmp_ge_u32 s10, s33
	s_cbranch_scc1 .LBB139_80
; %bb.1:
	s_clause 0x6
	s_load_b32 s26, s[0:1], 0x28
	s_load_b96 s[4:6], s[0:1], 0x40
	s_load_b128 s[36:39], s[0:1], 0x18
	s_load_b128 s[12:15], s[0:1], 0x0
	;; [unrolled: 1-line block ×4, first 2 shown]
	s_load_b32 s28, s[0:1], 0x68
	v_cmp_eq_u32_e64 s0, 0, v0
	s_mov_b32 s25, 0
	v_mbcnt_lo_u32_b32 v38, -1, 0
	s_mov_b32 s24, ttmp9
	s_mov_b32 s29, s25
	s_delay_alu instid0(VALU_DEP_1)
	v_lshl_or_b32 v39, v38, 2, 64
	s_wait_kmcnt 0x0
	s_ashr_i32 s27, s26, 31
	s_ashr_i32 s9, s6, 31
	s_lshl_b64 s[2:3], s[4:5], 3
	s_or_b32 s1, s14, s15
	s_lshl_b64 s[4:5], s[38:39], 3
	s_bitset0_b32 s1, 31
	s_ashr_i32 s35, s13, 31
	s_cmp_eq_u32 s1, 0
	s_add_nc_u64 s[18:19], s[18:19], s[2:3]
	s_cselect_b32 s58, -1, 0
	s_cmp_gt_i32 s13, 0
	s_add_nc_u64 s[2:3], s[36:37], s[4:5]
	s_cselect_b32 s1, -1, 0
	s_lshl_b32 s4, ttmp9, 10
	s_ashr_i32 s5, s12, 31
	v_lshl_or_b32 v1, v0, 2, s4
	s_and_b32 s59, s0, s1
	s_lshr_b32 s1, s5, 30
	s_lshr_b32 s4, s35, 30
	s_add_co_i32 s1, s12, s1
	v_ashrrev_i32_e32 v2, 31, v1
	v_add_nc_u32_e32 v4, 4, v1
	s_and_b32 s1, s1, -4
	s_wait_alu 0xfffe
	s_add_co_i32 s4, s13, s4
	s_sub_co_i32 s61, s12, s1
	v_lshlrev_b64_e32 v[2:3], 3, v[1:2]
	v_add_nc_u32_e32 v5, s61, v1
	v_cmp_ge_i32_e64 s1, s12, v4
	v_cmp_gt_u32_e64 s5, 8, v0
	v_or_b32_e32 v4, 2, v1
	s_wait_alu 0xfffe
	s_and_b32 s60, s4, -4
	v_add_co_u32 v32, vcc_lo, s2, v2
	s_delay_alu instid0(VALU_DEP_1)
	v_add_co_ci_u32_e64 v33, null, s3, v3, vcc_lo
	v_and_b32_e32 v2, 31, v0
	v_lshrrev_b32_e32 v3, 2, v0
	v_cmp_gt_u32_e64 s3, 32, v0
	v_or_b32_e32 v0, 1, v1
	v_mad_co_i64_i32 v[8:9], null, s6, v4, 0
	v_cmp_eq_u32_e64 s4, 0, v2
	v_lshlrev_b32_e32 v34, 3, v2
	v_and_b32_e32 v35, 56, v3
	v_mad_co_i64_i32 v[2:3], null, s6, v1, 0
	v_mov_b32_e32 v4, 0
	v_cmp_ge_i32_e64 s2, s12, v5
	v_mad_co_i64_i32 v[5:6], null, s6, v0, 0
	v_or_b32_e32 v0, 3, v1
	s_wait_alu 0xfffe
	s_cmp_gt_i32 s60, 0
	s_mov_b32 s34, s13
	s_cselect_b32 s62, -1, 0
	s_cmp_gt_i32 s61, 0
	v_mad_co_i64_i32 v[10:11], null, s6, v0, 0
	v_lshlrev_b64_e32 v[0:1], 3, v[2:3]
	s_mul_u64 s[30:31], s[34:35], s[28:29]
	s_cselect_b32 s12, -1, 0
	s_lshl_b64 s[34:35], s[24:25], 3
	v_lshlrev_b64_e32 v[6:7], 3, v[5:6]
	v_lshlrev_b64_e32 v[8:9], 3, v[8:9]
	v_add_co_u32 v2, vcc_lo, s18, v0
	s_wait_alu 0xfffd
	v_add_co_ci_u32_e64 v3, null, s19, v1, vcc_lo
	v_add_co_u32 v36, vcc_lo, v32, 4
	v_lshlrev_b64_e32 v[10:11], 3, v[10:11]
	s_wait_alu 0xfffd
	v_add_co_ci_u32_e64 v37, null, 0, v33, vcc_lo
	s_mov_b32 s8, s6
	s_add_nc_u64 s[6:7], s[22:23], s[34:35]
	s_wait_alu 0xfffe
	s_and_b32 s63, s12, s2
	s_add_nc_u64 s[36:37], s[6:7], 4
	s_lshl_b64 s[38:39], s[30:31], 3
	s_lshl_b64 s[40:41], s[28:29], 3
	;; [unrolled: 1-line block ×4, first 2 shown]
	s_or_b32 s64, 0, 4
	s_lshl_b64 s[46:47], s[16:17], 3
	s_lshl_b64 s[48:49], s[26:27], 5
	;; [unrolled: 1-line block ×3, first 2 shown]
	s_branch .LBB139_3
.LBB139_2:                              ;   in Loop: Header=BB139_3 Depth=1
	s_add_co_i32 s10, s10, 0x10000
	s_wait_alu 0xfffe
	s_cmp_lt_u32 s10, s33
	s_cbranch_scc0 .LBB139_80
.LBB139_3:                              ; =>This Loop Header: Depth=1
                                        ;     Child Loop BB139_6 Depth 2
                                        ;     Child Loop BB139_12 Depth 2
                                        ;       Child Loop BB139_43 Depth 3
                                        ;       Child Loop BB139_45 Depth 3
                                        ;     Child Loop BB139_61 Depth 2
                                        ;       Child Loop BB139_73 Depth 3
                                        ;       Child Loop BB139_75 Depth 3
	s_mov_b32 s11, s25
	s_and_not1_b32 vcc_lo, exec_lo, s58
	s_mov_b32 s6, -1
	s_wait_alu 0xfffe
	s_cbranch_vccnz .LBB139_8
; %bb.4:                                ;   in Loop: Header=BB139_3 Depth=1
	s_and_saveexec_b32 s8, s59
	s_cbranch_execz .LBB139_7
; %bb.5:                                ;   in Loop: Header=BB139_3 Depth=1
	s_mul_u64 s[6:7], s[38:39], s[10:11]
	s_mov_b32 s9, s13
	s_wait_alu 0xfffe
	s_add_nc_u64 s[6:7], s[36:37], s[6:7]
.LBB139_6:                              ;   Parent Loop BB139_3 Depth=1
                                        ; =>  This Inner Loop Header: Depth=2
	v_mov_b32_e32 v5, v4
	s_add_co_i32 s9, s9, -1
	s_wait_alu 0xfffe
	s_cmp_eq_u32 s9, 0
	global_store_b64 v4, v[4:5], s[6:7] offset:-4
	s_add_nc_u64 s[6:7], s[6:7], s[40:41]
	s_cbranch_scc0 .LBB139_6
.LBB139_7:                              ;   in Loop: Header=BB139_3 Depth=1
	s_wait_alu 0xfffe
	s_or_b32 exec_lo, exec_lo, s8
	s_mov_b32 s6, 0
.LBB139_8:                              ;   in Loop: Header=BB139_3 Depth=1
	s_wait_alu 0xfffe
	s_and_not1_b32 vcc_lo, exec_lo, s6
	s_wait_alu 0xfffe
	s_cbranch_vccnz .LBB139_2
; %bb.9:                                ;   in Loop: Header=BB139_3 Depth=1
	v_mad_co_u64_u32 v[12:13], null, s42, s10, v[2:3]
	s_mul_u64 s[66:67], s[16:17], s[10:11]
	s_mul_u64 s[52:53], s[20:21], s[10:11]
	s_wait_alu 0xfffe
	s_lshl_b64 s[66:67], s[66:67], 3
	s_mul_u64 s[56:57], s[30:31], s[10:11]
	s_wait_alu 0xfffe
	v_add_co_u32 v40, vcc_lo, v32, s66
	v_mov_b32_e32 v5, v13
	s_lshl_b64 s[52:53], s[52:53], 3
	s_lshl_b64 s[68:69], s[56:57], 3
	v_cmp_gt_u32_e64 s7, 24, v38
	v_cmp_gt_u32_e64 s8, 28, v38
	v_mad_co_u64_u32 v[13:14], null, s43, s10, v[5:6]
	v_cmp_gt_u32_e64 s6, 30, v38
	s_wait_alu 0xfffd
	v_add_co_ci_u32_e64 v41, null, s67, v33, vcc_lo
	v_cmp_ne_u32_e64 s9, 31, v38
	s_add_nc_u64 s[56:57], s[18:19], s[52:53]
	s_add_nc_u64 s[52:53], s[22:23], s[68:69]
	s_mul_u64 s[54:55], s[46:47], s[10:11]
	s_and_not1_b32 vcc_lo, exec_lo, s62
	s_add_nc_u64 s[52:53], s[52:53], s[34:35]
	s_wait_alu 0xfffe
	s_cbranch_vccnz .LBB139_57
; %bb.10:                               ;   in Loop: Header=BB139_3 Depth=1
	v_cndmask_b32_e64 v16, 0, 4, s8
	v_cndmask_b32_e64 v17, 0, 2, s6
	v_add_co_ci_u32_e64 v18, null, 0, v38, s9
	v_add_co_u32 v14, vcc_lo, v32, s54
	s_wait_alu 0xfffd
	v_add_co_ci_u32_e64 v15, null, s55, v33, vcc_lo
	v_add_lshl_u32 v43, v16, v38, 2
	v_add_co_u32 v16, vcc_lo, s56, v0
	v_add_lshl_u32 v44, v17, v38, 2
	v_lshlrev_b32_e32 v45, 2, v18
	s_wait_alu 0xfffd
	v_add_co_ci_u32_e64 v17, null, s57, v1, vcc_lo
	v_add_co_u32 v18, vcc_lo, s56, v6
	v_cndmask_b32_e64 v5, 0, 8, s7
	s_wait_alu 0xfffd
	v_add_co_ci_u32_e64 v19, null, s57, v7, vcc_lo
	v_add_co_u32 v20, vcc_lo, s56, v8
	s_wait_alu 0xfffd
	v_add_co_ci_u32_e64 v21, null, s57, v9, vcc_lo
	v_add_co_u32 v22, vcc_lo, s56, v10
	v_add_lshl_u32 v42, v5, v38, 2
	s_wait_alu 0xfffd
	v_add_co_ci_u32_e64 v23, null, s57, v11, vcc_lo
	s_mov_b32 s24, 0
	s_branch .LBB139_12
.LBB139_11:                             ;   in Loop: Header=BB139_12 Depth=2
	s_wait_alu 0xfffe
	s_or_b32 exec_lo, exec_lo, s6
	v_add_co_u32 v14, vcc_lo, v14, s48
	s_wait_alu 0xfffd
	v_add_co_ci_u32_e64 v15, null, s49, v15, vcc_lo
	s_add_co_i32 s24, s24, 4
	s_delay_alu instid0(SALU_CYCLE_1)
	s_cmp_ge_i32 s24, s60
	s_cbranch_scc1 .LBB139_58
.LBB139_12:                             ;   Parent Loop BB139_3 Depth=1
                                        ; =>  This Loop Header: Depth=2
                                        ;       Child Loop BB139_43 Depth 3
                                        ;       Child Loop BB139_45 Depth 3
                                        ; implicit-def: $vgpr46
                                        ; implicit-def: $vgpr47
                                        ; implicit-def: $vgpr26
                                        ; implicit-def: $vgpr27
                                        ; implicit-def: $vgpr28
                                        ; implicit-def: $vgpr29
                                        ; implicit-def: $vgpr31
                                        ; implicit-def: $vgpr30
	s_and_saveexec_b32 s6, s1
	s_wait_alu 0xfffe
	s_xor_b32 s6, exec_lo, s6
	s_cbranch_execnz .LBB139_39
; %bb.13:                               ;   in Loop: Header=BB139_12 Depth=2
	s_wait_alu 0xfffe
	s_and_not1_saveexec_b32 s6, s6
	s_cbranch_execnz .LBB139_40
.LBB139_14:                             ;   in Loop: Header=BB139_12 Depth=2
	s_wait_alu 0xfffe
	s_or_b32 exec_lo, exec_lo, s6
	s_and_saveexec_b32 s6, s3
.LBB139_15:                             ;   in Loop: Header=BB139_12 Depth=2
	v_mov_b32_e32 v5, v4
	ds_store_b64 v34, v[4:5]
.LBB139_16:                             ;   in Loop: Header=BB139_12 Depth=2
	s_wait_alu 0xfffe
	s_or_b32 exec_lo, exec_lo, s6
	ds_bpermute_b32 v5, v39, v46
	s_wait_dscnt 0x1
	ds_bpermute_b32 v24, v39, v47
	s_wait_storecnt_dscnt 0x0
	s_barrier_signal -1
	s_barrier_wait -1
	global_inv scope:SCOPE_SE
	v_dual_add_f32 v5, v46, v5 :: v_dual_add_f32 v24, v47, v24
	ds_bpermute_b32 v25, v42, v5
	ds_bpermute_b32 v46, v42, v24
	s_wait_dscnt 0x0
	v_dual_add_f32 v5, v5, v25 :: v_dual_add_f32 v24, v24, v46
	ds_bpermute_b32 v25, v43, v5
	ds_bpermute_b32 v46, v43, v24
	s_wait_dscnt 0x0
	;; [unrolled: 4-line block ×3, first 2 shown]
	v_dual_add_f32 v5, v5, v25 :: v_dual_add_f32 v24, v24, v46
	ds_bpermute_b32 v25, v45, v5
	ds_bpermute_b32 v46, v45, v24
	s_and_saveexec_b32 s6, s4
	s_cbranch_execz .LBB139_18
; %bb.17:                               ;   in Loop: Header=BB139_12 Depth=2
	s_wait_dscnt 0x0
	v_dual_add_f32 v47, v24, v46 :: v_dual_add_f32 v46, v5, v25
	ds_store_b64 v35, v[46:47]
.LBB139_18:                             ;   in Loop: Header=BB139_12 Depth=2
	s_wait_alu 0xfffe
	s_or_b32 exec_lo, exec_lo, s6
	s_wait_dscnt 0x1
	v_dual_mov_b32 v25, 0 :: v_dual_mov_b32 v24, 0
	s_wait_loadcnt_dscnt 0x0
	s_barrier_signal -1
	s_barrier_wait -1
	global_inv scope:SCOPE_SE
	s_and_saveexec_b32 s6, s5
	s_cbranch_execnz .LBB139_46
; %bb.19:                               ;   in Loop: Header=BB139_12 Depth=2
	s_wait_alu 0xfffe
	s_or_b32 exec_lo, exec_lo, s6
	s_and_saveexec_b32 s6, s3
	s_cbranch_execnz .LBB139_47
.LBB139_20:                             ;   in Loop: Header=BB139_12 Depth=2
	s_wait_alu 0xfffe
	s_or_b32 exec_lo, exec_lo, s6
	s_and_saveexec_b32 s6, s3
.LBB139_21:                             ;   in Loop: Header=BB139_12 Depth=2
	v_mov_b32_e32 v5, v4
	ds_store_b64 v34, v[4:5]
.LBB139_22:                             ;   in Loop: Header=BB139_12 Depth=2
	s_wait_alu 0xfffe
	s_or_b32 exec_lo, exec_lo, s6
	ds_bpermute_b32 v5, v39, v26
	ds_bpermute_b32 v46, v39, v27
	s_wait_loadcnt_dscnt 0x0
	s_barrier_signal -1
	s_barrier_wait -1
	global_inv scope:SCOPE_SE
	v_dual_add_f32 v5, v26, v5 :: v_dual_add_f32 v26, v27, v46
	ds_bpermute_b32 v27, v42, v5
	ds_bpermute_b32 v46, v42, v26
	s_wait_dscnt 0x0
	v_dual_add_f32 v5, v5, v27 :: v_dual_add_f32 v26, v26, v46
	ds_bpermute_b32 v27, v43, v5
	ds_bpermute_b32 v46, v43, v26
	s_wait_dscnt 0x0
	;; [unrolled: 4-line block ×3, first 2 shown]
	v_dual_add_f32 v5, v5, v27 :: v_dual_add_f32 v26, v26, v46
	ds_bpermute_b32 v27, v45, v5
	ds_bpermute_b32 v46, v45, v26
	s_and_saveexec_b32 s6, s4
	s_cbranch_execz .LBB139_24
; %bb.23:                               ;   in Loop: Header=BB139_12 Depth=2
	s_wait_dscnt 0x0
	v_dual_add_f32 v47, v26, v46 :: v_dual_add_f32 v46, v5, v27
	ds_store_b64 v35, v[46:47]
.LBB139_24:                             ;   in Loop: Header=BB139_12 Depth=2
	s_wait_alu 0xfffe
	s_or_b32 exec_lo, exec_lo, s6
	s_wait_dscnt 0x1
	v_dual_mov_b32 v27, 0 :: v_dual_mov_b32 v26, 0
	s_wait_loadcnt_dscnt 0x0
	s_barrier_signal -1
	s_barrier_wait -1
	global_inv scope:SCOPE_SE
	s_and_saveexec_b32 s6, s5
	s_cbranch_execnz .LBB139_48
; %bb.25:                               ;   in Loop: Header=BB139_12 Depth=2
	s_wait_alu 0xfffe
	s_or_b32 exec_lo, exec_lo, s6
	s_and_saveexec_b32 s6, s3
	s_cbranch_execnz .LBB139_49
.LBB139_26:                             ;   in Loop: Header=BB139_12 Depth=2
	s_wait_alu 0xfffe
	s_or_b32 exec_lo, exec_lo, s6
	s_and_saveexec_b32 s6, s3
.LBB139_27:                             ;   in Loop: Header=BB139_12 Depth=2
	v_mov_b32_e32 v5, v4
	ds_store_b64 v34, v[4:5]
.LBB139_28:                             ;   in Loop: Header=BB139_12 Depth=2
	s_wait_alu 0xfffe
	s_or_b32 exec_lo, exec_lo, s6
	ds_bpermute_b32 v5, v39, v28
	ds_bpermute_b32 v46, v39, v29
	s_wait_loadcnt_dscnt 0x0
	s_barrier_signal -1
	s_barrier_wait -1
	global_inv scope:SCOPE_SE
	v_dual_add_f32 v5, v28, v5 :: v_dual_add_f32 v28, v29, v46
	ds_bpermute_b32 v29, v42, v5
	ds_bpermute_b32 v46, v42, v28
	s_wait_dscnt 0x0
	v_dual_add_f32 v5, v5, v29 :: v_dual_add_f32 v28, v28, v46
	ds_bpermute_b32 v29, v43, v5
	ds_bpermute_b32 v46, v43, v28
	s_wait_dscnt 0x0
	;; [unrolled: 4-line block ×3, first 2 shown]
	v_dual_add_f32 v5, v5, v29 :: v_dual_add_f32 v28, v28, v46
	ds_bpermute_b32 v29, v45, v5
	ds_bpermute_b32 v46, v45, v28
	s_and_saveexec_b32 s6, s4
	s_cbranch_execz .LBB139_30
; %bb.29:                               ;   in Loop: Header=BB139_12 Depth=2
	s_wait_dscnt 0x0
	v_dual_add_f32 v47, v28, v46 :: v_dual_add_f32 v46, v5, v29
	ds_store_b64 v35, v[46:47]
.LBB139_30:                             ;   in Loop: Header=BB139_12 Depth=2
	s_wait_alu 0xfffe
	s_or_b32 exec_lo, exec_lo, s6
	s_wait_dscnt 0x1
	v_dual_mov_b32 v29, 0 :: v_dual_mov_b32 v28, 0
	s_wait_loadcnt_dscnt 0x0
	s_barrier_signal -1
	s_barrier_wait -1
	global_inv scope:SCOPE_SE
	s_and_saveexec_b32 s6, s5
	s_cbranch_execnz .LBB139_50
; %bb.31:                               ;   in Loop: Header=BB139_12 Depth=2
	s_wait_alu 0xfffe
	s_or_b32 exec_lo, exec_lo, s6
	s_and_saveexec_b32 s6, s3
	s_cbranch_execnz .LBB139_51
.LBB139_32:                             ;   in Loop: Header=BB139_12 Depth=2
	s_wait_alu 0xfffe
	s_or_b32 exec_lo, exec_lo, s6
	s_and_saveexec_b32 s6, s3
.LBB139_33:                             ;   in Loop: Header=BB139_12 Depth=2
	v_mov_b32_e32 v5, v4
	ds_store_b64 v34, v[4:5]
.LBB139_34:                             ;   in Loop: Header=BB139_12 Depth=2
	s_wait_alu 0xfffe
	s_or_b32 exec_lo, exec_lo, s6
	ds_bpermute_b32 v5, v39, v31
	ds_bpermute_b32 v46, v39, v30
	s_wait_loadcnt_dscnt 0x0
	s_barrier_signal -1
	s_barrier_wait -1
	global_inv scope:SCOPE_SE
	v_dual_add_f32 v5, v31, v5 :: v_dual_add_f32 v30, v30, v46
	ds_bpermute_b32 v31, v42, v5
	ds_bpermute_b32 v46, v42, v30
	s_wait_dscnt 0x0
	v_dual_add_f32 v5, v5, v31 :: v_dual_add_f32 v30, v30, v46
	ds_bpermute_b32 v31, v43, v5
	ds_bpermute_b32 v46, v43, v30
	s_wait_dscnt 0x0
	;; [unrolled: 4-line block ×3, first 2 shown]
	v_dual_add_f32 v5, v5, v31 :: v_dual_add_f32 v30, v30, v46
	ds_bpermute_b32 v31, v45, v5
	ds_bpermute_b32 v46, v45, v30
	s_and_saveexec_b32 s6, s4
	s_cbranch_execz .LBB139_36
; %bb.35:                               ;   in Loop: Header=BB139_12 Depth=2
	s_wait_dscnt 0x0
	v_dual_add_f32 v47, v30, v46 :: v_dual_add_f32 v46, v5, v31
	ds_store_b64 v35, v[46:47]
.LBB139_36:                             ;   in Loop: Header=BB139_12 Depth=2
	s_wait_alu 0xfffe
	s_or_b32 exec_lo, exec_lo, s6
	s_wait_dscnt 0x1
	v_dual_mov_b32 v31, 0 :: v_dual_mov_b32 v30, 0
	s_wait_loadcnt_dscnt 0x0
	s_barrier_signal -1
	s_barrier_wait -1
	global_inv scope:SCOPE_SE
	s_and_saveexec_b32 s6, s5
	s_cbranch_execnz .LBB139_52
; %bb.37:                               ;   in Loop: Header=BB139_12 Depth=2
	s_wait_alu 0xfffe
	s_or_b32 exec_lo, exec_lo, s6
	s_and_saveexec_b32 s6, s3
	s_cbranch_execnz .LBB139_53
.LBB139_38:                             ;   in Loop: Header=BB139_12 Depth=2
	s_wait_alu 0xfffe
	s_or_b32 exec_lo, exec_lo, s6
	s_and_saveexec_b32 s6, s0
	s_cbranch_execz .LBB139_11
	s_branch .LBB139_54
.LBB139_39:                             ;   in Loop: Header=BB139_12 Depth=2
	s_mul_u64 s[8:9], s[24:25], s[26:27]
	s_or_b32 s66, s24, 2
	s_wait_alu 0xfffe
	s_lshl_b64 s[8:9], s[8:9], 3
	s_mov_b32 s67, s25
	s_wait_alu 0xfffe
	v_add_co_u32 v28, vcc_lo, v40, s8
	s_wait_alu 0xfffd
	v_add_co_ci_u32_e64 v29, null, s9, v41, vcc_lo
	s_or_b32 s8, s24, 1
	s_mov_b32 s9, s25
	s_clause 0x3
	global_load_b64 v[48:49], v[16:17], off
	global_load_b64 v[50:51], v[18:19], off
	;; [unrolled: 1-line block ×4, first 2 shown]
	s_wait_alu 0xfffe
	s_mul_u64 s[8:9], s[8:9], s[26:27]
	s_wait_dscnt 0x0
	s_clause 0x1
	global_load_b128 v[24:27], v[28:29], off offset:16
	global_load_b128 v[28:31], v[28:29], off
	s_wait_alu 0xfffe
	s_lshl_b64 s[8:9], s[8:9], 3
	s_wait_alu 0xfffe
	v_add_co_u32 v46, vcc_lo, v40, s8
	s_wait_alu 0xfffd
	v_add_co_ci_u32_e64 v47, null, s9, v41, vcc_lo
	s_mul_u64 s[8:9], s[66:67], s[26:27]
	s_or_b32 s66, s24, 3
	s_wait_alu 0xfffe
	s_lshl_b64 s[8:9], s[8:9], 3
	s_mul_u64 s[66:67], s[66:67], s[26:27]
	s_wait_alu 0xfffe
	v_add_co_u32 v72, vcc_lo, v40, s8
	s_wait_alu 0xfffd
	v_add_co_ci_u32_e64 v73, null, s9, v41, vcc_lo
	s_lshl_b64 s[8:9], s[66:67], 3
	s_wait_alu 0xfffe
	v_add_co_u32 v76, vcc_lo, v40, s8
	s_wait_alu 0xfffd
	v_add_co_ci_u32_e64 v77, null, s9, v41, vcc_lo
	s_clause 0x5
	global_load_b128 v[56:59], v[46:47], off
	global_load_b128 v[60:63], v[72:73], off
	;; [unrolled: 1-line block ×3, first 2 shown]
	global_load_b128 v[68:71], v[46:47], off offset:16
	global_load_b128 v[72:75], v[72:73], off offset:16
	global_load_b128 v[76:79], v[76:77], off offset:16
	s_wait_loadcnt 0xa
	scratch_store_b128 off, v[48:51], off
	s_wait_loadcnt 0x8
	scratch_store_b128 off, v[52:55], off offset:16
	s_wait_loadcnt 0x7
	v_mul_f32_e32 v47, v53, v25
	s_wait_loadcnt 0x6
	v_dual_mul_f32 v5, v29, v49 :: v_dual_mul_f32 v46, v31, v51
	v_dual_mul_f32 v29, v29, v48 :: v_dual_mul_f32 v80, v55, v27
	v_mul_f32_e32 v25, v52, v25
	v_mul_f32_e32 v27, v54, v27
	;; [unrolled: 1-line block ×3, first 2 shown]
	v_fmac_f32_e32 v46, v30, v50
	s_wait_loadcnt 0x5
	v_dual_fmac_f32 v80, v54, v26 :: v_dual_mul_f32 v81, v57, v49
	s_wait_loadcnt 0x3
	v_dual_mul_f32 v57, v57, v48 :: v_dual_mul_f32 v86, v67, v51
	v_dual_mul_f32 v83, v65, v49 :: v_dual_mul_f32 v84, v59, v51
	s_wait_loadcnt 0x1
	v_dual_mul_f32 v85, v63, v51 :: v_dual_mul_f32 v88, v53, v73
	s_wait_loadcnt 0x0
	v_mul_f32_e32 v92, v55, v79
	v_dual_fmac_f32 v86, v66, v50 :: v_dual_fmac_f32 v47, v52, v24
	v_fma_f32 v24, v53, v24, -v25
	v_fma_f32 v25, v55, v26, -v27
	;; [unrolled: 1-line block ×3, first 2 shown]
	v_dual_mul_f32 v65, v65, v48 :: v_dual_fmac_f32 v84, v58, v50
	v_mul_f32_e32 v73, v52, v73
	v_mul_f32_e32 v82, v61, v49
	s_delay_alu instid0(VALU_DEP_4)
	v_dual_add_f32 v26, 0, v26 :: v_dual_fmac_f32 v5, v28, v48
	v_fma_f32 v28, v28, v49, -v29
	v_mul_f32_e32 v61, v61, v48
	v_mul_f32_e32 v67, v67, v50
	v_dual_mul_f32 v90, v55, v71 :: v_dual_mul_f32 v87, v53, v69
	v_fma_f32 v29, v30, v51, -v31
	v_fma_f32 v30, v64, v49, -v65
	v_dual_add_f32 v28, 0, v28 :: v_dual_mul_f32 v91, v55, v75
	v_fma_f32 v57, v66, v51, -v67
	v_fmac_f32_e32 v90, v54, v70
	s_delay_alu instid0(VALU_DEP_4) | instskip(NEXT) | instid1(VALU_DEP_4)
	v_dual_add_f32 v30, 0, v30 :: v_dual_fmac_f32 v81, v56, v48
	v_dual_add_f32 v28, v28, v29 :: v_dual_fmac_f32 v91, v54, v74
	v_fmac_f32_e32 v87, v52, v68
	v_fmac_f32_e32 v83, v64, v48
	v_mul_f32_e32 v89, v53, v77
	v_mul_f32_e32 v77, v52, v77
	v_dual_mul_f32 v59, v59, v50 :: v_dual_fmac_f32 v82, v60, v48
	v_add_f32_e32 v30, v30, v57
	v_dual_mul_f32 v71, v54, v71 :: v_dual_add_f32 v64, 0, v81
	v_dual_mul_f32 v63, v63, v50 :: v_dual_fmac_f32 v88, v52, v72
	v_dual_mul_f32 v69, v52, v69 :: v_dual_fmac_f32 v92, v54, v78
	v_fma_f32 v27, v60, v49, -v61
	v_fma_f32 v31, v58, v51, -v59
	v_add_f32_e32 v29, v64, v84
	v_dual_mul_f32 v75, v54, v75 :: v_dual_add_f32 v24, v28, v24
	v_fma_f32 v56, v62, v51, -v63
	v_fma_f32 v58, v53, v68, -v69
	;; [unrolled: 1-line block ×3, first 2 shown]
	v_dual_add_f32 v26, v26, v31 :: v_dual_add_f32 v5, 0, v5
	v_add_f32_e32 v28, v29, v87
	v_add_f32_e32 v27, 0, v27
	v_fma_f32 v59, v53, v72, -v73
	v_dual_add_f32 v65, 0, v82 :: v_dual_add_f32 v66, 0, v83
	v_add_f32_e32 v29, v26, v58
	v_dual_add_f32 v30, v30, v60 :: v_dual_add_f32 v5, v5, v46
	v_dual_add_f32 v26, v28, v90 :: v_dual_add_f32 v27, v27, v56
	v_fmac_f32_e32 v85, v62, v50
	v_dual_fmac_f32 v89, v52, v76 :: v_dual_add_f32 v46, v66, v86
	s_delay_alu instid0(VALU_DEP_4) | instskip(SKIP_1) | instid1(VALU_DEP_4)
	v_add_f32_e32 v5, v5, v47
	v_mul_f32_e32 v79, v54, v79
	v_dual_add_f32 v56, v27, v59 :: v_dual_add_f32 v31, v65, v85
	v_fma_f32 v61, v55, v70, -v71
	v_fma_f32 v62, v55, v74, -v75
	v_dual_add_f32 v57, v46, v89 :: v_dual_add_f32 v46, v5, v80
	v_fma_f32 v63, v55, v78, -v79
	v_add_f32_e32 v31, v31, v88
	v_add_f32_e32 v47, v24, v25
	v_add_f32_e32 v27, v29, v61
	s_delay_alu instid0(VALU_DEP_4) | instskip(NEXT) | instid1(VALU_DEP_4)
	v_dual_add_f32 v29, v56, v62 :: v_dual_add_f32 v30, v30, v63
	v_dual_add_f32 v28, v31, v91 :: v_dual_add_f32 v31, v57, v92
	s_and_not1_saveexec_b32 s6, s6
	s_cbranch_execz .LBB139_14
.LBB139_40:                             ;   in Loop: Header=BB139_12 Depth=2
	v_dual_mov_b32 v46, 0 :: v_dual_mov_b32 v47, 0
	v_dual_mov_b32 v26, 0 :: v_dual_mov_b32 v27, 0
	;; [unrolled: 1-line block ×3, first 2 shown]
	s_wait_dscnt 0x0
	v_dual_mov_b32 v31, 0 :: v_dual_mov_b32 v30, 0
	s_and_saveexec_b32 s7, s2
	s_cbranch_execz .LBB139_56
; %bb.41:                               ;   in Loop: Header=BB139_12 Depth=2
	s_and_not1_b32 vcc_lo, exec_lo, s12
	s_wait_alu 0xfffe
	s_cbranch_vccnz .LBB139_55
; %bb.42:                               ;   in Loop: Header=BB139_12 Depth=2
	v_dual_mov_b32 v25, v13 :: v_dual_mov_b32 v24, v12
	s_mov_b32 s8, 0
	s_mov_b32 s9, s61
.LBB139_43:                             ;   Parent Loop BB139_3 Depth=1
                                        ;     Parent Loop BB139_12 Depth=2
                                        ; =>    This Inner Loop Header: Depth=3
	global_load_b64 v[26:27], v[24:25], off
	v_add_co_u32 v24, vcc_lo, v24, s44
	s_wait_alu 0xfffd
	v_add_co_ci_u32_e64 v25, null, s45, v25, vcc_lo
	s_wait_alu 0xfffe
	s_add_co_i32 s9, s9, -1
	s_wait_loadcnt 0x0
	scratch_store_b64 off, v[26:27], s8
	s_add_co_i32 s8, s8, 8
	s_wait_alu 0xfffe
	s_cmp_eq_u32 s9, 0
	s_cbranch_scc0 .LBB139_43
; %bb.44:                               ;   in Loop: Header=BB139_12 Depth=2
	v_dual_mov_b32 v30, 0 :: v_dual_mov_b32 v25, v15
	v_dual_mov_b32 v24, v14 :: v_dual_mov_b32 v31, 0
	;; [unrolled: 1-line block ×5, first 2 shown]
	s_mov_b32 s8, s64
	s_mov_b32 s9, s61
.LBB139_45:                             ;   Parent Loop BB139_3 Depth=1
                                        ;     Parent Loop BB139_12 Depth=2
                                        ; =>    This Inner Loop Header: Depth=3
	v_add_co_u32 v50, vcc_lo, v24, s50
	s_wait_alu 0xfffd
	v_add_co_ci_u32_e64 v51, null, s51, v25, vcc_lo
	scratch_load_b64 v[48:49], off, s8 offset:-4
	global_load_b64 v[52:53], v[24:25], off
	v_add_co_u32 v54, vcc_lo, v50, s50
	s_wait_alu 0xfffd
	v_add_co_ci_u32_e64 v55, null, s51, v51, vcc_lo
	s_wait_alu 0xfffe
	s_add_co_i32 s9, s9, -1
	v_add_co_u32 v56, vcc_lo, v54, s50
	s_wait_alu 0xfffd
	v_add_co_ci_u32_e64 v57, null, s51, v55, vcc_lo
	s_clause 0x2
	global_load_b64 v[50:51], v[50:51], off
	global_load_b64 v[54:55], v[54:55], off
	;; [unrolled: 1-line block ×3, first 2 shown]
	v_add_co_u32 v24, vcc_lo, v24, 8
	s_wait_alu 0xfffd
	v_add_co_ci_u32_e64 v25, null, 0, v25, vcc_lo
	s_add_co_i32 s8, s8, 8
	s_wait_alu 0xfffe
	s_cmp_lg_u32 s9, 0
	s_wait_loadcnt 0x3
	v_mul_f32_e32 v5, v49, v53
	v_mul_f32_e32 v53, v48, v53
	s_delay_alu instid0(VALU_DEP_2) | instskip(NEXT) | instid1(VALU_DEP_2)
	v_fmac_f32_e32 v5, v48, v52
	v_fma_f32 v52, v49, v52, -v53
	s_wait_loadcnt 0x0
	s_delay_alu instid0(VALU_DEP_1) | instskip(NEXT) | instid1(VALU_DEP_3)
	v_dual_add_f32 v47, v47, v52 :: v_dual_mul_f32 v52, v49, v57
	v_dual_mul_f32 v53, v49, v51 :: v_dual_add_f32 v46, v46, v5
	s_delay_alu instid0(VALU_DEP_1) | instskip(NEXT) | instid1(VALU_DEP_1)
	v_fmac_f32_e32 v53, v48, v50
	v_dual_mul_f32 v51, v48, v51 :: v_dual_add_f32 v26, v26, v53
	s_delay_alu instid0(VALU_DEP_1) | instskip(SKIP_3) | instid1(VALU_DEP_4)
	v_fma_f32 v5, v49, v50, -v51
	v_mul_f32_e32 v50, v49, v55
	v_mul_f32_e32 v51, v48, v55
	;; [unrolled: 1-line block ×3, first 2 shown]
	v_dual_fmac_f32 v52, v48, v56 :: v_dual_add_f32 v27, v27, v5
	s_delay_alu instid0(VALU_DEP_4) | instskip(NEXT) | instid1(VALU_DEP_4)
	v_fmac_f32_e32 v50, v48, v54
	v_fma_f32 v51, v49, v54, -v51
	s_delay_alu instid0(VALU_DEP_4) | instskip(NEXT) | instid1(VALU_DEP_3)
	v_fma_f32 v48, v49, v56, -v55
	v_dual_add_f32 v31, v31, v52 :: v_dual_add_f32 v28, v28, v50
	s_delay_alu instid0(VALU_DEP_2)
	v_dual_add_f32 v29, v29, v51 :: v_dual_add_f32 v30, v30, v48
	s_cbranch_scc1 .LBB139_45
	s_branch .LBB139_56
.LBB139_46:                             ;   in Loop: Header=BB139_12 Depth=2
	ds_load_b64 v[24:25], v34
	s_wait_alu 0xfffe
	s_or_b32 exec_lo, exec_lo, s6
	s_and_saveexec_b32 s6, s3
	s_cbranch_execz .LBB139_20
.LBB139_47:                             ;   in Loop: Header=BB139_12 Depth=2
	s_wait_dscnt 0x0
	ds_bpermute_b32 v5, v43, v24
	ds_bpermute_b32 v46, v43, v25
	s_wait_dscnt 0x0
	v_dual_add_f32 v5, v24, v5 :: v_dual_add_f32 v24, v25, v46
	ds_bpermute_b32 v25, v44, v5
	ds_bpermute_b32 v46, v44, v24
	s_wait_dscnt 0x1
	v_add_f32_e32 v5, v5, v25
	s_wait_dscnt 0x0
	v_add_f32_e32 v25, v24, v46
	ds_bpermute_b32 v24, v45, v5
	s_wait_dscnt 0x0
	v_add_f32_e32 v24, v5, v24
	ds_bpermute_b32 v46, v45, v25
	s_wait_dscnt 0x0
	v_add_f32_e32 v25, v25, v46
	s_wait_alu 0xfffe
	s_or_b32 exec_lo, exec_lo, s6
	s_and_saveexec_b32 s6, s3
	s_cbranch_execnz .LBB139_21
	s_branch .LBB139_22
.LBB139_48:                             ;   in Loop: Header=BB139_12 Depth=2
	ds_load_b64 v[26:27], v34
	s_wait_alu 0xfffe
	s_or_b32 exec_lo, exec_lo, s6
	s_and_saveexec_b32 s6, s3
	s_cbranch_execz .LBB139_26
.LBB139_49:                             ;   in Loop: Header=BB139_12 Depth=2
	s_wait_dscnt 0x0
	ds_bpermute_b32 v5, v43, v26
	ds_bpermute_b32 v46, v43, v27
	s_wait_dscnt 0x0
	v_dual_add_f32 v5, v26, v5 :: v_dual_add_f32 v26, v27, v46
	ds_bpermute_b32 v27, v44, v5
	ds_bpermute_b32 v46, v44, v26
	s_wait_dscnt 0x1
	v_add_f32_e32 v5, v5, v27
	s_wait_dscnt 0x0
	v_add_f32_e32 v27, v26, v46
	ds_bpermute_b32 v26, v45, v5
	ds_bpermute_b32 v46, v45, v27
	s_wait_dscnt 0x1
	v_add_f32_e32 v26, v5, v26
	s_wait_dscnt 0x0
	v_add_f32_e32 v27, v27, v46
	s_wait_alu 0xfffe
	s_or_b32 exec_lo, exec_lo, s6
	s_and_saveexec_b32 s6, s3
	s_cbranch_execnz .LBB139_27
	s_branch .LBB139_28
.LBB139_50:                             ;   in Loop: Header=BB139_12 Depth=2
	ds_load_b64 v[28:29], v34
	s_wait_alu 0xfffe
	s_or_b32 exec_lo, exec_lo, s6
	s_and_saveexec_b32 s6, s3
	s_cbranch_execz .LBB139_32
.LBB139_51:                             ;   in Loop: Header=BB139_12 Depth=2
	s_wait_dscnt 0x0
	ds_bpermute_b32 v5, v43, v28
	ds_bpermute_b32 v46, v43, v29
	s_wait_dscnt 0x0
	v_dual_add_f32 v5, v28, v5 :: v_dual_add_f32 v28, v29, v46
	ds_bpermute_b32 v29, v44, v5
	ds_bpermute_b32 v46, v44, v28
	s_wait_dscnt 0x1
	v_add_f32_e32 v5, v5, v29
	s_wait_dscnt 0x0
	v_add_f32_e32 v29, v28, v46
	ds_bpermute_b32 v28, v45, v5
	s_wait_dscnt 0x0
	v_add_f32_e32 v28, v5, v28
	ds_bpermute_b32 v46, v45, v29
	s_wait_dscnt 0x0
	v_add_f32_e32 v29, v29, v46
	s_wait_alu 0xfffe
	s_or_b32 exec_lo, exec_lo, s6
	s_and_saveexec_b32 s6, s3
	s_cbranch_execnz .LBB139_33
	s_branch .LBB139_34
.LBB139_52:                             ;   in Loop: Header=BB139_12 Depth=2
	ds_load_b64 v[30:31], v34
	s_wait_alu 0xfffe
	s_or_b32 exec_lo, exec_lo, s6
	s_and_saveexec_b32 s6, s3
	s_cbranch_execz .LBB139_38
.LBB139_53:                             ;   in Loop: Header=BB139_12 Depth=2
	s_wait_dscnt 0x0
	ds_bpermute_b32 v5, v43, v30
	ds_bpermute_b32 v46, v43, v31
	s_wait_dscnt 0x0
	v_dual_add_f32 v5, v30, v5 :: v_dual_add_f32 v30, v31, v46
	ds_bpermute_b32 v31, v44, v5
	ds_bpermute_b32 v46, v44, v30
	s_wait_dscnt 0x1
	v_add_f32_e32 v5, v5, v31
	s_wait_dscnt 0x0
	v_add_f32_e32 v31, v30, v46
	ds_bpermute_b32 v30, v45, v5
	ds_bpermute_b32 v46, v45, v31
	s_wait_dscnt 0x1
	v_add_f32_e32 v30, v5, v30
	s_wait_dscnt 0x0
	v_add_f32_e32 v31, v31, v46
	s_wait_alu 0xfffe
	s_or_b32 exec_lo, exec_lo, s6
	s_and_saveexec_b32 s6, s0
	s_cbranch_execz .LBB139_11
.LBB139_54:                             ;   in Loop: Header=BB139_12 Depth=2
	v_dual_mul_f32 v5, s15, v25 :: v_dual_mul_f32 v48, s15, v27
	v_mul_f32_e32 v47, s14, v25
	v_mul_f32_e32 v25, s14, v27
	s_or_b32 s66, s24, 1
	s_mov_b32 s67, s25
	s_mul_u64 s[8:9], s[24:25], s[28:29]
	v_fma_f32 v46, v24, s14, -v5
	s_wait_alu 0xfffe
	s_mul_u64 s[66:67], s[66:67], s[28:29]
	v_fmac_f32_e32 v47, s15, v24
	s_lshl_b64 s[8:9], s[8:9], 3
	v_fma_f32 v24, v26, s14, -v48
	v_fmac_f32_e32 v25, s15, v26
	v_mul_f32_e32 v5, s15, v29
	s_wait_alu 0xfffe
	s_lshl_b64 s[66:67], s[66:67], 3
	s_add_nc_u64 s[8:9], s[52:53], s[8:9]
	s_wait_alu 0xfffe
	s_add_nc_u64 s[66:67], s[52:53], s[66:67]
	s_clause 0x1
	global_store_b64 v4, v[46:47], s[8:9]
	global_store_b64 v4, v[24:25], s[66:67]
	v_mul_f32_e32 v25, s14, v29
	v_fma_f32 v24, v28, s14, -v5
	s_wait_dscnt 0x0
	v_mul_f32_e32 v5, s15, v31
	v_mul_f32_e32 v27, s14, v31
	s_or_b32 s8, s24, 2
	s_mov_b32 s9, s25
	s_or_b32 s66, s24, 3
	s_mov_b32 s67, s25
	s_wait_alu 0xfffe
	s_mul_u64 s[8:9], s[8:9], s[28:29]
	s_mul_u64 s[66:67], s[66:67], s[28:29]
	v_fmac_f32_e32 v25, s15, v28
	s_wait_alu 0xfffe
	s_lshl_b64 s[8:9], s[8:9], 3
	v_fma_f32 v26, v30, s14, -v5
	v_fmac_f32_e32 v27, s15, v30
	s_lshl_b64 s[66:67], s[66:67], 3
	s_wait_alu 0xfffe
	s_add_nc_u64 s[8:9], s[52:53], s[8:9]
	s_add_nc_u64 s[66:67], s[52:53], s[66:67]
	s_clause 0x1
	global_store_b64 v4, v[24:25], s[8:9]
	global_store_b64 v4, v[26:27], s[66:67]
	s_branch .LBB139_11
.LBB139_55:                             ;   in Loop: Header=BB139_12 Depth=2
	v_dual_mov_b32 v46, 0 :: v_dual_mov_b32 v47, 0
	v_dual_mov_b32 v26, 0 :: v_dual_mov_b32 v27, 0
	;; [unrolled: 1-line block ×4, first 2 shown]
.LBB139_56:                             ;   in Loop: Header=BB139_12 Depth=2
	s_wait_alu 0xfffe
	s_or_b32 exec_lo, exec_lo, s7
	s_delay_alu instid0(SALU_CYCLE_1)
	s_or_b32 exec_lo, exec_lo, s6
	s_and_saveexec_b32 s6, s3
	s_cbranch_execnz .LBB139_15
	s_branch .LBB139_16
.LBB139_57:                             ;   in Loop: Header=BB139_3 Depth=1
	s_mov_b32 s24, 0
.LBB139_58:                             ;   in Loop: Header=BB139_3 Depth=1
	s_delay_alu instid0(SALU_CYCLE_1)
	s_cmp_ge_i32 s24, s13
	s_cbranch_scc1 .LBB139_2
; %bb.59:                               ;   in Loop: Header=BB139_3 Depth=1
	v_cmp_gt_u32_e32 vcc_lo, 24, v38
	s_mul_u64 s[6:7], s[50:51], s[24:25]
	s_wait_alu 0xfffe
	s_add_nc_u64 s[6:7], s[6:7], s[54:55]
	s_wait_alu 0xfffd
	v_cndmask_b32_e64 v5, 0, 8, vcc_lo
	v_cmp_gt_u32_e32 vcc_lo, 28, v38
	s_delay_alu instid0(VALU_DEP_2) | instskip(SKIP_3) | instid1(VALU_DEP_2)
	v_add_lshl_u32 v26, v5, v38, 2
	s_wait_alu 0xfffd
	v_cndmask_b32_e64 v14, 0, 4, vcc_lo
	v_cmp_gt_u32_e32 vcc_lo, 30, v38
	v_add_lshl_u32 v27, v14, v38, 2
	s_wait_alu 0xfffd
	v_cndmask_b32_e64 v15, 0, 2, vcc_lo
	v_cmp_ne_u32_e32 vcc_lo, 31, v38
	s_delay_alu instid0(VALU_DEP_2)
	v_add_lshl_u32 v28, v15, v38, 2
	s_wait_alu 0xfffd
	v_add_co_ci_u32_e64 v16, null, 0, v38, vcc_lo
	v_add_co_u32 v14, vcc_lo, s56, v0
	s_wait_alu 0xfffd
	v_add_co_ci_u32_e64 v15, null, s57, v1, vcc_lo
	s_delay_alu instid0(VALU_DEP_3)
	v_lshlrev_b32_e32 v29, 2, v16
	v_add_co_u32 v16, vcc_lo, s56, v6
	s_wait_alu 0xfffd
	v_add_co_ci_u32_e64 v17, null, s57, v7, vcc_lo
	v_add_co_u32 v18, vcc_lo, s56, v8
	s_wait_alu 0xfffd
	v_add_co_ci_u32_e64 v19, null, s57, v9, vcc_lo
	;; [unrolled: 3-line block ×3, first 2 shown]
	s_wait_alu 0xfffe
	v_add_co_u32 v22, vcc_lo, v36, s6
	s_wait_alu 0xfffd
	v_add_co_ci_u32_e64 v23, null, s7, v37, vcc_lo
	s_branch .LBB139_61
.LBB139_60:                             ;   in Loop: Header=BB139_61 Depth=2
	s_wait_alu 0xfffe
	s_or_b32 exec_lo, exec_lo, s6
	v_add_co_u32 v22, vcc_lo, v22, s50
	s_wait_alu 0xfffd
	v_add_co_ci_u32_e64 v23, null, s51, v23, vcc_lo
	s_add_co_i32 s24, s24, 1
	s_delay_alu instid0(SALU_CYCLE_1)
	s_cmp_lt_i32 s24, s13
	s_cbranch_scc0 .LBB139_2
.LBB139_61:                             ;   Parent Loop BB139_3 Depth=1
                                        ; =>  This Loop Header: Depth=2
                                        ;       Child Loop BB139_73 Depth 3
                                        ;       Child Loop BB139_75 Depth 3
                                        ; implicit-def: $vgpr30
                                        ; implicit-def: $vgpr31
	s_and_saveexec_b32 s6, s1
	s_wait_alu 0xfffe
	s_xor_b32 s6, exec_lo, s6
	s_cbranch_execnz .LBB139_70
; %bb.62:                               ;   in Loop: Header=BB139_61 Depth=2
	s_wait_alu 0xfffe
	s_and_not1_saveexec_b32 s6, s6
	s_cbranch_execnz .LBB139_71
.LBB139_63:                             ;   in Loop: Header=BB139_61 Depth=2
	s_wait_alu 0xfffe
	s_or_b32 exec_lo, exec_lo, s6
	s_and_saveexec_b32 s6, s3
.LBB139_64:                             ;   in Loop: Header=BB139_61 Depth=2
	v_mov_b32_e32 v5, v4
	ds_store_b64 v34, v[4:5]
.LBB139_65:                             ;   in Loop: Header=BB139_61 Depth=2
	s_wait_alu 0xfffe
	s_or_b32 exec_lo, exec_lo, s6
	s_wait_dscnt 0x0
	ds_bpermute_b32 v5, v39, v30
	ds_bpermute_b32 v24, v39, v31
	s_wait_storecnt 0x0
	s_wait_loadcnt_dscnt 0x0
	s_barrier_signal -1
	s_barrier_wait -1
	global_inv scope:SCOPE_SE
	v_dual_add_f32 v5, v30, v5 :: v_dual_add_f32 v24, v31, v24
	ds_bpermute_b32 v25, v26, v5
	ds_bpermute_b32 v30, v26, v24
	s_wait_dscnt 0x0
	v_dual_add_f32 v5, v5, v25 :: v_dual_add_f32 v24, v24, v30
	ds_bpermute_b32 v25, v27, v5
	ds_bpermute_b32 v30, v27, v24
	s_wait_dscnt 0x0
	;; [unrolled: 4-line block ×3, first 2 shown]
	v_dual_add_f32 v5, v5, v25 :: v_dual_add_f32 v24, v24, v30
	ds_bpermute_b32 v25, v29, v5
	ds_bpermute_b32 v30, v29, v24
	s_and_saveexec_b32 s6, s4
	s_cbranch_execz .LBB139_67
; %bb.66:                               ;   in Loop: Header=BB139_61 Depth=2
	s_wait_dscnt 0x0
	v_dual_add_f32 v31, v24, v30 :: v_dual_add_f32 v30, v5, v25
	ds_store_b64 v35, v[30:31]
.LBB139_67:                             ;   in Loop: Header=BB139_61 Depth=2
	s_wait_alu 0xfffe
	s_or_b32 exec_lo, exec_lo, s6
	s_wait_dscnt 0x1
	v_dual_mov_b32 v25, 0 :: v_dual_mov_b32 v24, 0
	s_wait_loadcnt_dscnt 0x0
	s_barrier_signal -1
	s_barrier_wait -1
	global_inv scope:SCOPE_SE
	s_and_saveexec_b32 s6, s5
	s_cbranch_execnz .LBB139_77
; %bb.68:                               ;   in Loop: Header=BB139_61 Depth=2
	s_wait_alu 0xfffe
	s_or_b32 exec_lo, exec_lo, s6
	s_and_saveexec_b32 s6, s3
	s_cbranch_execnz .LBB139_78
.LBB139_69:                             ;   in Loop: Header=BB139_61 Depth=2
	s_wait_alu 0xfffe
	s_or_b32 exec_lo, exec_lo, s6
	s_and_saveexec_b32 s6, s0
	s_cbranch_execz .LBB139_60
	s_branch .LBB139_79
.LBB139_70:                             ;   in Loop: Header=BB139_61 Depth=2
	s_mul_u64 s[8:9], s[24:25], s[26:27]
	s_wait_alu 0xfffe
	s_lshl_b64 s[8:9], s[8:9], 3
	s_wait_dscnt 0x0
	s_wait_alu 0xfffe
	v_add_co_u32 v24, vcc_lo, v40, s8
	s_wait_alu 0xfffd
	v_add_co_ci_u32_e64 v25, null, s9, v41, vcc_lo
	global_load_b128 v[42:45], v[24:25], off
	s_clause 0x1
	global_load_b64 v[46:47], v[14:15], off
	global_load_b64 v[48:49], v[16:17], off
	global_load_b128 v[50:53], v[24:25], off offset:16
	s_clause 0x1
	global_load_b64 v[54:55], v[18:19], off
	global_load_b64 v[56:57], v[20:21], off
	s_wait_loadcnt 0x3
	scratch_store_b128 off, v[46:49], off
	s_wait_loadcnt 0x0
	scratch_store_b128 off, v[54:57], off offset:16
	s_wait_dscnt 0x0
	v_dual_mul_f32 v5, v43, v47 :: v_dual_mul_f32 v30, v45, v48
	v_dual_mul_f32 v24, v43, v46 :: v_dual_mul_f32 v25, v45, v49
	v_mul_f32_e32 v31, v51, v55
	s_delay_alu instid0(VALU_DEP_3) | instskip(NEXT) | instid1(VALU_DEP_4)
	v_fmac_f32_e32 v5, v42, v46
	v_fma_f32 v30, v44, v49, -v30
	s_delay_alu instid0(VALU_DEP_4) | instskip(SKIP_1) | instid1(VALU_DEP_2)
	v_fma_f32 v24, v42, v47, -v24
	v_dual_mul_f32 v42, v53, v57 :: v_dual_mul_f32 v43, v51, v54
	v_dual_fmac_f32 v31, v50, v54 :: v_dual_add_f32 v24, 0, v24
	s_delay_alu instid0(VALU_DEP_2) | instskip(SKIP_2) | instid1(VALU_DEP_4)
	v_fmac_f32_e32 v42, v52, v56
	v_fmac_f32_e32 v25, v44, v48
	v_dual_mul_f32 v44, v53, v56 :: v_dual_add_f32 v5, 0, v5
	v_add_f32_e32 v24, v24, v30
	v_fma_f32 v43, v50, v55, -v43
	s_delay_alu instid0(VALU_DEP_3) | instskip(NEXT) | instid1(VALU_DEP_4)
	v_add_f32_e32 v5, v5, v25
	v_fma_f32 v25, v52, v57, -v44
	s_delay_alu instid0(VALU_DEP_3) | instskip(NEXT) | instid1(VALU_DEP_3)
	v_add_f32_e32 v24, v24, v43
	v_add_f32_e32 v5, v5, v31
	s_delay_alu instid0(VALU_DEP_1)
	v_dual_add_f32 v31, v24, v25 :: v_dual_add_f32 v30, v5, v42
	s_and_not1_saveexec_b32 s6, s6
	s_cbranch_execz .LBB139_63
.LBB139_71:                             ;   in Loop: Header=BB139_61 Depth=2
	s_wait_dscnt 0x0
	v_dual_mov_b32 v30, 0 :: v_dual_mov_b32 v31, 0
	s_and_saveexec_b32 s7, s63
	s_cbranch_execz .LBB139_76
; %bb.72:                               ;   in Loop: Header=BB139_61 Depth=2
	v_dual_mov_b32 v25, v13 :: v_dual_mov_b32 v24, v12
	s_mov_b32 s8, 0
	s_mov_b32 s9, s61
.LBB139_73:                             ;   Parent Loop BB139_3 Depth=1
                                        ;     Parent Loop BB139_61 Depth=2
                                        ; =>    This Inner Loop Header: Depth=3
	global_load_b64 v[30:31], v[24:25], off
	v_add_co_u32 v24, vcc_lo, v24, s44
	s_wait_alu 0xfffd
	v_add_co_ci_u32_e64 v25, null, s45, v25, vcc_lo
	s_wait_alu 0xfffe
	s_add_co_i32 s9, s9, -1
	s_wait_loadcnt 0x0
	scratch_store_b64 off, v[30:31], s8
	s_add_co_i32 s8, s8, 8
	s_wait_alu 0xfffe
	s_cmp_eq_u32 s9, 0
	s_cbranch_scc0 .LBB139_73
; %bb.74:                               ;   in Loop: Header=BB139_61 Depth=2
	v_dual_mov_b32 v30, 0 :: v_dual_mov_b32 v25, v23
	v_dual_mov_b32 v24, v22 :: v_dual_mov_b32 v31, 0
	s_mov_b32 s8, s64
	s_mov_b32 s9, s61
.LBB139_75:                             ;   Parent Loop BB139_3 Depth=1
                                        ;     Parent Loop BB139_61 Depth=2
                                        ; =>    This Inner Loop Header: Depth=3
	global_load_b64 v[42:43], v[24:25], off offset:-4
	scratch_load_b64 v[44:45], off, s8 offset:-4
	v_add_co_u32 v24, vcc_lo, v24, 8
	s_wait_alu 0xfffd
	v_add_co_ci_u32_e64 v25, null, 0, v25, vcc_lo
	s_wait_alu 0xfffe
	s_add_co_i32 s9, s9, -1
	s_add_co_i32 s8, s8, 8
	s_wait_alu 0xfffe
	s_cmp_lg_u32 s9, 0
	s_wait_loadcnt 0x0
	v_mul_f32_e32 v5, v43, v45
	s_delay_alu instid0(VALU_DEP_1) | instskip(NEXT) | instid1(VALU_DEP_1)
	v_fmac_f32_e32 v5, v42, v44
	v_dual_mul_f32 v43, v43, v44 :: v_dual_add_f32 v30, v30, v5
	s_delay_alu instid0(VALU_DEP_1) | instskip(NEXT) | instid1(VALU_DEP_1)
	v_fma_f32 v42, v42, v45, -v43
	v_add_f32_e32 v31, v31, v42
	s_cbranch_scc1 .LBB139_75
.LBB139_76:                             ;   in Loop: Header=BB139_61 Depth=2
	s_wait_alu 0xfffe
	s_or_b32 exec_lo, exec_lo, s7
	s_delay_alu instid0(SALU_CYCLE_1)
	s_or_b32 exec_lo, exec_lo, s6
	s_and_saveexec_b32 s6, s3
	s_cbranch_execnz .LBB139_64
	s_branch .LBB139_65
.LBB139_77:                             ;   in Loop: Header=BB139_61 Depth=2
	ds_load_b64 v[24:25], v34
	s_wait_alu 0xfffe
	s_or_b32 exec_lo, exec_lo, s6
	s_and_saveexec_b32 s6, s3
	s_cbranch_execz .LBB139_69
.LBB139_78:                             ;   in Loop: Header=BB139_61 Depth=2
	s_wait_dscnt 0x0
	ds_bpermute_b32 v5, v27, v24
	ds_bpermute_b32 v30, v27, v25
	s_wait_dscnt 0x0
	v_dual_add_f32 v5, v24, v5 :: v_dual_add_f32 v24, v25, v30
	ds_bpermute_b32 v25, v28, v5
	ds_bpermute_b32 v30, v28, v24
	s_wait_dscnt 0x1
	v_add_f32_e32 v5, v5, v25
	s_wait_dscnt 0x0
	v_add_f32_e32 v25, v24, v30
	ds_bpermute_b32 v24, v29, v5
	s_wait_dscnt 0x0
	v_add_f32_e32 v24, v5, v24
	ds_bpermute_b32 v30, v29, v25
	s_wait_dscnt 0x0
	v_add_f32_e32 v25, v25, v30
	s_wait_alu 0xfffe
	s_or_b32 exec_lo, exec_lo, s6
	s_and_saveexec_b32 s6, s0
	s_cbranch_execz .LBB139_60
.LBB139_79:                             ;   in Loop: Header=BB139_61 Depth=2
	s_wait_dscnt 0x0
	v_mul_f32_e32 v5, s15, v25
	v_mul_f32_e32 v31, s14, v25
	s_mul_u64 s[8:9], s[24:25], s[28:29]
	s_wait_alu 0xfffe
	s_lshl_b64 s[8:9], s[8:9], 3
	v_fma_f32 v30, v24, s14, -v5
	v_fmac_f32_e32 v31, s15, v24
	s_wait_alu 0xfffe
	s_add_nc_u64 s[8:9], s[52:53], s[8:9]
	global_store_b64 v4, v[30:31], s[8:9]
	s_branch .LBB139_60
.LBB139_80:
	s_endpgm
	.section	.rodata,"a",@progbits
	.p2align	6, 0x0
	.amdhsa_kernel _ZL23rocblas_gemvt_sn_kernelILb1ELi256ELi4El19rocblas_complex_numIfES1_S1_EviiT4_lPKT3_lilS5_lilPT5_i
		.amdhsa_group_segment_fixed_size 256
		.amdhsa_private_segment_fixed_size 48
		.amdhsa_kernarg_size 360
		.amdhsa_user_sgpr_count 2
		.amdhsa_user_sgpr_dispatch_ptr 0
		.amdhsa_user_sgpr_queue_ptr 0
		.amdhsa_user_sgpr_kernarg_segment_ptr 1
		.amdhsa_user_sgpr_dispatch_id 0
		.amdhsa_user_sgpr_private_segment_size 0
		.amdhsa_wavefront_size32 1
		.amdhsa_uses_dynamic_stack 0
		.amdhsa_enable_private_segment 1
		.amdhsa_system_sgpr_workgroup_id_x 1
		.amdhsa_system_sgpr_workgroup_id_y 0
		.amdhsa_system_sgpr_workgroup_id_z 1
		.amdhsa_system_sgpr_workgroup_info 0
		.amdhsa_system_vgpr_workitem_id 0
		.amdhsa_next_free_vgpr 93
		.amdhsa_next_free_sgpr 70
		.amdhsa_reserve_vcc 1
		.amdhsa_float_round_mode_32 0
		.amdhsa_float_round_mode_16_64 0
		.amdhsa_float_denorm_mode_32 3
		.amdhsa_float_denorm_mode_16_64 3
		.amdhsa_fp16_overflow 0
		.amdhsa_workgroup_processor_mode 1
		.amdhsa_memory_ordered 1
		.amdhsa_forward_progress 1
		.amdhsa_inst_pref_size 45
		.amdhsa_round_robin_scheduling 0
		.amdhsa_exception_fp_ieee_invalid_op 0
		.amdhsa_exception_fp_denorm_src 0
		.amdhsa_exception_fp_ieee_div_zero 0
		.amdhsa_exception_fp_ieee_overflow 0
		.amdhsa_exception_fp_ieee_underflow 0
		.amdhsa_exception_fp_ieee_inexact 0
		.amdhsa_exception_int_div_zero 0
	.end_amdhsa_kernel
	.section	.text._ZL23rocblas_gemvt_sn_kernelILb1ELi256ELi4El19rocblas_complex_numIfES1_S1_EviiT4_lPKT3_lilS5_lilPT5_i,"axG",@progbits,_ZL23rocblas_gemvt_sn_kernelILb1ELi256ELi4El19rocblas_complex_numIfES1_S1_EviiT4_lPKT3_lilS5_lilPT5_i,comdat
.Lfunc_end139:
	.size	_ZL23rocblas_gemvt_sn_kernelILb1ELi256ELi4El19rocblas_complex_numIfES1_S1_EviiT4_lPKT3_lilS5_lilPT5_i, .Lfunc_end139-_ZL23rocblas_gemvt_sn_kernelILb1ELi256ELi4El19rocblas_complex_numIfES1_S1_EviiT4_lPKT3_lilS5_lilPT5_i
                                        ; -- End function
	.set _ZL23rocblas_gemvt_sn_kernelILb1ELi256ELi4El19rocblas_complex_numIfES1_S1_EviiT4_lPKT3_lilS5_lilPT5_i.num_vgpr, 93
	.set _ZL23rocblas_gemvt_sn_kernelILb1ELi256ELi4El19rocblas_complex_numIfES1_S1_EviiT4_lPKT3_lilS5_lilPT5_i.num_agpr, 0
	.set _ZL23rocblas_gemvt_sn_kernelILb1ELi256ELi4El19rocblas_complex_numIfES1_S1_EviiT4_lPKT3_lilS5_lilPT5_i.numbered_sgpr, 70
	.set _ZL23rocblas_gemvt_sn_kernelILb1ELi256ELi4El19rocblas_complex_numIfES1_S1_EviiT4_lPKT3_lilS5_lilPT5_i.num_named_barrier, 0
	.set _ZL23rocblas_gemvt_sn_kernelILb1ELi256ELi4El19rocblas_complex_numIfES1_S1_EviiT4_lPKT3_lilS5_lilPT5_i.private_seg_size, 48
	.set _ZL23rocblas_gemvt_sn_kernelILb1ELi256ELi4El19rocblas_complex_numIfES1_S1_EviiT4_lPKT3_lilS5_lilPT5_i.uses_vcc, 1
	.set _ZL23rocblas_gemvt_sn_kernelILb1ELi256ELi4El19rocblas_complex_numIfES1_S1_EviiT4_lPKT3_lilS5_lilPT5_i.uses_flat_scratch, 0
	.set _ZL23rocblas_gemvt_sn_kernelILb1ELi256ELi4El19rocblas_complex_numIfES1_S1_EviiT4_lPKT3_lilS5_lilPT5_i.has_dyn_sized_stack, 0
	.set _ZL23rocblas_gemvt_sn_kernelILb1ELi256ELi4El19rocblas_complex_numIfES1_S1_EviiT4_lPKT3_lilS5_lilPT5_i.has_recursion, 0
	.set _ZL23rocblas_gemvt_sn_kernelILb1ELi256ELi4El19rocblas_complex_numIfES1_S1_EviiT4_lPKT3_lilS5_lilPT5_i.has_indirect_call, 0
	.section	.AMDGPU.csdata,"",@progbits
; Kernel info:
; codeLenInByte = 5752
; TotalNumSgprs: 72
; NumVgprs: 93
; ScratchSize: 48
; MemoryBound: 0
; FloatMode: 240
; IeeeMode: 1
; LDSByteSize: 256 bytes/workgroup (compile time only)
; SGPRBlocks: 0
; VGPRBlocks: 11
; NumSGPRsForWavesPerEU: 72
; NumVGPRsForWavesPerEU: 93
; Occupancy: 16
; WaveLimiterHint : 1
; COMPUTE_PGM_RSRC2:SCRATCH_EN: 1
; COMPUTE_PGM_RSRC2:USER_SGPR: 2
; COMPUTE_PGM_RSRC2:TRAP_HANDLER: 0
; COMPUTE_PGM_RSRC2:TGID_X_EN: 1
; COMPUTE_PGM_RSRC2:TGID_Y_EN: 0
; COMPUTE_PGM_RSRC2:TGID_Z_EN: 1
; COMPUTE_PGM_RSRC2:TIDIG_COMP_CNT: 0
	.section	.text._ZL20rocblas_gemvt_kernelILb1ELi256E19rocblas_complex_numIfEPKS1_S1_EviiT2_lPKT1_lilS7_lilS4_lPT3_lili,"axG",@progbits,_ZL20rocblas_gemvt_kernelILb1ELi256E19rocblas_complex_numIfEPKS1_S1_EviiT2_lPKT1_lilS7_lilS4_lPT3_lili,comdat
	.globl	_ZL20rocblas_gemvt_kernelILb1ELi256E19rocblas_complex_numIfEPKS1_S1_EviiT2_lPKT1_lilS7_lilS4_lPT3_lili ; -- Begin function _ZL20rocblas_gemvt_kernelILb1ELi256E19rocblas_complex_numIfEPKS1_S1_EviiT2_lPKT1_lilS7_lilS4_lPT3_lili
	.p2align	8
	.type	_ZL20rocblas_gemvt_kernelILb1ELi256E19rocblas_complex_numIfEPKS1_S1_EviiT2_lPKT1_lilS7_lilS4_lPT3_lili,@function
_ZL20rocblas_gemvt_kernelILb1ELi256E19rocblas_complex_numIfEPKS1_S1_EviiT2_lPKT1_lilS7_lilS4_lPT3_lili: ; @_ZL20rocblas_gemvt_kernelILb1ELi256E19rocblas_complex_numIfEPKS1_S1_EviiT2_lPKT1_lilS7_lilS4_lPT3_lili
; %bb.0:
	s_load_b32 s33, s[0:1], 0x88
	s_lshr_b32 s34, ttmp7, 16
	s_wait_kmcnt 0x0
	s_cmp_ge_u32 s34, s33
	s_cbranch_scc1 .LBB140_40
; %bb.1:
	s_clause 0x7
	s_load_b32 s38, s[0:1], 0x28
	s_load_b96 s[8:10], s[0:1], 0x40
	s_load_b96 s[4:6], s[0:1], 0x70
	s_load_b256 s[12:19], s[0:1], 0x8
	s_load_b32 s11, s[0:1], 0x0
	s_load_b128 s[28:31], s[0:1], 0x30
	s_load_b256 s[20:27], s[0:1], 0x50
	s_load_b64 s[36:37], s[0:1], 0x80
	s_mov_b32 s2, ttmp9
	s_ashr_i32 s3, ttmp9, 31
	v_lshlrev_b32_e32 v17, 3, v0
	s_mov_b32 s35, 0
	v_mov_b32_e32 v14, 0
	s_wait_kmcnt 0x0
	s_ashr_i32 s39, s38, 31
	s_lshl_b64 s[0:1], s[8:9], 3
	s_lshl_b64 s[4:5], s[4:5], 3
	;; [unrolled: 1-line block ×3, first 2 shown]
	v_cmp_gt_i32_e32 vcc_lo, s11, v0
	s_add_nc_u64 s[18:19], s[30:31], s[0:1]
	s_ashr_i32 s1, s11, 31
	s_add_nc_u64 s[26:27], s[26:27], s[4:5]
	s_add_nc_u64 s[4:5], s[16:17], s[8:9]
	v_cndmask_b32_e32 v1, 0, v0, vcc_lo
	s_ashr_i32 s7, s6, 31
	s_lshr_b32 s1, s1, 24
	s_mul_u64 s[42:43], s[6:7], s[2:3]
	s_mul_u64 s[2:3], s[38:39], s[2:3]
	v_lshlrev_b32_e32 v3, 3, v1
	s_add_co_i32 s1, s11, s1
	s_lshl_b64 s[38:39], s[2:3], 3
	s_and_b32 s30, s1, 0xffffff00
	s_ashr_i32 s41, s10, 31
	v_add_co_u32 v1, s4, s4, v3
	s_wait_alu 0xf1ff
	v_add_co_ci_u32_e64 v2, null, s5, 0, s4
	v_or_b32_e32 v4, s30, v0
	s_delay_alu instid0(VALU_DEP_3) | instskip(SKIP_1) | instid1(VALU_DEP_3)
	v_add_co_u32 v15, vcc_lo, v1, s38
	s_wait_alu 0xfffd
	v_add_co_ci_u32_e64 v16, null, s39, v2, vcc_lo
	v_mad_co_i64_i32 v[1:2], null, s10, v0, 0
	s_mov_b32 s40, s10
	s_cmp_gt_i32 s11, 0xff
	v_cmp_gt_i32_e64 s1, s11, v4
	v_mad_co_i64_i32 v[4:5], null, s10, v4, 0
	s_add_nc_u64 s[10:11], s[38:39], s[8:9]
	v_cmp_eq_u32_e64 s0, 0, v0
	s_wait_alu 0xfffe
	s_add_nc_u64 s[10:11], s[16:17], s[10:11]
	v_cmp_gt_u32_e64 s2, 0x80, v0
	v_cmp_gt_u32_e64 s3, 64, v0
	;; [unrolled: 1-line block ×7, first 2 shown]
	s_wait_alu 0xfffe
	v_add_co_u32 v0, s9, s10, v3
	v_lshlrev_b64_e32 v[2:3], 3, v[1:2]
	v_add_co_ci_u32_e64 v6, null, s11, 0, s9
	s_delay_alu instid0(VALU_DEP_3) | instskip(SKIP_2) | instid1(VALU_DEP_3)
	v_add_co_u32 v0, vcc_lo, v0, 4
	v_lshlrev_b64_e32 v[4:5], 3, v[4:5]
	s_wait_alu 0xfffd
	v_add_co_ci_u32_e64 v1, null, 0, v6, vcc_lo
	v_add_co_u32 v2, vcc_lo, s18, v2
	s_wait_alu 0xfffd
	v_add_co_ci_u32_e64 v3, null, s19, v3, vcc_lo
	s_cselect_b32 s48, -1, 0
	v_add_co_u32 v2, vcc_lo, v2, 4
	s_wait_alu 0xfffd
	v_add_co_ci_u32_e64 v3, null, 0, v3, vcc_lo
	s_ashr_i32 s31, s30, 31
	s_lshl_b64 s[10:11], s[28:29], 3
	s_lshl_b64 s[16:17], s[20:21], 3
	;; [unrolled: 1-line block ×4, first 2 shown]
	s_wait_alu 0xfffe
	s_lshl_b64 s[42:43], s[30:31], 3
	s_branch .LBB140_5
.LBB140_2:                              ;   in Loop: Header=BB140_5 Depth=1
	s_add_nc_u64 s[44:45], s[44:45], s[40:41]
	global_store_b64 v14, v[8:9], s[44:45]
.LBB140_3:                              ;   in Loop: Header=BB140_5 Depth=1
	s_wait_alu 0xfffe
	s_or_b32 exec_lo, exec_lo, s46
.LBB140_4:                              ;   in Loop: Header=BB140_5 Depth=1
	s_add_co_i32 s34, s34, 0x10000
	s_wait_alu 0xfffe
	s_cmp_lt_u32 s34, s33
	s_cbranch_scc0 .LBB140_40
.LBB140_5:                              ; =>This Loop Header: Depth=1
                                        ;     Child Loop BB140_18 Depth 2
	s_mul_u64 s[44:45], s[14:15], s[34:35]
	s_delay_alu instid0(SALU_CYCLE_1) | instskip(NEXT) | instid1(SALU_CYCLE_1)
	s_lshl_b64 s[44:45], s[44:45], 3
	s_add_nc_u64 s[44:45], s[12:13], s[44:45]
	global_load_b64 v[8:9], v14, s[44:45]
	s_mul_u64 s[44:45], s[24:25], s[34:35]
	s_delay_alu instid0(SALU_CYCLE_1) | instskip(NEXT) | instid1(SALU_CYCLE_1)
	s_lshl_b64 s[44:45], s[44:45], 3
	s_add_nc_u64 s[44:45], s[22:23], s[44:45]
	s_wait_loadcnt 0x1
	global_load_b64 v[6:7], v14, s[44:45]
	s_wait_loadcnt 0x1
	v_readfirstlane_b32 s31, v8
	v_readfirstlane_b32 s49, v9
	s_cmp_neq_f32 s31, 0
	s_cselect_b32 s9, -1, 0
	s_cmp_neq_f32 s49, 0
	s_cselect_b32 s44, -1, 0
	s_wait_alu 0xfffe
	s_or_b32 s9, s9, s44
	s_wait_alu 0xfffe
	s_and_b32 vcc_lo, exec_lo, s9
	s_mov_b32 s9, -1
	s_wait_alu 0xfffe
	s_cbranch_vccnz .LBB140_7
; %bb.6:                                ;   in Loop: Header=BB140_5 Depth=1
	s_wait_loadcnt 0x0
	v_cmp_neq_f32_e32 vcc_lo, 1.0, v6
	v_cmp_neq_f32_e64 s9, 0, v7
	s_or_b32 s9, vcc_lo, s9
.LBB140_7:                              ;   in Loop: Header=BB140_5 Depth=1
	s_wait_alu 0xfffe
	s_and_not1_b32 vcc_lo, exec_lo, s9
	s_wait_alu 0xfffe
	s_cbranch_vccnz .LBB140_4
; %bb.8:                                ;   in Loop: Header=BB140_5 Depth=1
	s_mul_u64 s[44:45], s[36:37], s[34:35]
	s_or_b32 s9, s31, s49
	s_lshl_b64 s[44:45], s[44:45], 3
	s_wait_alu 0xfffe
	s_bitset0_b32 s9, 31
	s_add_nc_u64 s[44:45], s[26:27], s[44:45]
	s_wait_alu 0xfffe
	s_cmp_lg_u32 s9, 0
	s_mov_b32 s9, -1
	s_cbranch_scc1 .LBB140_15
; %bb.9:                                ;   in Loop: Header=BB140_5 Depth=1
	s_and_saveexec_b32 s50, s0
	s_cbranch_execz .LBB140_14
; %bb.10:                               ;   in Loop: Header=BB140_5 Depth=1
	s_wait_loadcnt 0x0
	v_cmp_neq_f32_e32 vcc_lo, 0, v6
	v_cmp_neq_f32_e64 s9, 0, v7
	s_add_nc_u64 s[46:47], s[44:45], s[40:41]
	s_wait_alu 0xfffe
	s_or_b32 s9, vcc_lo, s9
	s_wait_alu 0xfffe
	s_and_not1_b32 vcc_lo, exec_lo, s9
	s_wait_alu 0xfffe
	s_cbranch_vccnz .LBB140_12
; %bb.11:                               ;   in Loop: Header=BB140_5 Depth=1
	global_load_b64 v[10:11], v14, s[46:47]
	s_wait_loadcnt 0x0
	v_mul_f32_e32 v8, v7, v11
	v_mul_f32_e32 v9, v6, v11
	s_delay_alu instid0(VALU_DEP_2) | instskip(NEXT) | instid1(VALU_DEP_2)
	v_xor_b32_e32 v8, 0x80000000, v8
	v_fmac_f32_e32 v9, v7, v10
	s_delay_alu instid0(VALU_DEP_2)
	v_fmac_f32_e32 v8, v6, v10
	s_branch .LBB140_13
.LBB140_12:                             ;   in Loop: Header=BB140_5 Depth=1
	v_dual_mov_b32 v9, 0 :: v_dual_mov_b32 v8, 0
.LBB140_13:                             ;   in Loop: Header=BB140_5 Depth=1
	global_store_b64 v14, v[8:9], s[46:47]
.LBB140_14:                             ;   in Loop: Header=BB140_5 Depth=1
	s_or_b32 exec_lo, exec_lo, s50
	s_mov_b32 s9, 0
.LBB140_15:                             ;   in Loop: Header=BB140_5 Depth=1
	s_wait_alu 0xfffe
	s_and_not1_b32 vcc_lo, exec_lo, s9
	s_wait_alu 0xfffe
	s_cbranch_vccnz .LBB140_4
; %bb.16:                               ;   in Loop: Header=BB140_5 Depth=1
	v_mov_b32_e32 v9, 0
	s_and_not1_b32 vcc_lo, exec_lo, s48
	s_delay_alu instid0(VALU_DEP_1)
	v_mov_b32_e32 v8, v9
	s_wait_alu 0xfffe
	s_cbranch_vccnz .LBB140_19
; %bb.17:                               ;   in Loop: Header=BB140_5 Depth=1
	v_mad_co_u64_u32 v[10:11], null, s10, s34, v[0:1]
	v_mad_co_u64_u32 v[12:13], null, s16, s34, v[2:3]
	s_mov_b32 s9, 0
	v_dual_mov_b32 v8, v11 :: v_dual_mov_b32 v9, v13
	s_delay_alu instid0(VALU_DEP_1) | instskip(SKIP_2) | instid1(VALU_DEP_3)
	v_mad_co_u64_u32 v[18:19], null, s11, s34, v[8:9]
	v_mad_co_u64_u32 v[8:9], null, s17, s34, v[9:10]
	v_mov_b32_e32 v9, 0
	v_mov_b32_e32 v11, v18
	s_delay_alu instid0(VALU_DEP_2)
	v_dual_mov_b32 v13, v8 :: v_dual_mov_b32 v8, v9
.LBB140_18:                             ;   Parent Loop BB140_5 Depth=1
                                        ; =>  This Inner Loop Header: Depth=2
	global_load_b64 v[18:19], v[10:11], off offset:-4
	global_load_b64 v[20:21], v[12:13], off offset:-4
	v_add_co_u32 v10, vcc_lo, 0x800, v10
	s_wait_alu 0xfffd
	v_add_co_ci_u32_e64 v11, null, 0, v11, vcc_lo
	v_add_co_u32 v12, vcc_lo, v12, s38
	s_wait_alu 0xfffd
	v_add_co_ci_u32_e64 v13, null, s39, v13, vcc_lo
	s_wait_alu 0xfffe
	s_addk_co_i32 s9, 0x100
	s_wait_alu 0xfffe
	s_cmp_ge_i32 s9, s30
	s_wait_loadcnt 0x0
	v_mul_f32_e32 v22, v19, v21
	s_delay_alu instid0(VALU_DEP_1) | instskip(NEXT) | instid1(VALU_DEP_1)
	v_fmac_f32_e32 v22, v18, v20
	v_dual_mul_f32 v19, v19, v20 :: v_dual_add_f32 v8, v8, v22
	s_delay_alu instid0(VALU_DEP_1) | instskip(NEXT) | instid1(VALU_DEP_1)
	v_fma_f32 v18, v18, v21, -v19
	v_add_f32_e32 v9, v9, v18
	s_cbranch_scc0 .LBB140_18
.LBB140_19:                             ;   in Loop: Header=BB140_5 Depth=1
	s_and_saveexec_b32 s9, s1
	s_cbranch_execz .LBB140_21
; %bb.20:                               ;   in Loop: Header=BB140_5 Depth=1
	s_mul_u64 s[46:47], s[28:29], s[34:35]
	s_mul_u64 s[50:51], s[20:21], s[34:35]
	s_wait_alu 0xfffe
	s_lshl_b64 s[46:47], s[46:47], 3
	s_lshl_b64 s[50:51], s[50:51], 3
	s_wait_alu 0xfffe
	v_add_co_u32 v12, vcc_lo, v15, s46
	s_wait_alu 0xfffd
	v_add_co_ci_u32_e64 v13, null, s47, v16, vcc_lo
	s_add_nc_u64 s[46:47], s[18:19], s[50:51]
	s_wait_alu 0xfffe
	v_add_co_u32 v10, vcc_lo, s46, v4
	s_wait_alu 0xfffd
	v_add_co_ci_u32_e64 v11, null, s47, v5, vcc_lo
	v_add_co_u32 v12, vcc_lo, v12, s42
	s_wait_alu 0xfffd
	v_add_co_ci_u32_e64 v13, null, s43, v13, vcc_lo
	global_load_b64 v[10:11], v[10:11], off
	global_load_b64 v[12:13], v[12:13], off
	s_wait_loadcnt 0x0
	v_mul_f32_e32 v18, v13, v11
	v_mul_f32_e32 v13, v13, v10
	s_delay_alu instid0(VALU_DEP_2) | instskip(NEXT) | instid1(VALU_DEP_2)
	v_fmac_f32_e32 v18, v12, v10
	v_fma_f32 v10, v12, v11, -v13
	s_delay_alu instid0(VALU_DEP_2) | instskip(NEXT) | instid1(VALU_DEP_2)
	v_add_f32_e32 v8, v8, v18
	v_add_f32_e32 v9, v9, v10
.LBB140_21:                             ;   in Loop: Header=BB140_5 Depth=1
	s_wait_alu 0xfffe
	s_or_b32 exec_lo, exec_lo, s9
	ds_store_b64 v17, v[8:9]
	s_wait_storecnt 0x0
	s_wait_loadcnt_dscnt 0x0
	s_barrier_signal -1
	s_barrier_wait -1
	global_inv scope:SCOPE_SE
	s_and_saveexec_b32 s9, s2
	s_cbranch_execz .LBB140_23
; %bb.22:                               ;   in Loop: Header=BB140_5 Depth=1
	ds_load_2addr_stride64_b64 v[8:11], v17 offset1:2
	s_wait_dscnt 0x0
	v_dual_add_f32 v8, v10, v8 :: v_dual_add_f32 v9, v11, v9
	ds_store_b64 v17, v[8:9]
.LBB140_23:                             ;   in Loop: Header=BB140_5 Depth=1
	s_wait_alu 0xfffe
	s_or_b32 exec_lo, exec_lo, s9
	s_wait_loadcnt_dscnt 0x0
	s_barrier_signal -1
	s_barrier_wait -1
	global_inv scope:SCOPE_SE
	s_and_saveexec_b32 s9, s3
	s_cbranch_execz .LBB140_25
; %bb.24:                               ;   in Loop: Header=BB140_5 Depth=1
	ds_load_2addr_stride64_b64 v[8:11], v17 offset1:1
	s_wait_dscnt 0x0
	v_dual_add_f32 v8, v10, v8 :: v_dual_add_f32 v9, v11, v9
	ds_store_b64 v17, v[8:9]
.LBB140_25:                             ;   in Loop: Header=BB140_5 Depth=1
	s_wait_alu 0xfffe
	s_or_b32 exec_lo, exec_lo, s9
	s_wait_loadcnt_dscnt 0x0
	s_barrier_signal -1
	s_barrier_wait -1
	global_inv scope:SCOPE_SE
	s_and_saveexec_b32 s9, s4
	s_cbranch_execz .LBB140_27
; %bb.26:                               ;   in Loop: Header=BB140_5 Depth=1
	ds_load_2addr_b64 v[8:11], v17 offset1:32
	s_wait_dscnt 0x0
	v_dual_add_f32 v8, v10, v8 :: v_dual_add_f32 v9, v11, v9
	ds_store_b64 v17, v[8:9]
.LBB140_27:                             ;   in Loop: Header=BB140_5 Depth=1
	s_wait_alu 0xfffe
	s_or_b32 exec_lo, exec_lo, s9
	s_wait_loadcnt_dscnt 0x0
	s_barrier_signal -1
	s_barrier_wait -1
	global_inv scope:SCOPE_SE
	s_and_saveexec_b32 s9, s5
	s_cbranch_execz .LBB140_29
; %bb.28:                               ;   in Loop: Header=BB140_5 Depth=1
	ds_load_2addr_b64 v[8:11], v17 offset1:16
	s_wait_dscnt 0x0
	v_dual_add_f32 v8, v10, v8 :: v_dual_add_f32 v9, v11, v9
	ds_store_b64 v17, v[8:9]
.LBB140_29:                             ;   in Loop: Header=BB140_5 Depth=1
	;; [unrolled: 14-line block ×5, first 2 shown]
	s_wait_alu 0xfffe
	s_or_b32 exec_lo, exec_lo, s9
	s_wait_loadcnt_dscnt 0x0
	s_barrier_signal -1
	s_barrier_wait -1
	global_inv scope:SCOPE_SE
	s_and_saveexec_b32 s9, s0
	s_cbranch_execz .LBB140_37
; %bb.36:                               ;   in Loop: Header=BB140_5 Depth=1
	ds_load_b128 v[8:11], v14
	s_wait_dscnt 0x0
	v_dual_add_f32 v8, v10, v8 :: v_dual_add_f32 v9, v11, v9
	ds_store_b64 v14, v[8:9]
.LBB140_37:                             ;   in Loop: Header=BB140_5 Depth=1
	s_wait_alu 0xfffe
	s_or_b32 exec_lo, exec_lo, s9
	s_wait_loadcnt_dscnt 0x0
	s_barrier_signal -1
	s_barrier_wait -1
	global_inv scope:SCOPE_SE
	s_and_saveexec_b32 s46, s0
	s_cbranch_execz .LBB140_3
; %bb.38:                               ;   in Loop: Header=BB140_5 Depth=1
	ds_load_b64 v[10:11], v14
	v_cmp_neq_f32_e32 vcc_lo, 0, v6
	v_cmp_neq_f32_e64 s9, 0, v7
	s_or_b32 s9, vcc_lo, s9
	s_wait_alu 0xfffe
	s_and_not1_b32 vcc_lo, exec_lo, s9
	s_wait_dscnt 0x0
	v_mul_f32_e32 v9, s31, v11
	s_delay_alu instid0(VALU_DEP_1) | instskip(NEXT) | instid1(VALU_DEP_1)
	v_dual_mul_f32 v8, s49, v11 :: v_dual_fmac_f32 v9, s49, v10
	v_xor_b32_e32 v8, 0x80000000, v8
	s_delay_alu instid0(VALU_DEP_1)
	v_fmac_f32_e32 v8, s31, v10
	s_wait_alu 0xfffe
	s_cbranch_vccnz .LBB140_2
; %bb.39:                               ;   in Loop: Header=BB140_5 Depth=1
	s_add_nc_u64 s[50:51], s[44:45], s[40:41]
	global_load_b64 v[10:11], v14, s[50:51]
	s_wait_loadcnt 0x0
	v_mul_f32_e32 v12, v7, v11
	s_delay_alu instid0(VALU_DEP_1) | instskip(NEXT) | instid1(VALU_DEP_1)
	v_xor_b32_e32 v12, 0x80000000, v12
	v_fmac_f32_e32 v12, v6, v10
	s_delay_alu instid0(VALU_DEP_1) | instskip(NEXT) | instid1(VALU_DEP_1)
	v_dual_mul_f32 v11, v6, v11 :: v_dual_add_f32 v8, v8, v12
	v_fmac_f32_e32 v11, v7, v10
	s_delay_alu instid0(VALU_DEP_1)
	v_add_f32_e32 v9, v9, v11
	s_branch .LBB140_2
.LBB140_40:
	s_endpgm
	.section	.rodata,"a",@progbits
	.p2align	6, 0x0
	.amdhsa_kernel _ZL20rocblas_gemvt_kernelILb1ELi256E19rocblas_complex_numIfEPKS1_S1_EviiT2_lPKT1_lilS7_lilS4_lPT3_lili
		.amdhsa_group_segment_fixed_size 2048
		.amdhsa_private_segment_fixed_size 0
		.amdhsa_kernarg_size 140
		.amdhsa_user_sgpr_count 2
		.amdhsa_user_sgpr_dispatch_ptr 0
		.amdhsa_user_sgpr_queue_ptr 0
		.amdhsa_user_sgpr_kernarg_segment_ptr 1
		.amdhsa_user_sgpr_dispatch_id 0
		.amdhsa_user_sgpr_private_segment_size 0
		.amdhsa_wavefront_size32 1
		.amdhsa_uses_dynamic_stack 0
		.amdhsa_enable_private_segment 0
		.amdhsa_system_sgpr_workgroup_id_x 1
		.amdhsa_system_sgpr_workgroup_id_y 0
		.amdhsa_system_sgpr_workgroup_id_z 1
		.amdhsa_system_sgpr_workgroup_info 0
		.amdhsa_system_vgpr_workitem_id 0
		.amdhsa_next_free_vgpr 23
		.amdhsa_next_free_sgpr 52
		.amdhsa_reserve_vcc 1
		.amdhsa_float_round_mode_32 0
		.amdhsa_float_round_mode_16_64 0
		.amdhsa_float_denorm_mode_32 3
		.amdhsa_float_denorm_mode_16_64 3
		.amdhsa_fp16_overflow 0
		.amdhsa_workgroup_processor_mode 1
		.amdhsa_memory_ordered 1
		.amdhsa_forward_progress 1
		.amdhsa_inst_pref_size 16
		.amdhsa_round_robin_scheduling 0
		.amdhsa_exception_fp_ieee_invalid_op 0
		.amdhsa_exception_fp_denorm_src 0
		.amdhsa_exception_fp_ieee_div_zero 0
		.amdhsa_exception_fp_ieee_overflow 0
		.amdhsa_exception_fp_ieee_underflow 0
		.amdhsa_exception_fp_ieee_inexact 0
		.amdhsa_exception_int_div_zero 0
	.end_amdhsa_kernel
	.section	.text._ZL20rocblas_gemvt_kernelILb1ELi256E19rocblas_complex_numIfEPKS1_S1_EviiT2_lPKT1_lilS7_lilS4_lPT3_lili,"axG",@progbits,_ZL20rocblas_gemvt_kernelILb1ELi256E19rocblas_complex_numIfEPKS1_S1_EviiT2_lPKT1_lilS7_lilS4_lPT3_lili,comdat
.Lfunc_end140:
	.size	_ZL20rocblas_gemvt_kernelILb1ELi256E19rocblas_complex_numIfEPKS1_S1_EviiT2_lPKT1_lilS7_lilS4_lPT3_lili, .Lfunc_end140-_ZL20rocblas_gemvt_kernelILb1ELi256E19rocblas_complex_numIfEPKS1_S1_EviiT2_lPKT1_lilS7_lilS4_lPT3_lili
                                        ; -- End function
	.set _ZL20rocblas_gemvt_kernelILb1ELi256E19rocblas_complex_numIfEPKS1_S1_EviiT2_lPKT1_lilS7_lilS4_lPT3_lili.num_vgpr, 23
	.set _ZL20rocblas_gemvt_kernelILb1ELi256E19rocblas_complex_numIfEPKS1_S1_EviiT2_lPKT1_lilS7_lilS4_lPT3_lili.num_agpr, 0
	.set _ZL20rocblas_gemvt_kernelILb1ELi256E19rocblas_complex_numIfEPKS1_S1_EviiT2_lPKT1_lilS7_lilS4_lPT3_lili.numbered_sgpr, 52
	.set _ZL20rocblas_gemvt_kernelILb1ELi256E19rocblas_complex_numIfEPKS1_S1_EviiT2_lPKT1_lilS7_lilS4_lPT3_lili.num_named_barrier, 0
	.set _ZL20rocblas_gemvt_kernelILb1ELi256E19rocblas_complex_numIfEPKS1_S1_EviiT2_lPKT1_lilS7_lilS4_lPT3_lili.private_seg_size, 0
	.set _ZL20rocblas_gemvt_kernelILb1ELi256E19rocblas_complex_numIfEPKS1_S1_EviiT2_lPKT1_lilS7_lilS4_lPT3_lili.uses_vcc, 1
	.set _ZL20rocblas_gemvt_kernelILb1ELi256E19rocblas_complex_numIfEPKS1_S1_EviiT2_lPKT1_lilS7_lilS4_lPT3_lili.uses_flat_scratch, 0
	.set _ZL20rocblas_gemvt_kernelILb1ELi256E19rocblas_complex_numIfEPKS1_S1_EviiT2_lPKT1_lilS7_lilS4_lPT3_lili.has_dyn_sized_stack, 0
	.set _ZL20rocblas_gemvt_kernelILb1ELi256E19rocblas_complex_numIfEPKS1_S1_EviiT2_lPKT1_lilS7_lilS4_lPT3_lili.has_recursion, 0
	.set _ZL20rocblas_gemvt_kernelILb1ELi256E19rocblas_complex_numIfEPKS1_S1_EviiT2_lPKT1_lilS7_lilS4_lPT3_lili.has_indirect_call, 0
	.section	.AMDGPU.csdata,"",@progbits
; Kernel info:
; codeLenInByte = 2000
; TotalNumSgprs: 54
; NumVgprs: 23
; ScratchSize: 0
; MemoryBound: 0
; FloatMode: 240
; IeeeMode: 1
; LDSByteSize: 2048 bytes/workgroup (compile time only)
; SGPRBlocks: 0
; VGPRBlocks: 2
; NumSGPRsForWavesPerEU: 54
; NumVGPRsForWavesPerEU: 23
; Occupancy: 16
; WaveLimiterHint : 0
; COMPUTE_PGM_RSRC2:SCRATCH_EN: 0
; COMPUTE_PGM_RSRC2:USER_SGPR: 2
; COMPUTE_PGM_RSRC2:TRAP_HANDLER: 0
; COMPUTE_PGM_RSRC2:TGID_X_EN: 1
; COMPUTE_PGM_RSRC2:TGID_Y_EN: 0
; COMPUTE_PGM_RSRC2:TGID_Z_EN: 1
; COMPUTE_PGM_RSRC2:TIDIG_COMP_CNT: 0
	.section	.text._ZL20rocblas_gemvt_kernelILb1ELi256E19rocblas_complex_numIfES1_S1_EviiT2_lPKT1_lilS5_lilS2_lPT3_lili,"axG",@progbits,_ZL20rocblas_gemvt_kernelILb1ELi256E19rocblas_complex_numIfES1_S1_EviiT2_lPKT1_lilS5_lilS2_lPT3_lili,comdat
	.globl	_ZL20rocblas_gemvt_kernelILb1ELi256E19rocblas_complex_numIfES1_S1_EviiT2_lPKT1_lilS5_lilS2_lPT3_lili ; -- Begin function _ZL20rocblas_gemvt_kernelILb1ELi256E19rocblas_complex_numIfES1_S1_EviiT2_lPKT1_lilS5_lilS2_lPT3_lili
	.p2align	8
	.type	_ZL20rocblas_gemvt_kernelILb1ELi256E19rocblas_complex_numIfES1_S1_EviiT2_lPKT1_lilS5_lilS2_lPT3_lili,@function
_ZL20rocblas_gemvt_kernelILb1ELi256E19rocblas_complex_numIfES1_S1_EviiT2_lPKT1_lilS5_lilS2_lPT3_lili: ; @_ZL20rocblas_gemvt_kernelILb1ELi256E19rocblas_complex_numIfES1_S1_EviiT2_lPKT1_lilS5_lilS2_lPT3_lili
; %bb.0:
	s_load_b32 s33, s[0:1], 0x88
	s_lshr_b32 s24, ttmp7, 16
	s_wait_kmcnt 0x0
	s_cmp_ge_u32 s24, s33
	s_cbranch_scc1 .LBB141_38
; %bb.1:
	s_clause 0x9
	s_load_b32 s30, s[0:1], 0x28
	s_load_b96 s[8:10], s[0:1], 0x40
	s_load_b32 s36, s[0:1], 0x78
	s_load_b128 s[4:7], s[0:1], 0x68
	s_load_b128 s[20:23], s[0:1], 0x18
	s_load_b64 s[26:27], s[0:1], 0x8
	s_load_b32 s11, s[0:1], 0x0
	s_load_b128 s[12:15], s[0:1], 0x30
	s_load_b128 s[16:19], s[0:1], 0x50
	s_load_b64 s[28:29], s[0:1], 0x80
	s_mov_b32 s2, ttmp9
	v_lshlrev_b32_e32 v15, 3, v0
	s_mov_b32 s25, 0
	s_wait_kmcnt 0x0
	s_ashr_i32 s31, s30, 31
	s_ashr_i32 s35, s10, 31
	;; [unrolled: 1-line block ×3, first 2 shown]
	s_lshl_b64 s[8:9], s[8:9], 3
	s_lshl_b64 s[6:7], s[6:7], 3
	;; [unrolled: 1-line block ×3, first 2 shown]
	s_cmp_neq_f32 s26, 0
	v_cmp_gt_i32_e32 vcc_lo, s11, v0
	v_mov_b32_e32 v12, 0
	s_add_nc_u64 s[14:15], s[14:15], s[8:9]
	s_cselect_b32 s0, -1, 0
	s_cmp_neq_f32 s27, 0
	v_cndmask_b32_e32 v1, 0, v0, vcc_lo
	s_add_nc_u64 s[22:23], s[4:5], s[6:7]
	s_add_nc_u64 s[4:5], s[20:21], s[38:39]
	s_cselect_b32 s1, -1, 0
	v_cmp_gt_u32_e64 s7, 4, v0
	s_or_b32 s44, s0, s1
	s_cmp_neq_f32 s18, 1.0
	v_lshlrev_b32_e32 v2, 3, v1
	v_cmp_eq_u32_e64 s0, 0, v0
	v_cmp_gt_u32_e64 s8, 2, v0
	s_cselect_b32 s45, -1, 0
	s_cmp_neq_f32 s19, 0
	s_mov_b32 s34, s10
	s_cselect_b32 s46, -1, 0
	s_or_b32 s1, s26, s27
	s_delay_alu instid0(SALU_CYCLE_1) | instskip(NEXT) | instid1(SALU_CYCLE_1)
	s_bitset0_b32 s1, 31
	s_cmp_eq_u32 s1, 0
	v_add_co_u32 v1, s1, s4, v2
	s_cselect_b32 s9, -1, 0
	s_cmp_neq_f32 s18, 0
	v_add_co_ci_u32_e64 v3, null, s5, 0, s1
	s_cselect_b32 s1, -1, 0
	s_ashr_i32 s6, s11, 31
	s_ashr_i32 s3, ttmp9, 31
	s_lshr_b32 s6, s6, 24
	s_wait_alu 0xfffe
	s_or_b32 s42, s1, s46
	s_add_co_i32 s1, s11, s6
	s_mul_u64 s[4:5], s[30:31], s[2:3]
	s_wait_alu 0xfffe
	s_and_b32 s30, s1, 0xffffff00
	s_lshl_b64 s[40:41], s[4:5], 3
	v_or_b32_e32 v4, s30, v0
	s_mul_u64 s[36:37], s[36:37], s[2:3]
	v_add_co_u32 v13, vcc_lo, v1, s40
	v_cmp_gt_u32_e64 s2, 0x80, v0
	v_cmp_gt_u32_e64 s3, 64, v0
	;; [unrolled: 1-line block ×5, first 2 shown]
	v_mad_co_i64_i32 v[0:1], null, s10, v0, 0
	s_cmp_gt_i32 s11, 0xff
	v_cmp_gt_i32_e64 s1, s11, v4
	v_mad_co_i64_i32 v[4:5], null, s10, v4, 0
	s_add_nc_u64 s[10:11], s[40:41], s[38:39]
	s_wait_alu 0xfffd
	v_add_co_ci_u32_e64 v14, null, s41, v3, vcc_lo
	s_wait_alu 0xfffe
	s_add_nc_u64 s[10:11], s[20:21], s[10:11]
	s_cselect_b32 s43, -1, 0
	s_wait_alu 0xfffe
	v_add_co_u32 v6, s10, s10, v2
	v_lshlrev_b64_e32 v[2:3], 3, v[0:1]
	s_wait_alu 0xf1ff
	v_add_co_ci_u32_e64 v7, null, s11, 0, s10
	s_delay_alu instid0(VALU_DEP_3) | instskip(SKIP_2) | instid1(VALU_DEP_3)
	v_add_co_u32 v0, vcc_lo, v6, 4
	v_lshlrev_b64_e32 v[4:5], 3, v[4:5]
	s_wait_alu 0xfffd
	v_add_co_ci_u32_e64 v1, null, 0, v7, vcc_lo
	v_add_co_u32 v2, vcc_lo, s14, v2
	s_wait_alu 0xfffd
	v_add_co_ci_u32_e64 v3, null, s15, v3, vcc_lo
	s_ashr_i32 s31, s30, 31
	v_add_co_u32 v2, vcc_lo, v2, 4
	s_wait_alu 0xfffd
	v_add_co_ci_u32_e64 v3, null, 0, v3, vcc_lo
	s_or_b32 s38, s44, s45
	s_lshl_b64 s[10:11], s[12:13], 3
	s_lshl_b64 s[20:21], s[16:17], 3
	s_or_b32 s44, s38, s46
	s_lshl_b64 s[34:35], s[34:35], 11
	s_lshl_b64 s[36:37], s[36:37], 3
	s_wait_alu 0xfffe
	s_lshl_b64 s[38:39], s[30:31], 3
	s_branch .LBB141_5
.LBB141_2:                              ;   in Loop: Header=BB141_5 Depth=1
	global_store_b64 v12, v[6:7], s[40:41]
.LBB141_3:                              ;   in Loop: Header=BB141_5 Depth=1
	s_wait_alu 0xfffe
	s_or_b32 exec_lo, exec_lo, s31
.LBB141_4:                              ;   in Loop: Header=BB141_5 Depth=1
	s_add_co_i32 s24, s24, 0x10000
	s_wait_alu 0xfffe
	s_cmp_lt_u32 s24, s33
	s_cbranch_scc0 .LBB141_38
.LBB141_5:                              ; =>This Loop Header: Depth=1
                                        ;     Child Loop BB141_16 Depth 2
	s_and_not1_b32 vcc_lo, exec_lo, s44
	s_wait_alu 0xfffe
	s_cbranch_vccnz .LBB141_4
; %bb.6:                                ;   in Loop: Header=BB141_5 Depth=1
	s_mul_u64 s[40:41], s[28:29], s[24:25]
	s_and_not1_b32 vcc_lo, exec_lo, s9
	s_wait_alu 0xfffe
	s_lshl_b64 s[40:41], s[40:41], 3
	s_mov_b32 s31, -1
	s_wait_alu 0xfffe
	s_add_nc_u64 s[40:41], s[22:23], s[40:41]
	s_cbranch_vccnz .LBB141_13
; %bb.7:                                ;   in Loop: Header=BB141_5 Depth=1
	s_and_saveexec_b32 s31, s0
	s_cbranch_execz .LBB141_12
; %bb.8:                                ;   in Loop: Header=BB141_5 Depth=1
	s_and_not1_b32 vcc_lo, exec_lo, s42
	s_wait_alu 0xfffe
	s_cbranch_vccnz .LBB141_10
; %bb.9:                                ;   in Loop: Header=BB141_5 Depth=1
	s_add_nc_u64 s[46:47], s[40:41], s[36:37]
	global_load_b64 v[8:9], v12, s[46:47]
	s_wait_loadcnt 0x0
	v_mul_f32_e32 v7, s18, v9
	s_delay_alu instid0(VALU_DEP_1) | instskip(NEXT) | instid1(VALU_DEP_1)
	v_dual_mul_f32 v6, s19, v9 :: v_dual_fmac_f32 v7, s19, v8
	v_xor_b32_e32 v6, 0x80000000, v6
	s_delay_alu instid0(VALU_DEP_1)
	v_fmac_f32_e32 v6, s18, v8
	s_branch .LBB141_11
.LBB141_10:                             ;   in Loop: Header=BB141_5 Depth=1
	v_dual_mov_b32 v6, 0 :: v_dual_mov_b32 v7, 0
.LBB141_11:                             ;   in Loop: Header=BB141_5 Depth=1
	s_add_nc_u64 s[46:47], s[40:41], s[36:37]
	global_store_b64 v12, v[6:7], s[46:47]
.LBB141_12:                             ;   in Loop: Header=BB141_5 Depth=1
	s_wait_alu 0xfffe
	s_or_b32 exec_lo, exec_lo, s31
	s_mov_b32 s31, 0
.LBB141_13:                             ;   in Loop: Header=BB141_5 Depth=1
	s_wait_alu 0xfffe
	s_and_not1_b32 vcc_lo, exec_lo, s31
	s_wait_alu 0xfffe
	s_cbranch_vccnz .LBB141_4
; %bb.14:                               ;   in Loop: Header=BB141_5 Depth=1
	v_mov_b32_e32 v7, 0
	s_and_not1_b32 vcc_lo, exec_lo, s43
	s_delay_alu instid0(VALU_DEP_1)
	v_mov_b32_e32 v6, v7
	s_wait_alu 0xfffe
	s_cbranch_vccnz .LBB141_17
; %bb.15:                               ;   in Loop: Header=BB141_5 Depth=1
	v_mad_co_u64_u32 v[8:9], null, s10, s24, v[0:1]
	v_mad_co_u64_u32 v[10:11], null, s20, s24, v[2:3]
	s_mov_b32 s31, 0
	v_dual_mov_b32 v6, v9 :: v_dual_mov_b32 v7, v11
	s_delay_alu instid0(VALU_DEP_1) | instskip(SKIP_2) | instid1(VALU_DEP_3)
	v_mad_co_u64_u32 v[16:17], null, s11, s24, v[6:7]
	v_mad_co_u64_u32 v[6:7], null, s21, s24, v[7:8]
	v_mov_b32_e32 v7, 0
	v_mov_b32_e32 v9, v16
	s_delay_alu instid0(VALU_DEP_2)
	v_dual_mov_b32 v11, v6 :: v_dual_mov_b32 v6, v7
.LBB141_16:                             ;   Parent Loop BB141_5 Depth=1
                                        ; =>  This Inner Loop Header: Depth=2
	global_load_b64 v[16:17], v[8:9], off offset:-4
	global_load_b64 v[18:19], v[10:11], off offset:-4
	v_add_co_u32 v8, vcc_lo, 0x800, v8
	s_wait_alu 0xfffd
	v_add_co_ci_u32_e64 v9, null, 0, v9, vcc_lo
	v_add_co_u32 v10, vcc_lo, v10, s34
	s_wait_alu 0xfffd
	v_add_co_ci_u32_e64 v11, null, s35, v11, vcc_lo
	s_wait_alu 0xfffe
	s_addk_co_i32 s31, 0x100
	s_wait_alu 0xfffe
	s_cmp_ge_i32 s31, s30
	s_wait_loadcnt 0x0
	v_mul_f32_e32 v20, v17, v19
	s_delay_alu instid0(VALU_DEP_1) | instskip(NEXT) | instid1(VALU_DEP_1)
	v_fmac_f32_e32 v20, v16, v18
	v_dual_mul_f32 v17, v17, v18 :: v_dual_add_f32 v6, v6, v20
	s_delay_alu instid0(VALU_DEP_1) | instskip(NEXT) | instid1(VALU_DEP_1)
	v_fma_f32 v16, v16, v19, -v17
	v_add_f32_e32 v7, v7, v16
	s_cbranch_scc0 .LBB141_16
.LBB141_17:                             ;   in Loop: Header=BB141_5 Depth=1
	s_and_saveexec_b32 s31, s1
	s_cbranch_execz .LBB141_19
; %bb.18:                               ;   in Loop: Header=BB141_5 Depth=1
	s_mul_u64 s[46:47], s[12:13], s[24:25]
	s_mul_u64 s[48:49], s[16:17], s[24:25]
	s_wait_alu 0xfffe
	s_lshl_b64 s[46:47], s[46:47], 3
	s_lshl_b64 s[48:49], s[48:49], 3
	s_wait_alu 0xfffe
	v_add_co_u32 v10, vcc_lo, v13, s46
	s_wait_alu 0xfffd
	v_add_co_ci_u32_e64 v11, null, s47, v14, vcc_lo
	s_add_nc_u64 s[46:47], s[14:15], s[48:49]
	s_wait_alu 0xfffe
	v_add_co_u32 v8, vcc_lo, s46, v4
	s_wait_alu 0xfffd
	v_add_co_ci_u32_e64 v9, null, s47, v5, vcc_lo
	v_add_co_u32 v10, vcc_lo, v10, s38
	s_wait_alu 0xfffd
	v_add_co_ci_u32_e64 v11, null, s39, v11, vcc_lo
	global_load_b64 v[8:9], v[8:9], off
	global_load_b64 v[10:11], v[10:11], off
	s_wait_loadcnt 0x0
	v_mul_f32_e32 v16, v11, v9
	v_mul_f32_e32 v11, v11, v8
	s_delay_alu instid0(VALU_DEP_2) | instskip(NEXT) | instid1(VALU_DEP_2)
	v_fmac_f32_e32 v16, v10, v8
	v_fma_f32 v8, v10, v9, -v11
	s_delay_alu instid0(VALU_DEP_2) | instskip(NEXT) | instid1(VALU_DEP_2)
	v_add_f32_e32 v6, v6, v16
	v_add_f32_e32 v7, v7, v8
.LBB141_19:                             ;   in Loop: Header=BB141_5 Depth=1
	s_wait_alu 0xfffe
	s_or_b32 exec_lo, exec_lo, s31
	ds_store_b64 v15, v[6:7]
	s_wait_storecnt_dscnt 0x0
	s_barrier_signal -1
	s_barrier_wait -1
	global_inv scope:SCOPE_SE
	s_and_saveexec_b32 s31, s2
	s_cbranch_execz .LBB141_21
; %bb.20:                               ;   in Loop: Header=BB141_5 Depth=1
	ds_load_2addr_stride64_b64 v[6:9], v15 offset1:2
	s_wait_dscnt 0x0
	v_dual_add_f32 v6, v8, v6 :: v_dual_add_f32 v7, v9, v7
	ds_store_b64 v15, v[6:7]
.LBB141_21:                             ;   in Loop: Header=BB141_5 Depth=1
	s_wait_alu 0xfffe
	s_or_b32 exec_lo, exec_lo, s31
	s_wait_loadcnt_dscnt 0x0
	s_barrier_signal -1
	s_barrier_wait -1
	global_inv scope:SCOPE_SE
	s_and_saveexec_b32 s31, s3
	s_cbranch_execz .LBB141_23
; %bb.22:                               ;   in Loop: Header=BB141_5 Depth=1
	ds_load_2addr_stride64_b64 v[6:9], v15 offset1:1
	s_wait_dscnt 0x0
	v_dual_add_f32 v6, v8, v6 :: v_dual_add_f32 v7, v9, v7
	ds_store_b64 v15, v[6:7]
.LBB141_23:                             ;   in Loop: Header=BB141_5 Depth=1
	s_wait_alu 0xfffe
	s_or_b32 exec_lo, exec_lo, s31
	s_wait_loadcnt_dscnt 0x0
	s_barrier_signal -1
	s_barrier_wait -1
	global_inv scope:SCOPE_SE
	s_and_saveexec_b32 s31, s4
	s_cbranch_execz .LBB141_25
; %bb.24:                               ;   in Loop: Header=BB141_5 Depth=1
	ds_load_2addr_b64 v[6:9], v15 offset1:32
	s_wait_dscnt 0x0
	v_dual_add_f32 v6, v8, v6 :: v_dual_add_f32 v7, v9, v7
	ds_store_b64 v15, v[6:7]
.LBB141_25:                             ;   in Loop: Header=BB141_5 Depth=1
	s_wait_alu 0xfffe
	s_or_b32 exec_lo, exec_lo, s31
	s_wait_loadcnt_dscnt 0x0
	s_barrier_signal -1
	s_barrier_wait -1
	global_inv scope:SCOPE_SE
	s_and_saveexec_b32 s31, s5
	s_cbranch_execz .LBB141_27
; %bb.26:                               ;   in Loop: Header=BB141_5 Depth=1
	ds_load_2addr_b64 v[6:9], v15 offset1:16
	s_wait_dscnt 0x0
	v_dual_add_f32 v6, v8, v6 :: v_dual_add_f32 v7, v9, v7
	ds_store_b64 v15, v[6:7]
.LBB141_27:                             ;   in Loop: Header=BB141_5 Depth=1
	s_wait_alu 0xfffe
	s_or_b32 exec_lo, exec_lo, s31
	s_wait_loadcnt_dscnt 0x0
	s_barrier_signal -1
	s_barrier_wait -1
	global_inv scope:SCOPE_SE
	s_and_saveexec_b32 s31, s6
	s_cbranch_execz .LBB141_29
; %bb.28:                               ;   in Loop: Header=BB141_5 Depth=1
	ds_load_2addr_b64 v[6:9], v15 offset1:8
	s_wait_dscnt 0x0
	v_dual_add_f32 v6, v8, v6 :: v_dual_add_f32 v7, v9, v7
	ds_store_b64 v15, v[6:7]
.LBB141_29:                             ;   in Loop: Header=BB141_5 Depth=1
	s_wait_alu 0xfffe
	s_or_b32 exec_lo, exec_lo, s31
	s_wait_loadcnt_dscnt 0x0
	s_barrier_signal -1
	s_barrier_wait -1
	global_inv scope:SCOPE_SE
	s_and_saveexec_b32 s31, s7
	s_cbranch_execz .LBB141_31
; %bb.30:                               ;   in Loop: Header=BB141_5 Depth=1
	ds_load_2addr_b64 v[6:9], v15 offset1:4
	s_wait_dscnt 0x0
	v_dual_add_f32 v6, v8, v6 :: v_dual_add_f32 v7, v9, v7
	ds_store_b64 v15, v[6:7]
.LBB141_31:                             ;   in Loop: Header=BB141_5 Depth=1
	s_wait_alu 0xfffe
	s_or_b32 exec_lo, exec_lo, s31
	s_wait_loadcnt_dscnt 0x0
	s_barrier_signal -1
	s_barrier_wait -1
	global_inv scope:SCOPE_SE
	s_and_saveexec_b32 s31, s8
	s_cbranch_execz .LBB141_33
; %bb.32:                               ;   in Loop: Header=BB141_5 Depth=1
	ds_load_2addr_b64 v[6:9], v15 offset1:2
	s_wait_dscnt 0x0
	v_dual_add_f32 v6, v8, v6 :: v_dual_add_f32 v7, v9, v7
	ds_store_b64 v15, v[6:7]
.LBB141_33:                             ;   in Loop: Header=BB141_5 Depth=1
	s_wait_alu 0xfffe
	s_or_b32 exec_lo, exec_lo, s31
	s_wait_loadcnt_dscnt 0x0
	s_barrier_signal -1
	s_barrier_wait -1
	global_inv scope:SCOPE_SE
	s_and_saveexec_b32 s31, s0
	s_cbranch_execz .LBB141_35
; %bb.34:                               ;   in Loop: Header=BB141_5 Depth=1
	ds_load_b128 v[6:9], v12
	s_wait_dscnt 0x0
	v_dual_add_f32 v6, v8, v6 :: v_dual_add_f32 v7, v9, v7
	ds_store_b64 v12, v[6:7]
.LBB141_35:                             ;   in Loop: Header=BB141_5 Depth=1
	s_wait_alu 0xfffe
	s_or_b32 exec_lo, exec_lo, s31
	s_wait_loadcnt_dscnt 0x0
	s_barrier_signal -1
	s_barrier_wait -1
	global_inv scope:SCOPE_SE
	s_and_saveexec_b32 s31, s0
	s_cbranch_execz .LBB141_3
; %bb.36:                               ;   in Loop: Header=BB141_5 Depth=1
	ds_load_b64 v[8:9], v12
	s_and_not1_b32 vcc_lo, exec_lo, s42
	s_add_nc_u64 s[40:41], s[40:41], s[36:37]
	s_wait_dscnt 0x0
	v_mul_f32_e32 v7, s26, v9
	s_delay_alu instid0(VALU_DEP_1) | instskip(NEXT) | instid1(VALU_DEP_1)
	v_dual_mul_f32 v6, s27, v9 :: v_dual_fmac_f32 v7, s27, v8
	v_xor_b32_e32 v6, 0x80000000, v6
	s_delay_alu instid0(VALU_DEP_1)
	v_fmac_f32_e32 v6, s26, v8
	s_wait_alu 0xfffe
	s_cbranch_vccnz .LBB141_2
; %bb.37:                               ;   in Loop: Header=BB141_5 Depth=1
	global_load_b64 v[8:9], v12, s[40:41]
	s_wait_loadcnt 0x0
	v_mul_f32_e32 v10, s19, v9
	v_mul_f32_e32 v9, s18, v9
	s_delay_alu instid0(VALU_DEP_1) | instskip(NEXT) | instid1(VALU_DEP_3)
	v_fmac_f32_e32 v9, s19, v8
	v_xor_b32_e32 v10, 0x80000000, v10
	s_delay_alu instid0(VALU_DEP_1) | instskip(NEXT) | instid1(VALU_DEP_1)
	v_dual_add_f32 v7, v7, v9 :: v_dual_fmac_f32 v10, s18, v8
	v_add_f32_e32 v6, v6, v10
	s_branch .LBB141_2
.LBB141_38:
	s_endpgm
	.section	.rodata,"a",@progbits
	.p2align	6, 0x0
	.amdhsa_kernel _ZL20rocblas_gemvt_kernelILb1ELi256E19rocblas_complex_numIfES1_S1_EviiT2_lPKT1_lilS5_lilS2_lPT3_lili
		.amdhsa_group_segment_fixed_size 2048
		.amdhsa_private_segment_fixed_size 0
		.amdhsa_kernarg_size 140
		.amdhsa_user_sgpr_count 2
		.amdhsa_user_sgpr_dispatch_ptr 0
		.amdhsa_user_sgpr_queue_ptr 0
		.amdhsa_user_sgpr_kernarg_segment_ptr 1
		.amdhsa_user_sgpr_dispatch_id 0
		.amdhsa_user_sgpr_private_segment_size 0
		.amdhsa_wavefront_size32 1
		.amdhsa_uses_dynamic_stack 0
		.amdhsa_enable_private_segment 0
		.amdhsa_system_sgpr_workgroup_id_x 1
		.amdhsa_system_sgpr_workgroup_id_y 0
		.amdhsa_system_sgpr_workgroup_id_z 1
		.amdhsa_system_sgpr_workgroup_info 0
		.amdhsa_system_vgpr_workitem_id 0
		.amdhsa_next_free_vgpr 21
		.amdhsa_next_free_sgpr 50
		.amdhsa_reserve_vcc 1
		.amdhsa_float_round_mode_32 0
		.amdhsa_float_round_mode_16_64 0
		.amdhsa_float_denorm_mode_32 3
		.amdhsa_float_denorm_mode_16_64 3
		.amdhsa_fp16_overflow 0
		.amdhsa_workgroup_processor_mode 1
		.amdhsa_memory_ordered 1
		.amdhsa_forward_progress 1
		.amdhsa_inst_pref_size 15
		.amdhsa_round_robin_scheduling 0
		.amdhsa_exception_fp_ieee_invalid_op 0
		.amdhsa_exception_fp_denorm_src 0
		.amdhsa_exception_fp_ieee_div_zero 0
		.amdhsa_exception_fp_ieee_overflow 0
		.amdhsa_exception_fp_ieee_underflow 0
		.amdhsa_exception_fp_ieee_inexact 0
		.amdhsa_exception_int_div_zero 0
	.end_amdhsa_kernel
	.section	.text._ZL20rocblas_gemvt_kernelILb1ELi256E19rocblas_complex_numIfES1_S1_EviiT2_lPKT1_lilS5_lilS2_lPT3_lili,"axG",@progbits,_ZL20rocblas_gemvt_kernelILb1ELi256E19rocblas_complex_numIfES1_S1_EviiT2_lPKT1_lilS5_lilS2_lPT3_lili,comdat
.Lfunc_end141:
	.size	_ZL20rocblas_gemvt_kernelILb1ELi256E19rocblas_complex_numIfES1_S1_EviiT2_lPKT1_lilS5_lilS2_lPT3_lili, .Lfunc_end141-_ZL20rocblas_gemvt_kernelILb1ELi256E19rocblas_complex_numIfES1_S1_EviiT2_lPKT1_lilS5_lilS2_lPT3_lili
                                        ; -- End function
	.set _ZL20rocblas_gemvt_kernelILb1ELi256E19rocblas_complex_numIfES1_S1_EviiT2_lPKT1_lilS5_lilS2_lPT3_lili.num_vgpr, 21
	.set _ZL20rocblas_gemvt_kernelILb1ELi256E19rocblas_complex_numIfES1_S1_EviiT2_lPKT1_lilS5_lilS2_lPT3_lili.num_agpr, 0
	.set _ZL20rocblas_gemvt_kernelILb1ELi256E19rocblas_complex_numIfES1_S1_EviiT2_lPKT1_lilS5_lilS2_lPT3_lili.numbered_sgpr, 50
	.set _ZL20rocblas_gemvt_kernelILb1ELi256E19rocblas_complex_numIfES1_S1_EviiT2_lPKT1_lilS5_lilS2_lPT3_lili.num_named_barrier, 0
	.set _ZL20rocblas_gemvt_kernelILb1ELi256E19rocblas_complex_numIfES1_S1_EviiT2_lPKT1_lilS5_lilS2_lPT3_lili.private_seg_size, 0
	.set _ZL20rocblas_gemvt_kernelILb1ELi256E19rocblas_complex_numIfES1_S1_EviiT2_lPKT1_lilS5_lilS2_lPT3_lili.uses_vcc, 1
	.set _ZL20rocblas_gemvt_kernelILb1ELi256E19rocblas_complex_numIfES1_S1_EviiT2_lPKT1_lilS5_lilS2_lPT3_lili.uses_flat_scratch, 0
	.set _ZL20rocblas_gemvt_kernelILb1ELi256E19rocblas_complex_numIfES1_S1_EviiT2_lPKT1_lilS5_lilS2_lPT3_lili.has_dyn_sized_stack, 0
	.set _ZL20rocblas_gemvt_kernelILb1ELi256E19rocblas_complex_numIfES1_S1_EviiT2_lPKT1_lilS5_lilS2_lPT3_lili.has_recursion, 0
	.set _ZL20rocblas_gemvt_kernelILb1ELi256E19rocblas_complex_numIfES1_S1_EviiT2_lPKT1_lilS5_lilS2_lPT3_lili.has_indirect_call, 0
	.section	.AMDGPU.csdata,"",@progbits
; Kernel info:
; codeLenInByte = 1896
; TotalNumSgprs: 52
; NumVgprs: 21
; ScratchSize: 0
; MemoryBound: 0
; FloatMode: 240
; IeeeMode: 1
; LDSByteSize: 2048 bytes/workgroup (compile time only)
; SGPRBlocks: 0
; VGPRBlocks: 2
; NumSGPRsForWavesPerEU: 52
; NumVGPRsForWavesPerEU: 21
; Occupancy: 16
; WaveLimiterHint : 1
; COMPUTE_PGM_RSRC2:SCRATCH_EN: 0
; COMPUTE_PGM_RSRC2:USER_SGPR: 2
; COMPUTE_PGM_RSRC2:TRAP_HANDLER: 0
; COMPUTE_PGM_RSRC2:TGID_X_EN: 1
; COMPUTE_PGM_RSRC2:TGID_Y_EN: 0
; COMPUTE_PGM_RSRC2:TGID_Z_EN: 1
; COMPUTE_PGM_RSRC2:TIDIG_COMP_CNT: 0
	.section	.text._ZL32rocblas_gemvt_warp_reduce_kernelILb1ELi1024Ei19rocblas_complex_numIfEPKS1_S1_EviiT3_lPKT2_lT1_lS7_lS8_lS4_lPT4_lS8_li,"axG",@progbits,_ZL32rocblas_gemvt_warp_reduce_kernelILb1ELi1024Ei19rocblas_complex_numIfEPKS1_S1_EviiT3_lPKT2_lT1_lS7_lS8_lS4_lPT4_lS8_li,comdat
	.globl	_ZL32rocblas_gemvt_warp_reduce_kernelILb1ELi1024Ei19rocblas_complex_numIfEPKS1_S1_EviiT3_lPKT2_lT1_lS7_lS8_lS4_lPT4_lS8_li ; -- Begin function _ZL32rocblas_gemvt_warp_reduce_kernelILb1ELi1024Ei19rocblas_complex_numIfEPKS1_S1_EviiT3_lPKT2_lT1_lS7_lS8_lS4_lPT4_lS8_li
	.p2align	8
	.type	_ZL32rocblas_gemvt_warp_reduce_kernelILb1ELi1024Ei19rocblas_complex_numIfEPKS1_S1_EviiT3_lPKT2_lT1_lS7_lS8_lS4_lPT4_lS8_li,@function
_ZL32rocblas_gemvt_warp_reduce_kernelILb1ELi1024Ei19rocblas_complex_numIfEPKS1_S1_EviiT3_lPKT2_lT1_lS7_lS8_lS4_lPT4_lS8_li: ; @_ZL32rocblas_gemvt_warp_reduce_kernelILb1ELi1024Ei19rocblas_complex_numIfEPKS1_S1_EviiT3_lPKT2_lT1_lS7_lS8_lS4_lPT4_lS8_li
; %bb.0:
	s_load_b32 s33, s[0:1], 0x88
	s_lshr_b32 s28, ttmp7, 16
	s_wait_kmcnt 0x0
	s_cmp_ge_u32 s28, s33
	s_cbranch_scc1 .LBB142_33
; %bb.1:
	s_clause 0x7
	s_load_b96 s[4:6], s[0:1], 0x40
	s_load_b96 s[36:38], s[0:1], 0x70
	s_load_b256 s[8:15], s[0:1], 0x8
	s_load_b32 s7, s[0:1], 0x0
	s_load_b32 s39, s[0:1], 0x28
	s_load_b128 s[24:27], s[0:1], 0x30
	s_load_b256 s[16:23], s[0:1], 0x50
	s_load_b64 s[30:31], s[0:1], 0x80
	v_mbcnt_lo_u32_b32 v16, -1, 0
	v_cmp_eq_u32_e64 s0, 0, v0
	s_mov_b32 s29, 0
	v_lshl_or_b32 v17, v16, 2, 64
	s_wait_kmcnt 0x0
	s_lshl_b64 s[2:3], s[4:5], 3
	s_lshl_b64 s[4:5], s[36:37], 3
	s_lshl_b64 s[34:35], s[14:15], 3
	v_cmp_gt_i32_e32 vcc_lo, s7, v0
	s_ashr_i32 s1, s7, 31
	v_mov_b32_e32 v1, 0
	s_lshr_b32 s1, s1, 22
	s_add_nc_u64 s[14:15], s[26:27], s[2:3]
	v_cndmask_b32_e32 v2, 0, v0, vcc_lo
	s_add_co_i32 s1, s7, s1
	s_mul_i32 s36, s38, ttmp9
	s_and_b32 s26, s1, 0xfffffc00
	s_mul_i32 s38, s39, ttmp9
	v_lshlrev_b32_e32 v2, 3, v2
	v_or_b32_e32 v3, s26, v0
	s_add_nc_u64 s[2:3], s[12:13], s[34:35]
	s_ashr_i32 s39, s38, 31
	s_add_nc_u64 s[22:23], s[22:23], s[4:5]
	v_add_co_u32 v4, s1, s2, v2
	v_mul_lo_u32 v5, s6, v3
	s_lshl_b64 s[38:39], s[38:39], 3
	v_add_co_ci_u32_e64 v6, null, s3, 0, s1
	s_add_nc_u64 s[34:35], s[34:35], s[38:39]
	v_add_co_u32 v11, vcc_lo, v4, s38
	v_lshrrev_b32_e32 v4, 2, v0
	v_cmp_gt_i32_e64 s2, s7, v3
	v_mul_lo_u32 v15, v0, s6
	s_lshl_b32 s5, s6, 10
	s_add_nc_u64 s[6:7], s[12:13], s[34:35]
	v_and_b32_e32 v3, 31, v0
	s_wait_alu 0xfffe
	v_add_co_u32 v2, s6, s6, v2
	s_wait_alu 0xfffd
	v_add_co_ci_u32_e64 v12, null, s39, v6, vcc_lo
	v_ashrrev_i32_e32 v6, 31, v5
	v_and_b32_e32 v14, 0xf8, v4
	s_wait_alu 0xf1ff
	v_add_co_ci_u32_e64 v4, null, s7, 0, s6
	v_lshlrev_b32_e32 v13, 3, v3
	v_cmp_eq_u32_e64 s4, 0, v3
	v_add_co_u32 v3, vcc_lo, v2, 4
	v_lshlrev_b64_e32 v[5:6], 3, v[5:6]
	v_cmp_gt_i32_e64 s1, s26, v0
	v_cmp_gt_u32_e64 s3, 32, v0
	s_wait_alu 0xfffd
	v_add_co_ci_u32_e64 v4, null, 0, v4, vcc_lo
	s_ashr_i32 s37, s36, 31
	s_ashr_i32 s27, s26, 31
	s_lshl_b64 s[6:7], s[24:25], 3
	s_lshl_b64 s[12:13], s[36:37], 3
	s_wait_alu 0xfffe
	s_lshl_b64 s[34:35], s[26:27], 3
	s_branch .LBB142_5
.LBB142_2:                              ;   in Loop: Header=BB142_5 Depth=1
	global_store_b64 v1, v[8:9], s[36:37]
.LBB142_3:                              ;   in Loop: Header=BB142_5 Depth=1
	s_wait_alu 0xfffe
	s_or_b32 exec_lo, exec_lo, s38
.LBB142_4:                              ;   in Loop: Header=BB142_5 Depth=1
	s_add_co_i32 s28, s28, 0x10000
	s_wait_alu 0xfffe
	s_cmp_lt_u32 s28, s33
	s_cbranch_scc0 .LBB142_33
.LBB142_5:                              ; =>This Loop Header: Depth=1
                                        ;     Child Loop BB142_26 Depth 2
	s_mul_u64 s[36:37], s[10:11], s[28:29]
	s_delay_alu instid0(SALU_CYCLE_1) | instskip(NEXT) | instid1(SALU_CYCLE_1)
	s_lshl_b64 s[36:37], s[36:37], 3
	s_add_nc_u64 s[36:37], s[8:9], s[36:37]
	s_wait_dscnt 0x0
	global_load_b64 v[7:8], v1, s[36:37]
	s_mul_u64 s[36:37], s[20:21], s[28:29]
	s_delay_alu instid0(SALU_CYCLE_1) | instskip(NEXT) | instid1(SALU_CYCLE_1)
	s_lshl_b64 s[36:37], s[36:37], 3
	s_add_nc_u64 s[36:37], s[18:19], s[36:37]
	global_load_b64 v[9:10], v1, s[36:37]
	s_wait_loadcnt 0x1
	v_readfirstlane_b32 s41, v7
	v_readfirstlane_b32 s42, v8
	s_cmp_neq_f32 s41, 0
	s_wait_loadcnt 0x0
	v_readfirstlane_b32 s27, v9
	v_readfirstlane_b32 s40, v10
	s_cselect_b32 s36, -1, 0
	s_cmp_neq_f32 s42, 0
	s_cselect_b32 s37, -1, 0
	s_delay_alu instid0(SALU_CYCLE_1) | instskip(NEXT) | instid1(SALU_CYCLE_1)
	s_or_b32 s36, s36, s37
	s_and_b32 vcc_lo, exec_lo, s36
	s_mov_b32 s36, -1
	s_wait_alu 0xfffe
	s_cbranch_vccnz .LBB142_7
; %bb.6:                                ;   in Loop: Header=BB142_5 Depth=1
	s_cmp_neq_f32 s27, 1.0
	s_cselect_b32 s36, -1, 0
	s_cmp_neq_f32 s40, 0
	s_cselect_b32 s37, -1, 0
	s_delay_alu instid0(SALU_CYCLE_1)
	s_or_b32 s36, s36, s37
.LBB142_7:                              ;   in Loop: Header=BB142_5 Depth=1
	s_delay_alu instid0(SALU_CYCLE_1)
	s_and_not1_b32 vcc_lo, exec_lo, s36
	s_wait_alu 0xfffe
	s_cbranch_vccnz .LBB142_4
; %bb.8:                                ;   in Loop: Header=BB142_5 Depth=1
	s_mul_u64 s[36:37], s[30:31], s[28:29]
	s_or_b32 s38, s41, s42
	s_lshl_b64 s[36:37], s[36:37], 3
	s_wait_alu 0xfffe
	s_bitset0_b32 s38, 31
	s_add_nc_u64 s[36:37], s[22:23], s[36:37]
	s_wait_alu 0xfffe
	s_cmp_lg_u32 s38, 0
	s_mov_b32 s38, -1
	s_cbranch_scc1 .LBB142_15
; %bb.9:                                ;   in Loop: Header=BB142_5 Depth=1
	s_and_saveexec_b32 s38, s0
	s_cbranch_execz .LBB142_14
; %bb.10:                               ;   in Loop: Header=BB142_5 Depth=1
	s_cmp_neq_f32 s27, 0
	s_cselect_b32 s39, -1, 0
	s_cmp_neq_f32 s40, 0
	s_cselect_b32 s43, -1, 0
	s_wait_alu 0xfffe
	s_or_b32 s39, s39, s43
	s_wait_alu 0xfffe
	s_and_not1_b32 vcc_lo, exec_lo, s39
	s_wait_alu 0xfffe
	s_cbranch_vccnz .LBB142_12
; %bb.11:                               ;   in Loop: Header=BB142_5 Depth=1
	s_add_nc_u64 s[44:45], s[36:37], s[12:13]
	global_load_b64 v[9:10], v1, s[44:45]
	s_wait_loadcnt 0x0
	v_mul_f32_e32 v2, s40, v10
	v_mul_f32_e32 v8, s27, v10
	s_delay_alu instid0(VALU_DEP_2) | instskip(NEXT) | instid1(VALU_DEP_2)
	v_xor_b32_e32 v7, 0x80000000, v2
	v_fmac_f32_e32 v8, s40, v9
	s_delay_alu instid0(VALU_DEP_2)
	v_fmac_f32_e32 v7, s27, v9
	s_branch .LBB142_13
.LBB142_12:                             ;   in Loop: Header=BB142_5 Depth=1
	v_dual_mov_b32 v7, 0 :: v_dual_mov_b32 v8, 0
.LBB142_13:                             ;   in Loop: Header=BB142_5 Depth=1
	s_add_nc_u64 s[44:45], s[36:37], s[12:13]
	global_store_b64 v1, v[7:8], s[44:45]
.LBB142_14:                             ;   in Loop: Header=BB142_5 Depth=1
	s_wait_alu 0xfffe
	s_or_b32 exec_lo, exec_lo, s38
	s_mov_b32 s38, 0
.LBB142_15:                             ;   in Loop: Header=BB142_5 Depth=1
	s_wait_alu 0xfffe
	s_and_not1_b32 vcc_lo, exec_lo, s38
	s_wait_alu 0xfffe
	s_cbranch_vccnz .LBB142_4
; %bb.16:                               ;   in Loop: Header=BB142_5 Depth=1
	s_mul_u64 s[38:39], s[16:17], s[28:29]
	v_dual_mov_b32 v18, 0 :: v_dual_mov_b32 v19, 0
	s_wait_alu 0xfffe
	s_lshl_b64 s[38:39], s[38:39], 3
	s_wait_alu 0xfffe
	s_add_nc_u64 s[38:39], s[14:15], s[38:39]
	s_and_saveexec_b32 s43, s1
	s_cbranch_execnz .LBB142_25
; %bb.17:                               ;   in Loop: Header=BB142_5 Depth=1
	s_wait_alu 0xfffe
	s_or_b32 exec_lo, exec_lo, s43
	s_and_saveexec_b32 s43, s2
	s_cbranch_execnz .LBB142_28
.LBB142_18:                             ;   in Loop: Header=BB142_5 Depth=1
	s_wait_alu 0xfffe
	s_or_b32 exec_lo, exec_lo, s43
	s_and_saveexec_b32 s38, s3
.LBB142_19:                             ;   in Loop: Header=BB142_5 Depth=1
	v_mov_b32_e32 v2, v1
	ds_store_b64 v13, v[1:2]
.LBB142_20:                             ;   in Loop: Header=BB142_5 Depth=1
	s_wait_alu 0xfffe
	s_or_b32 exec_lo, exec_lo, s38
	ds_bpermute_b32 v7, v17, v19
	ds_bpermute_b32 v8, v17, v18
	v_cmp_gt_u32_e32 vcc_lo, 24, v16
	s_wait_storecnt_dscnt 0x0
	s_barrier_signal -1
	s_barrier_wait -1
	global_inv scope:SCOPE_SE
	s_wait_alu 0xfffd
	v_cndmask_b32_e64 v2, 0, 8, vcc_lo
	v_cmp_gt_u32_e32 vcc_lo, 28, v16
	s_delay_alu instid0(VALU_DEP_2) | instskip(SKIP_3) | instid1(VALU_DEP_2)
	v_add_lshl_u32 v2, v2, v16, 2
	s_wait_alu 0xfffd
	v_cndmask_b32_e64 v9, 0, 4, vcc_lo
	v_cmp_gt_u32_e32 vcc_lo, 30, v16
	v_add_lshl_u32 v9, v9, v16, 2
	v_dual_add_f32 v7, v19, v7 :: v_dual_add_f32 v8, v18, v8
	ds_bpermute_b32 v10, v2, v7
	ds_bpermute_b32 v18, v2, v8
	s_wait_dscnt 0x0
	v_add_f32_e32 v8, v8, v18
	ds_bpermute_b32 v19, v9, v8
	v_add_f32_e32 v7, v7, v10
	s_wait_alu 0xfffd
	v_cndmask_b32_e64 v10, 0, 2, vcc_lo
	v_cmp_ne_u32_e32 vcc_lo, 31, v16
	s_delay_alu instid0(VALU_DEP_2)
	v_add_lshl_u32 v10, v10, v16, 2
	s_wait_dscnt 0x0
	v_add_f32_e32 v8, v8, v19
	ds_bpermute_b32 v18, v9, v7
	ds_bpermute_b32 v20, v10, v8
	s_wait_dscnt 0x1
	v_add_f32_e32 v7, v7, v18
	s_wait_alu 0xfffd
	v_add_co_ci_u32_e64 v18, null, 0, v16, vcc_lo
	s_wait_dscnt 0x0
	v_add_f32_e32 v8, v8, v20
	ds_bpermute_b32 v19, v10, v7
	v_lshlrev_b32_e32 v18, 2, v18
	ds_bpermute_b32 v20, v18, v8
	s_wait_dscnt 0x1
	v_add_f32_e32 v7, v7, v19
	ds_bpermute_b32 v19, v18, v7
	s_and_saveexec_b32 s38, s4
	s_cbranch_execz .LBB142_22
; %bb.21:                               ;   in Loop: Header=BB142_5 Depth=1
	s_wait_dscnt 0x0
	v_dual_add_f32 v8, v8, v20 :: v_dual_add_f32 v7, v7, v19
	ds_store_b64 v14, v[7:8]
.LBB142_22:                             ;   in Loop: Header=BB142_5 Depth=1
	s_wait_alu 0xfffe
	s_or_b32 exec_lo, exec_lo, s38
	v_dual_mov_b32 v8, 0 :: v_dual_mov_b32 v7, 0
	s_wait_loadcnt_dscnt 0x0
	s_barrier_signal -1
	s_barrier_wait -1
	global_inv scope:SCOPE_SE
	s_and_saveexec_b32 s38, s3
	s_cbranch_execnz .LBB142_29
; %bb.23:                               ;   in Loop: Header=BB142_5 Depth=1
	s_wait_alu 0xfffe
	s_or_b32 exec_lo, exec_lo, s38
	s_and_saveexec_b32 s38, s3
	s_cbranch_execnz .LBB142_30
.LBB142_24:                             ;   in Loop: Header=BB142_5 Depth=1
	s_wait_alu 0xfffe
	s_or_b32 exec_lo, exec_lo, s38
	s_and_saveexec_b32 s38, s0
	s_cbranch_execz .LBB142_3
	s_branch .LBB142_31
.LBB142_25:                             ;   in Loop: Header=BB142_5 Depth=1
	v_mad_co_u64_u32 v[7:8], null, s6, s28, v[3:4]
	v_dual_mov_b32 v18, 0 :: v_dual_mov_b32 v19, 0
	s_mov_b32 s44, 0
	s_delay_alu instid0(VALU_DEP_2) | instskip(NEXT) | instid1(VALU_DEP_1)
	v_mov_b32_e32 v2, v8
	v_mad_co_u64_u32 v[8:9], null, s7, s28, v[2:3]
	v_dual_mov_b32 v2, v0 :: v_dual_mov_b32 v9, v15
.LBB142_26:                             ;   Parent Loop BB142_5 Depth=1
                                        ; =>  This Inner Loop Header: Depth=2
	s_delay_alu instid0(VALU_DEP_1) | instskip(NEXT) | instid1(VALU_DEP_1)
	v_ashrrev_i32_e32 v10, 31, v9
	v_lshlrev_b64_e32 v[20:21], 3, v[9:10]
	v_add_nc_u32_e32 v9, s5, v9
	s_wait_alu 0xfffe
	s_delay_alu instid0(VALU_DEP_2) | instskip(SKIP_1) | instid1(VALU_DEP_3)
	v_add_co_u32 v20, vcc_lo, s38, v20
	s_wait_alu 0xfffd
	v_add_co_ci_u32_e64 v21, null, s39, v21, vcc_lo
	global_load_b64 v[22:23], v[7:8], off offset:-4
	global_load_b64 v[20:21], v[20:21], off
	v_add_nc_u32_e32 v2, 0x400, v2
	v_add_co_u32 v7, vcc_lo, 0x2000, v7
	s_wait_alu 0xfffd
	v_add_co_ci_u32_e64 v8, null, 0, v8, vcc_lo
	s_wait_loadcnt 0x0
	v_mul_f32_e32 v10, v23, v21
	v_mul_f32_e32 v23, v23, v20
	v_cmp_le_i32_e32 vcc_lo, s26, v2
	s_delay_alu instid0(VALU_DEP_3) | instskip(NEXT) | instid1(VALU_DEP_3)
	v_fmac_f32_e32 v10, v22, v20
	v_fma_f32 v20, v22, v21, -v23
	s_or_b32 s44, vcc_lo, s44
	s_delay_alu instid0(VALU_DEP_1)
	v_dual_add_f32 v19, v19, v10 :: v_dual_add_f32 v18, v18, v20
	s_wait_alu 0xfffe
	s_and_not1_b32 exec_lo, exec_lo, s44
	s_cbranch_execnz .LBB142_26
; %bb.27:                               ;   in Loop: Header=BB142_5 Depth=1
	s_or_b32 exec_lo, exec_lo, s44
	s_delay_alu instid0(SALU_CYCLE_1)
	s_or_b32 exec_lo, exec_lo, s43
	s_and_saveexec_b32 s43, s2
	s_cbranch_execz .LBB142_18
.LBB142_28:                             ;   in Loop: Header=BB142_5 Depth=1
	s_mul_u64 s[44:45], s[24:25], s[28:29]
	s_wait_alu 0xfffe
	s_lshl_b64 s[44:45], s[44:45], 3
	s_wait_alu 0xfffe
	v_add_co_u32 v2, vcc_lo, v11, s44
	s_wait_alu 0xfffd
	v_add_co_ci_u32_e64 v10, null, s45, v12, vcc_lo
	v_add_co_u32 v7, vcc_lo, s38, v5
	s_wait_alu 0xfffd
	v_add_co_ci_u32_e64 v8, null, s39, v6, vcc_lo
	v_add_co_u32 v9, vcc_lo, v2, s34
	s_wait_alu 0xfffd
	v_add_co_ci_u32_e64 v10, null, s35, v10, vcc_lo
	global_load_b64 v[7:8], v[7:8], off
	global_load_b64 v[9:10], v[9:10], off
	s_wait_loadcnt 0x0
	v_mul_f32_e32 v2, v10, v8
	s_delay_alu instid0(VALU_DEP_1) | instskip(NEXT) | instid1(VALU_DEP_1)
	v_fmac_f32_e32 v2, v9, v7
	v_dual_mul_f32 v10, v10, v7 :: v_dual_add_f32 v19, v19, v2
	s_delay_alu instid0(VALU_DEP_1) | instskip(NEXT) | instid1(VALU_DEP_1)
	v_fma_f32 v7, v9, v8, -v10
	v_add_f32_e32 v18, v18, v7
	s_or_b32 exec_lo, exec_lo, s43
	s_and_saveexec_b32 s38, s3
	s_cbranch_execnz .LBB142_19
	s_branch .LBB142_20
.LBB142_29:                             ;   in Loop: Header=BB142_5 Depth=1
	ds_load_b64 v[7:8], v13
	s_wait_alu 0xfffe
	s_or_b32 exec_lo, exec_lo, s38
	s_and_saveexec_b32 s38, s3
	s_cbranch_execz .LBB142_24
.LBB142_30:                             ;   in Loop: Header=BB142_5 Depth=1
	s_wait_dscnt 0x0
	ds_bpermute_b32 v19, v17, v7
	ds_bpermute_b32 v20, v17, v8
	s_wait_dscnt 0x0
	v_dual_add_f32 v7, v7, v19 :: v_dual_add_f32 v8, v8, v20
	ds_bpermute_b32 v19, v2, v7
	ds_bpermute_b32 v2, v2, v8
	s_wait_dscnt 0x0
	v_dual_add_f32 v7, v7, v19 :: v_dual_add_f32 v2, v8, v2
	;; [unrolled: 4-line block ×5, first 2 shown]
	s_wait_alu 0xfffe
	s_or_b32 exec_lo, exec_lo, s38
	s_and_saveexec_b32 s38, s0
	s_cbranch_execz .LBB142_3
.LBB142_31:                             ;   in Loop: Header=BB142_5 Depth=1
	s_cmp_neq_f32 s27, 0
	s_wait_dscnt 0x0
	v_mul_f32_e32 v9, s41, v8
	v_mul_f32_e32 v2, s42, v8
	s_add_nc_u64 s[36:37], s[36:37], s[12:13]
	s_cselect_b32 s39, -1, 0
	s_cmp_neq_f32 s40, 0
	v_fmac_f32_e32 v9, s42, v7
	v_fma_f32 v8, v7, s41, -v2
	s_cselect_b32 s43, -1, 0
	s_wait_alu 0xfffe
	s_or_b32 s39, s39, s43
	s_wait_alu 0xfffe
	s_and_not1_b32 vcc_lo, exec_lo, s39
	s_wait_alu 0xfffe
	s_cbranch_vccnz .LBB142_2
; %bb.32:                               ;   in Loop: Header=BB142_5 Depth=1
	global_load_b64 v[18:19], v1, s[36:37]
	s_wait_loadcnt 0x0
	v_mul_f32_e32 v7, s27, v19
	s_delay_alu instid0(VALU_DEP_1) | instskip(NEXT) | instid1(VALU_DEP_1)
	v_dual_mul_f32 v2, s40, v19 :: v_dual_fmac_f32 v7, s40, v18
	v_xor_b32_e32 v2, 0x80000000, v2
	s_delay_alu instid0(VALU_DEP_1) | instskip(NEXT) | instid1(VALU_DEP_1)
	v_dual_add_f32 v9, v9, v7 :: v_dual_fmac_f32 v2, s27, v18
	v_add_f32_e32 v8, v8, v2
	s_branch .LBB142_2
.LBB142_33:
	s_endpgm
	.section	.rodata,"a",@progbits
	.p2align	6, 0x0
	.amdhsa_kernel _ZL32rocblas_gemvt_warp_reduce_kernelILb1ELi1024Ei19rocblas_complex_numIfEPKS1_S1_EviiT3_lPKT2_lT1_lS7_lS8_lS4_lPT4_lS8_li
		.amdhsa_group_segment_fixed_size 256
		.amdhsa_private_segment_fixed_size 0
		.amdhsa_kernarg_size 140
		.amdhsa_user_sgpr_count 2
		.amdhsa_user_sgpr_dispatch_ptr 0
		.amdhsa_user_sgpr_queue_ptr 0
		.amdhsa_user_sgpr_kernarg_segment_ptr 1
		.amdhsa_user_sgpr_dispatch_id 0
		.amdhsa_user_sgpr_private_segment_size 0
		.amdhsa_wavefront_size32 1
		.amdhsa_uses_dynamic_stack 0
		.amdhsa_enable_private_segment 0
		.amdhsa_system_sgpr_workgroup_id_x 1
		.amdhsa_system_sgpr_workgroup_id_y 0
		.amdhsa_system_sgpr_workgroup_id_z 1
		.amdhsa_system_sgpr_workgroup_info 0
		.amdhsa_system_vgpr_workitem_id 0
		.amdhsa_next_free_vgpr 24
		.amdhsa_next_free_sgpr 46
		.amdhsa_reserve_vcc 1
		.amdhsa_float_round_mode_32 0
		.amdhsa_float_round_mode_16_64 0
		.amdhsa_float_denorm_mode_32 3
		.amdhsa_float_denorm_mode_16_64 3
		.amdhsa_fp16_overflow 0
		.amdhsa_workgroup_processor_mode 1
		.amdhsa_memory_ordered 1
		.amdhsa_forward_progress 1
		.amdhsa_inst_pref_size 16
		.amdhsa_round_robin_scheduling 0
		.amdhsa_exception_fp_ieee_invalid_op 0
		.amdhsa_exception_fp_denorm_src 0
		.amdhsa_exception_fp_ieee_div_zero 0
		.amdhsa_exception_fp_ieee_overflow 0
		.amdhsa_exception_fp_ieee_underflow 0
		.amdhsa_exception_fp_ieee_inexact 0
		.amdhsa_exception_int_div_zero 0
	.end_amdhsa_kernel
	.section	.text._ZL32rocblas_gemvt_warp_reduce_kernelILb1ELi1024Ei19rocblas_complex_numIfEPKS1_S1_EviiT3_lPKT2_lT1_lS7_lS8_lS4_lPT4_lS8_li,"axG",@progbits,_ZL32rocblas_gemvt_warp_reduce_kernelILb1ELi1024Ei19rocblas_complex_numIfEPKS1_S1_EviiT3_lPKT2_lT1_lS7_lS8_lS4_lPT4_lS8_li,comdat
.Lfunc_end142:
	.size	_ZL32rocblas_gemvt_warp_reduce_kernelILb1ELi1024Ei19rocblas_complex_numIfEPKS1_S1_EviiT3_lPKT2_lT1_lS7_lS8_lS4_lPT4_lS8_li, .Lfunc_end142-_ZL32rocblas_gemvt_warp_reduce_kernelILb1ELi1024Ei19rocblas_complex_numIfEPKS1_S1_EviiT3_lPKT2_lT1_lS7_lS8_lS4_lPT4_lS8_li
                                        ; -- End function
	.set _ZL32rocblas_gemvt_warp_reduce_kernelILb1ELi1024Ei19rocblas_complex_numIfEPKS1_S1_EviiT3_lPKT2_lT1_lS7_lS8_lS4_lPT4_lS8_li.num_vgpr, 24
	.set _ZL32rocblas_gemvt_warp_reduce_kernelILb1ELi1024Ei19rocblas_complex_numIfEPKS1_S1_EviiT3_lPKT2_lT1_lS7_lS8_lS4_lPT4_lS8_li.num_agpr, 0
	.set _ZL32rocblas_gemvt_warp_reduce_kernelILb1ELi1024Ei19rocblas_complex_numIfEPKS1_S1_EviiT3_lPKT2_lT1_lS7_lS8_lS4_lPT4_lS8_li.numbered_sgpr, 46
	.set _ZL32rocblas_gemvt_warp_reduce_kernelILb1ELi1024Ei19rocblas_complex_numIfEPKS1_S1_EviiT3_lPKT2_lT1_lS7_lS8_lS4_lPT4_lS8_li.num_named_barrier, 0
	.set _ZL32rocblas_gemvt_warp_reduce_kernelILb1ELi1024Ei19rocblas_complex_numIfEPKS1_S1_EviiT3_lPKT2_lT1_lS7_lS8_lS4_lPT4_lS8_li.private_seg_size, 0
	.set _ZL32rocblas_gemvt_warp_reduce_kernelILb1ELi1024Ei19rocblas_complex_numIfEPKS1_S1_EviiT3_lPKT2_lT1_lS7_lS8_lS4_lPT4_lS8_li.uses_vcc, 1
	.set _ZL32rocblas_gemvt_warp_reduce_kernelILb1ELi1024Ei19rocblas_complex_numIfEPKS1_S1_EviiT3_lPKT2_lT1_lS7_lS8_lS4_lPT4_lS8_li.uses_flat_scratch, 0
	.set _ZL32rocblas_gemvt_warp_reduce_kernelILb1ELi1024Ei19rocblas_complex_numIfEPKS1_S1_EviiT3_lPKT2_lT1_lS7_lS8_lS4_lPT4_lS8_li.has_dyn_sized_stack, 0
	.set _ZL32rocblas_gemvt_warp_reduce_kernelILb1ELi1024Ei19rocblas_complex_numIfEPKS1_S1_EviiT3_lPKT2_lT1_lS7_lS8_lS4_lPT4_lS8_li.has_recursion, 0
	.set _ZL32rocblas_gemvt_warp_reduce_kernelILb1ELi1024Ei19rocblas_complex_numIfEPKS1_S1_EviiT3_lPKT2_lT1_lS7_lS8_lS4_lPT4_lS8_li.has_indirect_call, 0
	.section	.AMDGPU.csdata,"",@progbits
; Kernel info:
; codeLenInByte = 1948
; TotalNumSgprs: 48
; NumVgprs: 24
; ScratchSize: 0
; MemoryBound: 0
; FloatMode: 240
; IeeeMode: 1
; LDSByteSize: 256 bytes/workgroup (compile time only)
; SGPRBlocks: 0
; VGPRBlocks: 2
; NumSGPRsForWavesPerEU: 48
; NumVGPRsForWavesPerEU: 24
; Occupancy: 16
; WaveLimiterHint : 0
; COMPUTE_PGM_RSRC2:SCRATCH_EN: 0
; COMPUTE_PGM_RSRC2:USER_SGPR: 2
; COMPUTE_PGM_RSRC2:TRAP_HANDLER: 0
; COMPUTE_PGM_RSRC2:TGID_X_EN: 1
; COMPUTE_PGM_RSRC2:TGID_Y_EN: 0
; COMPUTE_PGM_RSRC2:TGID_Z_EN: 1
; COMPUTE_PGM_RSRC2:TIDIG_COMP_CNT: 0
	.section	.text._ZL32rocblas_gemvt_warp_reduce_kernelILb1ELi1024El19rocblas_complex_numIfEPKS1_S1_EviiT3_lPKT2_lT1_lS7_lS8_lS4_lPT4_lS8_li,"axG",@progbits,_ZL32rocblas_gemvt_warp_reduce_kernelILb1ELi1024El19rocblas_complex_numIfEPKS1_S1_EviiT3_lPKT2_lT1_lS7_lS8_lS4_lPT4_lS8_li,comdat
	.globl	_ZL32rocblas_gemvt_warp_reduce_kernelILb1ELi1024El19rocblas_complex_numIfEPKS1_S1_EviiT3_lPKT2_lT1_lS7_lS8_lS4_lPT4_lS8_li ; -- Begin function _ZL32rocblas_gemvt_warp_reduce_kernelILb1ELi1024El19rocblas_complex_numIfEPKS1_S1_EviiT3_lPKT2_lT1_lS7_lS8_lS4_lPT4_lS8_li
	.p2align	8
	.type	_ZL32rocblas_gemvt_warp_reduce_kernelILb1ELi1024El19rocblas_complex_numIfEPKS1_S1_EviiT3_lPKT2_lT1_lS7_lS8_lS4_lPT4_lS8_li,@function
_ZL32rocblas_gemvt_warp_reduce_kernelILb1ELi1024El19rocblas_complex_numIfEPKS1_S1_EviiT3_lPKT2_lT1_lS7_lS8_lS4_lPT4_lS8_li: ; @_ZL32rocblas_gemvt_warp_reduce_kernelILb1ELi1024El19rocblas_complex_numIfEPKS1_S1_EviiT3_lPKT2_lT1_lS7_lS8_lS4_lPT4_lS8_li
; %bb.0:
	s_load_b32 s33, s[0:1], 0x88
	s_lshr_b32 s6, ttmp7, 16
	s_wait_kmcnt 0x0
	s_cmp_ge_u32 s6, s33
	s_cbranch_scc1 .LBB143_33
; %bb.1:
	s_clause 0x2
	s_load_b512 s[8:23], s[0:1], 0x8
	s_load_b512 s[36:51], s[0:1], 0x48
	s_load_b32 s28, s[0:1], 0x0
	s_mov_b32 s2, ttmp9
	s_ashr_i32 s3, ttmp9, 31
	v_mbcnt_lo_u32_b32 v17, -1, 0
	v_cmp_eq_u32_e64 s0, 0, v0
	s_mov_b32 s7, 0
	v_lshl_or_b32 v18, v17, 2, 64
	s_wait_kmcnt 0x0
	s_lshl_b64 s[4:5], s[22:23], 3
	v_mad_co_u64_u32 v[2:3], null, s36, v0, 0
	v_cmp_gt_i32_e32 vcc_lo, s28, v0
	v_mov_b32_e32 v1, 0
	s_ashr_i32 s1, s28, 31
	s_lshl_b64 s[24:25], s[14:15], 3
	s_lshr_b32 s1, s1, 22
	v_cndmask_b32_e32 v4, 0, v0, vcc_lo
	s_add_co_i32 s1, s28, s1
	s_add_nc_u64 s[14:15], s[20:21], s[4:5]
	s_add_nc_u64 s[4:5], s[12:13], s[24:25]
	s_and_b32 s20, s1, 0xfffffc00
	v_lshlrev_b32_e32 v5, 3, v4
	v_mad_co_u64_u32 v[3:4], null, s37, v0, v[3:4]
	v_or_b32_e32 v6, s20, v0
	s_lshl_b64 s[22:23], s[46:47], 3
	s_delay_alu instid0(VALU_DEP_3)
	v_add_co_u32 v9, s1, s4, v5
	s_mul_u64 s[26:27], s[48:49], s[2:3]
	s_mul_u64 s[2:3], s[16:17], s[2:3]
	v_lshlrev_b64_e32 v[2:3], 3, v[2:3]
	v_add_co_ci_u32_e64 v10, null, s5, 0, s1
	s_add_nc_u64 s[16:17], s[44:45], s[22:23]
	s_lshl_b64 s[22:23], s[2:3], 3
	v_and_b32_e32 v4, 31, v0
	v_mul_lo_u32 v11, s37, v6
	v_mad_co_u64_u32 v[7:8], null, s36, v6, 0
	v_add_co_u32 v13, vcc_lo, v9, s22
	s_wait_alu 0xfffd
	v_add_co_ci_u32_e64 v14, null, s23, v10, vcc_lo
	v_add_co_u32 v2, vcc_lo, s14, v2
	s_add_nc_u64 s[24:25], s[22:23], s[24:25]
	s_ashr_i32 s21, s20, 31
	v_cmp_gt_i32_e64 s2, s28, v6
	v_lshlrev_b32_e32 v15, 3, v4
	v_cmp_eq_u32_e64 s4, 0, v4
	v_lshrrev_b32_e32 v4, 2, v0
	s_wait_alu 0xfffd
	v_add_co_ci_u32_e64 v6, null, s15, v3, vcc_lo
	s_add_nc_u64 s[12:13], s[12:13], s[24:25]
	s_wait_alu 0xfffe
	s_mul_i32 s3, s36, s21
	v_add_co_u32 v3, vcc_lo, v2, 4
	v_add_co_u32 v2, s5, s12, v5
	v_add3_u32 v8, v8, s3, v11
	v_and_b32_e32 v16, 0xf8, v4
	s_wait_alu 0xfffd
	v_add_co_ci_u32_e64 v4, null, 0, v6, vcc_lo
	s_wait_alu 0xf1ff
	v_add_co_ci_u32_e64 v6, null, s13, 0, s5
	v_add_co_u32 v5, vcc_lo, v2, 4
	v_lshlrev_b64_e32 v[7:8], 3, v[7:8]
	v_cmp_gt_i32_e64 s1, s20, v0
	v_cmp_gt_u32_e64 s3, 32, v0
	s_wait_alu 0xfffd
	v_add_co_ci_u32_e64 v6, null, 0, v6, vcc_lo
	s_lshl_b64 s[22:23], s[38:39], 3
	s_lshl_b64 s[12:13], s[36:37], 13
	;; [unrolled: 1-line block ×4, first 2 shown]
	s_branch .LBB143_5
.LBB143_2:                              ;   in Loop: Header=BB143_5 Depth=1
	s_add_nc_u64 s[28:29], s[28:29], s[26:27]
	global_store_b64 v1, v[10:11], s[28:29]
.LBB143_3:                              ;   in Loop: Header=BB143_5 Depth=1
	s_wait_alu 0xfffe
	s_or_b32 exec_lo, exec_lo, s5
.LBB143_4:                              ;   in Loop: Header=BB143_5 Depth=1
	s_add_co_i32 s6, s6, 0x10000
	s_wait_alu 0xfffe
	s_cmp_lt_u32 s6, s33
	s_cbranch_scc0 .LBB143_33
.LBB143_5:                              ; =>This Loop Header: Depth=1
                                        ;     Child Loop BB143_26 Depth 2
	s_mul_u64 s[28:29], s[10:11], s[6:7]
	s_wait_alu 0xfffe
	s_lshl_b64 s[28:29], s[28:29], 3
	s_wait_alu 0xfffe
	s_add_nc_u64 s[28:29], s[8:9], s[28:29]
	s_wait_dscnt 0x0
	global_load_b64 v[9:10], v1, s[28:29]
	s_mul_u64 s[28:29], s[42:43], s[6:7]
	s_wait_alu 0xfffe
	s_lshl_b64 s[28:29], s[28:29], 3
	s_wait_alu 0xfffe
	s_add_nc_u64 s[28:29], s[40:41], s[28:29]
	global_load_b64 v[11:12], v1, s[28:29]
	s_wait_loadcnt 0x1
	v_readfirstlane_b32 s36, v9
	v_readfirstlane_b32 s37, v10
	s_cmp_neq_f32 s36, 0
	s_wait_loadcnt 0x0
	v_readfirstlane_b32 s34, v11
	v_readfirstlane_b32 s35, v12
	s_cselect_b32 s5, -1, 0
	s_cmp_neq_f32 s37, 0
	s_cselect_b32 s28, -1, 0
	s_wait_alu 0xfffe
	s_or_b32 s5, s5, s28
	s_wait_alu 0xfffe
	s_and_b32 vcc_lo, exec_lo, s5
	s_mov_b32 s5, -1
	s_wait_alu 0xfffe
	s_cbranch_vccnz .LBB143_7
; %bb.6:                                ;   in Loop: Header=BB143_5 Depth=1
	s_cmp_neq_f32 s34, 1.0
	s_cselect_b32 s5, -1, 0
	s_cmp_neq_f32 s35, 0
	s_cselect_b32 s28, -1, 0
	s_wait_alu 0xfffe
	s_or_b32 s5, s5, s28
.LBB143_7:                              ;   in Loop: Header=BB143_5 Depth=1
	s_wait_alu 0xfffe
	s_and_not1_b32 vcc_lo, exec_lo, s5
	s_wait_alu 0xfffe
	s_cbranch_vccnz .LBB143_4
; %bb.8:                                ;   in Loop: Header=BB143_5 Depth=1
	s_mul_u64 s[28:29], s[50:51], s[6:7]
	s_or_b32 s5, s36, s37
	s_wait_alu 0xfffe
	s_lshl_b64 s[28:29], s[28:29], 3
	s_bitset0_b32 s5, 31
	s_wait_alu 0xfffe
	s_add_nc_u64 s[28:29], s[16:17], s[28:29]
	s_cmp_lg_u32 s5, 0
	s_mov_b32 s5, -1
	s_cbranch_scc1 .LBB143_15
; %bb.9:                                ;   in Loop: Header=BB143_5 Depth=1
	s_and_saveexec_b32 s5, s0
	s_cbranch_execz .LBB143_14
; %bb.10:                               ;   in Loop: Header=BB143_5 Depth=1
	s_cmp_neq_f32 s34, 0
	s_cselect_b32 s30, -1, 0
	s_cmp_neq_f32 s35, 0
	s_cselect_b32 s31, -1, 0
	s_wait_alu 0xfffe
	s_or_b32 s30, s30, s31
	s_wait_alu 0xfffe
	s_and_not1_b32 vcc_lo, exec_lo, s30
	s_add_nc_u64 s[30:31], s[28:29], s[26:27]
	s_wait_alu 0xfffe
	s_cbranch_vccnz .LBB143_12
; %bb.11:                               ;   in Loop: Header=BB143_5 Depth=1
	global_load_b64 v[11:12], v1, s[30:31]
	s_wait_loadcnt 0x0
	v_mul_f32_e32 v2, s35, v12
	v_mul_f32_e32 v10, s34, v12
	s_delay_alu instid0(VALU_DEP_2) | instskip(NEXT) | instid1(VALU_DEP_2)
	v_xor_b32_e32 v9, 0x80000000, v2
	v_fmac_f32_e32 v10, s35, v11
	s_delay_alu instid0(VALU_DEP_2)
	v_fmac_f32_e32 v9, s34, v11
	s_branch .LBB143_13
.LBB143_12:                             ;   in Loop: Header=BB143_5 Depth=1
	v_dual_mov_b32 v9, 0 :: v_dual_mov_b32 v10, 0
.LBB143_13:                             ;   in Loop: Header=BB143_5 Depth=1
	global_store_b64 v1, v[9:10], s[30:31]
.LBB143_14:                             ;   in Loop: Header=BB143_5 Depth=1
	s_wait_alu 0xfffe
	s_or_b32 exec_lo, exec_lo, s5
	s_mov_b32 s5, 0
.LBB143_15:                             ;   in Loop: Header=BB143_5 Depth=1
	s_wait_alu 0xfffe
	s_and_not1_b32 vcc_lo, exec_lo, s5
	s_wait_alu 0xfffe
	s_cbranch_vccnz .LBB143_4
; %bb.16:                               ;   in Loop: Header=BB143_5 Depth=1
	v_dual_mov_b32 v19, 0 :: v_dual_mov_b32 v20, 0
	s_and_saveexec_b32 s30, s1
	s_cbranch_execnz .LBB143_25
; %bb.17:                               ;   in Loop: Header=BB143_5 Depth=1
	s_wait_alu 0xfffe
	s_or_b32 exec_lo, exec_lo, s30
	s_and_saveexec_b32 s5, s2
	s_cbranch_execnz .LBB143_28
.LBB143_18:                             ;   in Loop: Header=BB143_5 Depth=1
	s_wait_alu 0xfffe
	s_or_b32 exec_lo, exec_lo, s5
	s_and_saveexec_b32 s5, s3
.LBB143_19:                             ;   in Loop: Header=BB143_5 Depth=1
	v_mov_b32_e32 v2, v1
	ds_store_b64 v15, v[1:2]
.LBB143_20:                             ;   in Loop: Header=BB143_5 Depth=1
	s_wait_alu 0xfffe
	s_or_b32 exec_lo, exec_lo, s5
	ds_bpermute_b32 v9, v18, v20
	ds_bpermute_b32 v10, v18, v19
	v_cmp_gt_u32_e32 vcc_lo, 24, v17
	s_wait_storecnt_dscnt 0x0
	s_barrier_signal -1
	s_barrier_wait -1
	global_inv scope:SCOPE_SE
	s_wait_alu 0xfffd
	v_cndmask_b32_e64 v2, 0, 8, vcc_lo
	v_cmp_gt_u32_e32 vcc_lo, 28, v17
	s_delay_alu instid0(VALU_DEP_2) | instskip(SKIP_3) | instid1(VALU_DEP_2)
	v_add_lshl_u32 v2, v2, v17, 2
	s_wait_alu 0xfffd
	v_cndmask_b32_e64 v11, 0, 4, vcc_lo
	v_cmp_gt_u32_e32 vcc_lo, 30, v17
	v_add_lshl_u32 v11, v11, v17, 2
	v_dual_add_f32 v9, v20, v9 :: v_dual_add_f32 v10, v19, v10
	ds_bpermute_b32 v12, v2, v9
	ds_bpermute_b32 v19, v2, v10
	s_wait_dscnt 0x0
	v_dual_add_f32 v9, v9, v12 :: v_dual_add_f32 v10, v10, v19
	s_wait_alu 0xfffd
	v_cndmask_b32_e64 v12, 0, 2, vcc_lo
	v_cmp_ne_u32_e32 vcc_lo, 31, v17
	ds_bpermute_b32 v19, v11, v9
	ds_bpermute_b32 v20, v11, v10
	v_add_lshl_u32 v12, v12, v17, 2
	s_wait_dscnt 0x0
	v_dual_add_f32 v9, v9, v19 :: v_dual_add_f32 v10, v10, v20
	s_wait_alu 0xfffd
	v_add_co_ci_u32_e64 v19, null, 0, v17, vcc_lo
	ds_bpermute_b32 v20, v12, v9
	ds_bpermute_b32 v21, v12, v10
	v_lshlrev_b32_e32 v19, 2, v19
	s_wait_dscnt 0x0
	v_dual_add_f32 v9, v9, v20 :: v_dual_add_f32 v10, v10, v21
	ds_bpermute_b32 v20, v19, v9
	ds_bpermute_b32 v21, v19, v10
	s_and_saveexec_b32 s5, s4
	s_cbranch_execz .LBB143_22
; %bb.21:                               ;   in Loop: Header=BB143_5 Depth=1
	s_wait_dscnt 0x0
	v_dual_add_f32 v10, v10, v21 :: v_dual_add_f32 v9, v9, v20
	ds_store_b64 v16, v[9:10]
.LBB143_22:                             ;   in Loop: Header=BB143_5 Depth=1
	s_wait_alu 0xfffe
	s_or_b32 exec_lo, exec_lo, s5
	v_dual_mov_b32 v10, 0 :: v_dual_mov_b32 v9, 0
	s_wait_loadcnt_dscnt 0x0
	s_barrier_signal -1
	s_barrier_wait -1
	global_inv scope:SCOPE_SE
	s_and_saveexec_b32 s5, s3
	s_cbranch_execnz .LBB143_29
; %bb.23:                               ;   in Loop: Header=BB143_5 Depth=1
	s_wait_alu 0xfffe
	s_or_b32 exec_lo, exec_lo, s5
	s_and_saveexec_b32 s5, s3
	s_cbranch_execnz .LBB143_30
.LBB143_24:                             ;   in Loop: Header=BB143_5 Depth=1
	s_wait_alu 0xfffe
	s_or_b32 exec_lo, exec_lo, s5
	s_and_saveexec_b32 s5, s0
	s_cbranch_execz .LBB143_3
	s_branch .LBB143_31
.LBB143_25:                             ;   in Loop: Header=BB143_5 Depth=1
	v_mad_co_u64_u32 v[9:10], null, s22, s6, v[3:4]
	v_mad_co_u64_u32 v[11:12], null, s24, s6, v[5:6]
	s_mov_b32 s31, 0
	v_dual_mov_b32 v19, 0 :: v_dual_mov_b32 v2, v10
	v_mov_b32_e32 v10, v12
	s_delay_alu instid0(VALU_DEP_2) | instskip(NEXT) | instid1(VALU_DEP_2)
	v_mad_co_u64_u32 v[20:21], null, s23, s6, v[2:3]
	v_mad_co_u64_u32 v[21:22], null, s25, s6, v[10:11]
	v_mov_b32_e32 v2, v0
	s_delay_alu instid0(VALU_DEP_3) | instskip(SKIP_1) | instid1(VALU_DEP_4)
	v_mov_b32_e32 v10, v20
	v_mov_b32_e32 v20, 0
	;; [unrolled: 1-line block ×3, first 2 shown]
.LBB143_26:                             ;   Parent Loop BB143_5 Depth=1
                                        ; =>  This Inner Loop Header: Depth=2
	global_load_b64 v[21:22], v[11:12], off offset:-4
	global_load_b64 v[23:24], v[9:10], off offset:-4
	v_add_nc_u32_e32 v2, 0x400, v2
	v_add_co_u32 v9, vcc_lo, v9, s12
	s_wait_alu 0xfffd
	v_add_co_ci_u32_e64 v10, null, s13, v10, vcc_lo
	v_add_co_u32 v11, vcc_lo, 0x2000, v11
	s_wait_alu 0xfffd
	v_add_co_ci_u32_e64 v12, null, 0, v12, vcc_lo
	s_wait_loadcnt 0x0
	v_mul_f32_e32 v25, v22, v24
	v_mul_f32_e32 v22, v22, v23
	v_cmp_le_i32_e64 s5, s20, v2
	s_delay_alu instid0(VALU_DEP_3) | instskip(NEXT) | instid1(VALU_DEP_3)
	v_fmac_f32_e32 v25, v21, v23
	v_fma_f32 v21, v21, v24, -v22
	s_wait_alu 0xfffe
	s_or_b32 s31, s5, s31
	s_delay_alu instid0(VALU_DEP_2) | instskip(NEXT) | instid1(VALU_DEP_2)
	v_add_f32_e32 v20, v20, v25
	v_add_f32_e32 v19, v19, v21
	s_wait_alu 0xfffe
	s_and_not1_b32 exec_lo, exec_lo, s31
	s_cbranch_execnz .LBB143_26
; %bb.27:                               ;   in Loop: Header=BB143_5 Depth=1
	s_or_b32 exec_lo, exec_lo, s31
	s_delay_alu instid0(SALU_CYCLE_1)
	s_or_b32 exec_lo, exec_lo, s30
	s_and_saveexec_b32 s5, s2
	s_cbranch_execz .LBB143_18
.LBB143_28:                             ;   in Loop: Header=BB143_5 Depth=1
	s_mul_u64 s[30:31], s[18:19], s[6:7]
	s_mul_u64 s[44:45], s[38:39], s[6:7]
	s_wait_alu 0xfffe
	s_lshl_b64 s[30:31], s[30:31], 3
	s_lshl_b64 s[44:45], s[44:45], 3
	s_wait_alu 0xfffe
	v_add_co_u32 v2, vcc_lo, v13, s30
	s_wait_alu 0xfffd
	v_add_co_ci_u32_e64 v12, null, s31, v14, vcc_lo
	s_add_nc_u64 s[30:31], s[14:15], s[44:45]
	s_lshl_b64 s[44:45], s[20:21], 3
	s_wait_alu 0xfffe
	v_add_co_u32 v9, vcc_lo, s30, v7
	s_wait_alu 0xfffd
	v_add_co_ci_u32_e64 v10, null, s31, v8, vcc_lo
	v_add_co_u32 v11, vcc_lo, v2, s44
	s_wait_alu 0xfffd
	v_add_co_ci_u32_e64 v12, null, s45, v12, vcc_lo
	global_load_b64 v[9:10], v[9:10], off
	global_load_b64 v[11:12], v[11:12], off
	s_wait_loadcnt 0x0
	v_mul_f32_e32 v2, v12, v10
	v_mul_f32_e32 v12, v12, v9
	s_delay_alu instid0(VALU_DEP_2) | instskip(NEXT) | instid1(VALU_DEP_2)
	v_fmac_f32_e32 v2, v11, v9
	v_fma_f32 v9, v11, v10, -v12
	s_delay_alu instid0(VALU_DEP_1)
	v_dual_add_f32 v20, v20, v2 :: v_dual_add_f32 v19, v19, v9
	s_or_b32 exec_lo, exec_lo, s5
	s_and_saveexec_b32 s5, s3
	s_cbranch_execnz .LBB143_19
	s_branch .LBB143_20
.LBB143_29:                             ;   in Loop: Header=BB143_5 Depth=1
	ds_load_b64 v[9:10], v15
	s_wait_alu 0xfffe
	s_or_b32 exec_lo, exec_lo, s5
	s_and_saveexec_b32 s5, s3
	s_cbranch_execz .LBB143_24
.LBB143_30:                             ;   in Loop: Header=BB143_5 Depth=1
	s_wait_dscnt 0x0
	ds_bpermute_b32 v20, v18, v9
	ds_bpermute_b32 v21, v18, v10
	s_wait_dscnt 0x0
	v_dual_add_f32 v9, v9, v20 :: v_dual_add_f32 v10, v10, v21
	ds_bpermute_b32 v20, v2, v9
	ds_bpermute_b32 v2, v2, v10
	s_wait_dscnt 0x0
	v_dual_add_f32 v9, v9, v20 :: v_dual_add_f32 v2, v10, v2
	;; [unrolled: 4-line block ×5, first 2 shown]
	s_wait_alu 0xfffe
	s_or_b32 exec_lo, exec_lo, s5
	s_and_saveexec_b32 s5, s0
	s_cbranch_execz .LBB143_3
.LBB143_31:                             ;   in Loop: Header=BB143_5 Depth=1
	s_cmp_neq_f32 s34, 0
	s_wait_dscnt 0x0
	v_mul_f32_e32 v11, s36, v10
	v_mul_f32_e32 v2, s37, v10
	s_cselect_b32 s30, -1, 0
	s_cmp_neq_f32 s35, 0
	s_delay_alu instid0(VALU_DEP_2) | instskip(NEXT) | instid1(VALU_DEP_2)
	v_fmac_f32_e32 v11, s37, v9
	v_fma_f32 v10, v9, s36, -v2
	s_cselect_b32 s31, -1, 0
	s_wait_alu 0xfffe
	s_or_b32 s30, s30, s31
	s_wait_alu 0xfffe
	s_and_not1_b32 vcc_lo, exec_lo, s30
	s_wait_alu 0xfffe
	s_cbranch_vccnz .LBB143_2
; %bb.32:                               ;   in Loop: Header=BB143_5 Depth=1
	s_add_nc_u64 s[30:31], s[28:29], s[26:27]
	global_load_b64 v[19:20], v1, s[30:31]
	s_wait_loadcnt 0x0
	v_mul_f32_e32 v9, s34, v20
	s_delay_alu instid0(VALU_DEP_1) | instskip(NEXT) | instid1(VALU_DEP_1)
	v_dual_mul_f32 v2, s35, v20 :: v_dual_fmac_f32 v9, s35, v19
	v_xor_b32_e32 v2, 0x80000000, v2
	s_delay_alu instid0(VALU_DEP_1) | instskip(NEXT) | instid1(VALU_DEP_1)
	v_dual_add_f32 v11, v11, v9 :: v_dual_fmac_f32 v2, s34, v19
	v_add_f32_e32 v10, v10, v2
	s_branch .LBB143_2
.LBB143_33:
	s_endpgm
	.section	.rodata,"a",@progbits
	.p2align	6, 0x0
	.amdhsa_kernel _ZL32rocblas_gemvt_warp_reduce_kernelILb1ELi1024El19rocblas_complex_numIfEPKS1_S1_EviiT3_lPKT2_lT1_lS7_lS8_lS4_lPT4_lS8_li
		.amdhsa_group_segment_fixed_size 256
		.amdhsa_private_segment_fixed_size 0
		.amdhsa_kernarg_size 140
		.amdhsa_user_sgpr_count 2
		.amdhsa_user_sgpr_dispatch_ptr 0
		.amdhsa_user_sgpr_queue_ptr 0
		.amdhsa_user_sgpr_kernarg_segment_ptr 1
		.amdhsa_user_sgpr_dispatch_id 0
		.amdhsa_user_sgpr_private_segment_size 0
		.amdhsa_wavefront_size32 1
		.amdhsa_uses_dynamic_stack 0
		.amdhsa_enable_private_segment 0
		.amdhsa_system_sgpr_workgroup_id_x 1
		.amdhsa_system_sgpr_workgroup_id_y 0
		.amdhsa_system_sgpr_workgroup_id_z 1
		.amdhsa_system_sgpr_workgroup_info 0
		.amdhsa_system_vgpr_workitem_id 0
		.amdhsa_next_free_vgpr 26
		.amdhsa_next_free_sgpr 52
		.amdhsa_reserve_vcc 1
		.amdhsa_float_round_mode_32 0
		.amdhsa_float_round_mode_16_64 0
		.amdhsa_float_denorm_mode_32 3
		.amdhsa_float_denorm_mode_16_64 3
		.amdhsa_fp16_overflow 0
		.amdhsa_workgroup_processor_mode 1
		.amdhsa_memory_ordered 1
		.amdhsa_forward_progress 1
		.amdhsa_inst_pref_size 16
		.amdhsa_round_robin_scheduling 0
		.amdhsa_exception_fp_ieee_invalid_op 0
		.amdhsa_exception_fp_denorm_src 0
		.amdhsa_exception_fp_ieee_div_zero 0
		.amdhsa_exception_fp_ieee_overflow 0
		.amdhsa_exception_fp_ieee_underflow 0
		.amdhsa_exception_fp_ieee_inexact 0
		.amdhsa_exception_int_div_zero 0
	.end_amdhsa_kernel
	.section	.text._ZL32rocblas_gemvt_warp_reduce_kernelILb1ELi1024El19rocblas_complex_numIfEPKS1_S1_EviiT3_lPKT2_lT1_lS7_lS8_lS4_lPT4_lS8_li,"axG",@progbits,_ZL32rocblas_gemvt_warp_reduce_kernelILb1ELi1024El19rocblas_complex_numIfEPKS1_S1_EviiT3_lPKT2_lT1_lS7_lS8_lS4_lPT4_lS8_li,comdat
.Lfunc_end143:
	.size	_ZL32rocblas_gemvt_warp_reduce_kernelILb1ELi1024El19rocblas_complex_numIfEPKS1_S1_EviiT3_lPKT2_lT1_lS7_lS8_lS4_lPT4_lS8_li, .Lfunc_end143-_ZL32rocblas_gemvt_warp_reduce_kernelILb1ELi1024El19rocblas_complex_numIfEPKS1_S1_EviiT3_lPKT2_lT1_lS7_lS8_lS4_lPT4_lS8_li
                                        ; -- End function
	.set _ZL32rocblas_gemvt_warp_reduce_kernelILb1ELi1024El19rocblas_complex_numIfEPKS1_S1_EviiT3_lPKT2_lT1_lS7_lS8_lS4_lPT4_lS8_li.num_vgpr, 26
	.set _ZL32rocblas_gemvt_warp_reduce_kernelILb1ELi1024El19rocblas_complex_numIfEPKS1_S1_EviiT3_lPKT2_lT1_lS7_lS8_lS4_lPT4_lS8_li.num_agpr, 0
	.set _ZL32rocblas_gemvt_warp_reduce_kernelILb1ELi1024El19rocblas_complex_numIfEPKS1_S1_EviiT3_lPKT2_lT1_lS7_lS8_lS4_lPT4_lS8_li.numbered_sgpr, 52
	.set _ZL32rocblas_gemvt_warp_reduce_kernelILb1ELi1024El19rocblas_complex_numIfEPKS1_S1_EviiT3_lPKT2_lT1_lS7_lS8_lS4_lPT4_lS8_li.num_named_barrier, 0
	.set _ZL32rocblas_gemvt_warp_reduce_kernelILb1ELi1024El19rocblas_complex_numIfEPKS1_S1_EviiT3_lPKT2_lT1_lS7_lS8_lS4_lPT4_lS8_li.private_seg_size, 0
	.set _ZL32rocblas_gemvt_warp_reduce_kernelILb1ELi1024El19rocblas_complex_numIfEPKS1_S1_EviiT3_lPKT2_lT1_lS7_lS8_lS4_lPT4_lS8_li.uses_vcc, 1
	.set _ZL32rocblas_gemvt_warp_reduce_kernelILb1ELi1024El19rocblas_complex_numIfEPKS1_S1_EviiT3_lPKT2_lT1_lS7_lS8_lS4_lPT4_lS8_li.uses_flat_scratch, 0
	.set _ZL32rocblas_gemvt_warp_reduce_kernelILb1ELi1024El19rocblas_complex_numIfEPKS1_S1_EviiT3_lPKT2_lT1_lS7_lS8_lS4_lPT4_lS8_li.has_dyn_sized_stack, 0
	.set _ZL32rocblas_gemvt_warp_reduce_kernelILb1ELi1024El19rocblas_complex_numIfEPKS1_S1_EviiT3_lPKT2_lT1_lS7_lS8_lS4_lPT4_lS8_li.has_recursion, 0
	.set _ZL32rocblas_gemvt_warp_reduce_kernelILb1ELi1024El19rocblas_complex_numIfEPKS1_S1_EviiT3_lPKT2_lT1_lS7_lS8_lS4_lPT4_lS8_li.has_indirect_call, 0
	.section	.AMDGPU.csdata,"",@progbits
; Kernel info:
; codeLenInByte = 1992
; TotalNumSgprs: 54
; NumVgprs: 26
; ScratchSize: 0
; MemoryBound: 0
; FloatMode: 240
; IeeeMode: 1
; LDSByteSize: 256 bytes/workgroup (compile time only)
; SGPRBlocks: 0
; VGPRBlocks: 3
; NumSGPRsForWavesPerEU: 54
; NumVGPRsForWavesPerEU: 26
; Occupancy: 16
; WaveLimiterHint : 0
; COMPUTE_PGM_RSRC2:SCRATCH_EN: 0
; COMPUTE_PGM_RSRC2:USER_SGPR: 2
; COMPUTE_PGM_RSRC2:TRAP_HANDLER: 0
; COMPUTE_PGM_RSRC2:TGID_X_EN: 1
; COMPUTE_PGM_RSRC2:TGID_Y_EN: 0
; COMPUTE_PGM_RSRC2:TGID_Z_EN: 1
; COMPUTE_PGM_RSRC2:TIDIG_COMP_CNT: 0
	.section	.text._ZL32rocblas_gemvt_warp_reduce_kernelILb1ELi1024Ei19rocblas_complex_numIfES1_S1_EviiT3_lPKT2_lT1_lS5_lS6_lS2_lPT4_lS6_li,"axG",@progbits,_ZL32rocblas_gemvt_warp_reduce_kernelILb1ELi1024Ei19rocblas_complex_numIfES1_S1_EviiT3_lPKT2_lT1_lS5_lS6_lS2_lPT4_lS6_li,comdat
	.globl	_ZL32rocblas_gemvt_warp_reduce_kernelILb1ELi1024Ei19rocblas_complex_numIfES1_S1_EviiT3_lPKT2_lT1_lS5_lS6_lS2_lPT4_lS6_li ; -- Begin function _ZL32rocblas_gemvt_warp_reduce_kernelILb1ELi1024Ei19rocblas_complex_numIfES1_S1_EviiT3_lPKT2_lT1_lS5_lS6_lS2_lPT4_lS6_li
	.p2align	8
	.type	_ZL32rocblas_gemvt_warp_reduce_kernelILb1ELi1024Ei19rocblas_complex_numIfES1_S1_EviiT3_lPKT2_lT1_lS5_lS6_lS2_lPT4_lS6_li,@function
_ZL32rocblas_gemvt_warp_reduce_kernelILb1ELi1024Ei19rocblas_complex_numIfES1_S1_EviiT3_lPKT2_lT1_lS5_lS6_lS2_lPT4_lS6_li: ; @_ZL32rocblas_gemvt_warp_reduce_kernelILb1ELi1024Ei19rocblas_complex_numIfES1_S1_EviiT3_lPKT2_lT1_lS5_lS6_lS2_lPT4_lS6_li
; %bb.0:
	s_load_b32 s33, s[0:1], 0x88
	s_lshr_b32 s24, ttmp7, 16
	s_wait_kmcnt 0x0
	s_cmp_ge_u32 s24, s33
	s_cbranch_scc1 .LBB144_31
; %bb.1:
	s_clause 0x8
	s_load_b96 s[20:22], s[0:1], 0x40
	s_load_b128 s[16:19], s[0:1], 0x68
	s_load_b128 s[4:7], s[0:1], 0x18
	s_load_b64 s[26:27], s[0:1], 0x8
	s_load_b128 s[8:11], s[0:1], 0x50
	s_load_b32 s3, s[0:1], 0x28
	s_load_b128 s[12:15], s[0:1], 0x30
	s_load_b32 s23, s[0:1], 0x0
	s_load_b32 s30, s[0:1], 0x78
	v_dual_mov_b32 v1, 0 :: v_dual_and_b32 v2, 31, v0
	v_lshrrev_b32_e32 v3, 2, v0
	v_mbcnt_lo_u32_b32 v16, -1, 0
	s_mov_b32 s25, 0
	s_delay_alu instid0(VALU_DEP_2) | instskip(NEXT) | instid1(VALU_DEP_2)
	v_and_b32_e32 v12, 0xf8, v3
	v_lshl_or_b32 v17, v16, 2, 64
	s_wait_kmcnt 0x0
	s_lshl_b64 s[20:21], s[20:21], 3
	s_lshl_b64 s[18:19], s[18:19], 3
	;; [unrolled: 1-line block ×3, first 2 shown]
	s_cmp_neq_f32 s26, 0
	s_load_b64 s[6:7], s[0:1], 0x80
	v_cmp_gt_i32_e32 vcc_lo, s23, v0
	v_lshlrev_b32_e32 v11, 3, v2
	s_cselect_b32 s2, -1, 0
	s_cmp_neq_f32 s27, 0
	s_mul_i32 s34, s3, ttmp9
	s_add_nc_u64 s[16:17], s[16:17], s[18:19]
	s_add_nc_u64 s[18:19], s[4:5], s[28:29]
	s_cselect_b32 s1, -1, 0
	s_add_nc_u64 s[14:15], s[14:15], s[20:21]
	s_or_b32 s37, s2, s1
	s_cmp_neq_f32 s10, 1.0
	v_cmp_eq_u32_e64 s2, 0, v2
	v_cndmask_b32_e32 v2, 0, v0, vcc_lo
	v_mul_lo_u32 v13, v0, s22
	s_cselect_b32 s38, -1, 0
	s_cmp_neq_f32 s11, 0
	s_mul_i32 s30, s30, ttmp9
	v_lshlrev_b32_e32 v2, 3, v2
	v_cmp_eq_u32_e64 s0, 0, v0
	s_cselect_b32 s39, -1, 0
	s_or_b32 s31, s26, s27
	v_cmp_gt_u32_e64 s1, 32, v0
	s_bitset0_b32 s31, 31
	v_add_co_u32 v3, s18, s18, v2
	s_cmp_eq_u32 s31, 0
	s_wait_alu 0xf1ff
	v_add_co_ci_u32_e64 v4, null, s19, 0, s18
	s_cselect_b32 s36, -1, 0
	s_cmp_neq_f32 s10, 0
	s_cselect_b32 s40, -1, 0
	s_ashr_i32 s3, s23, 31
	s_ashr_i32 s35, s34, 31
	s_lshr_b32 s3, s3, 22
	s_lshl_b64 s[20:21], s[34:35], 3
	s_add_co_i32 s3, s23, s3
	s_add_nc_u64 s[28:29], s[28:29], s[20:21]
	s_and_b32 s18, s3, 0xfffffc00
	v_add_co_u32 v14, vcc_lo, v3, s20
	s_wait_alu 0xfffe
	v_or_b32_e32 v6, s18, v0
	s_wait_alu 0xfffd
	v_add_co_ci_u32_e64 v15, null, s21, v4, vcc_lo
	s_add_nc_u64 s[20:21], s[4:5], s[28:29]
	v_cmp_gt_i32_e64 s3, s18, v0
	v_mul_lo_u32 v5, s22, v6
	s_wait_alu 0xfffe
	v_add_co_u32 v2, s5, s20, v2
	v_cmp_gt_i32_e64 s4, s23, v6
	v_add_co_ci_u32_e64 v4, null, s21, 0, s5
	s_delay_alu instid0(VALU_DEP_3) | instskip(SKIP_2) | instid1(VALU_DEP_3)
	v_add_co_u32 v3, vcc_lo, v2, 4
	v_ashrrev_i32_e32 v6, 31, v5
	s_wait_alu 0xfffd
	v_add_co_ci_u32_e64 v4, null, 0, v4, vcc_lo
	s_ashr_i32 s31, s30, 31
	s_or_b32 s34, s37, s38
	v_lshlrev_b64_e32 v[5:6], 3, v[5:6]
	s_ashr_i32 s19, s18, 31
	s_lshl_b32 s5, s22, 10
	s_or_b32 s37, s34, s39
	s_or_b32 s38, s40, s39
	s_lshl_b64 s[20:21], s[12:13], 3
	s_lshl_b64 s[22:23], s[30:31], 3
	s_wait_alu 0xfffe
	s_lshl_b64 s[28:29], s[18:19], 3
	s_branch .LBB144_5
.LBB144_2:                              ;   in Loop: Header=BB144_5 Depth=1
	global_store_b64 v1, v[8:9], s[30:31]
.LBB144_3:                              ;   in Loop: Header=BB144_5 Depth=1
	s_wait_alu 0xfffe
	s_or_b32 exec_lo, exec_lo, s19
.LBB144_4:                              ;   in Loop: Header=BB144_5 Depth=1
	s_add_co_i32 s24, s24, 0x10000
	s_wait_alu 0xfffe
	s_cmp_lt_u32 s24, s33
	s_cbranch_scc0 .LBB144_31
.LBB144_5:                              ; =>This Loop Header: Depth=1
                                        ;     Child Loop BB144_24 Depth 2
	s_and_not1_b32 vcc_lo, exec_lo, s37
	s_wait_alu 0xfffe
	s_cbranch_vccnz .LBB144_4
; %bb.6:                                ;   in Loop: Header=BB144_5 Depth=1
	s_wait_kmcnt 0x0
	s_mul_u64 s[30:31], s[6:7], s[24:25]
	s_and_not1_b32 vcc_lo, exec_lo, s36
	s_lshl_b64 s[30:31], s[30:31], 3
	s_mov_b32 s19, -1
	s_add_nc_u64 s[30:31], s[16:17], s[30:31]
	s_wait_alu 0xfffe
	s_cbranch_vccnz .LBB144_13
; %bb.7:                                ;   in Loop: Header=BB144_5 Depth=1
	s_and_saveexec_b32 s19, s0
	s_cbranch_execz .LBB144_12
; %bb.8:                                ;   in Loop: Header=BB144_5 Depth=1
	s_and_not1_b32 vcc_lo, exec_lo, s38
	s_add_nc_u64 s[34:35], s[30:31], s[22:23]
	s_wait_alu 0xfffe
	s_cbranch_vccnz .LBB144_10
; %bb.9:                                ;   in Loop: Header=BB144_5 Depth=1
	global_load_b64 v[9:10], v1, s[34:35]
	s_wait_loadcnt 0x0
	v_mul_f32_e32 v2, s11, v10
	s_wait_dscnt 0x0
	v_mul_f32_e32 v8, s10, v10
	s_delay_alu instid0(VALU_DEP_2) | instskip(NEXT) | instid1(VALU_DEP_2)
	v_xor_b32_e32 v7, 0x80000000, v2
	v_fmac_f32_e32 v8, s11, v9
	s_delay_alu instid0(VALU_DEP_2)
	v_fmac_f32_e32 v7, s10, v9
	s_branch .LBB144_11
.LBB144_10:                             ;   in Loop: Header=BB144_5 Depth=1
	s_wait_dscnt 0x0
	v_dual_mov_b32 v7, 0 :: v_dual_mov_b32 v8, 0
.LBB144_11:                             ;   in Loop: Header=BB144_5 Depth=1
	global_store_b64 v1, v[7:8], s[34:35]
.LBB144_12:                             ;   in Loop: Header=BB144_5 Depth=1
	s_wait_alu 0xfffe
	s_or_b32 exec_lo, exec_lo, s19
	s_mov_b32 s19, 0
.LBB144_13:                             ;   in Loop: Header=BB144_5 Depth=1
	s_wait_alu 0xfffe
	s_and_not1_b32 vcc_lo, exec_lo, s19
	s_wait_alu 0xfffe
	s_cbranch_vccnz .LBB144_4
; %bb.14:                               ;   in Loop: Header=BB144_5 Depth=1
	s_mul_u64 s[34:35], s[8:9], s[24:25]
	v_dual_mov_b32 v18, 0 :: v_dual_mov_b32 v19, 0
	s_wait_alu 0xfffe
	s_lshl_b64 s[34:35], s[34:35], 3
	s_wait_alu 0xfffe
	s_add_nc_u64 s[34:35], s[14:15], s[34:35]
	s_and_saveexec_b32 s19, s3
	s_cbranch_execnz .LBB144_23
; %bb.15:                               ;   in Loop: Header=BB144_5 Depth=1
	s_wait_alu 0xfffe
	s_or_b32 exec_lo, exec_lo, s19
	s_and_saveexec_b32 s19, s4
	s_cbranch_execnz .LBB144_26
.LBB144_16:                             ;   in Loop: Header=BB144_5 Depth=1
	s_wait_alu 0xfffe
	s_or_b32 exec_lo, exec_lo, s19
	s_and_saveexec_b32 s19, s1
.LBB144_17:                             ;   in Loop: Header=BB144_5 Depth=1
	v_mov_b32_e32 v2, v1
	ds_store_b64 v11, v[1:2]
.LBB144_18:                             ;   in Loop: Header=BB144_5 Depth=1
	s_wait_alu 0xfffe
	s_or_b32 exec_lo, exec_lo, s19
	s_wait_dscnt 0x0
	ds_bpermute_b32 v7, v17, v19
	ds_bpermute_b32 v8, v17, v18
	v_cmp_gt_u32_e32 vcc_lo, 24, v16
	s_wait_storecnt_dscnt 0x0
	s_barrier_signal -1
	s_barrier_wait -1
	global_inv scope:SCOPE_SE
	s_wait_alu 0xfffd
	v_cndmask_b32_e64 v2, 0, 8, vcc_lo
	v_cmp_gt_u32_e32 vcc_lo, 28, v16
	s_delay_alu instid0(VALU_DEP_2) | instskip(SKIP_3) | instid1(VALU_DEP_2)
	v_add_lshl_u32 v2, v2, v16, 2
	s_wait_alu 0xfffd
	v_cndmask_b32_e64 v9, 0, 4, vcc_lo
	v_cmp_gt_u32_e32 vcc_lo, 30, v16
	v_add_lshl_u32 v9, v9, v16, 2
	v_dual_add_f32 v7, v19, v7 :: v_dual_add_f32 v8, v18, v8
	ds_bpermute_b32 v10, v2, v7
	ds_bpermute_b32 v18, v2, v8
	s_wait_dscnt 0x0
	v_add_f32_e32 v8, v8, v18
	ds_bpermute_b32 v19, v9, v8
	v_add_f32_e32 v7, v7, v10
	s_wait_alu 0xfffd
	v_cndmask_b32_e64 v10, 0, 2, vcc_lo
	v_cmp_ne_u32_e32 vcc_lo, 31, v16
	s_delay_alu instid0(VALU_DEP_2)
	v_add_lshl_u32 v10, v10, v16, 2
	s_wait_dscnt 0x0
	v_add_f32_e32 v8, v8, v19
	ds_bpermute_b32 v18, v9, v7
	ds_bpermute_b32 v20, v10, v8
	s_wait_dscnt 0x1
	v_add_f32_e32 v7, v7, v18
	s_wait_alu 0xfffd
	v_add_co_ci_u32_e64 v18, null, 0, v16, vcc_lo
	s_wait_dscnt 0x0
	v_add_f32_e32 v8, v8, v20
	ds_bpermute_b32 v19, v10, v7
	v_lshlrev_b32_e32 v18, 2, v18
	ds_bpermute_b32 v20, v18, v8
	s_wait_dscnt 0x1
	v_add_f32_e32 v7, v7, v19
	ds_bpermute_b32 v19, v18, v7
	s_and_saveexec_b32 s19, s2
	s_cbranch_execz .LBB144_20
; %bb.19:                               ;   in Loop: Header=BB144_5 Depth=1
	s_wait_dscnt 0x0
	v_dual_add_f32 v8, v8, v20 :: v_dual_add_f32 v7, v7, v19
	ds_store_b64 v12, v[7:8]
.LBB144_20:                             ;   in Loop: Header=BB144_5 Depth=1
	s_wait_alu 0xfffe
	s_or_b32 exec_lo, exec_lo, s19
	v_dual_mov_b32 v8, 0 :: v_dual_mov_b32 v7, 0
	s_wait_loadcnt_dscnt 0x0
	s_barrier_signal -1
	s_barrier_wait -1
	global_inv scope:SCOPE_SE
	s_and_saveexec_b32 s19, s1
	s_cbranch_execnz .LBB144_27
; %bb.21:                               ;   in Loop: Header=BB144_5 Depth=1
	s_wait_alu 0xfffe
	s_or_b32 exec_lo, exec_lo, s19
	s_and_saveexec_b32 s19, s1
	s_cbranch_execnz .LBB144_28
.LBB144_22:                             ;   in Loop: Header=BB144_5 Depth=1
	s_wait_alu 0xfffe
	s_or_b32 exec_lo, exec_lo, s19
	s_and_saveexec_b32 s19, s0
	s_cbranch_execz .LBB144_3
	s_branch .LBB144_29
.LBB144_23:                             ;   in Loop: Header=BB144_5 Depth=1
	s_wait_dscnt 0x0
	v_mad_co_u64_u32 v[7:8], null, s20, s24, v[3:4]
	v_dual_mov_b32 v18, 0 :: v_dual_mov_b32 v19, 0
	s_mov_b32 s39, 0
	s_delay_alu instid0(VALU_DEP_2) | instskip(NEXT) | instid1(VALU_DEP_1)
	v_mov_b32_e32 v2, v8
	v_mad_co_u64_u32 v[8:9], null, s21, s24, v[2:3]
	v_dual_mov_b32 v2, v0 :: v_dual_mov_b32 v9, v13
.LBB144_24:                             ;   Parent Loop BB144_5 Depth=1
                                        ; =>  This Inner Loop Header: Depth=2
	s_delay_alu instid0(VALU_DEP_1) | instskip(NEXT) | instid1(VALU_DEP_1)
	v_ashrrev_i32_e32 v10, 31, v9
	v_lshlrev_b64_e32 v[20:21], 3, v[9:10]
	v_add_nc_u32_e32 v9, s5, v9
	s_wait_alu 0xfffe
	s_delay_alu instid0(VALU_DEP_2) | instskip(SKIP_1) | instid1(VALU_DEP_3)
	v_add_co_u32 v20, vcc_lo, s34, v20
	s_wait_alu 0xfffd
	v_add_co_ci_u32_e64 v21, null, s35, v21, vcc_lo
	global_load_b64 v[22:23], v[7:8], off offset:-4
	global_load_b64 v[20:21], v[20:21], off
	v_add_nc_u32_e32 v2, 0x400, v2
	v_add_co_u32 v7, vcc_lo, 0x2000, v7
	s_wait_alu 0xfffd
	v_add_co_ci_u32_e64 v8, null, 0, v8, vcc_lo
	s_wait_loadcnt 0x0
	v_mul_f32_e32 v10, v23, v21
	v_mul_f32_e32 v23, v23, v20
	v_cmp_le_i32_e32 vcc_lo, s18, v2
	s_delay_alu instid0(VALU_DEP_3) | instskip(NEXT) | instid1(VALU_DEP_3)
	v_fmac_f32_e32 v10, v22, v20
	v_fma_f32 v20, v22, v21, -v23
	s_or_b32 s39, vcc_lo, s39
	s_delay_alu instid0(VALU_DEP_1)
	v_dual_add_f32 v19, v19, v10 :: v_dual_add_f32 v18, v18, v20
	s_and_not1_b32 exec_lo, exec_lo, s39
	s_cbranch_execnz .LBB144_24
; %bb.25:                               ;   in Loop: Header=BB144_5 Depth=1
	s_or_b32 exec_lo, exec_lo, s39
	s_delay_alu instid0(SALU_CYCLE_1)
	s_or_b32 exec_lo, exec_lo, s19
	s_and_saveexec_b32 s19, s4
	s_cbranch_execz .LBB144_16
.LBB144_26:                             ;   in Loop: Header=BB144_5 Depth=1
	s_mul_u64 s[40:41], s[12:13], s[24:25]
	s_wait_alu 0xfffe
	s_lshl_b64 s[40:41], s[40:41], 3
	s_wait_alu 0xfffe
	v_add_co_u32 v2, vcc_lo, v14, s40
	s_wait_alu 0xfffd
	v_add_co_ci_u32_e64 v10, null, s41, v15, vcc_lo
	s_wait_dscnt 0x0
	v_add_co_u32 v7, vcc_lo, s34, v5
	s_wait_alu 0xfffd
	v_add_co_ci_u32_e64 v8, null, s35, v6, vcc_lo
	v_add_co_u32 v9, vcc_lo, v2, s28
	s_wait_alu 0xfffd
	v_add_co_ci_u32_e64 v10, null, s29, v10, vcc_lo
	global_load_b64 v[7:8], v[7:8], off
	global_load_b64 v[9:10], v[9:10], off
	s_wait_loadcnt 0x0
	v_mul_f32_e32 v2, v10, v8
	s_delay_alu instid0(VALU_DEP_1) | instskip(NEXT) | instid1(VALU_DEP_1)
	v_fmac_f32_e32 v2, v9, v7
	v_dual_mul_f32 v10, v10, v7 :: v_dual_add_f32 v19, v19, v2
	s_delay_alu instid0(VALU_DEP_1) | instskip(NEXT) | instid1(VALU_DEP_1)
	v_fma_f32 v7, v9, v8, -v10
	v_add_f32_e32 v18, v18, v7
	s_or_b32 exec_lo, exec_lo, s19
	s_and_saveexec_b32 s19, s1
	s_cbranch_execnz .LBB144_17
	s_branch .LBB144_18
.LBB144_27:                             ;   in Loop: Header=BB144_5 Depth=1
	ds_load_b64 v[7:8], v11
	s_wait_alu 0xfffe
	s_or_b32 exec_lo, exec_lo, s19
	s_and_saveexec_b32 s19, s1
	s_cbranch_execz .LBB144_22
.LBB144_28:                             ;   in Loop: Header=BB144_5 Depth=1
	s_wait_dscnt 0x0
	ds_bpermute_b32 v19, v17, v7
	ds_bpermute_b32 v20, v17, v8
	s_wait_dscnt 0x0
	v_dual_add_f32 v7, v7, v19 :: v_dual_add_f32 v8, v8, v20
	ds_bpermute_b32 v19, v2, v7
	ds_bpermute_b32 v2, v2, v8
	s_wait_dscnt 0x0
	v_dual_add_f32 v7, v7, v19 :: v_dual_add_f32 v2, v8, v2
	;; [unrolled: 4-line block ×5, first 2 shown]
	s_wait_alu 0xfffe
	s_or_b32 exec_lo, exec_lo, s19
	s_and_saveexec_b32 s19, s0
	s_cbranch_execz .LBB144_3
.LBB144_29:                             ;   in Loop: Header=BB144_5 Depth=1
	s_wait_dscnt 0x0
	v_mul_f32_e32 v9, s26, v8
	v_mul_f32_e32 v2, s27, v8
	s_and_not1_b32 vcc_lo, exec_lo, s38
	s_add_nc_u64 s[30:31], s[30:31], s[22:23]
	s_delay_alu instid0(VALU_DEP_2) | instskip(NEXT) | instid1(VALU_DEP_2)
	v_fmac_f32_e32 v9, s27, v7
	v_fma_f32 v8, v7, s26, -v2
	s_wait_alu 0xfffe
	s_cbranch_vccnz .LBB144_2
; %bb.30:                               ;   in Loop: Header=BB144_5 Depth=1
	global_load_b64 v[18:19], v1, s[30:31]
	s_wait_loadcnt 0x0
	v_mul_f32_e32 v7, s10, v19
	s_delay_alu instid0(VALU_DEP_1) | instskip(NEXT) | instid1(VALU_DEP_1)
	v_dual_mul_f32 v2, s11, v19 :: v_dual_fmac_f32 v7, s11, v18
	v_xor_b32_e32 v2, 0x80000000, v2
	s_delay_alu instid0(VALU_DEP_1) | instskip(NEXT) | instid1(VALU_DEP_1)
	v_dual_add_f32 v9, v9, v7 :: v_dual_fmac_f32 v2, s10, v18
	v_add_f32_e32 v8, v8, v2
	s_branch .LBB144_2
.LBB144_31:
	s_endpgm
	.section	.rodata,"a",@progbits
	.p2align	6, 0x0
	.amdhsa_kernel _ZL32rocblas_gemvt_warp_reduce_kernelILb1ELi1024Ei19rocblas_complex_numIfES1_S1_EviiT3_lPKT2_lT1_lS5_lS6_lS2_lPT4_lS6_li
		.amdhsa_group_segment_fixed_size 256
		.amdhsa_private_segment_fixed_size 0
		.amdhsa_kernarg_size 140
		.amdhsa_user_sgpr_count 2
		.amdhsa_user_sgpr_dispatch_ptr 0
		.amdhsa_user_sgpr_queue_ptr 0
		.amdhsa_user_sgpr_kernarg_segment_ptr 1
		.amdhsa_user_sgpr_dispatch_id 0
		.amdhsa_user_sgpr_private_segment_size 0
		.amdhsa_wavefront_size32 1
		.amdhsa_uses_dynamic_stack 0
		.amdhsa_enable_private_segment 0
		.amdhsa_system_sgpr_workgroup_id_x 1
		.amdhsa_system_sgpr_workgroup_id_y 0
		.amdhsa_system_sgpr_workgroup_id_z 1
		.amdhsa_system_sgpr_workgroup_info 0
		.amdhsa_system_vgpr_workitem_id 0
		.amdhsa_next_free_vgpr 24
		.amdhsa_next_free_sgpr 42
		.amdhsa_reserve_vcc 1
		.amdhsa_float_round_mode_32 0
		.amdhsa_float_round_mode_16_64 0
		.amdhsa_float_denorm_mode_32 3
		.amdhsa_float_denorm_mode_16_64 3
		.amdhsa_fp16_overflow 0
		.amdhsa_workgroup_processor_mode 1
		.amdhsa_memory_ordered 1
		.amdhsa_forward_progress 1
		.amdhsa_inst_pref_size 15
		.amdhsa_round_robin_scheduling 0
		.amdhsa_exception_fp_ieee_invalid_op 0
		.amdhsa_exception_fp_denorm_src 0
		.amdhsa_exception_fp_ieee_div_zero 0
		.amdhsa_exception_fp_ieee_overflow 0
		.amdhsa_exception_fp_ieee_underflow 0
		.amdhsa_exception_fp_ieee_inexact 0
		.amdhsa_exception_int_div_zero 0
	.end_amdhsa_kernel
	.section	.text._ZL32rocblas_gemvt_warp_reduce_kernelILb1ELi1024Ei19rocblas_complex_numIfES1_S1_EviiT3_lPKT2_lT1_lS5_lS6_lS2_lPT4_lS6_li,"axG",@progbits,_ZL32rocblas_gemvt_warp_reduce_kernelILb1ELi1024Ei19rocblas_complex_numIfES1_S1_EviiT3_lPKT2_lT1_lS5_lS6_lS2_lPT4_lS6_li,comdat
.Lfunc_end144:
	.size	_ZL32rocblas_gemvt_warp_reduce_kernelILb1ELi1024Ei19rocblas_complex_numIfES1_S1_EviiT3_lPKT2_lT1_lS5_lS6_lS2_lPT4_lS6_li, .Lfunc_end144-_ZL32rocblas_gemvt_warp_reduce_kernelILb1ELi1024Ei19rocblas_complex_numIfES1_S1_EviiT3_lPKT2_lT1_lS5_lS6_lS2_lPT4_lS6_li
                                        ; -- End function
	.set _ZL32rocblas_gemvt_warp_reduce_kernelILb1ELi1024Ei19rocblas_complex_numIfES1_S1_EviiT3_lPKT2_lT1_lS5_lS6_lS2_lPT4_lS6_li.num_vgpr, 24
	.set _ZL32rocblas_gemvt_warp_reduce_kernelILb1ELi1024Ei19rocblas_complex_numIfES1_S1_EviiT3_lPKT2_lT1_lS5_lS6_lS2_lPT4_lS6_li.num_agpr, 0
	.set _ZL32rocblas_gemvt_warp_reduce_kernelILb1ELi1024Ei19rocblas_complex_numIfES1_S1_EviiT3_lPKT2_lT1_lS5_lS6_lS2_lPT4_lS6_li.numbered_sgpr, 42
	.set _ZL32rocblas_gemvt_warp_reduce_kernelILb1ELi1024Ei19rocblas_complex_numIfES1_S1_EviiT3_lPKT2_lT1_lS5_lS6_lS2_lPT4_lS6_li.num_named_barrier, 0
	.set _ZL32rocblas_gemvt_warp_reduce_kernelILb1ELi1024Ei19rocblas_complex_numIfES1_S1_EviiT3_lPKT2_lT1_lS5_lS6_lS2_lPT4_lS6_li.private_seg_size, 0
	.set _ZL32rocblas_gemvt_warp_reduce_kernelILb1ELi1024Ei19rocblas_complex_numIfES1_S1_EviiT3_lPKT2_lT1_lS5_lS6_lS2_lPT4_lS6_li.uses_vcc, 1
	.set _ZL32rocblas_gemvt_warp_reduce_kernelILb1ELi1024Ei19rocblas_complex_numIfES1_S1_EviiT3_lPKT2_lT1_lS5_lS6_lS2_lPT4_lS6_li.uses_flat_scratch, 0
	.set _ZL32rocblas_gemvt_warp_reduce_kernelILb1ELi1024Ei19rocblas_complex_numIfES1_S1_EviiT3_lPKT2_lT1_lS5_lS6_lS2_lPT4_lS6_li.has_dyn_sized_stack, 0
	.set _ZL32rocblas_gemvt_warp_reduce_kernelILb1ELi1024Ei19rocblas_complex_numIfES1_S1_EviiT3_lPKT2_lT1_lS5_lS6_lS2_lPT4_lS6_li.has_recursion, 0
	.set _ZL32rocblas_gemvt_warp_reduce_kernelILb1ELi1024Ei19rocblas_complex_numIfES1_S1_EviiT3_lPKT2_lT1_lS5_lS6_lS2_lPT4_lS6_li.has_indirect_call, 0
	.section	.AMDGPU.csdata,"",@progbits
; Kernel info:
; codeLenInByte = 1848
; TotalNumSgprs: 44
; NumVgprs: 24
; ScratchSize: 0
; MemoryBound: 0
; FloatMode: 240
; IeeeMode: 1
; LDSByteSize: 256 bytes/workgroup (compile time only)
; SGPRBlocks: 0
; VGPRBlocks: 2
; NumSGPRsForWavesPerEU: 44
; NumVGPRsForWavesPerEU: 24
; Occupancy: 16
; WaveLimiterHint : 1
; COMPUTE_PGM_RSRC2:SCRATCH_EN: 0
; COMPUTE_PGM_RSRC2:USER_SGPR: 2
; COMPUTE_PGM_RSRC2:TRAP_HANDLER: 0
; COMPUTE_PGM_RSRC2:TGID_X_EN: 1
; COMPUTE_PGM_RSRC2:TGID_Y_EN: 0
; COMPUTE_PGM_RSRC2:TGID_Z_EN: 1
; COMPUTE_PGM_RSRC2:TIDIG_COMP_CNT: 0
	.section	.text._ZL32rocblas_gemvt_warp_reduce_kernelILb1ELi1024El19rocblas_complex_numIfES1_S1_EviiT3_lPKT2_lT1_lS5_lS6_lS2_lPT4_lS6_li,"axG",@progbits,_ZL32rocblas_gemvt_warp_reduce_kernelILb1ELi1024El19rocblas_complex_numIfES1_S1_EviiT3_lPKT2_lT1_lS5_lS6_lS2_lPT4_lS6_li,comdat
	.globl	_ZL32rocblas_gemvt_warp_reduce_kernelILb1ELi1024El19rocblas_complex_numIfES1_S1_EviiT3_lPKT2_lT1_lS5_lS6_lS2_lPT4_lS6_li ; -- Begin function _ZL32rocblas_gemvt_warp_reduce_kernelILb1ELi1024El19rocblas_complex_numIfES1_S1_EviiT3_lPKT2_lT1_lS5_lS6_lS2_lPT4_lS6_li
	.p2align	8
	.type	_ZL32rocblas_gemvt_warp_reduce_kernelILb1ELi1024El19rocblas_complex_numIfES1_S1_EviiT3_lPKT2_lT1_lS5_lS6_lS2_lPT4_lS6_li,@function
_ZL32rocblas_gemvt_warp_reduce_kernelILb1ELi1024El19rocblas_complex_numIfES1_S1_EviiT3_lPKT2_lT1_lS5_lS6_lS2_lPT4_lS6_li: ; @_ZL32rocblas_gemvt_warp_reduce_kernelILb1ELi1024El19rocblas_complex_numIfES1_S1_EviiT3_lPKT2_lT1_lS5_lS6_lS2_lPT4_lS6_li
; %bb.0:
	s_load_b32 s33, s[0:1], 0x88
	s_lshr_b32 s6, ttmp7, 16
	s_wait_kmcnt 0x0
	s_cmp_ge_u32 s6, s33
	s_cbranch_scc1 .LBB145_31
; %bb.1:
	s_clause 0x4
	s_load_b512 s[8:23], s[0:1], 0x18
	s_load_b256 s[24:31], s[0:1], 0x68
	s_load_b64 s[34:35], s[0:1], 0x8
	s_load_b64 s[36:37], s[0:1], 0x58
	s_load_b32 s39, s[0:1], 0x0
	v_lshrrev_b32_e32 v5, 2, v0
	v_dual_mov_b32 v1, 0 :: v_dual_and_b32 v4, 31, v0
	s_mov_b32 s4, ttmp9
	v_mbcnt_lo_u32_b32 v17, -1, 0
	v_cmp_eq_u32_e64 s0, 0, v0
	v_cmp_gt_u32_e64 s1, 32, v0
	v_lshlrev_b32_e32 v13, 3, v4
	s_mov_b32 s7, 0
	v_lshl_or_b32 v18, v17, 2, 64
	s_wait_kmcnt 0x0
	s_lshl_b64 s[18:19], s[18:19], 3
	s_lshl_b64 s[40:41], s[26:27], 3
	;; [unrolled: 1-line block ×3, first 2 shown]
	s_cmp_neq_f32 s34, 0
	v_cmp_gt_i32_e32 vcc_lo, s39, v0
	v_mad_co_u64_u32 v[2:3], null, s20, v0, 0
	s_cselect_b32 s2, -1, 0
	s_cmp_neq_f32 s35, 0
	v_dual_cndmask_b32 v5, 0, v0 :: v_dual_and_b32 v14, 0xf8, v5
	s_add_nc_u64 s[10:11], s[16:17], s[18:19]
	s_cselect_b32 s3, -1, 0
	s_add_nc_u64 s[16:17], s[24:25], s[40:41]
	s_or_b32 s42, s2, s3
	s_cmp_neq_f32 s36, 1.0
	v_lshlrev_b32_e32 v5, 3, v5
	v_cmp_eq_u32_e64 s2, 0, v4
	v_mad_co_u64_u32 v[3:4], null, s21, v0, v[3:4]
	s_cselect_b32 s43, -1, 0
	s_cmp_neq_f32 s37, 0
	s_add_nc_u64 s[18:19], s[8:9], s[26:27]
	s_delay_alu instid0(SALU_CYCLE_1)
	v_add_co_u32 v4, s5, s18, v5
	s_cselect_b32 s44, -1, 0
	s_or_b32 s3, s34, s35
	v_add_co_ci_u32_e64 v6, null, s19, 0, s5
	s_bitset0_b32 s3, 31
	v_lshlrev_b64_e32 v[2:3], 3, v[2:3]
	s_cmp_eq_u32 s3, 0
	s_cselect_b32 s38, -1, 0
	s_cmp_neq_f32 s36, 0
	s_cselect_b32 s40, -1, 0
	s_ashr_i32 s3, s39, 31
	s_ashr_i32 s5, ttmp9, 31
	s_lshr_b32 s3, s3, 22
	s_wait_alu 0xfffe
	s_mul_u64 s[12:13], s[12:13], s[4:5]
	s_add_co_i32 s3, s39, s3
	s_lshl_b64 s[12:13], s[12:13], 3
	s_and_b32 s18, s3, 0xfffffc00
	v_add_co_u32 v15, vcc_lo, v4, s12
	s_wait_alu 0xfffe
	v_or_b32_e32 v9, s18, v0
	s_wait_alu 0xfffd
	v_add_co_ci_u32_e64 v16, null, s13, v6, vcc_lo
	v_add_co_u32 v2, vcc_lo, s10, v2
	s_delay_alu instid0(VALU_DEP_3)
	v_mul_lo_u32 v10, s21, v9
	v_mad_co_u64_u32 v[7:8], null, s20, v9, 0
	s_add_nc_u64 s[26:27], s[12:13], s[26:27]
	s_ashr_i32 s19, s18, 31
	s_add_nc_u64 s[8:9], s[8:9], s[26:27]
	s_mul_u64 s[24:25], s[28:29], s[4:5]
	s_wait_alu 0xfffe
	s_mul_i32 s5, s20, s19
	s_wait_alu 0xfffd
	v_add_co_ci_u32_e64 v4, null, s11, v3, vcc_lo
	v_add_co_u32 v3, vcc_lo, v2, 4
	v_add_co_u32 v2, s8, s8, v5
	s_wait_alu 0xfffe
	v_add3_u32 v8, v8, s5, v10
	s_wait_alu 0xf1ff
	v_add_co_ci_u32_e64 v6, null, s9, 0, s8
	s_wait_alu 0xfffd
	v_add_co_ci_u32_e64 v4, null, 0, v4, vcc_lo
	v_add_co_u32 v5, vcc_lo, v2, 4
	v_lshlrev_b64_e32 v[7:8], 3, v[7:8]
	v_cmp_gt_i32_e64 s3, s18, v0
	v_cmp_gt_i32_e64 s4, s39, v9
	s_wait_alu 0xfffd
	v_add_co_ci_u32_e64 v6, null, 0, v6, vcc_lo
	s_or_b32 s5, s42, s43
	s_lshl_b64 s[12:13], s[22:23], 3
	s_lshl_b64 s[8:9], s[20:21], 13
	s_wait_alu 0xfffe
	s_or_b32 s39, s5, s44
	s_or_b32 s40, s40, s44
	s_lshl_b64 s[20:21], s[14:15], 3
	s_lshl_b64 s[24:25], s[24:25], 3
	;; [unrolled: 1-line block ×3, first 2 shown]
	s_branch .LBB145_5
.LBB145_2:                              ;   in Loop: Header=BB145_5 Depth=1
	global_store_b64 v1, v[10:11], s[28:29]
.LBB145_3:                              ;   in Loop: Header=BB145_5 Depth=1
	s_wait_alu 0xfffe
	s_or_b32 exec_lo, exec_lo, s5
.LBB145_4:                              ;   in Loop: Header=BB145_5 Depth=1
	s_add_co_i32 s6, s6, 0x10000
	s_wait_alu 0xfffe
	s_cmp_lt_u32 s6, s33
	s_cbranch_scc0 .LBB145_31
.LBB145_5:                              ; =>This Loop Header: Depth=1
                                        ;     Child Loop BB145_24 Depth 2
	s_wait_alu 0xfffe
	s_and_not1_b32 vcc_lo, exec_lo, s39
	s_wait_alu 0xfffe
	s_cbranch_vccnz .LBB145_4
; %bb.6:                                ;   in Loop: Header=BB145_5 Depth=1
	s_mul_u64 s[28:29], s[30:31], s[6:7]
	s_and_not1_b32 vcc_lo, exec_lo, s38
	s_lshl_b64 s[28:29], s[28:29], 3
	s_mov_b32 s5, -1
	s_add_nc_u64 s[28:29], s[16:17], s[28:29]
	s_wait_alu 0xfffe
	s_cbranch_vccnz .LBB145_13
; %bb.7:                                ;   in Loop: Header=BB145_5 Depth=1
	s_and_saveexec_b32 s5, s0
	s_cbranch_execz .LBB145_12
; %bb.8:                                ;   in Loop: Header=BB145_5 Depth=1
	s_and_not1_b32 vcc_lo, exec_lo, s40
	s_wait_alu 0xfffe
	s_cbranch_vccnz .LBB145_10
; %bb.9:                                ;   in Loop: Header=BB145_5 Depth=1
	s_add_nc_u64 s[42:43], s[28:29], s[24:25]
	global_load_b64 v[11:12], v1, s[42:43]
	s_wait_loadcnt 0x0
	v_mul_f32_e32 v2, s37, v12
	s_wait_dscnt 0x0
	v_mul_f32_e32 v10, s36, v12
	s_delay_alu instid0(VALU_DEP_2) | instskip(NEXT) | instid1(VALU_DEP_2)
	v_xor_b32_e32 v9, 0x80000000, v2
	v_fmac_f32_e32 v10, s37, v11
	s_delay_alu instid0(VALU_DEP_2)
	v_fmac_f32_e32 v9, s36, v11
	s_branch .LBB145_11
.LBB145_10:                             ;   in Loop: Header=BB145_5 Depth=1
	s_wait_dscnt 0x0
	v_dual_mov_b32 v9, 0 :: v_dual_mov_b32 v10, 0
.LBB145_11:                             ;   in Loop: Header=BB145_5 Depth=1
	s_add_nc_u64 s[42:43], s[28:29], s[24:25]
	global_store_b64 v1, v[9:10], s[42:43]
.LBB145_12:                             ;   in Loop: Header=BB145_5 Depth=1
	s_wait_alu 0xfffe
	s_or_b32 exec_lo, exec_lo, s5
	s_mov_b32 s5, 0
.LBB145_13:                             ;   in Loop: Header=BB145_5 Depth=1
	s_wait_alu 0xfffe
	s_and_not1_b32 vcc_lo, exec_lo, s5
	s_wait_alu 0xfffe
	s_cbranch_vccnz .LBB145_4
; %bb.14:                               ;   in Loop: Header=BB145_5 Depth=1
	v_dual_mov_b32 v19, 0 :: v_dual_mov_b32 v20, 0
	s_and_saveexec_b32 s19, s3
	s_cbranch_execnz .LBB145_23
; %bb.15:                               ;   in Loop: Header=BB145_5 Depth=1
	s_wait_alu 0xfffe
	s_or_b32 exec_lo, exec_lo, s19
	s_and_saveexec_b32 s5, s4
	s_cbranch_execnz .LBB145_26
.LBB145_16:                             ;   in Loop: Header=BB145_5 Depth=1
	s_wait_alu 0xfffe
	s_or_b32 exec_lo, exec_lo, s5
	s_and_saveexec_b32 s5, s1
.LBB145_17:                             ;   in Loop: Header=BB145_5 Depth=1
	v_mov_b32_e32 v2, v1
	ds_store_b64 v13, v[1:2]
.LBB145_18:                             ;   in Loop: Header=BB145_5 Depth=1
	s_wait_alu 0xfffe
	s_or_b32 exec_lo, exec_lo, s5
	s_wait_dscnt 0x0
	ds_bpermute_b32 v9, v18, v20
	ds_bpermute_b32 v10, v18, v19
	v_cmp_gt_u32_e32 vcc_lo, 24, v17
	s_wait_storecnt_dscnt 0x0
	s_barrier_signal -1
	s_barrier_wait -1
	global_inv scope:SCOPE_SE
	s_wait_alu 0xfffd
	v_cndmask_b32_e64 v2, 0, 8, vcc_lo
	v_cmp_gt_u32_e32 vcc_lo, 28, v17
	s_delay_alu instid0(VALU_DEP_2) | instskip(SKIP_3) | instid1(VALU_DEP_2)
	v_add_lshl_u32 v2, v2, v17, 2
	s_wait_alu 0xfffd
	v_cndmask_b32_e64 v11, 0, 4, vcc_lo
	v_cmp_gt_u32_e32 vcc_lo, 30, v17
	v_add_lshl_u32 v11, v11, v17, 2
	v_dual_add_f32 v9, v20, v9 :: v_dual_add_f32 v10, v19, v10
	ds_bpermute_b32 v12, v2, v9
	ds_bpermute_b32 v19, v2, v10
	s_wait_dscnt 0x0
	v_dual_add_f32 v9, v9, v12 :: v_dual_add_f32 v10, v10, v19
	s_wait_alu 0xfffd
	v_cndmask_b32_e64 v12, 0, 2, vcc_lo
	v_cmp_ne_u32_e32 vcc_lo, 31, v17
	ds_bpermute_b32 v19, v11, v9
	ds_bpermute_b32 v20, v11, v10
	v_add_lshl_u32 v12, v12, v17, 2
	s_wait_dscnt 0x0
	v_dual_add_f32 v9, v9, v19 :: v_dual_add_f32 v10, v10, v20
	s_wait_alu 0xfffd
	v_add_co_ci_u32_e64 v19, null, 0, v17, vcc_lo
	ds_bpermute_b32 v20, v12, v9
	ds_bpermute_b32 v21, v12, v10
	v_lshlrev_b32_e32 v19, 2, v19
	s_wait_dscnt 0x0
	v_dual_add_f32 v9, v9, v20 :: v_dual_add_f32 v10, v10, v21
	ds_bpermute_b32 v20, v19, v9
	ds_bpermute_b32 v21, v19, v10
	s_and_saveexec_b32 s5, s2
	s_cbranch_execz .LBB145_20
; %bb.19:                               ;   in Loop: Header=BB145_5 Depth=1
	s_wait_dscnt 0x0
	v_dual_add_f32 v10, v10, v21 :: v_dual_add_f32 v9, v9, v20
	ds_store_b64 v14, v[9:10]
.LBB145_20:                             ;   in Loop: Header=BB145_5 Depth=1
	s_wait_alu 0xfffe
	s_or_b32 exec_lo, exec_lo, s5
	v_dual_mov_b32 v10, 0 :: v_dual_mov_b32 v9, 0
	s_wait_loadcnt_dscnt 0x0
	s_barrier_signal -1
	s_barrier_wait -1
	global_inv scope:SCOPE_SE
	s_and_saveexec_b32 s5, s1
	s_cbranch_execnz .LBB145_27
; %bb.21:                               ;   in Loop: Header=BB145_5 Depth=1
	s_wait_alu 0xfffe
	s_or_b32 exec_lo, exec_lo, s5
	s_and_saveexec_b32 s5, s1
	s_cbranch_execnz .LBB145_28
.LBB145_22:                             ;   in Loop: Header=BB145_5 Depth=1
	s_wait_alu 0xfffe
	s_or_b32 exec_lo, exec_lo, s5
	s_and_saveexec_b32 s5, s0
	s_cbranch_execz .LBB145_3
	s_branch .LBB145_29
.LBB145_23:                             ;   in Loop: Header=BB145_5 Depth=1
	s_wait_dscnt 0x0
	v_mad_co_u64_u32 v[9:10], null, s12, s6, v[3:4]
	v_mad_co_u64_u32 v[11:12], null, s20, s6, v[5:6]
	s_mov_b32 s41, 0
	v_dual_mov_b32 v19, 0 :: v_dual_mov_b32 v2, v10
	v_mov_b32_e32 v10, v12
	s_delay_alu instid0(VALU_DEP_2) | instskip(NEXT) | instid1(VALU_DEP_2)
	v_mad_co_u64_u32 v[20:21], null, s13, s6, v[2:3]
	v_mad_co_u64_u32 v[21:22], null, s21, s6, v[10:11]
	v_mov_b32_e32 v2, v0
	s_delay_alu instid0(VALU_DEP_3) | instskip(SKIP_1) | instid1(VALU_DEP_4)
	v_mov_b32_e32 v10, v20
	v_mov_b32_e32 v20, 0
	v_mov_b32_e32 v12, v21
.LBB145_24:                             ;   Parent Loop BB145_5 Depth=1
                                        ; =>  This Inner Loop Header: Depth=2
	global_load_b64 v[21:22], v[11:12], off offset:-4
	global_load_b64 v[23:24], v[9:10], off offset:-4
	v_add_nc_u32_e32 v2, 0x400, v2
	v_add_co_u32 v9, vcc_lo, v9, s8
	s_wait_alu 0xfffd
	v_add_co_ci_u32_e64 v10, null, s9, v10, vcc_lo
	v_add_co_u32 v11, vcc_lo, 0x2000, v11
	s_wait_alu 0xfffd
	v_add_co_ci_u32_e64 v12, null, 0, v12, vcc_lo
	s_wait_loadcnt 0x0
	v_mul_f32_e32 v25, v22, v24
	v_mul_f32_e32 v22, v22, v23
	v_cmp_le_i32_e64 s5, s18, v2
	s_delay_alu instid0(VALU_DEP_3) | instskip(NEXT) | instid1(VALU_DEP_3)
	v_fmac_f32_e32 v25, v21, v23
	v_fma_f32 v21, v21, v24, -v22
	s_or_b32 s41, s5, s41
	s_delay_alu instid0(VALU_DEP_2) | instskip(NEXT) | instid1(VALU_DEP_2)
	v_add_f32_e32 v20, v20, v25
	v_add_f32_e32 v19, v19, v21
	s_and_not1_b32 exec_lo, exec_lo, s41
	s_cbranch_execnz .LBB145_24
; %bb.25:                               ;   in Loop: Header=BB145_5 Depth=1
	s_or_b32 exec_lo, exec_lo, s41
	s_wait_alu 0xfffe
	s_or_b32 exec_lo, exec_lo, s19
	s_and_saveexec_b32 s5, s4
	s_cbranch_execz .LBB145_16
.LBB145_26:                             ;   in Loop: Header=BB145_5 Depth=1
	s_mul_u64 s[42:43], s[14:15], s[6:7]
	s_mul_u64 s[44:45], s[22:23], s[6:7]
	s_wait_alu 0xfffe
	s_lshl_b64 s[42:43], s[42:43], 3
	s_lshl_b64 s[44:45], s[44:45], 3
	s_wait_alu 0xfffe
	v_add_co_u32 v2, vcc_lo, v15, s42
	s_wait_alu 0xfffd
	v_add_co_ci_u32_e64 v12, null, s43, v16, vcc_lo
	s_add_nc_u64 s[42:43], s[10:11], s[44:45]
	s_wait_dscnt 0x0
	s_wait_alu 0xfffe
	v_add_co_u32 v9, vcc_lo, s42, v7
	s_wait_alu 0xfffd
	v_add_co_ci_u32_e64 v10, null, s43, v8, vcc_lo
	v_add_co_u32 v11, vcc_lo, v2, s26
	s_wait_alu 0xfffd
	v_add_co_ci_u32_e64 v12, null, s27, v12, vcc_lo
	global_load_b64 v[9:10], v[9:10], off
	global_load_b64 v[11:12], v[11:12], off
	s_wait_loadcnt 0x0
	v_mul_f32_e32 v2, v12, v10
	v_mul_f32_e32 v12, v12, v9
	s_delay_alu instid0(VALU_DEP_2) | instskip(NEXT) | instid1(VALU_DEP_2)
	v_fmac_f32_e32 v2, v11, v9
	v_fma_f32 v9, v11, v10, -v12
	s_delay_alu instid0(VALU_DEP_1)
	v_dual_add_f32 v20, v20, v2 :: v_dual_add_f32 v19, v19, v9
	s_or_b32 exec_lo, exec_lo, s5
	s_and_saveexec_b32 s5, s1
	s_cbranch_execnz .LBB145_17
	s_branch .LBB145_18
.LBB145_27:                             ;   in Loop: Header=BB145_5 Depth=1
	ds_load_b64 v[9:10], v13
	s_wait_alu 0xfffe
	s_or_b32 exec_lo, exec_lo, s5
	s_and_saveexec_b32 s5, s1
	s_cbranch_execz .LBB145_22
.LBB145_28:                             ;   in Loop: Header=BB145_5 Depth=1
	s_wait_dscnt 0x0
	ds_bpermute_b32 v20, v18, v9
	ds_bpermute_b32 v21, v18, v10
	s_wait_dscnt 0x0
	v_dual_add_f32 v9, v9, v20 :: v_dual_add_f32 v10, v10, v21
	ds_bpermute_b32 v20, v2, v9
	ds_bpermute_b32 v2, v2, v10
	s_wait_dscnt 0x0
	v_dual_add_f32 v9, v9, v20 :: v_dual_add_f32 v2, v10, v2
	;; [unrolled: 4-line block ×5, first 2 shown]
	s_wait_alu 0xfffe
	s_or_b32 exec_lo, exec_lo, s5
	s_and_saveexec_b32 s5, s0
	s_cbranch_execz .LBB145_3
.LBB145_29:                             ;   in Loop: Header=BB145_5 Depth=1
	s_wait_dscnt 0x0
	v_mul_f32_e32 v11, s34, v10
	v_mul_f32_e32 v2, s35, v10
	s_and_not1_b32 vcc_lo, exec_lo, s40
	s_add_nc_u64 s[28:29], s[28:29], s[24:25]
	s_delay_alu instid0(VALU_DEP_2) | instskip(NEXT) | instid1(VALU_DEP_2)
	v_fmac_f32_e32 v11, s35, v9
	v_fma_f32 v10, v9, s34, -v2
	s_wait_alu 0xfffe
	s_cbranch_vccnz .LBB145_2
; %bb.30:                               ;   in Loop: Header=BB145_5 Depth=1
	global_load_b64 v[19:20], v1, s[28:29]
	s_wait_loadcnt 0x0
	v_mul_f32_e32 v9, s36, v20
	s_delay_alu instid0(VALU_DEP_1) | instskip(NEXT) | instid1(VALU_DEP_1)
	v_dual_mul_f32 v2, s37, v20 :: v_dual_fmac_f32 v9, s37, v19
	v_xor_b32_e32 v2, 0x80000000, v2
	s_delay_alu instid0(VALU_DEP_1) | instskip(NEXT) | instid1(VALU_DEP_1)
	v_dual_add_f32 v11, v11, v9 :: v_dual_fmac_f32 v2, s36, v19
	v_add_f32_e32 v10, v10, v2
	s_branch .LBB145_2
.LBB145_31:
	s_endpgm
	.section	.rodata,"a",@progbits
	.p2align	6, 0x0
	.amdhsa_kernel _ZL32rocblas_gemvt_warp_reduce_kernelILb1ELi1024El19rocblas_complex_numIfES1_S1_EviiT3_lPKT2_lT1_lS5_lS6_lS2_lPT4_lS6_li
		.amdhsa_group_segment_fixed_size 256
		.amdhsa_private_segment_fixed_size 0
		.amdhsa_kernarg_size 140
		.amdhsa_user_sgpr_count 2
		.amdhsa_user_sgpr_dispatch_ptr 0
		.amdhsa_user_sgpr_queue_ptr 0
		.amdhsa_user_sgpr_kernarg_segment_ptr 1
		.amdhsa_user_sgpr_dispatch_id 0
		.amdhsa_user_sgpr_private_segment_size 0
		.amdhsa_wavefront_size32 1
		.amdhsa_uses_dynamic_stack 0
		.amdhsa_enable_private_segment 0
		.amdhsa_system_sgpr_workgroup_id_x 1
		.amdhsa_system_sgpr_workgroup_id_y 0
		.amdhsa_system_sgpr_workgroup_id_z 1
		.amdhsa_system_sgpr_workgroup_info 0
		.amdhsa_system_vgpr_workitem_id 0
		.amdhsa_next_free_vgpr 26
		.amdhsa_next_free_sgpr 46
		.amdhsa_reserve_vcc 1
		.amdhsa_float_round_mode_32 0
		.amdhsa_float_round_mode_16_64 0
		.amdhsa_float_denorm_mode_32 3
		.amdhsa_float_denorm_mode_16_64 3
		.amdhsa_fp16_overflow 0
		.amdhsa_workgroup_processor_mode 1
		.amdhsa_memory_ordered 1
		.amdhsa_forward_progress 1
		.amdhsa_inst_pref_size 15
		.amdhsa_round_robin_scheduling 0
		.amdhsa_exception_fp_ieee_invalid_op 0
		.amdhsa_exception_fp_denorm_src 0
		.amdhsa_exception_fp_ieee_div_zero 0
		.amdhsa_exception_fp_ieee_overflow 0
		.amdhsa_exception_fp_ieee_underflow 0
		.amdhsa_exception_fp_ieee_inexact 0
		.amdhsa_exception_int_div_zero 0
	.end_amdhsa_kernel
	.section	.text._ZL32rocblas_gemvt_warp_reduce_kernelILb1ELi1024El19rocblas_complex_numIfES1_S1_EviiT3_lPKT2_lT1_lS5_lS6_lS2_lPT4_lS6_li,"axG",@progbits,_ZL32rocblas_gemvt_warp_reduce_kernelILb1ELi1024El19rocblas_complex_numIfES1_S1_EviiT3_lPKT2_lT1_lS5_lS6_lS2_lPT4_lS6_li,comdat
.Lfunc_end145:
	.size	_ZL32rocblas_gemvt_warp_reduce_kernelILb1ELi1024El19rocblas_complex_numIfES1_S1_EviiT3_lPKT2_lT1_lS5_lS6_lS2_lPT4_lS6_li, .Lfunc_end145-_ZL32rocblas_gemvt_warp_reduce_kernelILb1ELi1024El19rocblas_complex_numIfES1_S1_EviiT3_lPKT2_lT1_lS5_lS6_lS2_lPT4_lS6_li
                                        ; -- End function
	.set _ZL32rocblas_gemvt_warp_reduce_kernelILb1ELi1024El19rocblas_complex_numIfES1_S1_EviiT3_lPKT2_lT1_lS5_lS6_lS2_lPT4_lS6_li.num_vgpr, 26
	.set _ZL32rocblas_gemvt_warp_reduce_kernelILb1ELi1024El19rocblas_complex_numIfES1_S1_EviiT3_lPKT2_lT1_lS5_lS6_lS2_lPT4_lS6_li.num_agpr, 0
	.set _ZL32rocblas_gemvt_warp_reduce_kernelILb1ELi1024El19rocblas_complex_numIfES1_S1_EviiT3_lPKT2_lT1_lS5_lS6_lS2_lPT4_lS6_li.numbered_sgpr, 46
	.set _ZL32rocblas_gemvt_warp_reduce_kernelILb1ELi1024El19rocblas_complex_numIfES1_S1_EviiT3_lPKT2_lT1_lS5_lS6_lS2_lPT4_lS6_li.num_named_barrier, 0
	.set _ZL32rocblas_gemvt_warp_reduce_kernelILb1ELi1024El19rocblas_complex_numIfES1_S1_EviiT3_lPKT2_lT1_lS5_lS6_lS2_lPT4_lS6_li.private_seg_size, 0
	.set _ZL32rocblas_gemvt_warp_reduce_kernelILb1ELi1024El19rocblas_complex_numIfES1_S1_EviiT3_lPKT2_lT1_lS5_lS6_lS2_lPT4_lS6_li.uses_vcc, 1
	.set _ZL32rocblas_gemvt_warp_reduce_kernelILb1ELi1024El19rocblas_complex_numIfES1_S1_EviiT3_lPKT2_lT1_lS5_lS6_lS2_lPT4_lS6_li.uses_flat_scratch, 0
	.set _ZL32rocblas_gemvt_warp_reduce_kernelILb1ELi1024El19rocblas_complex_numIfES1_S1_EviiT3_lPKT2_lT1_lS5_lS6_lS2_lPT4_lS6_li.has_dyn_sized_stack, 0
	.set _ZL32rocblas_gemvt_warp_reduce_kernelILb1ELi1024El19rocblas_complex_numIfES1_S1_EviiT3_lPKT2_lT1_lS5_lS6_lS2_lPT4_lS6_li.has_recursion, 0
	.set _ZL32rocblas_gemvt_warp_reduce_kernelILb1ELi1024El19rocblas_complex_numIfES1_S1_EviiT3_lPKT2_lT1_lS5_lS6_lS2_lPT4_lS6_li.has_indirect_call, 0
	.section	.AMDGPU.csdata,"",@progbits
; Kernel info:
; codeLenInByte = 1884
; TotalNumSgprs: 48
; NumVgprs: 26
; ScratchSize: 0
; MemoryBound: 0
; FloatMode: 240
; IeeeMode: 1
; LDSByteSize: 256 bytes/workgroup (compile time only)
; SGPRBlocks: 0
; VGPRBlocks: 3
; NumSGPRsForWavesPerEU: 48
; NumVGPRsForWavesPerEU: 26
; Occupancy: 16
; WaveLimiterHint : 1
; COMPUTE_PGM_RSRC2:SCRATCH_EN: 0
; COMPUTE_PGM_RSRC2:USER_SGPR: 2
; COMPUTE_PGM_RSRC2:TRAP_HANDLER: 0
; COMPUTE_PGM_RSRC2:TGID_X_EN: 1
; COMPUTE_PGM_RSRC2:TGID_Y_EN: 0
; COMPUTE_PGM_RSRC2:TGID_Z_EN: 1
; COMPUTE_PGM_RSRC2:TIDIG_COMP_CNT: 0
	.section	.text._ZL34rocblas_gemvn_sm_mn_batched_kernelILi32ELi24E19rocblas_complex_numIdEPKS1_S1_EviiT2_lPKT1_lilS7_lilS4_lPT3_lili,"axG",@progbits,_ZL34rocblas_gemvn_sm_mn_batched_kernelILi32ELi24E19rocblas_complex_numIdEPKS1_S1_EviiT2_lPKT1_lilS7_lilS4_lPT3_lili,comdat
	.globl	_ZL34rocblas_gemvn_sm_mn_batched_kernelILi32ELi24E19rocblas_complex_numIdEPKS1_S1_EviiT2_lPKT1_lilS7_lilS4_lPT3_lili ; -- Begin function _ZL34rocblas_gemvn_sm_mn_batched_kernelILi32ELi24E19rocblas_complex_numIdEPKS1_S1_EviiT2_lPKT1_lilS7_lilS4_lPT3_lili
	.p2align	8
	.type	_ZL34rocblas_gemvn_sm_mn_batched_kernelILi32ELi24E19rocblas_complex_numIdEPKS1_S1_EviiT2_lPKT1_lilS7_lilS4_lPT3_lili,@function
_ZL34rocblas_gemvn_sm_mn_batched_kernelILi32ELi24E19rocblas_complex_numIdEPKS1_S1_EviiT2_lPKT1_lilS7_lilS4_lPT3_lili: ; @_ZL34rocblas_gemvn_sm_mn_batched_kernelILi32ELi24E19rocblas_complex_numIdEPKS1_S1_EviiT2_lPKT1_lilS7_lilS4_lPT3_lili
; %bb.0:
	s_endpgm
	.section	.rodata,"a",@progbits
	.p2align	6, 0x0
	.amdhsa_kernel _ZL34rocblas_gemvn_sm_mn_batched_kernelILi32ELi24E19rocblas_complex_numIdEPKS1_S1_EviiT2_lPKT1_lilS7_lilS4_lPT3_lili
		.amdhsa_group_segment_fixed_size 0
		.amdhsa_private_segment_fixed_size 0
		.amdhsa_kernarg_size 140
		.amdhsa_user_sgpr_count 2
		.amdhsa_user_sgpr_dispatch_ptr 0
		.amdhsa_user_sgpr_queue_ptr 0
		.amdhsa_user_sgpr_kernarg_segment_ptr 1
		.amdhsa_user_sgpr_dispatch_id 0
		.amdhsa_user_sgpr_private_segment_size 0
		.amdhsa_wavefront_size32 1
		.amdhsa_uses_dynamic_stack 0
		.amdhsa_enable_private_segment 0
		.amdhsa_system_sgpr_workgroup_id_x 1
		.amdhsa_system_sgpr_workgroup_id_y 0
		.amdhsa_system_sgpr_workgroup_id_z 0
		.amdhsa_system_sgpr_workgroup_info 0
		.amdhsa_system_vgpr_workitem_id 0
		.amdhsa_next_free_vgpr 1
		.amdhsa_next_free_sgpr 1
		.amdhsa_reserve_vcc 0
		.amdhsa_float_round_mode_32 0
		.amdhsa_float_round_mode_16_64 0
		.amdhsa_float_denorm_mode_32 3
		.amdhsa_float_denorm_mode_16_64 3
		.amdhsa_fp16_overflow 0
		.amdhsa_workgroup_processor_mode 1
		.amdhsa_memory_ordered 1
		.amdhsa_forward_progress 1
		.amdhsa_inst_pref_size 1
		.amdhsa_round_robin_scheduling 0
		.amdhsa_exception_fp_ieee_invalid_op 0
		.amdhsa_exception_fp_denorm_src 0
		.amdhsa_exception_fp_ieee_div_zero 0
		.amdhsa_exception_fp_ieee_overflow 0
		.amdhsa_exception_fp_ieee_underflow 0
		.amdhsa_exception_fp_ieee_inexact 0
		.amdhsa_exception_int_div_zero 0
	.end_amdhsa_kernel
	.section	.text._ZL34rocblas_gemvn_sm_mn_batched_kernelILi32ELi24E19rocblas_complex_numIdEPKS1_S1_EviiT2_lPKT1_lilS7_lilS4_lPT3_lili,"axG",@progbits,_ZL34rocblas_gemvn_sm_mn_batched_kernelILi32ELi24E19rocblas_complex_numIdEPKS1_S1_EviiT2_lPKT1_lilS7_lilS4_lPT3_lili,comdat
.Lfunc_end146:
	.size	_ZL34rocblas_gemvn_sm_mn_batched_kernelILi32ELi24E19rocblas_complex_numIdEPKS1_S1_EviiT2_lPKT1_lilS7_lilS4_lPT3_lili, .Lfunc_end146-_ZL34rocblas_gemvn_sm_mn_batched_kernelILi32ELi24E19rocblas_complex_numIdEPKS1_S1_EviiT2_lPKT1_lilS7_lilS4_lPT3_lili
                                        ; -- End function
	.set _ZL34rocblas_gemvn_sm_mn_batched_kernelILi32ELi24E19rocblas_complex_numIdEPKS1_S1_EviiT2_lPKT1_lilS7_lilS4_lPT3_lili.num_vgpr, 0
	.set _ZL34rocblas_gemvn_sm_mn_batched_kernelILi32ELi24E19rocblas_complex_numIdEPKS1_S1_EviiT2_lPKT1_lilS7_lilS4_lPT3_lili.num_agpr, 0
	.set _ZL34rocblas_gemvn_sm_mn_batched_kernelILi32ELi24E19rocblas_complex_numIdEPKS1_S1_EviiT2_lPKT1_lilS7_lilS4_lPT3_lili.numbered_sgpr, 0
	.set _ZL34rocblas_gemvn_sm_mn_batched_kernelILi32ELi24E19rocblas_complex_numIdEPKS1_S1_EviiT2_lPKT1_lilS7_lilS4_lPT3_lili.num_named_barrier, 0
	.set _ZL34rocblas_gemvn_sm_mn_batched_kernelILi32ELi24E19rocblas_complex_numIdEPKS1_S1_EviiT2_lPKT1_lilS7_lilS4_lPT3_lili.private_seg_size, 0
	.set _ZL34rocblas_gemvn_sm_mn_batched_kernelILi32ELi24E19rocblas_complex_numIdEPKS1_S1_EviiT2_lPKT1_lilS7_lilS4_lPT3_lili.uses_vcc, 0
	.set _ZL34rocblas_gemvn_sm_mn_batched_kernelILi32ELi24E19rocblas_complex_numIdEPKS1_S1_EviiT2_lPKT1_lilS7_lilS4_lPT3_lili.uses_flat_scratch, 0
	.set _ZL34rocblas_gemvn_sm_mn_batched_kernelILi32ELi24E19rocblas_complex_numIdEPKS1_S1_EviiT2_lPKT1_lilS7_lilS4_lPT3_lili.has_dyn_sized_stack, 0
	.set _ZL34rocblas_gemvn_sm_mn_batched_kernelILi32ELi24E19rocblas_complex_numIdEPKS1_S1_EviiT2_lPKT1_lilS7_lilS4_lPT3_lili.has_recursion, 0
	.set _ZL34rocblas_gemvn_sm_mn_batched_kernelILi32ELi24E19rocblas_complex_numIdEPKS1_S1_EviiT2_lPKT1_lilS7_lilS4_lPT3_lili.has_indirect_call, 0
	.section	.AMDGPU.csdata,"",@progbits
; Kernel info:
; codeLenInByte = 4
; TotalNumSgprs: 0
; NumVgprs: 0
; ScratchSize: 0
; MemoryBound: 0
; FloatMode: 240
; IeeeMode: 1
; LDSByteSize: 0 bytes/workgroup (compile time only)
; SGPRBlocks: 0
; VGPRBlocks: 0
; NumSGPRsForWavesPerEU: 1
; NumVGPRsForWavesPerEU: 1
; Occupancy: 16
; WaveLimiterHint : 0
; COMPUTE_PGM_RSRC2:SCRATCH_EN: 0
; COMPUTE_PGM_RSRC2:USER_SGPR: 2
; COMPUTE_PGM_RSRC2:TRAP_HANDLER: 0
; COMPUTE_PGM_RSRC2:TGID_X_EN: 1
; COMPUTE_PGM_RSRC2:TGID_Y_EN: 0
; COMPUTE_PGM_RSRC2:TGID_Z_EN: 0
; COMPUTE_PGM_RSRC2:TIDIG_COMP_CNT: 0
	.section	.text._ZL34rocblas_gemvn_sm_mn_batched_kernelILi32ELi24E19rocblas_complex_numIdES1_S1_EviiT2_lPKT1_lilS5_lilS2_lPT3_lili,"axG",@progbits,_ZL34rocblas_gemvn_sm_mn_batched_kernelILi32ELi24E19rocblas_complex_numIdES1_S1_EviiT2_lPKT1_lilS5_lilS2_lPT3_lili,comdat
	.globl	_ZL34rocblas_gemvn_sm_mn_batched_kernelILi32ELi24E19rocblas_complex_numIdES1_S1_EviiT2_lPKT1_lilS5_lilS2_lPT3_lili ; -- Begin function _ZL34rocblas_gemvn_sm_mn_batched_kernelILi32ELi24E19rocblas_complex_numIdES1_S1_EviiT2_lPKT1_lilS5_lilS2_lPT3_lili
	.p2align	8
	.type	_ZL34rocblas_gemvn_sm_mn_batched_kernelILi32ELi24E19rocblas_complex_numIdES1_S1_EviiT2_lPKT1_lilS5_lilS2_lPT3_lili,@function
_ZL34rocblas_gemvn_sm_mn_batched_kernelILi32ELi24E19rocblas_complex_numIdES1_S1_EviiT2_lPKT1_lilS5_lilS2_lPT3_lili: ; @_ZL34rocblas_gemvn_sm_mn_batched_kernelILi32ELi24E19rocblas_complex_numIdES1_S1_EviiT2_lPKT1_lilS5_lilS2_lPT3_lili
; %bb.0:
	s_endpgm
	.section	.rodata,"a",@progbits
	.p2align	6, 0x0
	.amdhsa_kernel _ZL34rocblas_gemvn_sm_mn_batched_kernelILi32ELi24E19rocblas_complex_numIdES1_S1_EviiT2_lPKT1_lilS5_lilS2_lPT3_lili
		.amdhsa_group_segment_fixed_size 0
		.amdhsa_private_segment_fixed_size 0
		.amdhsa_kernarg_size 156
		.amdhsa_user_sgpr_count 2
		.amdhsa_user_sgpr_dispatch_ptr 0
		.amdhsa_user_sgpr_queue_ptr 0
		.amdhsa_user_sgpr_kernarg_segment_ptr 1
		.amdhsa_user_sgpr_dispatch_id 0
		.amdhsa_user_sgpr_private_segment_size 0
		.amdhsa_wavefront_size32 1
		.amdhsa_uses_dynamic_stack 0
		.amdhsa_enable_private_segment 0
		.amdhsa_system_sgpr_workgroup_id_x 1
		.amdhsa_system_sgpr_workgroup_id_y 0
		.amdhsa_system_sgpr_workgroup_id_z 0
		.amdhsa_system_sgpr_workgroup_info 0
		.amdhsa_system_vgpr_workitem_id 0
		.amdhsa_next_free_vgpr 1
		.amdhsa_next_free_sgpr 1
		.amdhsa_reserve_vcc 0
		.amdhsa_float_round_mode_32 0
		.amdhsa_float_round_mode_16_64 0
		.amdhsa_float_denorm_mode_32 3
		.amdhsa_float_denorm_mode_16_64 3
		.amdhsa_fp16_overflow 0
		.amdhsa_workgroup_processor_mode 1
		.amdhsa_memory_ordered 1
		.amdhsa_forward_progress 1
		.amdhsa_inst_pref_size 1
		.amdhsa_round_robin_scheduling 0
		.amdhsa_exception_fp_ieee_invalid_op 0
		.amdhsa_exception_fp_denorm_src 0
		.amdhsa_exception_fp_ieee_div_zero 0
		.amdhsa_exception_fp_ieee_overflow 0
		.amdhsa_exception_fp_ieee_underflow 0
		.amdhsa_exception_fp_ieee_inexact 0
		.amdhsa_exception_int_div_zero 0
	.end_amdhsa_kernel
	.section	.text._ZL34rocblas_gemvn_sm_mn_batched_kernelILi32ELi24E19rocblas_complex_numIdES1_S1_EviiT2_lPKT1_lilS5_lilS2_lPT3_lili,"axG",@progbits,_ZL34rocblas_gemvn_sm_mn_batched_kernelILi32ELi24E19rocblas_complex_numIdES1_S1_EviiT2_lPKT1_lilS5_lilS2_lPT3_lili,comdat
.Lfunc_end147:
	.size	_ZL34rocblas_gemvn_sm_mn_batched_kernelILi32ELi24E19rocblas_complex_numIdES1_S1_EviiT2_lPKT1_lilS5_lilS2_lPT3_lili, .Lfunc_end147-_ZL34rocblas_gemvn_sm_mn_batched_kernelILi32ELi24E19rocblas_complex_numIdES1_S1_EviiT2_lPKT1_lilS5_lilS2_lPT3_lili
                                        ; -- End function
	.set _ZL34rocblas_gemvn_sm_mn_batched_kernelILi32ELi24E19rocblas_complex_numIdES1_S1_EviiT2_lPKT1_lilS5_lilS2_lPT3_lili.num_vgpr, 0
	.set _ZL34rocblas_gemvn_sm_mn_batched_kernelILi32ELi24E19rocblas_complex_numIdES1_S1_EviiT2_lPKT1_lilS5_lilS2_lPT3_lili.num_agpr, 0
	.set _ZL34rocblas_gemvn_sm_mn_batched_kernelILi32ELi24E19rocblas_complex_numIdES1_S1_EviiT2_lPKT1_lilS5_lilS2_lPT3_lili.numbered_sgpr, 0
	.set _ZL34rocblas_gemvn_sm_mn_batched_kernelILi32ELi24E19rocblas_complex_numIdES1_S1_EviiT2_lPKT1_lilS5_lilS2_lPT3_lili.num_named_barrier, 0
	.set _ZL34rocblas_gemvn_sm_mn_batched_kernelILi32ELi24E19rocblas_complex_numIdES1_S1_EviiT2_lPKT1_lilS5_lilS2_lPT3_lili.private_seg_size, 0
	.set _ZL34rocblas_gemvn_sm_mn_batched_kernelILi32ELi24E19rocblas_complex_numIdES1_S1_EviiT2_lPKT1_lilS5_lilS2_lPT3_lili.uses_vcc, 0
	.set _ZL34rocblas_gemvn_sm_mn_batched_kernelILi32ELi24E19rocblas_complex_numIdES1_S1_EviiT2_lPKT1_lilS5_lilS2_lPT3_lili.uses_flat_scratch, 0
	.set _ZL34rocblas_gemvn_sm_mn_batched_kernelILi32ELi24E19rocblas_complex_numIdES1_S1_EviiT2_lPKT1_lilS5_lilS2_lPT3_lili.has_dyn_sized_stack, 0
	.set _ZL34rocblas_gemvn_sm_mn_batched_kernelILi32ELi24E19rocblas_complex_numIdES1_S1_EviiT2_lPKT1_lilS5_lilS2_lPT3_lili.has_recursion, 0
	.set _ZL34rocblas_gemvn_sm_mn_batched_kernelILi32ELi24E19rocblas_complex_numIdES1_S1_EviiT2_lPKT1_lilS5_lilS2_lPT3_lili.has_indirect_call, 0
	.section	.AMDGPU.csdata,"",@progbits
; Kernel info:
; codeLenInByte = 4
; TotalNumSgprs: 0
; NumVgprs: 0
; ScratchSize: 0
; MemoryBound: 0
; FloatMode: 240
; IeeeMode: 1
; LDSByteSize: 0 bytes/workgroup (compile time only)
; SGPRBlocks: 0
; VGPRBlocks: 0
; NumSGPRsForWavesPerEU: 1
; NumVGPRsForWavesPerEU: 1
; Occupancy: 16
; WaveLimiterHint : 0
; COMPUTE_PGM_RSRC2:SCRATCH_EN: 0
; COMPUTE_PGM_RSRC2:USER_SGPR: 2
; COMPUTE_PGM_RSRC2:TRAP_HANDLER: 0
; COMPUTE_PGM_RSRC2:TGID_X_EN: 1
; COMPUTE_PGM_RSRC2:TGID_Y_EN: 0
; COMPUTE_PGM_RSRC2:TGID_Z_EN: 0
; COMPUTE_PGM_RSRC2:TIDIG_COMP_CNT: 0
	.section	.text._ZL20rocblas_gemvn_kernelILi64ELi4Ei19rocblas_complex_numIdEPKS1_S1_EviiT3_lPKT2_lT1_lS7_lS8_lS4_lPT4_lS8_li,"axG",@progbits,_ZL20rocblas_gemvn_kernelILi64ELi4Ei19rocblas_complex_numIdEPKS1_S1_EviiT3_lPKT2_lT1_lS7_lS8_lS4_lPT4_lS8_li,comdat
	.globl	_ZL20rocblas_gemvn_kernelILi64ELi4Ei19rocblas_complex_numIdEPKS1_S1_EviiT3_lPKT2_lT1_lS7_lS8_lS4_lPT4_lS8_li ; -- Begin function _ZL20rocblas_gemvn_kernelILi64ELi4Ei19rocblas_complex_numIdEPKS1_S1_EviiT3_lPKT2_lT1_lS7_lS8_lS4_lPT4_lS8_li
	.p2align	8
	.type	_ZL20rocblas_gemvn_kernelILi64ELi4Ei19rocblas_complex_numIdEPKS1_S1_EviiT3_lPKT2_lT1_lS7_lS8_lS4_lPT4_lS8_li,@function
_ZL20rocblas_gemvn_kernelILi64ELi4Ei19rocblas_complex_numIdEPKS1_S1_EviiT3_lPKT2_lT1_lS7_lS8_lS4_lPT4_lS8_li: ; @_ZL20rocblas_gemvn_kernelILi64ELi4Ei19rocblas_complex_numIdEPKS1_S1_EviiT3_lPKT2_lT1_lS7_lS8_lS4_lPT4_lS8_li
; %bb.0:
	s_load_b64 s[2:3], s[0:1], 0x9c
	s_wait_kmcnt 0x0
	s_lshr_b32 s4, s2, 16
	s_and_b32 s2, s2, 0xffff
	s_and_b32 s3, s3, 0xffff
	s_mul_i32 s4, s4, s2
	s_delay_alu instid0(SALU_CYCLE_1) | instskip(NEXT) | instid1(SALU_CYCLE_1)
	s_mul_i32 s4, s4, s3
	s_cmp_lg_u32 s4, 0x100
	s_cbranch_scc1 .LBB148_36
; %bb.1:
	s_load_b32 s7, s[0:1], 0x88
	s_lshr_b32 s34, ttmp7, 16
	s_wait_kmcnt 0x0
	s_cmp_ge_u32 s34, s7
	s_cbranch_scc1 .LBB148_36
; %bb.2:
	s_clause 0x2
	s_load_b256 s[8:15], s[0:1], 0x8
	s_load_b96 s[4:6], s[0:1], 0x40
	s_load_b96 s[28:30], s[0:1], 0x70
	v_dual_mov_b32 v16, 0 :: v_dual_and_b32 v1, 0x3ff, v0
	v_bfe_u32 v0, v0, 10, 10
	s_lshl_b32 s33, ttmp9, 6
	s_clause 0x4
	s_load_b64 s[36:37], s[0:1], 0x0
	s_load_b32 s31, s[0:1], 0x28
	s_load_b128 s[24:27], s[0:1], 0x30
	s_load_b256 s[16:23], s[0:1], 0x50
	s_load_b64 s[38:39], s[0:1], 0x80
	s_mov_b32 s35, 0
	v_mad_u32_u24 v2, v0, s2, v1
	s_delay_alu instid0(VALU_DEP_1)
	v_add_nc_u32_e32 v15, s33, v2
	v_lshrrev_b32_e32 v23, 6, v2
	v_or_b32_e32 v4, s33, v2
	v_lshlrev_b32_e32 v25, 4, v2
	s_wait_kmcnt 0x0
	s_lshl_b64 s[2:3], s[14:15], 4
	s_lshl_b64 s[4:5], s[4:5], 4
	v_mad_co_u64_u32 v[17:18], null, v15, s30, 0
	v_and_b32_e32 v3, 63, v2
	s_ashr_i32 s1, s30, 31
	s_wait_alu 0xfffe
	s_add_nc_u64 s[12:13], s[12:13], s[2:3]
	s_ashr_i32 s14, s37, 31
	v_mul_lo_u32 v19, v4, s30
	s_lshr_b32 s2, s14, 30
	v_mov_b32_e32 v0, v18
	v_or_b32_e32 v24, s33, v3
	s_ashr_i32 s41, s36, 31
	s_mov_b32 s40, s36
	s_lshl_b64 s[28:29], s[28:29], 4
	v_mad_co_u64_u32 v[0:1], null, v15, s1, v[0:1]
	s_wait_alu 0xfffe
	s_add_co_i32 s1, s37, s2
	v_mul_lo_u32 v26, s6, v23
	s_wait_alu 0xfffe
	s_and_b32 s30, s1, -4
	v_cmp_gt_i32_e64 s0, s36, v24
	s_wait_alu 0xfffe
	s_sub_co_i32 s2, s37, s30
	v_cmp_gt_i32_e64 s1, s30, v23
	v_mov_b32_e32 v18, v0
	v_mul_lo_u32 v0, s31, v23
	v_cmp_gt_i64_e32 vcc_lo, s[40:41], v[15:16]
	s_wait_alu 0xfffe
	s_cmp_gt_i32 s2, 0
	v_cmp_gt_u32_e64 s2, 64, v2
	v_lshlrev_b64_e32 v[21:22], 4, v[17:18]
	v_cmp_gt_i32_e64 s3, s36, v4
	v_ashrrev_i32_e32 v20, 31, v19
	s_add_nc_u64 s[14:15], s[26:27], s[4:5]
	v_add3_u32 v27, v0, s33, v3
	s_add_nc_u64 s[22:23], s[22:23], s[28:29]
	s_cselect_b32 s33, -1, 0
	s_and_b32 s36, s2, vcc_lo
	s_lshl_b32 s40, s6, 2
	s_lshl_b32 s41, s31, 2
	s_branch .LBB148_5
.LBB148_3:                              ;   in Loop: Header=BB148_5 Depth=1
	s_wait_alu 0xfffe
	s_or_b32 exec_lo, exec_lo, s4
.LBB148_4:                              ;   in Loop: Header=BB148_5 Depth=1
	s_add_co_i32 s34, s34, 0x10000
	s_delay_alu instid0(SALU_CYCLE_1)
	s_cmp_lt_u32 s34, s7
	s_cbranch_scc0 .LBB148_36
.LBB148_5:                              ; =>This Loop Header: Depth=1
                                        ;     Child Loop BB148_17 Depth 2
	s_mul_u64 s[4:5], s[10:11], s[34:35]
	s_wait_alu 0xfffe
	s_lshl_b64 s[4:5], s[4:5], 4
	s_wait_alu 0xfffe
	s_add_nc_u64 s[4:5], s[8:9], s[4:5]
	global_load_b128 v[4:7], v16, s[4:5]
	s_mul_u64 s[4:5], s[20:21], s[34:35]
	s_wait_alu 0xfffe
	s_lshl_b64 s[4:5], s[4:5], 4
	s_wait_alu 0xfffe
	s_add_nc_u64 s[4:5], s[18:19], s[4:5]
	s_wait_loadcnt 0x1
	global_load_b128 v[0:3], v16, s[4:5]
	s_wait_loadcnt 0x1
	v_cmp_neq_f64_e32 vcc_lo, 0, v[4:5]
	v_cmp_neq_f64_e64 s4, 0, v[6:7]
	s_wait_alu 0xfffe
	s_or_b32 s5, vcc_lo, s4
	s_mov_b32 s4, -1
	s_wait_alu 0xfffe
	s_and_b32 vcc_lo, exec_lo, s5
	s_wait_alu 0xfffe
	s_cbranch_vccz .LBB148_7
; %bb.6:                                ;   in Loop: Header=BB148_5 Depth=1
	s_and_not1_b32 vcc_lo, exec_lo, s4
	s_wait_alu 0xfffe
	s_cbranch_vccnz .LBB148_4
	s_branch .LBB148_8
.LBB148_7:                              ;   in Loop: Header=BB148_5 Depth=1
	s_wait_loadcnt 0x0
	v_cmp_neq_f64_e32 vcc_lo, 1.0, v[0:1]
	v_cmp_neq_f64_e64 s4, 0, v[2:3]
	s_or_b32 s4, vcc_lo, s4
	s_wait_alu 0xfffe
	s_and_not1_b32 vcc_lo, exec_lo, s4
	s_wait_alu 0xfffe
	s_cbranch_vccnz .LBB148_4
.LBB148_8:                              ;   in Loop: Header=BB148_5 Depth=1
	s_xor_b32 s26, s5, -1
	s_mul_u64 s[4:5], s[38:39], s[34:35]
	s_wait_alu 0xfffe
	s_and_not1_b32 vcc_lo, exec_lo, s26
	s_lshl_b64 s[4:5], s[4:5], 4
	s_wait_alu 0xfffe
	s_add_nc_u64 s[26:27], s[22:23], s[4:5]
	s_cbranch_vccnz .LBB148_13
; %bb.9:                                ;   in Loop: Header=BB148_5 Depth=1
	s_mov_b32 s5, 0
	s_mov_b32 s42, 0
                                        ; implicit-def: $vgpr10_vgpr11
	s_and_saveexec_b32 s28, s36
	s_cbranch_execz .LBB148_19
; %bb.10:                               ;   in Loop: Header=BB148_5 Depth=1
	s_wait_loadcnt 0x0
	v_cmp_neq_f64_e32 vcc_lo, 0, v[0:1]
	v_cmp_neq_f64_e64 s4, 0, v[2:3]
	v_mov_b32_e32 v10, 0
	v_dual_mov_b32 v11, 0 :: v_dual_mov_b32 v8, 0
	v_mov_b32_e32 v9, 0
	s_or_b32 s4, vcc_lo, s4
	s_wait_alu 0xfffe
	s_and_not1_b32 vcc_lo, exec_lo, s4
	s_wait_alu 0xfffe
	s_cbranch_vccnz .LBB148_12
; %bb.11:                               ;   in Loop: Header=BB148_5 Depth=1
	v_add_co_u32 v8, vcc_lo, s26, v21
	s_wait_alu 0xfffd
	v_add_co_ci_u32_e64 v9, null, s27, v22, vcc_lo
	global_load_b128 v[10:13], v[8:9], off
	s_wait_loadcnt 0x0
	v_mul_f64_e32 v[8:9], v[2:3], v[12:13]
	v_mul_f64_e32 v[12:13], v[0:1], v[12:13]
	s_delay_alu instid0(VALU_DEP_2) | instskip(NEXT) | instid1(VALU_DEP_2)
	v_fma_f64 v[8:9], v[0:1], v[10:11], -v[8:9]
	v_fma_f64 v[10:11], v[2:3], v[10:11], v[12:13]
.LBB148_12:                             ;   in Loop: Header=BB148_5 Depth=1
	s_mov_b32 s42, exec_lo
	s_or_b32 exec_lo, exec_lo, s28
	s_delay_alu instid0(SALU_CYCLE_1)
	s_and_b32 vcc_lo, exec_lo, s5
	s_wait_alu 0xfffe
	s_cbranch_vccnz .LBB148_14
	s_branch .LBB148_20
.LBB148_13:                             ;   in Loop: Header=BB148_5 Depth=1
	s_mov_b32 s42, 0
                                        ; implicit-def: $vgpr10_vgpr11
	s_cbranch_execz .LBB148_20
.LBB148_14:                             ;   in Loop: Header=BB148_5 Depth=1
	v_mov_b32_e32 v10, 0
	s_mul_u64 s[4:5], s[24:25], s[34:35]
	s_mul_u64 s[28:29], s[16:17], s[34:35]
	v_dual_mov_b32 v11, 0 :: v_dual_mov_b32 v8, 0
	v_dual_mov_b32 v9, 0 :: v_dual_mov_b32 v28, v23
	s_wait_alu 0xfffe
	s_lshl_b64 s[4:5], s[4:5], 4
	s_lshl_b64 s[44:45], s[28:29], 4
	s_wait_alu 0xfffe
	s_add_nc_u64 s[28:29], s[12:13], s[4:5]
	s_add_nc_u64 s[4:5], s[14:15], s[44:45]
	s_and_saveexec_b32 s43, s1
	s_cbranch_execz .LBB148_22
; %bb.15:                               ;   in Loop: Header=BB148_5 Depth=1
	v_mov_b32_e32 v10, 0
	v_dual_mov_b32 v11, 0 :: v_dual_mov_b32 v12, v27
	s_delay_alu instid0(VALU_DEP_2) | instskip(SKIP_1) | instid1(VALU_DEP_3)
	v_mov_b32_e32 v8, v10
	v_mov_b32_e32 v14, v26
	v_dual_mov_b32 v28, v23 :: v_dual_mov_b32 v9, v11
	s_mov_b32 s44, 0
	s_branch .LBB148_17
.LBB148_16:                             ;   in Loop: Header=BB148_17 Depth=2
	s_or_b32 exec_lo, exec_lo, s45
	v_add_nc_u32_e32 v28, 4, v28
	s_wait_alu 0xfffe
	v_add_nc_u32_e32 v14, s40, v14
	v_add_nc_u32_e32 v12, s41, v12
	s_delay_alu instid0(VALU_DEP_3) | instskip(SKIP_1) | instid1(SALU_CYCLE_1)
	v_cmp_le_i32_e32 vcc_lo, s30, v28
	s_or_b32 s44, vcc_lo, s44
	s_and_not1_b32 exec_lo, exec_lo, s44
	s_cbranch_execz .LBB148_21
.LBB148_17:                             ;   Parent Loop BB148_5 Depth=1
                                        ; =>  This Inner Loop Header: Depth=2
	s_and_saveexec_b32 s45, s0
	s_cbranch_execz .LBB148_16
; %bb.18:                               ;   in Loop: Header=BB148_17 Depth=2
	v_ashrrev_i32_e32 v15, 31, v14
	v_ashrrev_i32_e32 v13, 31, v12
	s_delay_alu instid0(VALU_DEP_2) | instskip(NEXT) | instid1(VALU_DEP_2)
	v_lshlrev_b64_e32 v[29:30], 4, v[14:15]
	v_lshlrev_b64_e32 v[31:32], 4, v[12:13]
	s_wait_alu 0xfffe
	s_delay_alu instid0(VALU_DEP_2) | instskip(SKIP_1) | instid1(VALU_DEP_3)
	v_add_co_u32 v29, vcc_lo, s4, v29
	s_wait_alu 0xfffd
	v_add_co_ci_u32_e64 v30, null, s5, v30, vcc_lo
	s_delay_alu instid0(VALU_DEP_3)
	v_add_co_u32 v33, vcc_lo, s28, v31
	s_wait_alu 0xfffd
	v_add_co_ci_u32_e64 v34, null, s29, v32, vcc_lo
	global_load_b128 v[29:32], v[29:30], off
	global_load_b128 v[33:36], v[33:34], off
	s_wait_loadcnt 0x0
	v_mul_f64_e32 v[37:38], v[31:32], v[35:36]
	v_mul_f64_e32 v[35:36], v[29:30], v[35:36]
	s_delay_alu instid0(VALU_DEP_2) | instskip(NEXT) | instid1(VALU_DEP_2)
	v_fma_f64 v[29:30], v[29:30], v[33:34], -v[37:38]
	v_fma_f64 v[31:32], v[31:32], v[33:34], v[35:36]
	s_delay_alu instid0(VALU_DEP_2) | instskip(NEXT) | instid1(VALU_DEP_2)
	v_add_f64_e32 v[8:9], v[8:9], v[29:30]
	v_add_f64_e32 v[10:11], v[10:11], v[31:32]
	s_branch .LBB148_16
.LBB148_19:                             ;   in Loop: Header=BB148_5 Depth=1
	s_wait_alu 0xfffe
	s_or_b32 exec_lo, exec_lo, s28
	s_delay_alu instid0(SALU_CYCLE_1)
	s_and_b32 vcc_lo, exec_lo, s5
	s_wait_alu 0xfffe
	s_cbranch_vccnz .LBB148_14
.LBB148_20:                             ;   in Loop: Header=BB148_5 Depth=1
	s_wait_loadcnt 0x0
	v_dual_mov_b32 v0, v17 :: v_dual_mov_b32 v1, v18
	s_and_saveexec_b32 s4, s42
	s_cbranch_execz .LBB148_3
	s_branch .LBB148_35
.LBB148_21:                             ;   in Loop: Header=BB148_5 Depth=1
	s_or_b32 exec_lo, exec_lo, s44
.LBB148_22:                             ;   in Loop: Header=BB148_5 Depth=1
	s_delay_alu instid0(SALU_CYCLE_1)
	s_or_b32 exec_lo, exec_lo, s43
	s_wait_alu 0xfffe
	s_and_not1_b32 vcc_lo, exec_lo, s33
	s_wait_alu 0xfffe
	s_cbranch_vccnz .LBB148_28
; %bb.23:                               ;   in Loop: Header=BB148_5 Depth=1
	v_mov_b32_e32 v12, 0
	v_dual_mov_b32 v13, 0 :: v_dual_mov_b32 v14, 0
	v_mov_b32_e32 v15, 0
	v_cmp_gt_i32_e32 vcc_lo, s37, v28
	s_and_saveexec_b32 s43, vcc_lo
	s_cbranch_execz .LBB148_25
; %bb.24:                               ;   in Loop: Header=BB148_5 Depth=1
	v_mul_lo_u32 v12, v28, s6
	s_delay_alu instid0(VALU_DEP_1) | instskip(NEXT) | instid1(VALU_DEP_1)
	v_ashrrev_i32_e32 v13, 31, v12
	v_lshlrev_b64_e32 v[12:13], 4, v[12:13]
	s_delay_alu instid0(VALU_DEP_1) | instskip(SKIP_1) | instid1(VALU_DEP_2)
	v_add_co_u32 v12, s4, s4, v12
	s_wait_alu 0xf1ff
	v_add_co_ci_u32_e64 v13, null, s5, v13, s4
	global_load_b128 v[12:15], v[12:13], off
.LBB148_25:                             ;   in Loop: Header=BB148_5 Depth=1
	s_or_b32 exec_lo, exec_lo, s43
	s_and_saveexec_b32 s4, s0
	s_cbranch_execz .LBB148_27
; %bb.26:                               ;   in Loop: Header=BB148_5 Depth=1
	v_mul_lo_u32 v28, v28, s31
	s_delay_alu instid0(VALU_DEP_1) | instskip(NEXT) | instid1(VALU_DEP_1)
	v_cndmask_b32_e32 v28, 0, v28, vcc_lo
	v_add_nc_u32_e32 v28, v28, v24
	s_delay_alu instid0(VALU_DEP_1) | instskip(NEXT) | instid1(VALU_DEP_1)
	v_ashrrev_i32_e32 v29, 31, v28
	v_lshlrev_b64_e32 v[28:29], 4, v[28:29]
	s_delay_alu instid0(VALU_DEP_1) | instskip(SKIP_1) | instid1(VALU_DEP_2)
	v_add_co_u32 v28, vcc_lo, s28, v28
	s_wait_alu 0xfffd
	v_add_co_ci_u32_e64 v29, null, s29, v29, vcc_lo
	global_load_b128 v[28:31], v[28:29], off
	s_wait_loadcnt 0x0
	v_mul_f64_e32 v[32:33], v[14:15], v[30:31]
	v_mul_f64_e32 v[30:31], v[12:13], v[30:31]
	s_delay_alu instid0(VALU_DEP_2) | instskip(NEXT) | instid1(VALU_DEP_2)
	v_fma_f64 v[12:13], v[12:13], v[28:29], -v[32:33]
	v_fma_f64 v[14:15], v[14:15], v[28:29], v[30:31]
	s_delay_alu instid0(VALU_DEP_2) | instskip(NEXT) | instid1(VALU_DEP_2)
	v_add_f64_e32 v[8:9], v[8:9], v[12:13]
	v_add_f64_e32 v[10:11], v[10:11], v[14:15]
.LBB148_27:                             ;   in Loop: Header=BB148_5 Depth=1
	s_wait_alu 0xfffe
	s_or_b32 exec_lo, exec_lo, s4
.LBB148_28:                             ;   in Loop: Header=BB148_5 Depth=1
	ds_store_b128 v25, v[8:11]
	s_wait_loadcnt_dscnt 0x0
	s_barrier_signal -1
	s_barrier_wait -1
	global_inv scope:SCOPE_SE
                                        ; implicit-def: $vgpr10_vgpr11
	s_and_saveexec_b32 s5, s2
	s_cbranch_execz .LBB148_34
; %bb.29:                               ;   in Loop: Header=BB148_5 Depth=1
	ds_load_b128 v[8:11], v25
	ds_load_b128 v[12:15], v25 offset:1024
	s_mov_b32 s4, s42
	s_wait_dscnt 0x0
	v_add_f64_e32 v[28:29], v[8:9], v[12:13]
	v_add_f64_e32 v[30:31], v[10:11], v[14:15]
	ds_load_b128 v[8:11], v25 offset:2048
	ds_load_b128 v[12:15], v25 offset:3072
	s_wait_dscnt 0x1
	v_add_f64_e32 v[8:9], v[28:29], v[8:9]
	v_add_f64_e32 v[10:11], v[30:31], v[10:11]
	s_wait_dscnt 0x0
	s_delay_alu instid0(VALU_DEP_2) | instskip(NEXT) | instid1(VALU_DEP_2)
	v_add_f64_e32 v[12:13], v[8:9], v[12:13]
	v_add_f64_e32 v[14:15], v[10:11], v[14:15]
                                        ; implicit-def: $vgpr10_vgpr11
	ds_store_b128 v25, v[12:15]
	s_and_saveexec_b32 s28, s3
	s_cbranch_execz .LBB148_33
; %bb.30:                               ;   in Loop: Header=BB148_5 Depth=1
	v_mul_f64_e32 v[8:9], v[6:7], v[14:15]
	v_mul_f64_e32 v[10:11], v[4:5], v[14:15]
	v_cmp_neq_f64_e32 vcc_lo, 0, v[0:1]
	v_cmp_neq_f64_e64 s4, 0, v[2:3]
	s_delay_alu instid0(VALU_DEP_4) | instskip(NEXT) | instid1(VALU_DEP_4)
	v_fma_f64 v[8:9], v[4:5], v[12:13], -v[8:9]
	v_fma_f64 v[10:11], v[6:7], v[12:13], v[10:11]
	s_wait_alu 0xfffe
	s_or_b32 s4, vcc_lo, s4
	s_wait_alu 0xfffe
	s_and_not1_b32 vcc_lo, exec_lo, s4
	s_wait_alu 0xfffe
	s_cbranch_vccnz .LBB148_32
; %bb.31:                               ;   in Loop: Header=BB148_5 Depth=1
	v_lshlrev_b64_e32 v[4:5], 4, v[19:20]
	s_delay_alu instid0(VALU_DEP_1) | instskip(SKIP_1) | instid1(VALU_DEP_2)
	v_add_co_u32 v4, vcc_lo, s26, v4
	s_wait_alu 0xfffd
	v_add_co_ci_u32_e64 v5, null, s27, v5, vcc_lo
	global_load_b128 v[4:7], v[4:5], off
	s_wait_loadcnt 0x0
	v_mul_f64_e32 v[12:13], v[2:3], v[6:7]
	v_mul_f64_e32 v[6:7], v[0:1], v[6:7]
	s_delay_alu instid0(VALU_DEP_2) | instskip(NEXT) | instid1(VALU_DEP_2)
	v_fma_f64 v[0:1], v[0:1], v[4:5], -v[12:13]
	v_fma_f64 v[2:3], v[2:3], v[4:5], v[6:7]
	s_delay_alu instid0(VALU_DEP_2) | instskip(NEXT) | instid1(VALU_DEP_2)
	v_add_f64_e32 v[8:9], v[8:9], v[0:1]
	v_add_f64_e32 v[10:11], v[10:11], v[2:3]
.LBB148_32:                             ;   in Loop: Header=BB148_5 Depth=1
	s_or_b32 s4, s42, exec_lo
.LBB148_33:                             ;   in Loop: Header=BB148_5 Depth=1
	s_wait_alu 0xfffe
	s_or_b32 exec_lo, exec_lo, s28
	s_delay_alu instid0(SALU_CYCLE_1)
	s_and_not1_b32 s28, s42, exec_lo
	s_and_b32 s4, s4, exec_lo
	s_wait_alu 0xfffe
	s_or_b32 s42, s28, s4
.LBB148_34:                             ;   in Loop: Header=BB148_5 Depth=1
	s_wait_alu 0xfffe
	s_or_b32 exec_lo, exec_lo, s5
	v_dual_mov_b32 v0, v19 :: v_dual_mov_b32 v1, v20
	s_and_saveexec_b32 s4, s42
	s_cbranch_execz .LBB148_3
.LBB148_35:                             ;   in Loop: Header=BB148_5 Depth=1
	s_delay_alu instid0(VALU_DEP_1) | instskip(SKIP_1) | instid1(VALU_DEP_1)
	v_lshlrev_b64_e32 v[0:1], 4, v[0:1]
	s_wait_alu 0xfffe
	v_add_co_u32 v0, vcc_lo, s26, v0
	s_wait_alu 0xfffd
	s_delay_alu instid0(VALU_DEP_2)
	v_add_co_ci_u32_e64 v1, null, s27, v1, vcc_lo
	global_store_b128 v[0:1], v[8:11], off
	s_branch .LBB148_3
.LBB148_36:
	s_endpgm
	.section	.rodata,"a",@progbits
	.p2align	6, 0x0
	.amdhsa_kernel _ZL20rocblas_gemvn_kernelILi64ELi4Ei19rocblas_complex_numIdEPKS1_S1_EviiT3_lPKT2_lT1_lS7_lS8_lS4_lPT4_lS8_li
		.amdhsa_group_segment_fixed_size 4096
		.amdhsa_private_segment_fixed_size 0
		.amdhsa_kernarg_size 400
		.amdhsa_user_sgpr_count 2
		.amdhsa_user_sgpr_dispatch_ptr 0
		.amdhsa_user_sgpr_queue_ptr 0
		.amdhsa_user_sgpr_kernarg_segment_ptr 1
		.amdhsa_user_sgpr_dispatch_id 0
		.amdhsa_user_sgpr_private_segment_size 0
		.amdhsa_wavefront_size32 1
		.amdhsa_uses_dynamic_stack 0
		.amdhsa_enable_private_segment 0
		.amdhsa_system_sgpr_workgroup_id_x 1
		.amdhsa_system_sgpr_workgroup_id_y 0
		.amdhsa_system_sgpr_workgroup_id_z 1
		.amdhsa_system_sgpr_workgroup_info 0
		.amdhsa_system_vgpr_workitem_id 1
		.amdhsa_next_free_vgpr 39
		.amdhsa_next_free_sgpr 46
		.amdhsa_reserve_vcc 1
		.amdhsa_float_round_mode_32 0
		.amdhsa_float_round_mode_16_64 0
		.amdhsa_float_denorm_mode_32 3
		.amdhsa_float_denorm_mode_16_64 3
		.amdhsa_fp16_overflow 0
		.amdhsa_workgroup_processor_mode 1
		.amdhsa_memory_ordered 1
		.amdhsa_forward_progress 1
		.amdhsa_inst_pref_size 14
		.amdhsa_round_robin_scheduling 0
		.amdhsa_exception_fp_ieee_invalid_op 0
		.amdhsa_exception_fp_denorm_src 0
		.amdhsa_exception_fp_ieee_div_zero 0
		.amdhsa_exception_fp_ieee_overflow 0
		.amdhsa_exception_fp_ieee_underflow 0
		.amdhsa_exception_fp_ieee_inexact 0
		.amdhsa_exception_int_div_zero 0
	.end_amdhsa_kernel
	.section	.text._ZL20rocblas_gemvn_kernelILi64ELi4Ei19rocblas_complex_numIdEPKS1_S1_EviiT3_lPKT2_lT1_lS7_lS8_lS4_lPT4_lS8_li,"axG",@progbits,_ZL20rocblas_gemvn_kernelILi64ELi4Ei19rocblas_complex_numIdEPKS1_S1_EviiT3_lPKT2_lT1_lS7_lS8_lS4_lPT4_lS8_li,comdat
.Lfunc_end148:
	.size	_ZL20rocblas_gemvn_kernelILi64ELi4Ei19rocblas_complex_numIdEPKS1_S1_EviiT3_lPKT2_lT1_lS7_lS8_lS4_lPT4_lS8_li, .Lfunc_end148-_ZL20rocblas_gemvn_kernelILi64ELi4Ei19rocblas_complex_numIdEPKS1_S1_EviiT3_lPKT2_lT1_lS7_lS8_lS4_lPT4_lS8_li
                                        ; -- End function
	.set _ZL20rocblas_gemvn_kernelILi64ELi4Ei19rocblas_complex_numIdEPKS1_S1_EviiT3_lPKT2_lT1_lS7_lS8_lS4_lPT4_lS8_li.num_vgpr, 39
	.set _ZL20rocblas_gemvn_kernelILi64ELi4Ei19rocblas_complex_numIdEPKS1_S1_EviiT3_lPKT2_lT1_lS7_lS8_lS4_lPT4_lS8_li.num_agpr, 0
	.set _ZL20rocblas_gemvn_kernelILi64ELi4Ei19rocblas_complex_numIdEPKS1_S1_EviiT3_lPKT2_lT1_lS7_lS8_lS4_lPT4_lS8_li.numbered_sgpr, 46
	.set _ZL20rocblas_gemvn_kernelILi64ELi4Ei19rocblas_complex_numIdEPKS1_S1_EviiT3_lPKT2_lT1_lS7_lS8_lS4_lPT4_lS8_li.num_named_barrier, 0
	.set _ZL20rocblas_gemvn_kernelILi64ELi4Ei19rocblas_complex_numIdEPKS1_S1_EviiT3_lPKT2_lT1_lS7_lS8_lS4_lPT4_lS8_li.private_seg_size, 0
	.set _ZL20rocblas_gemvn_kernelILi64ELi4Ei19rocblas_complex_numIdEPKS1_S1_EviiT3_lPKT2_lT1_lS7_lS8_lS4_lPT4_lS8_li.uses_vcc, 1
	.set _ZL20rocblas_gemvn_kernelILi64ELi4Ei19rocblas_complex_numIdEPKS1_S1_EviiT3_lPKT2_lT1_lS7_lS8_lS4_lPT4_lS8_li.uses_flat_scratch, 0
	.set _ZL20rocblas_gemvn_kernelILi64ELi4Ei19rocblas_complex_numIdEPKS1_S1_EviiT3_lPKT2_lT1_lS7_lS8_lS4_lPT4_lS8_li.has_dyn_sized_stack, 0
	.set _ZL20rocblas_gemvn_kernelILi64ELi4Ei19rocblas_complex_numIdEPKS1_S1_EviiT3_lPKT2_lT1_lS7_lS8_lS4_lPT4_lS8_li.has_recursion, 0
	.set _ZL20rocblas_gemvn_kernelILi64ELi4Ei19rocblas_complex_numIdEPKS1_S1_EviiT3_lPKT2_lT1_lS7_lS8_lS4_lPT4_lS8_li.has_indirect_call, 0
	.section	.AMDGPU.csdata,"",@progbits
; Kernel info:
; codeLenInByte = 1788
; TotalNumSgprs: 48
; NumVgprs: 39
; ScratchSize: 0
; MemoryBound: 1
; FloatMode: 240
; IeeeMode: 1
; LDSByteSize: 4096 bytes/workgroup (compile time only)
; SGPRBlocks: 0
; VGPRBlocks: 4
; NumSGPRsForWavesPerEU: 48
; NumVGPRsForWavesPerEU: 39
; Occupancy: 16
; WaveLimiterHint : 1
; COMPUTE_PGM_RSRC2:SCRATCH_EN: 0
; COMPUTE_PGM_RSRC2:USER_SGPR: 2
; COMPUTE_PGM_RSRC2:TRAP_HANDLER: 0
; COMPUTE_PGM_RSRC2:TGID_X_EN: 1
; COMPUTE_PGM_RSRC2:TGID_Y_EN: 0
; COMPUTE_PGM_RSRC2:TGID_Z_EN: 1
; COMPUTE_PGM_RSRC2:TIDIG_COMP_CNT: 1
	.section	.text._ZL20rocblas_gemvn_kernelILi64ELi4El19rocblas_complex_numIdEPKS1_S1_EviiT3_lPKT2_lT1_lS7_lS8_lS4_lPT4_lS8_li,"axG",@progbits,_ZL20rocblas_gemvn_kernelILi64ELi4El19rocblas_complex_numIdEPKS1_S1_EviiT3_lPKT2_lT1_lS7_lS8_lS4_lPT4_lS8_li,comdat
	.globl	_ZL20rocblas_gemvn_kernelILi64ELi4El19rocblas_complex_numIdEPKS1_S1_EviiT3_lPKT2_lT1_lS7_lS8_lS4_lPT4_lS8_li ; -- Begin function _ZL20rocblas_gemvn_kernelILi64ELi4El19rocblas_complex_numIdEPKS1_S1_EviiT3_lPKT2_lT1_lS7_lS8_lS4_lPT4_lS8_li
	.p2align	8
	.type	_ZL20rocblas_gemvn_kernelILi64ELi4El19rocblas_complex_numIdEPKS1_S1_EviiT3_lPKT2_lT1_lS7_lS8_lS4_lPT4_lS8_li,@function
_ZL20rocblas_gemvn_kernelILi64ELi4El19rocblas_complex_numIdEPKS1_S1_EviiT3_lPKT2_lT1_lS7_lS8_lS4_lPT4_lS8_li: ; @_ZL20rocblas_gemvn_kernelILi64ELi4El19rocblas_complex_numIdEPKS1_S1_EviiT3_lPKT2_lT1_lS7_lS8_lS4_lPT4_lS8_li
; %bb.0:
	s_load_b64 s[2:3], s[0:1], 0x9c
	s_wait_kmcnt 0x0
	s_lshr_b32 s4, s2, 16
	s_and_b32 s2, s2, 0xffff
	s_and_b32 s3, s3, 0xffff
	s_mul_i32 s4, s4, s2
	s_delay_alu instid0(SALU_CYCLE_1) | instskip(NEXT) | instid1(SALU_CYCLE_1)
	s_mul_i32 s4, s4, s3
	s_cmp_lg_u32 s4, 0x100
	s_cbranch_scc1 .LBB149_36
; %bb.1:
	s_load_b32 s33, s[0:1], 0x88
	s_lshr_b32 s6, ttmp7, 16
	s_wait_kmcnt 0x0
	s_cmp_ge_u32 s6, s33
	s_cbranch_scc1 .LBB149_36
; %bb.2:
	s_clause 0x2
	s_load_b512 s[8:23], s[0:1], 0x8
	s_load_b64 s[4:5], s[0:1], 0x0
	s_load_b512 s[36:51], s[0:1], 0x48
	v_dual_mov_b32 v16, 0 :: v_dual_and_b32 v1, 0x3ff, v0
	v_bfe_u32 v0, v0, 10, 10
	s_lshl_b32 s28, ttmp9, 6
	s_mov_b32 s7, 0
	s_delay_alu instid0(VALU_DEP_1) | instskip(NEXT) | instid1(VALU_DEP_1)
	v_mad_u32_u24 v8, v0, s2, v1
	v_add_nc_u32_e32 v15, s28, v8
	v_lshrrev_b32_e32 v29, 6, v8
	v_and_or_b32 v0, v8, 63, s28
	v_or_b32_e32 v9, s28, v8
	v_lshlrev_b32_e32 v30, 4, v8
	s_wait_kmcnt 0x0
	s_lshl_b64 s[2:3], s[22:23], 4
	v_mad_co_u64_u32 v[4:5], null, s16, v29, 0
	v_mad_co_u64_u32 v[17:18], null, s48, v15, 0
	;; [unrolled: 1-line block ×3, first 2 shown]
	s_ashr_i32 s1, s5, 31
	s_ashr_i32 s27, s4, 31
	s_lshr_b32 s1, s1, 30
	s_mov_b32 s26, s4
	v_mov_b32_e32 v6, v18
	s_add_co_i32 s1, s5, s1
	s_wait_alu 0xfffe
	s_add_nc_u64 s[20:21], s[20:21], s[2:3]
	s_and_b32 s34, s1, -4
	v_ashrrev_i32_e32 v1, 31, v0
	v_mad_co_u64_u32 v[6:7], null, s49, v15, v[6:7]
	s_sub_co_i32 s2, s5, s34
	s_lshl_b64 s[24:25], s[14:15], 4
	s_lshl_b64 s[22:23], s[46:47], 4
	v_cmp_gt_i64_e32 vcc_lo, s[26:27], v[15:16]
	s_wait_alu 0xfffe
	s_cmp_gt_i32 s2, 0
	v_cmp_gt_u32_e64 s2, 64, v8
	v_mov_b32_e32 v18, v6
	v_mad_co_u64_u32 v[5:6], null, s17, v29, v[5:6]
	v_mad_co_u64_u32 v[6:7], null, s37, v29, v[3:4]
	v_lshlrev_b64_e32 v[21:22], 4, v[0:1]
	s_add_nc_u64 s[22:23], s[44:45], s[22:23]
	s_cselect_b32 s35, -1, 0
	s_and_b32 s44, s2, vcc_lo
	s_delay_alu instid0(VALU_DEP_3) | instskip(SKIP_1) | instid1(VALU_DEP_4)
	v_lshlrev_b64_e32 v[4:5], 4, v[4:5]
	v_cmp_gt_i32_e64 s0, s4, v0
	v_mov_b32_e32 v3, v6
	v_mul_lo_u32 v7, s49, v9
	v_mad_co_u64_u32 v[19:20], null, s48, v9, 0
	v_add_co_u32 v4, vcc_lo, v4, s24
	s_delay_alu instid0(VALU_DEP_4)
	v_lshlrev_b64_e32 v[2:3], 4, v[2:3]
	v_add_co_ci_u32_e64 v5, null, s25, v5, vcc_lo
	s_ashr_i32 s3, s28, 31
	v_lshlrev_b64_e32 v[27:28], 4, v[17:18]
	s_wait_alu 0xfffe
	s_mul_i32 s26, s48, s3
	v_add_co_u32 v0, vcc_lo, s20, v2
	s_wait_alu 0xfffd
	v_add_co_ci_u32_e64 v1, null, s21, v3, vcc_lo
	v_add_co_u32 v2, vcc_lo, v4, v21
	s_wait_alu 0xfffd
	v_add_co_ci_u32_e64 v3, null, v5, v22, vcc_lo
	;; [unrolled: 3-line block ×4, first 2 shown]
	v_cmp_gt_i32_e64 s1, s34, v29
	s_delay_alu instid0(VALU_DEP_3)
	v_add_co_u32 v25, vcc_lo, v0, 8
	v_cmp_gt_i32_e64 s3, s4, v9
	s_wait_alu 0xfffe
	v_add3_u32 v20, v20, s26, v7
	s_wait_alu 0xfffd
	v_add_co_ci_u32_e64 v26, null, 0, v1, vcc_lo
	s_add_nc_u64 s[14:15], s[12:13], s[24:25]
	s_lshl_b64 s[12:13], s[38:39], 4
	s_lshl_b64 s[24:25], s[36:37], 6
	;; [unrolled: 1-line block ×4, first 2 shown]
	s_branch .LBB149_5
.LBB149_3:                              ;   in Loop: Header=BB149_5 Depth=1
	s_wait_alu 0xfffe
	s_or_b32 exec_lo, exec_lo, s4
.LBB149_4:                              ;   in Loop: Header=BB149_5 Depth=1
	s_add_co_i32 s6, s6, 0x10000
	s_wait_alu 0xfffe
	s_cmp_lt_u32 s6, s33
	s_cbranch_scc0 .LBB149_36
.LBB149_5:                              ; =>This Loop Header: Depth=1
                                        ;     Child Loop BB149_17 Depth 2
	s_mul_u64 s[30:31], s[10:11], s[6:7]
	s_wait_alu 0xfffe
	s_lshl_b64 s[30:31], s[30:31], 4
	s_wait_alu 0xfffe
	s_add_nc_u64 s[30:31], s[8:9], s[30:31]
	global_load_b128 v[4:7], v16, s[30:31]
	s_mul_u64 s[30:31], s[42:43], s[6:7]
	s_wait_alu 0xfffe
	s_lshl_b64 s[30:31], s[30:31], 4
	s_wait_alu 0xfffe
	s_add_nc_u64 s[30:31], s[40:41], s[30:31]
	s_wait_loadcnt 0x1
	global_load_b128 v[0:3], v16, s[30:31]
	s_wait_loadcnt 0x1
	v_cmp_neq_f64_e32 vcc_lo, 0, v[4:5]
	v_cmp_neq_f64_e64 s4, 0, v[6:7]
	s_or_b32 s30, vcc_lo, s4
	s_mov_b32 s4, -1
	s_wait_alu 0xfffe
	s_and_b32 vcc_lo, exec_lo, s30
	s_wait_alu 0xfffe
	s_cbranch_vccz .LBB149_7
; %bb.6:                                ;   in Loop: Header=BB149_5 Depth=1
	s_and_not1_b32 vcc_lo, exec_lo, s4
	s_wait_alu 0xfffe
	s_cbranch_vccnz .LBB149_4
	s_branch .LBB149_8
.LBB149_7:                              ;   in Loop: Header=BB149_5 Depth=1
	s_wait_loadcnt 0x0
	v_cmp_neq_f64_e32 vcc_lo, 1.0, v[0:1]
	v_cmp_neq_f64_e64 s4, 0, v[2:3]
	s_or_b32 s4, vcc_lo, s4
	s_wait_alu 0xfffe
	s_and_not1_b32 vcc_lo, exec_lo, s4
	s_wait_alu 0xfffe
	s_cbranch_vccnz .LBB149_4
.LBB149_8:                              ;   in Loop: Header=BB149_5 Depth=1
	s_xor_b32 s4, s30, -1
	s_mul_u64 s[30:31], s[50:51], s[6:7]
	s_wait_alu 0xfffe
	s_and_not1_b32 vcc_lo, exec_lo, s4
	s_lshl_b64 s[30:31], s[30:31], 4
	s_wait_alu 0xfffe
	s_add_nc_u64 s[30:31], s[22:23], s[30:31]
	s_cbranch_vccnz .LBB149_13
; %bb.9:                                ;   in Loop: Header=BB149_5 Depth=1
	s_mov_b32 s46, 0
	s_mov_b32 s45, 0
                                        ; implicit-def: $vgpr10_vgpr11
	s_and_saveexec_b32 s47, s44
	s_cbranch_execz .LBB149_19
; %bb.10:                               ;   in Loop: Header=BB149_5 Depth=1
	s_wait_loadcnt 0x0
	v_cmp_neq_f64_e32 vcc_lo, 0, v[0:1]
	v_cmp_neq_f64_e64 s4, 0, v[2:3]
	v_mov_b32_e32 v10, 0
	v_dual_mov_b32 v11, 0 :: v_dual_mov_b32 v8, 0
	v_mov_b32_e32 v9, 0
	s_or_b32 s4, vcc_lo, s4
	s_wait_alu 0xfffe
	s_and_not1_b32 vcc_lo, exec_lo, s4
	s_wait_alu 0xfffe
	s_cbranch_vccnz .LBB149_12
; %bb.11:                               ;   in Loop: Header=BB149_5 Depth=1
	v_add_co_u32 v8, vcc_lo, s30, v27
	s_wait_alu 0xfffd
	v_add_co_ci_u32_e64 v9, null, s31, v28, vcc_lo
	global_load_b128 v[10:13], v[8:9], off
	s_wait_loadcnt 0x0
	v_mul_f64_e32 v[8:9], v[2:3], v[12:13]
	v_mul_f64_e32 v[12:13], v[0:1], v[12:13]
	s_delay_alu instid0(VALU_DEP_2) | instskip(NEXT) | instid1(VALU_DEP_2)
	v_fma_f64 v[8:9], v[0:1], v[10:11], -v[8:9]
	v_fma_f64 v[10:11], v[2:3], v[10:11], v[12:13]
.LBB149_12:                             ;   in Loop: Header=BB149_5 Depth=1
	s_mov_b32 s45, exec_lo
	s_or_b32 exec_lo, exec_lo, s47
	s_delay_alu instid0(SALU_CYCLE_1)
	s_and_b32 vcc_lo, exec_lo, s46
	s_wait_alu 0xfffe
	s_cbranch_vccnz .LBB149_14
	s_branch .LBB149_20
.LBB149_13:                             ;   in Loop: Header=BB149_5 Depth=1
	s_mov_b32 s45, 0
                                        ; implicit-def: $vgpr10_vgpr11
	s_cbranch_execz .LBB149_20
.LBB149_14:                             ;   in Loop: Header=BB149_5 Depth=1
	v_mov_b32_e32 v10, 0
	v_dual_mov_b32 v11, 0 :: v_dual_mov_b32 v8, 0
	v_mov_b32_e32 v9, 0
	v_mov_b32_e32 v31, v29
	s_and_saveexec_b32 s46, s1
	s_cbranch_execz .LBB149_22
; %bb.15:                               ;   in Loop: Header=BB149_5 Depth=1
	v_mad_co_u64_u32 v[12:13], null, s12, s6, v[23:24]
	v_mad_co_u64_u32 v[14:15], null, s26, s6, v[25:26]
	s_mov_b32 s47, 0
	v_dual_mov_b32 v31, v29 :: v_dual_mov_b32 v8, v13
	v_mov_b32_e32 v9, v15
	s_delay_alu instid0(VALU_DEP_1) | instskip(SKIP_3) | instid1(VALU_DEP_4)
	v_mad_co_u64_u32 v[32:33], null, s13, s6, v[8:9]
	v_mad_co_u64_u32 v[8:9], null, s27, s6, v[9:10]
	v_mov_b32_e32 v10, 0
	v_mov_b32_e32 v11, 0
	;; [unrolled: 1-line block ×3, first 2 shown]
	s_delay_alu instid0(VALU_DEP_3) | instskip(NEXT) | instid1(VALU_DEP_3)
	v_dual_mov_b32 v15, v8 :: v_dual_mov_b32 v8, v10
	v_mov_b32_e32 v9, v11
	s_branch .LBB149_17
.LBB149_16:                             ;   in Loop: Header=BB149_17 Depth=2
	s_wait_alu 0xfffe
	s_or_b32 exec_lo, exec_lo, s4
	v_add_nc_u32_e32 v31, 4, v31
	v_add_co_u32 v12, vcc_lo, v12, s24
	s_wait_alu 0xfffd
	v_add_co_ci_u32_e64 v13, null, s25, v13, vcc_lo
	s_delay_alu instid0(VALU_DEP_3)
	v_cmp_le_i32_e32 vcc_lo, s34, v31
	v_add_co_u32 v14, s4, v14, s28
	s_wait_alu 0xf1ff
	v_add_co_ci_u32_e64 v15, null, s29, v15, s4
	s_or_b32 s47, vcc_lo, s47
	s_wait_alu 0xfffe
	s_and_not1_b32 exec_lo, exec_lo, s47
	s_cbranch_execz .LBB149_21
.LBB149_17:                             ;   Parent Loop BB149_5 Depth=1
                                        ; =>  This Inner Loop Header: Depth=2
	s_and_saveexec_b32 s4, s0
	s_cbranch_execz .LBB149_16
; %bb.18:                               ;   in Loop: Header=BB149_17 Depth=2
	global_load_b128 v[32:35], v[12:13], off offset:-8
	global_load_b128 v[36:39], v[14:15], off offset:-8
	s_wait_loadcnt 0x0
	v_mul_f64_e32 v[40:41], v[34:35], v[38:39]
	v_mul_f64_e32 v[38:39], v[32:33], v[38:39]
	s_delay_alu instid0(VALU_DEP_2) | instskip(NEXT) | instid1(VALU_DEP_2)
	v_fma_f64 v[32:33], v[32:33], v[36:37], -v[40:41]
	v_fma_f64 v[34:35], v[34:35], v[36:37], v[38:39]
	s_delay_alu instid0(VALU_DEP_2) | instskip(NEXT) | instid1(VALU_DEP_2)
	v_add_f64_e32 v[8:9], v[8:9], v[32:33]
	v_add_f64_e32 v[10:11], v[10:11], v[34:35]
	s_branch .LBB149_16
.LBB149_19:                             ;   in Loop: Header=BB149_5 Depth=1
	s_wait_alu 0xfffe
	s_or_b32 exec_lo, exec_lo, s47
	s_delay_alu instid0(SALU_CYCLE_1)
	s_and_b32 vcc_lo, exec_lo, s46
	s_wait_alu 0xfffe
	s_cbranch_vccnz .LBB149_14
.LBB149_20:                             ;   in Loop: Header=BB149_5 Depth=1
	s_wait_loadcnt 0x0
	v_dual_mov_b32 v0, v17 :: v_dual_mov_b32 v1, v18
	s_and_saveexec_b32 s4, s45
	s_cbranch_execz .LBB149_3
	s_branch .LBB149_35
.LBB149_21:                             ;   in Loop: Header=BB149_5 Depth=1
	s_or_b32 exec_lo, exec_lo, s47
.LBB149_22:                             ;   in Loop: Header=BB149_5 Depth=1
	s_wait_alu 0xfffe
	s_or_b32 exec_lo, exec_lo, s46
	s_delay_alu instid0(SALU_CYCLE_1)
	s_and_not1_b32 vcc_lo, exec_lo, s35
	s_wait_alu 0xfffe
	s_cbranch_vccnz .LBB149_28
; %bb.23:                               ;   in Loop: Header=BB149_5 Depth=1
	v_mov_b32_e32 v12, 0
	v_dual_mov_b32 v13, 0 :: v_dual_mov_b32 v14, 0
	v_mov_b32_e32 v15, 0
	v_cmp_gt_i32_e32 vcc_lo, s5, v31
	s_and_saveexec_b32 s46, vcc_lo
	s_cbranch_execz .LBB149_25
; %bb.24:                               ;   in Loop: Header=BB149_5 Depth=1
	v_mad_co_u64_u32 v[12:13], null, s36, v31, 0
	s_mul_u64 s[48:49], s[38:39], s[6:7]
	s_wait_alu 0xfffe
	s_lshl_b64 s[48:49], s[48:49], 4
	s_wait_alu 0xfffe
	s_add_nc_u64 s[48:49], s[20:21], s[48:49]
	v_mad_co_u64_u32 v[13:14], null, s37, v31, v[13:14]
	s_delay_alu instid0(VALU_DEP_1) | instskip(SKIP_1) | instid1(VALU_DEP_1)
	v_lshlrev_b64_e32 v[12:13], 4, v[12:13]
	s_wait_alu 0xfffe
	v_add_co_u32 v12, s4, s48, v12
	s_wait_alu 0xf1ff
	s_delay_alu instid0(VALU_DEP_2)
	v_add_co_ci_u32_e64 v13, null, s49, v13, s4
	global_load_b128 v[12:15], v[12:13], off
.LBB149_25:                             ;   in Loop: Header=BB149_5 Depth=1
	s_wait_alu 0xfffe
	s_or_b32 exec_lo, exec_lo, s46
	s_and_saveexec_b32 s4, s0
	s_cbranch_execz .LBB149_27
; %bb.26:                               ;   in Loop: Header=BB149_5 Depth=1
	v_mad_co_u64_u32 v[32:33], null, s16, v31, 0
	s_mul_u64 s[46:47], s[18:19], s[6:7]
	s_wait_alu 0xfffe
	s_lshl_b64 s[46:47], s[46:47], 4
	s_wait_alu 0xfffe
	s_add_nc_u64 s[46:47], s[14:15], s[46:47]
	v_mad_co_u64_u32 v[33:34], null, s17, v31, v[33:34]
	s_delay_alu instid0(VALU_DEP_1) | instskip(NEXT) | instid1(VALU_DEP_1)
	v_dual_cndmask_b32 v31, 0, v32 :: v_dual_cndmask_b32 v32, 0, v33
	v_lshlrev_b64_e32 v[31:32], 4, v[31:32]
	s_wait_alu 0xfffe
	s_delay_alu instid0(VALU_DEP_1) | instskip(SKIP_1) | instid1(VALU_DEP_2)
	v_add_co_u32 v31, vcc_lo, s46, v31
	s_wait_alu 0xfffd
	v_add_co_ci_u32_e64 v32, null, s47, v32, vcc_lo
	s_delay_alu instid0(VALU_DEP_2) | instskip(SKIP_1) | instid1(VALU_DEP_2)
	v_add_co_u32 v31, vcc_lo, v31, v21
	s_wait_alu 0xfffd
	v_add_co_ci_u32_e64 v32, null, v32, v22, vcc_lo
	global_load_b128 v[31:34], v[31:32], off
	s_wait_loadcnt 0x0
	v_mul_f64_e32 v[35:36], v[14:15], v[33:34]
	v_mul_f64_e32 v[33:34], v[12:13], v[33:34]
	s_delay_alu instid0(VALU_DEP_2) | instskip(NEXT) | instid1(VALU_DEP_2)
	v_fma_f64 v[12:13], v[12:13], v[31:32], -v[35:36]
	v_fma_f64 v[14:15], v[14:15], v[31:32], v[33:34]
	s_delay_alu instid0(VALU_DEP_2) | instskip(NEXT) | instid1(VALU_DEP_2)
	v_add_f64_e32 v[8:9], v[8:9], v[12:13]
	v_add_f64_e32 v[10:11], v[10:11], v[14:15]
.LBB149_27:                             ;   in Loop: Header=BB149_5 Depth=1
	s_wait_alu 0xfffe
	s_or_b32 exec_lo, exec_lo, s4
.LBB149_28:                             ;   in Loop: Header=BB149_5 Depth=1
	ds_store_b128 v30, v[8:11]
	s_wait_loadcnt_dscnt 0x0
	s_barrier_signal -1
	s_barrier_wait -1
	global_inv scope:SCOPE_SE
                                        ; implicit-def: $vgpr10_vgpr11
	s_and_saveexec_b32 s46, s2
	s_cbranch_execz .LBB149_34
; %bb.29:                               ;   in Loop: Header=BB149_5 Depth=1
	ds_load_b128 v[8:11], v30
	ds_load_b128 v[12:15], v30 offset:1024
	s_mov_b32 s4, s45
	s_wait_dscnt 0x0
	v_add_f64_e32 v[31:32], v[8:9], v[12:13]
	v_add_f64_e32 v[33:34], v[10:11], v[14:15]
	ds_load_b128 v[8:11], v30 offset:2048
	ds_load_b128 v[12:15], v30 offset:3072
	s_wait_dscnt 0x1
	v_add_f64_e32 v[8:9], v[31:32], v[8:9]
	v_add_f64_e32 v[10:11], v[33:34], v[10:11]
	s_wait_dscnt 0x0
	s_delay_alu instid0(VALU_DEP_2) | instskip(NEXT) | instid1(VALU_DEP_2)
	v_add_f64_e32 v[12:13], v[8:9], v[12:13]
	v_add_f64_e32 v[14:15], v[10:11], v[14:15]
                                        ; implicit-def: $vgpr10_vgpr11
	ds_store_b128 v30, v[12:15]
	s_and_saveexec_b32 s47, s3
	s_cbranch_execz .LBB149_33
; %bb.30:                               ;   in Loop: Header=BB149_5 Depth=1
	v_mul_f64_e32 v[8:9], v[6:7], v[14:15]
	v_mul_f64_e32 v[10:11], v[4:5], v[14:15]
	v_cmp_neq_f64_e32 vcc_lo, 0, v[0:1]
	v_cmp_neq_f64_e64 s4, 0, v[2:3]
	s_delay_alu instid0(VALU_DEP_4) | instskip(NEXT) | instid1(VALU_DEP_4)
	v_fma_f64 v[8:9], v[4:5], v[12:13], -v[8:9]
	v_fma_f64 v[10:11], v[6:7], v[12:13], v[10:11]
	s_wait_alu 0xfffe
	s_or_b32 s4, vcc_lo, s4
	s_wait_alu 0xfffe
	s_and_not1_b32 vcc_lo, exec_lo, s4
	s_wait_alu 0xfffe
	s_cbranch_vccnz .LBB149_32
; %bb.31:                               ;   in Loop: Header=BB149_5 Depth=1
	v_lshlrev_b64_e32 v[4:5], 4, v[19:20]
	s_delay_alu instid0(VALU_DEP_1) | instskip(SKIP_1) | instid1(VALU_DEP_2)
	v_add_co_u32 v4, vcc_lo, s30, v4
	s_wait_alu 0xfffd
	v_add_co_ci_u32_e64 v5, null, s31, v5, vcc_lo
	global_load_b128 v[4:7], v[4:5], off
	s_wait_loadcnt 0x0
	v_mul_f64_e32 v[12:13], v[2:3], v[6:7]
	v_mul_f64_e32 v[6:7], v[0:1], v[6:7]
	s_delay_alu instid0(VALU_DEP_2) | instskip(NEXT) | instid1(VALU_DEP_2)
	v_fma_f64 v[0:1], v[0:1], v[4:5], -v[12:13]
	v_fma_f64 v[2:3], v[2:3], v[4:5], v[6:7]
	s_delay_alu instid0(VALU_DEP_2) | instskip(NEXT) | instid1(VALU_DEP_2)
	v_add_f64_e32 v[8:9], v[8:9], v[0:1]
	v_add_f64_e32 v[10:11], v[10:11], v[2:3]
.LBB149_32:                             ;   in Loop: Header=BB149_5 Depth=1
	s_or_b32 s4, s45, exec_lo
.LBB149_33:                             ;   in Loop: Header=BB149_5 Depth=1
	s_wait_alu 0xfffe
	s_or_b32 exec_lo, exec_lo, s47
	s_delay_alu instid0(SALU_CYCLE_1)
	s_and_not1_b32 s45, s45, exec_lo
	s_and_b32 s4, s4, exec_lo
	s_wait_alu 0xfffe
	s_or_b32 s45, s45, s4
.LBB149_34:                             ;   in Loop: Header=BB149_5 Depth=1
	s_wait_alu 0xfffe
	s_or_b32 exec_lo, exec_lo, s46
	v_dual_mov_b32 v0, v19 :: v_dual_mov_b32 v1, v20
	s_and_saveexec_b32 s4, s45
	s_cbranch_execz .LBB149_3
.LBB149_35:                             ;   in Loop: Header=BB149_5 Depth=1
	s_delay_alu instid0(VALU_DEP_1) | instskip(SKIP_1) | instid1(VALU_DEP_1)
	v_lshlrev_b64_e32 v[0:1], 4, v[0:1]
	s_wait_alu 0xfffe
	v_add_co_u32 v0, vcc_lo, s30, v0
	s_wait_alu 0xfffd
	s_delay_alu instid0(VALU_DEP_2)
	v_add_co_ci_u32_e64 v1, null, s31, v1, vcc_lo
	global_store_b128 v[0:1], v[8:11], off
	s_branch .LBB149_3
.LBB149_36:
	s_endpgm
	.section	.rodata,"a",@progbits
	.p2align	6, 0x0
	.amdhsa_kernel _ZL20rocblas_gemvn_kernelILi64ELi4El19rocblas_complex_numIdEPKS1_S1_EviiT3_lPKT2_lT1_lS7_lS8_lS4_lPT4_lS8_li
		.amdhsa_group_segment_fixed_size 4096
		.amdhsa_private_segment_fixed_size 0
		.amdhsa_kernarg_size 400
		.amdhsa_user_sgpr_count 2
		.amdhsa_user_sgpr_dispatch_ptr 0
		.amdhsa_user_sgpr_queue_ptr 0
		.amdhsa_user_sgpr_kernarg_segment_ptr 1
		.amdhsa_user_sgpr_dispatch_id 0
		.amdhsa_user_sgpr_private_segment_size 0
		.amdhsa_wavefront_size32 1
		.amdhsa_uses_dynamic_stack 0
		.amdhsa_enable_private_segment 0
		.amdhsa_system_sgpr_workgroup_id_x 1
		.amdhsa_system_sgpr_workgroup_id_y 0
		.amdhsa_system_sgpr_workgroup_id_z 1
		.amdhsa_system_sgpr_workgroup_info 0
		.amdhsa_system_vgpr_workitem_id 1
		.amdhsa_next_free_vgpr 42
		.amdhsa_next_free_sgpr 52
		.amdhsa_reserve_vcc 1
		.amdhsa_float_round_mode_32 0
		.amdhsa_float_round_mode_16_64 0
		.amdhsa_float_denorm_mode_32 3
		.amdhsa_float_denorm_mode_16_64 3
		.amdhsa_fp16_overflow 0
		.amdhsa_workgroup_processor_mode 1
		.amdhsa_memory_ordered 1
		.amdhsa_forward_progress 1
		.amdhsa_inst_pref_size 16
		.amdhsa_round_robin_scheduling 0
		.amdhsa_exception_fp_ieee_invalid_op 0
		.amdhsa_exception_fp_denorm_src 0
		.amdhsa_exception_fp_ieee_div_zero 0
		.amdhsa_exception_fp_ieee_overflow 0
		.amdhsa_exception_fp_ieee_underflow 0
		.amdhsa_exception_fp_ieee_inexact 0
		.amdhsa_exception_int_div_zero 0
	.end_amdhsa_kernel
	.section	.text._ZL20rocblas_gemvn_kernelILi64ELi4El19rocblas_complex_numIdEPKS1_S1_EviiT3_lPKT2_lT1_lS7_lS8_lS4_lPT4_lS8_li,"axG",@progbits,_ZL20rocblas_gemvn_kernelILi64ELi4El19rocblas_complex_numIdEPKS1_S1_EviiT3_lPKT2_lT1_lS7_lS8_lS4_lPT4_lS8_li,comdat
.Lfunc_end149:
	.size	_ZL20rocblas_gemvn_kernelILi64ELi4El19rocblas_complex_numIdEPKS1_S1_EviiT3_lPKT2_lT1_lS7_lS8_lS4_lPT4_lS8_li, .Lfunc_end149-_ZL20rocblas_gemvn_kernelILi64ELi4El19rocblas_complex_numIdEPKS1_S1_EviiT3_lPKT2_lT1_lS7_lS8_lS4_lPT4_lS8_li
                                        ; -- End function
	.set _ZL20rocblas_gemvn_kernelILi64ELi4El19rocblas_complex_numIdEPKS1_S1_EviiT3_lPKT2_lT1_lS7_lS8_lS4_lPT4_lS8_li.num_vgpr, 42
	.set _ZL20rocblas_gemvn_kernelILi64ELi4El19rocblas_complex_numIdEPKS1_S1_EviiT3_lPKT2_lT1_lS7_lS8_lS4_lPT4_lS8_li.num_agpr, 0
	.set _ZL20rocblas_gemvn_kernelILi64ELi4El19rocblas_complex_numIdEPKS1_S1_EviiT3_lPKT2_lT1_lS7_lS8_lS4_lPT4_lS8_li.numbered_sgpr, 52
	.set _ZL20rocblas_gemvn_kernelILi64ELi4El19rocblas_complex_numIdEPKS1_S1_EviiT3_lPKT2_lT1_lS7_lS8_lS4_lPT4_lS8_li.num_named_barrier, 0
	.set _ZL20rocblas_gemvn_kernelILi64ELi4El19rocblas_complex_numIdEPKS1_S1_EviiT3_lPKT2_lT1_lS7_lS8_lS4_lPT4_lS8_li.private_seg_size, 0
	.set _ZL20rocblas_gemvn_kernelILi64ELi4El19rocblas_complex_numIdEPKS1_S1_EviiT3_lPKT2_lT1_lS7_lS8_lS4_lPT4_lS8_li.uses_vcc, 1
	.set _ZL20rocblas_gemvn_kernelILi64ELi4El19rocblas_complex_numIdEPKS1_S1_EviiT3_lPKT2_lT1_lS7_lS8_lS4_lPT4_lS8_li.uses_flat_scratch, 0
	.set _ZL20rocblas_gemvn_kernelILi64ELi4El19rocblas_complex_numIdEPKS1_S1_EviiT3_lPKT2_lT1_lS7_lS8_lS4_lPT4_lS8_li.has_dyn_sized_stack, 0
	.set _ZL20rocblas_gemvn_kernelILi64ELi4El19rocblas_complex_numIdEPKS1_S1_EviiT3_lPKT2_lT1_lS7_lS8_lS4_lPT4_lS8_li.has_recursion, 0
	.set _ZL20rocblas_gemvn_kernelILi64ELi4El19rocblas_complex_numIdEPKS1_S1_EviiT3_lPKT2_lT1_lS7_lS8_lS4_lPT4_lS8_li.has_indirect_call, 0
	.section	.AMDGPU.csdata,"",@progbits
; Kernel info:
; codeLenInByte = 1972
; TotalNumSgprs: 54
; NumVgprs: 42
; ScratchSize: 0
; MemoryBound: 0
; FloatMode: 240
; IeeeMode: 1
; LDSByteSize: 4096 bytes/workgroup (compile time only)
; SGPRBlocks: 0
; VGPRBlocks: 5
; NumSGPRsForWavesPerEU: 54
; NumVGPRsForWavesPerEU: 42
; Occupancy: 16
; WaveLimiterHint : 1
; COMPUTE_PGM_RSRC2:SCRATCH_EN: 0
; COMPUTE_PGM_RSRC2:USER_SGPR: 2
; COMPUTE_PGM_RSRC2:TRAP_HANDLER: 0
; COMPUTE_PGM_RSRC2:TGID_X_EN: 1
; COMPUTE_PGM_RSRC2:TGID_Y_EN: 0
; COMPUTE_PGM_RSRC2:TGID_Z_EN: 1
; COMPUTE_PGM_RSRC2:TIDIG_COMP_CNT: 1
	.section	.text._ZL20rocblas_gemvn_kernelILi64ELi4Ei19rocblas_complex_numIdES1_S1_EviiT3_lPKT2_lT1_lS5_lS6_lS2_lPT4_lS6_li,"axG",@progbits,_ZL20rocblas_gemvn_kernelILi64ELi4Ei19rocblas_complex_numIdES1_S1_EviiT3_lPKT2_lT1_lS5_lS6_lS2_lPT4_lS6_li,comdat
	.globl	_ZL20rocblas_gemvn_kernelILi64ELi4Ei19rocblas_complex_numIdES1_S1_EviiT3_lPKT2_lT1_lS5_lS6_lS2_lPT4_lS6_li ; -- Begin function _ZL20rocblas_gemvn_kernelILi64ELi4Ei19rocblas_complex_numIdES1_S1_EviiT3_lPKT2_lT1_lS5_lS6_lS2_lPT4_lS6_li
	.p2align	8
	.type	_ZL20rocblas_gemvn_kernelILi64ELi4Ei19rocblas_complex_numIdES1_S1_EviiT3_lPKT2_lT1_lS5_lS6_lS2_lPT4_lS6_li,@function
_ZL20rocblas_gemvn_kernelILi64ELi4Ei19rocblas_complex_numIdES1_S1_EviiT3_lPKT2_lT1_lS5_lS6_lS2_lPT4_lS6_li: ; @_ZL20rocblas_gemvn_kernelILi64ELi4Ei19rocblas_complex_numIdES1_S1_EviiT3_lPKT2_lT1_lS5_lS6_lS2_lPT4_lS6_li
; %bb.0:
	s_load_b64 s[2:3], s[0:1], 0xac
	s_wait_kmcnt 0x0
	s_lshr_b32 s4, s2, 16
	s_and_b32 s2, s2, 0xffff
	s_and_b32 s3, s3, 0xffff
	s_mul_i32 s4, s4, s2
	s_delay_alu instid0(SALU_CYCLE_1) | instskip(NEXT) | instid1(SALU_CYCLE_1)
	s_mul_i32 s4, s4, s3
	s_cmp_lg_u32 s4, 0x100
	s_cbranch_scc1 .LBB150_34
; %bb.1:
	s_load_b32 s27, s[0:1], 0x98
	s_lshr_b32 s28, ttmp7, 16
	s_wait_kmcnt 0x0
	s_cmp_ge_u32 s28, s27
	s_cbranch_scc1 .LBB150_34
; %bb.2:
	s_clause 0xa
	s_load_b128 s[8:11], s[0:1], 0x8
	s_load_b64 s[30:31], s[0:1], 0x68
	s_load_b128 s[12:15], s[0:1], 0x58
	s_load_b64 s[34:35], s[0:1], 0x0
	s_load_b128 s[4:7], s[0:1], 0x20
	s_load_b32 s33, s[0:1], 0x30
	s_load_b128 s[16:19], s[0:1], 0x38
	s_load_b96 s[24:26], s[0:1], 0x48
	s_load_b128 s[20:23], s[0:1], 0x78
	s_load_b32 s3, s[0:1], 0x88
	s_load_b64 s[36:37], s[0:1], 0x90
	v_dual_mov_b32 v1, 0 :: v_dual_and_b32 v2, 0x3ff, v0
	v_bfe_u32 v0, v0, 10, 10
	s_lshl_b32 s40, ttmp9, 6
	s_mov_b32 s29, 0
	s_delay_alu instid0(VALU_DEP_1)
	v_mad_u32_u24 v2, v0, s2, v2
	s_wait_kmcnt 0x0
	v_cmp_neq_f64_e64 s41, s[8:9], 0
	v_cmp_neq_f64_e64 s42, s[10:11], 0
	;; [unrolled: 1-line block ×4, first 2 shown]
	v_cmp_neq_f64_e64 s45, s[14:15], 1.0
	v_add_nc_u32_e32 v0, s40, v2
	v_and_b32_e32 v3, 63, v2
	v_lshrrev_b32_e32 v16, 6, v2
	v_lshlrev_b32_e32 v17, 4, v2
	v_cmp_gt_u32_e64 s0, 64, v2
	v_or_b32_e32 v2, s40, v2
	v_mad_co_u64_u32 v[8:9], null, v0, s3, 0
	s_ashr_i32 s39, s34, 31
	s_mov_b32 s38, s34
	v_cmp_gt_i32_e64 s2, s34, v2
	v_mul_lo_u32 v10, v2, s3
	v_mul_lo_u32 v2, s33, v16
	v_cmp_gt_i64_e32 vcc_lo, s[38:39], v[0:1]
	v_mov_b32_e32 v1, v9
	s_ashr_i32 s46, s3, 31
	s_ashr_i32 s47, s35, 31
	v_or_b32_e32 v18, s40, v3
	s_lshr_b32 s3, s47, 30
	s_lshl_b64 s[6:7], s[6:7], 4
	v_mad_co_u64_u32 v[0:1], null, v0, s46, v[1:2]
	s_wait_alu 0xfffe
	s_add_co_i32 s3, s35, s3
	v_ashrrev_i32_e32 v11, 31, v10
	v_cmp_gt_i32_e64 s1, s34, v18
	s_wait_alu 0xfffe
	s_and_b32 s34, s3, -4
	s_add_nc_u64 s[6:7], s[4:5], s[6:7]
	v_mul_lo_u32 v19, s26, v16
	v_mov_b32_e32 v9, v0
	s_wait_alu 0xfffe
	s_sub_co_i32 s4, s35, s34
	s_lshl_b64 s[24:25], s[24:25], 4
	s_lshl_b64 s[22:23], s[22:23], 4
	v_lshlrev_b64_e32 v[14:15], 4, v[10:11]
	v_lshlrev_b64_e32 v[12:13], 4, v[8:9]
	s_or_b32 s5, s41, s42
	v_cmp_gt_i32_e64 s3, s34, v16
	s_or_b32 s38, s44, s43
	s_xor_b32 s39, s5, -1
	s_cmp_gt_i32 s4, 0
	v_add3_u32 v20, v2, s40, v3
	s_cselect_b32 s40, -1, 0
	s_or_b32 s4, s5, s45
	s_add_nc_u64 s[18:19], s[18:19], s[24:25]
	s_add_nc_u64 s[20:21], s[20:21], s[22:23]
	s_or_b32 s41, s4, s43
	s_and_b32 s42, s0, vcc_lo
	s_lshl_b32 s43, s26, 2
	s_lshl_b32 s44, s33, 2
	s_branch .LBB150_5
.LBB150_3:                              ;   in Loop: Header=BB150_5 Depth=1
	s_wait_alu 0xfffe
	s_or_b32 exec_lo, exec_lo, s4
.LBB150_4:                              ;   in Loop: Header=BB150_5 Depth=1
	s_add_co_i32 s28, s28, 0x10000
	s_delay_alu instid0(SALU_CYCLE_1)
	s_cmp_lt_u32 s28, s27
	s_cbranch_scc0 .LBB150_34
.LBB150_5:                              ; =>This Loop Header: Depth=1
                                        ;     Child Loop BB150_15 Depth 2
	s_wait_alu 0xfffe
	s_and_not1_b32 vcc_lo, exec_lo, s41
	s_wait_alu 0xfffe
	s_cbranch_vccnz .LBB150_4
; %bb.6:                                ;   in Loop: Header=BB150_5 Depth=1
	s_mul_u64 s[4:5], s[36:37], s[28:29]
	s_and_not1_b32 vcc_lo, exec_lo, s39
	s_wait_alu 0xfffe
	s_lshl_b64 s[4:5], s[4:5], 4
	s_wait_alu 0xfffe
	s_add_nc_u64 s[22:23], s[20:21], s[4:5]
	s_cbranch_vccnz .LBB150_11
; %bb.7:                                ;   in Loop: Header=BB150_5 Depth=1
	s_mov_b32 s4, 0
	s_mov_b32 s45, 0
                                        ; implicit-def: $vgpr2_vgpr3
	s_and_saveexec_b32 s5, s42
	s_cbranch_execz .LBB150_17
; %bb.8:                                ;   in Loop: Header=BB150_5 Depth=1
	v_mov_b32_e32 v2, 0
	v_dual_mov_b32 v3, 0 :: v_dual_mov_b32 v0, 0
	v_mov_b32_e32 v1, 0
	s_and_not1_b32 vcc_lo, exec_lo, s38
	s_wait_alu 0xfffe
	s_cbranch_vccnz .LBB150_10
; %bb.9:                                ;   in Loop: Header=BB150_5 Depth=1
	v_add_co_u32 v0, vcc_lo, s22, v12
	s_wait_alu 0xfffd
	v_add_co_ci_u32_e64 v1, null, s23, v13, vcc_lo
	global_load_b128 v[2:5], v[0:1], off
	s_wait_loadcnt 0x0
	v_mul_f64_e32 v[0:1], s[30:31], v[4:5]
	v_mul_f64_e32 v[4:5], s[14:15], v[4:5]
	s_delay_alu instid0(VALU_DEP_2) | instskip(NEXT) | instid1(VALU_DEP_2)
	v_fma_f64 v[0:1], s[14:15], v[2:3], -v[0:1]
	v_fma_f64 v[2:3], s[30:31], v[2:3], v[4:5]
.LBB150_10:                             ;   in Loop: Header=BB150_5 Depth=1
	s_mov_b32 s45, exec_lo
	s_or_b32 exec_lo, exec_lo, s5
	s_delay_alu instid0(SALU_CYCLE_1)
	s_and_b32 vcc_lo, exec_lo, s4
	s_wait_alu 0xfffe
	s_cbranch_vccnz .LBB150_12
	s_branch .LBB150_18
.LBB150_11:                             ;   in Loop: Header=BB150_5 Depth=1
	s_mov_b32 s45, 0
                                        ; implicit-def: $vgpr2_vgpr3
	s_cbranch_execz .LBB150_18
.LBB150_12:                             ;   in Loop: Header=BB150_5 Depth=1
	v_mov_b32_e32 v2, 0
	s_mul_u64 s[4:5], s[16:17], s[28:29]
	s_mul_u64 s[24:25], s[12:13], s[28:29]
	v_dual_mov_b32 v3, 0 :: v_dual_mov_b32 v0, 0
	v_mov_b32_e32 v1, 0
	v_mov_b32_e32 v21, v16
	s_wait_alu 0xfffe
	s_lshl_b64 s[4:5], s[4:5], 4
	s_lshl_b64 s[46:47], s[24:25], 4
	s_wait_alu 0xfffe
	s_add_nc_u64 s[24:25], s[6:7], s[4:5]
	s_add_nc_u64 s[4:5], s[18:19], s[46:47]
	s_and_saveexec_b32 s46, s3
	s_cbranch_execz .LBB150_20
; %bb.13:                               ;   in Loop: Header=BB150_5 Depth=1
	v_dual_mov_b32 v2, 0 :: v_dual_mov_b32 v21, v16
	v_dual_mov_b32 v3, 0 :: v_dual_mov_b32 v4, v20
	s_delay_alu instid0(VALU_DEP_2) | instskip(SKIP_2) | instid1(VALU_DEP_3)
	v_mov_b32_e32 v0, v2
	v_mov_b32_e32 v6, v19
	s_mov_b32 s47, 0
	v_mov_b32_e32 v1, v3
	s_branch .LBB150_15
.LBB150_14:                             ;   in Loop: Header=BB150_15 Depth=2
	s_or_b32 exec_lo, exec_lo, s48
	v_add_nc_u32_e32 v21, 4, v21
	v_add_nc_u32_e32 v6, s43, v6
	;; [unrolled: 1-line block ×3, first 2 shown]
	s_delay_alu instid0(VALU_DEP_3)
	v_cmp_le_i32_e32 vcc_lo, s34, v21
	s_wait_alu 0xfffe
	s_or_b32 s47, vcc_lo, s47
	s_wait_alu 0xfffe
	s_and_not1_b32 exec_lo, exec_lo, s47
	s_cbranch_execz .LBB150_19
.LBB150_15:                             ;   Parent Loop BB150_5 Depth=1
                                        ; =>  This Inner Loop Header: Depth=2
	s_and_saveexec_b32 s48, s1
	s_cbranch_execz .LBB150_14
; %bb.16:                               ;   in Loop: Header=BB150_15 Depth=2
	v_ashrrev_i32_e32 v7, 31, v6
	v_ashrrev_i32_e32 v5, 31, v4
	s_delay_alu instid0(VALU_DEP_2) | instskip(NEXT) | instid1(VALU_DEP_2)
	v_lshlrev_b64_e32 v[22:23], 4, v[6:7]
	v_lshlrev_b64_e32 v[24:25], 4, v[4:5]
	s_wait_alu 0xfffe
	s_delay_alu instid0(VALU_DEP_2) | instskip(SKIP_1) | instid1(VALU_DEP_3)
	v_add_co_u32 v22, vcc_lo, s4, v22
	s_wait_alu 0xfffd
	v_add_co_ci_u32_e64 v23, null, s5, v23, vcc_lo
	s_delay_alu instid0(VALU_DEP_3)
	v_add_co_u32 v26, vcc_lo, s24, v24
	s_wait_alu 0xfffd
	v_add_co_ci_u32_e64 v27, null, s25, v25, vcc_lo
	global_load_b128 v[22:25], v[22:23], off
	global_load_b128 v[26:29], v[26:27], off
	s_wait_loadcnt 0x0
	v_mul_f64_e32 v[30:31], v[24:25], v[28:29]
	v_mul_f64_e32 v[28:29], v[22:23], v[28:29]
	s_delay_alu instid0(VALU_DEP_2) | instskip(NEXT) | instid1(VALU_DEP_2)
	v_fma_f64 v[22:23], v[22:23], v[26:27], -v[30:31]
	v_fma_f64 v[24:25], v[24:25], v[26:27], v[28:29]
	s_delay_alu instid0(VALU_DEP_2) | instskip(NEXT) | instid1(VALU_DEP_2)
	v_add_f64_e32 v[0:1], v[0:1], v[22:23]
	v_add_f64_e32 v[2:3], v[2:3], v[24:25]
	s_branch .LBB150_14
.LBB150_17:                             ;   in Loop: Header=BB150_5 Depth=1
	s_wait_alu 0xfffe
	s_or_b32 exec_lo, exec_lo, s5
	s_delay_alu instid0(SALU_CYCLE_1)
	s_and_b32 vcc_lo, exec_lo, s4
	s_wait_alu 0xfffe
	s_cbranch_vccnz .LBB150_12
.LBB150_18:                             ;   in Loop: Header=BB150_5 Depth=1
	v_dual_mov_b32 v4, v8 :: v_dual_mov_b32 v5, v9
	s_wait_alu 0xfffe
	s_and_saveexec_b32 s4, s45
	s_cbranch_execz .LBB150_3
	s_branch .LBB150_33
.LBB150_19:                             ;   in Loop: Header=BB150_5 Depth=1
	s_or_b32 exec_lo, exec_lo, s47
.LBB150_20:                             ;   in Loop: Header=BB150_5 Depth=1
	s_wait_alu 0xfffe
	s_or_b32 exec_lo, exec_lo, s46
	s_delay_alu instid0(SALU_CYCLE_1)
	s_and_not1_b32 vcc_lo, exec_lo, s40
	s_wait_alu 0xfffe
	s_cbranch_vccnz .LBB150_26
; %bb.21:                               ;   in Loop: Header=BB150_5 Depth=1
	v_mov_b32_e32 v4, 0
	v_dual_mov_b32 v5, 0 :: v_dual_mov_b32 v6, 0
	v_mov_b32_e32 v7, 0
	v_cmp_gt_i32_e32 vcc_lo, s35, v21
	s_and_saveexec_b32 s46, vcc_lo
	s_cbranch_execz .LBB150_23
; %bb.22:                               ;   in Loop: Header=BB150_5 Depth=1
	v_mul_lo_u32 v4, v21, s26
	s_delay_alu instid0(VALU_DEP_1) | instskip(NEXT) | instid1(VALU_DEP_1)
	v_ashrrev_i32_e32 v5, 31, v4
	v_lshlrev_b64_e32 v[4:5], 4, v[4:5]
	s_delay_alu instid0(VALU_DEP_1) | instskip(SKIP_1) | instid1(VALU_DEP_2)
	v_add_co_u32 v4, s4, s4, v4
	s_wait_alu 0xf1ff
	v_add_co_ci_u32_e64 v5, null, s5, v5, s4
	global_load_b128 v[4:7], v[4:5], off
.LBB150_23:                             ;   in Loop: Header=BB150_5 Depth=1
	s_wait_alu 0xfffe
	s_or_b32 exec_lo, exec_lo, s46
	s_and_saveexec_b32 s4, s1
	s_cbranch_execz .LBB150_25
; %bb.24:                               ;   in Loop: Header=BB150_5 Depth=1
	v_mul_lo_u32 v21, v21, s33
	s_delay_alu instid0(VALU_DEP_1) | instskip(NEXT) | instid1(VALU_DEP_1)
	v_cndmask_b32_e32 v21, 0, v21, vcc_lo
	v_add_nc_u32_e32 v21, v21, v18
	s_delay_alu instid0(VALU_DEP_1) | instskip(NEXT) | instid1(VALU_DEP_1)
	v_ashrrev_i32_e32 v22, 31, v21
	v_lshlrev_b64_e32 v[21:22], 4, v[21:22]
	s_delay_alu instid0(VALU_DEP_1) | instskip(SKIP_1) | instid1(VALU_DEP_2)
	v_add_co_u32 v21, vcc_lo, s24, v21
	s_wait_alu 0xfffd
	v_add_co_ci_u32_e64 v22, null, s25, v22, vcc_lo
	global_load_b128 v[21:24], v[21:22], off
	s_wait_loadcnt 0x0
	v_mul_f64_e32 v[25:26], v[6:7], v[23:24]
	v_mul_f64_e32 v[23:24], v[4:5], v[23:24]
	s_delay_alu instid0(VALU_DEP_2) | instskip(NEXT) | instid1(VALU_DEP_2)
	v_fma_f64 v[4:5], v[4:5], v[21:22], -v[25:26]
	v_fma_f64 v[6:7], v[6:7], v[21:22], v[23:24]
	s_delay_alu instid0(VALU_DEP_2) | instskip(NEXT) | instid1(VALU_DEP_2)
	v_add_f64_e32 v[0:1], v[0:1], v[4:5]
	v_add_f64_e32 v[2:3], v[2:3], v[6:7]
.LBB150_25:                             ;   in Loop: Header=BB150_5 Depth=1
	s_wait_alu 0xfffe
	s_or_b32 exec_lo, exec_lo, s4
.LBB150_26:                             ;   in Loop: Header=BB150_5 Depth=1
	ds_store_b128 v17, v[0:3]
	s_wait_loadcnt_dscnt 0x0
	s_barrier_signal -1
	s_barrier_wait -1
	global_inv scope:SCOPE_SE
                                        ; implicit-def: $vgpr2_vgpr3
	s_and_saveexec_b32 s4, s0
	s_cbranch_execz .LBB150_32
; %bb.27:                               ;   in Loop: Header=BB150_5 Depth=1
	ds_load_b128 v[0:3], v17
	ds_load_b128 v[4:7], v17 offset:1024
	s_mov_b32 s24, s45
	s_wait_dscnt 0x0
	v_add_f64_e32 v[21:22], v[0:1], v[4:5]
	v_add_f64_e32 v[23:24], v[2:3], v[6:7]
	ds_load_b128 v[0:3], v17 offset:2048
	ds_load_b128 v[4:7], v17 offset:3072
	s_wait_dscnt 0x1
	v_add_f64_e32 v[0:1], v[21:22], v[0:1]
	v_add_f64_e32 v[2:3], v[23:24], v[2:3]
	s_wait_dscnt 0x0
	s_delay_alu instid0(VALU_DEP_2) | instskip(NEXT) | instid1(VALU_DEP_2)
	v_add_f64_e32 v[4:5], v[0:1], v[4:5]
	v_add_f64_e32 v[6:7], v[2:3], v[6:7]
                                        ; implicit-def: $vgpr2_vgpr3
	ds_store_b128 v17, v[4:7]
	s_and_saveexec_b32 s5, s2
	s_cbranch_execz .LBB150_31
; %bb.28:                               ;   in Loop: Header=BB150_5 Depth=1
	v_mul_f64_e32 v[0:1], s[10:11], v[6:7]
	v_mul_f64_e32 v[2:3], s[8:9], v[6:7]
	s_and_not1_b32 vcc_lo, exec_lo, s38
	s_delay_alu instid0(VALU_DEP_2) | instskip(NEXT) | instid1(VALU_DEP_2)
	v_fma_f64 v[0:1], s[8:9], v[4:5], -v[0:1]
	v_fma_f64 v[2:3], s[10:11], v[4:5], v[2:3]
	s_wait_alu 0xfffe
	s_cbranch_vccnz .LBB150_30
; %bb.29:                               ;   in Loop: Header=BB150_5 Depth=1
	v_add_co_u32 v4, vcc_lo, s22, v14
	s_wait_alu 0xfffd
	v_add_co_ci_u32_e64 v5, null, s23, v15, vcc_lo
	global_load_b128 v[4:7], v[4:5], off
	s_wait_loadcnt 0x0
	v_mul_f64_e32 v[21:22], s[30:31], v[6:7]
	v_mul_f64_e32 v[6:7], s[14:15], v[6:7]
	s_delay_alu instid0(VALU_DEP_2) | instskip(NEXT) | instid1(VALU_DEP_2)
	v_fma_f64 v[21:22], s[14:15], v[4:5], -v[21:22]
	v_fma_f64 v[4:5], s[30:31], v[4:5], v[6:7]
	s_delay_alu instid0(VALU_DEP_2) | instskip(NEXT) | instid1(VALU_DEP_2)
	v_add_f64_e32 v[0:1], v[0:1], v[21:22]
	v_add_f64_e32 v[2:3], v[2:3], v[4:5]
.LBB150_30:                             ;   in Loop: Header=BB150_5 Depth=1
	s_or_b32 s24, s45, exec_lo
.LBB150_31:                             ;   in Loop: Header=BB150_5 Depth=1
	s_wait_alu 0xfffe
	s_or_b32 exec_lo, exec_lo, s5
	s_delay_alu instid0(SALU_CYCLE_1)
	s_and_not1_b32 s5, s45, exec_lo
	s_and_b32 s24, s24, exec_lo
	s_wait_alu 0xfffe
	s_or_b32 s45, s5, s24
.LBB150_32:                             ;   in Loop: Header=BB150_5 Depth=1
	s_wait_alu 0xfffe
	s_or_b32 exec_lo, exec_lo, s4
	v_dual_mov_b32 v4, v10 :: v_dual_mov_b32 v5, v11
	s_and_saveexec_b32 s4, s45
	s_cbranch_execz .LBB150_3
.LBB150_33:                             ;   in Loop: Header=BB150_5 Depth=1
	s_delay_alu instid0(VALU_DEP_1) | instskip(NEXT) | instid1(VALU_DEP_1)
	v_lshlrev_b64_e32 v[4:5], 4, v[4:5]
	v_add_co_u32 v4, vcc_lo, s22, v4
	s_wait_alu 0xfffd
	s_delay_alu instid0(VALU_DEP_2)
	v_add_co_ci_u32_e64 v5, null, s23, v5, vcc_lo
	global_store_b128 v[4:5], v[0:3], off
	s_branch .LBB150_3
.LBB150_34:
	s_endpgm
	.section	.rodata,"a",@progbits
	.p2align	6, 0x0
	.amdhsa_kernel _ZL20rocblas_gemvn_kernelILi64ELi4Ei19rocblas_complex_numIdES1_S1_EviiT3_lPKT2_lT1_lS5_lS6_lS2_lPT4_lS6_li
		.amdhsa_group_segment_fixed_size 4096
		.amdhsa_private_segment_fixed_size 0
		.amdhsa_kernarg_size 416
		.amdhsa_user_sgpr_count 2
		.amdhsa_user_sgpr_dispatch_ptr 0
		.amdhsa_user_sgpr_queue_ptr 0
		.amdhsa_user_sgpr_kernarg_segment_ptr 1
		.amdhsa_user_sgpr_dispatch_id 0
		.amdhsa_user_sgpr_private_segment_size 0
		.amdhsa_wavefront_size32 1
		.amdhsa_uses_dynamic_stack 0
		.amdhsa_enable_private_segment 0
		.amdhsa_system_sgpr_workgroup_id_x 1
		.amdhsa_system_sgpr_workgroup_id_y 0
		.amdhsa_system_sgpr_workgroup_id_z 1
		.amdhsa_system_sgpr_workgroup_info 0
		.amdhsa_system_vgpr_workitem_id 1
		.amdhsa_next_free_vgpr 32
		.amdhsa_next_free_sgpr 49
		.amdhsa_reserve_vcc 1
		.amdhsa_float_round_mode_32 0
		.amdhsa_float_round_mode_16_64 0
		.amdhsa_float_denorm_mode_32 3
		.amdhsa_float_denorm_mode_16_64 3
		.amdhsa_fp16_overflow 0
		.amdhsa_workgroup_processor_mode 1
		.amdhsa_memory_ordered 1
		.amdhsa_forward_progress 1
		.amdhsa_inst_pref_size 13
		.amdhsa_round_robin_scheduling 0
		.amdhsa_exception_fp_ieee_invalid_op 0
		.amdhsa_exception_fp_denorm_src 0
		.amdhsa_exception_fp_ieee_div_zero 0
		.amdhsa_exception_fp_ieee_overflow 0
		.amdhsa_exception_fp_ieee_underflow 0
		.amdhsa_exception_fp_ieee_inexact 0
		.amdhsa_exception_int_div_zero 0
	.end_amdhsa_kernel
	.section	.text._ZL20rocblas_gemvn_kernelILi64ELi4Ei19rocblas_complex_numIdES1_S1_EviiT3_lPKT2_lT1_lS5_lS6_lS2_lPT4_lS6_li,"axG",@progbits,_ZL20rocblas_gemvn_kernelILi64ELi4Ei19rocblas_complex_numIdES1_S1_EviiT3_lPKT2_lT1_lS5_lS6_lS2_lPT4_lS6_li,comdat
.Lfunc_end150:
	.size	_ZL20rocblas_gemvn_kernelILi64ELi4Ei19rocblas_complex_numIdES1_S1_EviiT3_lPKT2_lT1_lS5_lS6_lS2_lPT4_lS6_li, .Lfunc_end150-_ZL20rocblas_gemvn_kernelILi64ELi4Ei19rocblas_complex_numIdES1_S1_EviiT3_lPKT2_lT1_lS5_lS6_lS2_lPT4_lS6_li
                                        ; -- End function
	.set _ZL20rocblas_gemvn_kernelILi64ELi4Ei19rocblas_complex_numIdES1_S1_EviiT3_lPKT2_lT1_lS5_lS6_lS2_lPT4_lS6_li.num_vgpr, 32
	.set _ZL20rocblas_gemvn_kernelILi64ELi4Ei19rocblas_complex_numIdES1_S1_EviiT3_lPKT2_lT1_lS5_lS6_lS2_lPT4_lS6_li.num_agpr, 0
	.set _ZL20rocblas_gemvn_kernelILi64ELi4Ei19rocblas_complex_numIdES1_S1_EviiT3_lPKT2_lT1_lS5_lS6_lS2_lPT4_lS6_li.numbered_sgpr, 49
	.set _ZL20rocblas_gemvn_kernelILi64ELi4Ei19rocblas_complex_numIdES1_S1_EviiT3_lPKT2_lT1_lS5_lS6_lS2_lPT4_lS6_li.num_named_barrier, 0
	.set _ZL20rocblas_gemvn_kernelILi64ELi4Ei19rocblas_complex_numIdES1_S1_EviiT3_lPKT2_lT1_lS5_lS6_lS2_lPT4_lS6_li.private_seg_size, 0
	.set _ZL20rocblas_gemvn_kernelILi64ELi4Ei19rocblas_complex_numIdES1_S1_EviiT3_lPKT2_lT1_lS5_lS6_lS2_lPT4_lS6_li.uses_vcc, 1
	.set _ZL20rocblas_gemvn_kernelILi64ELi4Ei19rocblas_complex_numIdES1_S1_EviiT3_lPKT2_lT1_lS5_lS6_lS2_lPT4_lS6_li.uses_flat_scratch, 0
	.set _ZL20rocblas_gemvn_kernelILi64ELi4Ei19rocblas_complex_numIdES1_S1_EviiT3_lPKT2_lT1_lS5_lS6_lS2_lPT4_lS6_li.has_dyn_sized_stack, 0
	.set _ZL20rocblas_gemvn_kernelILi64ELi4Ei19rocblas_complex_numIdES1_S1_EviiT3_lPKT2_lT1_lS5_lS6_lS2_lPT4_lS6_li.has_recursion, 0
	.set _ZL20rocblas_gemvn_kernelILi64ELi4Ei19rocblas_complex_numIdES1_S1_EviiT3_lPKT2_lT1_lS5_lS6_lS2_lPT4_lS6_li.has_indirect_call, 0
	.section	.AMDGPU.csdata,"",@progbits
; Kernel info:
; codeLenInByte = 1660
; TotalNumSgprs: 51
; NumVgprs: 32
; ScratchSize: 0
; MemoryBound: 1
; FloatMode: 240
; IeeeMode: 1
; LDSByteSize: 4096 bytes/workgroup (compile time only)
; SGPRBlocks: 0
; VGPRBlocks: 3
; NumSGPRsForWavesPerEU: 51
; NumVGPRsForWavesPerEU: 32
; Occupancy: 16
; WaveLimiterHint : 1
; COMPUTE_PGM_RSRC2:SCRATCH_EN: 0
; COMPUTE_PGM_RSRC2:USER_SGPR: 2
; COMPUTE_PGM_RSRC2:TRAP_HANDLER: 0
; COMPUTE_PGM_RSRC2:TGID_X_EN: 1
; COMPUTE_PGM_RSRC2:TGID_Y_EN: 0
; COMPUTE_PGM_RSRC2:TGID_Z_EN: 1
; COMPUTE_PGM_RSRC2:TIDIG_COMP_CNT: 1
	.section	.text._ZL20rocblas_gemvn_kernelILi64ELi4El19rocblas_complex_numIdES1_S1_EviiT3_lPKT2_lT1_lS5_lS6_lS2_lPT4_lS6_li,"axG",@progbits,_ZL20rocblas_gemvn_kernelILi64ELi4El19rocblas_complex_numIdES1_S1_EviiT3_lPKT2_lT1_lS5_lS6_lS2_lPT4_lS6_li,comdat
	.globl	_ZL20rocblas_gemvn_kernelILi64ELi4El19rocblas_complex_numIdES1_S1_EviiT3_lPKT2_lT1_lS5_lS6_lS2_lPT4_lS6_li ; -- Begin function _ZL20rocblas_gemvn_kernelILi64ELi4El19rocblas_complex_numIdES1_S1_EviiT3_lPKT2_lT1_lS5_lS6_lS2_lPT4_lS6_li
	.p2align	8
	.type	_ZL20rocblas_gemvn_kernelILi64ELi4El19rocblas_complex_numIdES1_S1_EviiT3_lPKT2_lT1_lS5_lS6_lS2_lPT4_lS6_li,@function
_ZL20rocblas_gemvn_kernelILi64ELi4El19rocblas_complex_numIdES1_S1_EviiT3_lPKT2_lT1_lS5_lS6_lS2_lPT4_lS6_li: ; @_ZL20rocblas_gemvn_kernelILi64ELi4El19rocblas_complex_numIdES1_S1_EviiT3_lPKT2_lT1_lS5_lS6_lS2_lPT4_lS6_li
; %bb.0:
	s_load_b64 s[2:3], s[0:1], 0xac
	s_wait_kmcnt 0x0
	s_lshr_b32 s4, s2, 16
	s_and_b32 s2, s2, 0xffff
	s_and_b32 s3, s3, 0xffff
	s_mul_i32 s4, s4, s2
	s_delay_alu instid0(SALU_CYCLE_1) | instskip(NEXT) | instid1(SALU_CYCLE_1)
	s_mul_i32 s4, s4, s3
	s_cmp_lg_u32 s4, 0x100
	s_cbranch_scc1 .LBB151_34
; %bb.1:
	s_load_b32 s33, s[0:1], 0x98
	s_lshr_b32 s34, ttmp7, 16
	s_wait_kmcnt 0x0
	s_cmp_ge_u32 s34, s33
	s_cbranch_scc1 .LBB151_34
; %bb.2:
	s_clause 0x4
	s_load_b128 s[28:31], s[0:1], 0x8
	s_load_b128 s[36:39], s[0:1], 0x60
	s_load_b512 s[4:19], s[0:1], 0x20
	s_load_b256 s[20:27], s[0:1], 0x78
	s_load_b64 s[40:41], s[0:1], 0x0
	v_and_b32_e32 v1, 0x3ff, v0
	v_bfe_u32 v0, v0, 10, 10
	s_lshl_b32 s44, ttmp9, 6
	s_mov_b32 s35, 0
	s_delay_alu instid0(VALU_DEP_1) | instskip(NEXT) | instid1(VALU_DEP_1)
	v_mad_u32_u24 v3, v0, s2, v1
	v_dual_mov_b32 v1, 0 :: v_dual_add_nc_u32 v0, s44, v3
	v_lshrrev_b32_e32 v20, 6, v3
	v_or_b32_e32 v15, s44, v3
	v_and_or_b32 v2, v3, 63, s44
	v_lshlrev_b32_e32 v21, 4, v3
	v_cmp_gt_u32_e64 s0, 64, v3
	s_wait_kmcnt 0x0
	v_cmp_neq_f64_e64 s45, s[28:29], 0
	v_cmp_neq_f64_e64 s47, s[30:31], 0
	;; [unrolled: 1-line block ×4, first 2 shown]
	v_mad_co_u64_u32 v[6:7], null, s8, v20, 0
	v_mad_co_u64_u32 v[8:9], null, s24, v0, 0
	v_mad_co_u64_u32 v[10:11], null, s24, v15, 0
	v_mad_co_u64_u32 v[4:5], null, s16, v20, 0
	s_lshl_b64 s[2:3], s[14:15], 4
	s_lshl_b64 s[14:15], s[22:23], 4
	s_ashr_i32 s23, s40, 31
	s_mov_b32 s22, s40
	v_mad_co_u64_u32 v[12:13], null, s25, v0, v[9:10]
	v_cmp_gt_i64_e32 vcc_lo, s[22:23], v[0:1]
	v_dual_mov_b32 v1, v7 :: v_dual_mov_b32 v0, v5
	v_cmp_neq_f64_e64 s51, s[36:37], 1.0
	s_ashr_i32 s46, s41, 31
	s_wait_alu 0xfffe
	s_add_nc_u64 s[12:13], s[12:13], s[2:3]
	v_mad_co_u64_u32 v[13:14], null, s9, v20, v[1:2]
	v_mad_co_u64_u32 v[0:1], null, s17, v20, v[0:1]
	s_lshr_b32 s2, s46, 30
	v_ashrrev_i32_e32 v3, 31, v2
	s_wait_alu 0xfffe
	s_add_co_i32 s2, s41, s2
	s_add_nc_u64 s[14:15], s[20:21], s[14:15]
	v_mov_b32_e32 v7, v13
	s_wait_alu 0xfffe
	s_and_b32 s46, s2, -4
	v_mov_b32_e32 v5, v0
	s_sub_co_i32 s3, s41, s46
	s_lshl_b64 s[42:43], s[6:7], 4
	v_lshlrev_b64_e32 v[0:1], 4, v[6:7]
	v_mov_b32_e32 v9, v12
	s_or_b32 s20, s45, s47
	v_lshlrev_b64_e32 v[4:5], 4, v[4:5]
	s_or_b32 s47, s48, s50
	s_xor_b32 s48, s20, -1
	s_wait_alu 0xfffe
	s_cmp_gt_i32 s3, 0
	v_lshlrev_b64_e32 v[12:13], 4, v[2:3]
	v_cmp_gt_i32_e64 s1, s40, v2
	s_cselect_b32 s49, -1, 0
	v_cmp_gt_i32_e64 s3, s40, v15
	s_and_b32 s40, s0, vcc_lo
	v_add_co_u32 v0, vcc_lo, v0, s42
	s_delay_alu instid0(VALU_DEP_1)
	v_add_co_ci_u32_e64 v1, null, s43, v1, vcc_lo
	v_add_co_u32 v2, vcc_lo, s12, v4
	s_wait_alu 0xfffd
	v_add_co_ci_u32_e64 v3, null, s13, v5, vcc_lo
	v_add_co_u32 v0, vcc_lo, v0, v12
	v_mul_lo_u32 v16, s25, v15
	s_wait_alu 0xfffd
	v_add_co_ci_u32_e64 v1, null, v1, v13, vcc_lo
	v_add_co_u32 v14, vcc_lo, v2, 8
	s_wait_alu 0xfffd
	v_add_co_ci_u32_e64 v15, null, 0, v3, vcc_lo
	v_add_co_u32 v0, vcc_lo, s4, v0
	s_ashr_i32 s21, s44, 31
	s_wait_alu 0xfffd
	v_add_co_ci_u32_e64 v1, null, s5, v1, vcc_lo
	s_mul_i32 s21, s24, s21
	v_lshlrev_b64_e32 v[18:19], 4, v[8:9]
	v_add3_u32 v11, v11, s21, v16
	v_add_co_u32 v16, vcc_lo, v0, 8
	v_cmp_gt_i32_e64 s2, s46, v20
	s_wait_alu 0xfffd
	v_add_co_ci_u32_e64 v17, null, 0, v1, vcc_lo
	s_or_b32 s22, s20, s51
	s_add_nc_u64 s[6:7], s[4:5], s[42:43]
	s_lshl_b64 s[20:21], s[18:19], 4
	s_wait_alu 0xfffe
	s_or_b32 s5, s22, s50
	s_lshl_b64 s[22:23], s[16:17], 6
	s_lshl_b64 s[24:25], s[10:11], 4
	;; [unrolled: 1-line block ×3, first 2 shown]
	s_branch .LBB151_5
.LBB151_3:                              ;   in Loop: Header=BB151_5 Depth=1
	s_wait_alu 0xfffe
	s_or_b32 exec_lo, exec_lo, s4
.LBB151_4:                              ;   in Loop: Header=BB151_5 Depth=1
	s_add_co_i32 s34, s34, 0x10000
	s_wait_alu 0xfffe
	s_cmp_lt_u32 s34, s33
	s_cbranch_scc0 .LBB151_34
.LBB151_5:                              ; =>This Loop Header: Depth=1
                                        ;     Child Loop BB151_15 Depth 2
	s_wait_alu 0xfffe
	s_and_not1_b32 vcc_lo, exec_lo, s5
	s_wait_alu 0xfffe
	s_cbranch_vccnz .LBB151_4
; %bb.6:                                ;   in Loop: Header=BB151_5 Depth=1
	s_mul_u64 s[44:45], s[26:27], s[34:35]
	s_and_not1_b32 vcc_lo, exec_lo, s48
	s_wait_alu 0xfffe
	s_lshl_b64 s[44:45], s[44:45], 4
	s_wait_alu 0xfffe
	s_add_nc_u64 s[44:45], s[14:15], s[44:45]
	s_cbranch_vccnz .LBB151_11
; %bb.7:                                ;   in Loop: Header=BB151_5 Depth=1
	s_mov_b32 s4, 0
	s_mov_b32 s50, 0
                                        ; implicit-def: $vgpr2_vgpr3
	s_and_saveexec_b32 s51, s40
	s_cbranch_execz .LBB151_17
; %bb.8:                                ;   in Loop: Header=BB151_5 Depth=1
	v_mov_b32_e32 v2, 0
	v_dual_mov_b32 v3, 0 :: v_dual_mov_b32 v0, 0
	v_mov_b32_e32 v1, 0
	s_and_not1_b32 vcc_lo, exec_lo, s47
	s_wait_alu 0xfffe
	s_cbranch_vccnz .LBB151_10
; %bb.9:                                ;   in Loop: Header=BB151_5 Depth=1
	v_add_co_u32 v0, vcc_lo, s44, v18
	s_wait_alu 0xfffd
	v_add_co_ci_u32_e64 v1, null, s45, v19, vcc_lo
	global_load_b128 v[2:5], v[0:1], off
	s_wait_loadcnt 0x0
	v_mul_f64_e32 v[0:1], s[38:39], v[4:5]
	v_mul_f64_e32 v[4:5], s[36:37], v[4:5]
	s_delay_alu instid0(VALU_DEP_2) | instskip(NEXT) | instid1(VALU_DEP_2)
	v_fma_f64 v[0:1], s[36:37], v[2:3], -v[0:1]
	v_fma_f64 v[2:3], s[38:39], v[2:3], v[4:5]
.LBB151_10:                             ;   in Loop: Header=BB151_5 Depth=1
	s_mov_b32 s50, exec_lo
	s_or_b32 exec_lo, exec_lo, s51
	s_delay_alu instid0(SALU_CYCLE_1)
	s_and_b32 vcc_lo, exec_lo, s4
	s_wait_alu 0xfffe
	s_cbranch_vccnz .LBB151_12
	s_branch .LBB151_18
.LBB151_11:                             ;   in Loop: Header=BB151_5 Depth=1
	s_mov_b32 s50, 0
                                        ; implicit-def: $vgpr2_vgpr3
	s_cbranch_execz .LBB151_18
.LBB151_12:                             ;   in Loop: Header=BB151_5 Depth=1
	v_mov_b32_e32 v2, 0
	v_dual_mov_b32 v3, 0 :: v_dual_mov_b32 v0, 0
	v_dual_mov_b32 v1, 0 :: v_dual_mov_b32 v22, v20
	s_and_saveexec_b32 s51, s2
	s_cbranch_execz .LBB151_20
; %bb.13:                               ;   in Loop: Header=BB151_5 Depth=1
	v_mad_co_u64_u32 v[4:5], null, s20, s34, v[14:15]
	v_mad_co_u64_u32 v[6:7], null, s24, s34, v[16:17]
	s_mov_b32 s52, 0
	v_mov_b32_e32 v22, v20
	v_dual_mov_b32 v0, v5 :: v_dual_mov_b32 v1, v7
	s_delay_alu instid0(VALU_DEP_1) | instskip(SKIP_3) | instid1(VALU_DEP_4)
	v_mad_co_u64_u32 v[23:24], null, s21, s34, v[0:1]
	v_mad_co_u64_u32 v[0:1], null, s25, s34, v[1:2]
	v_mov_b32_e32 v2, 0
	v_mov_b32_e32 v3, 0
	v_mov_b32_e32 v5, v23
	s_delay_alu instid0(VALU_DEP_3) | instskip(NEXT) | instid1(VALU_DEP_3)
	v_dual_mov_b32 v7, v0 :: v_dual_mov_b32 v0, v2
	v_mov_b32_e32 v1, v3
	s_branch .LBB151_15
.LBB151_14:                             ;   in Loop: Header=BB151_15 Depth=2
	s_wait_alu 0xfffe
	s_or_b32 exec_lo, exec_lo, s4
	v_add_nc_u32_e32 v22, 4, v22
	v_add_co_u32 v4, vcc_lo, v4, s22
	s_wait_alu 0xfffd
	v_add_co_ci_u32_e64 v5, null, s23, v5, vcc_lo
	s_delay_alu instid0(VALU_DEP_3)
	v_cmp_le_i32_e32 vcc_lo, s46, v22
	v_add_co_u32 v6, s4, v6, s42
	s_wait_alu 0xf1ff
	v_add_co_ci_u32_e64 v7, null, s43, v7, s4
	s_or_b32 s52, vcc_lo, s52
	s_wait_alu 0xfffe
	s_and_not1_b32 exec_lo, exec_lo, s52
	s_cbranch_execz .LBB151_19
.LBB151_15:                             ;   Parent Loop BB151_5 Depth=1
                                        ; =>  This Inner Loop Header: Depth=2
	s_and_saveexec_b32 s4, s1
	s_cbranch_execz .LBB151_14
; %bb.16:                               ;   in Loop: Header=BB151_15 Depth=2
	global_load_b128 v[23:26], v[4:5], off offset:-8
	global_load_b128 v[27:30], v[6:7], off offset:-8
	s_wait_loadcnt 0x0
	v_mul_f64_e32 v[31:32], v[25:26], v[29:30]
	v_mul_f64_e32 v[29:30], v[23:24], v[29:30]
	s_delay_alu instid0(VALU_DEP_2) | instskip(NEXT) | instid1(VALU_DEP_2)
	v_fma_f64 v[23:24], v[23:24], v[27:28], -v[31:32]
	v_fma_f64 v[25:26], v[25:26], v[27:28], v[29:30]
	s_delay_alu instid0(VALU_DEP_2) | instskip(NEXT) | instid1(VALU_DEP_2)
	v_add_f64_e32 v[0:1], v[0:1], v[23:24]
	v_add_f64_e32 v[2:3], v[2:3], v[25:26]
	s_branch .LBB151_14
.LBB151_17:                             ;   in Loop: Header=BB151_5 Depth=1
	s_or_b32 exec_lo, exec_lo, s51
	s_wait_alu 0xfffe
	s_and_b32 vcc_lo, exec_lo, s4
	s_wait_alu 0xfffe
	s_cbranch_vccnz .LBB151_12
.LBB151_18:                             ;   in Loop: Header=BB151_5 Depth=1
	v_dual_mov_b32 v4, v8 :: v_dual_mov_b32 v5, v9
	s_and_saveexec_b32 s4, s50
	s_cbranch_execz .LBB151_3
	s_branch .LBB151_33
.LBB151_19:                             ;   in Loop: Header=BB151_5 Depth=1
	s_or_b32 exec_lo, exec_lo, s52
.LBB151_20:                             ;   in Loop: Header=BB151_5 Depth=1
	s_delay_alu instid0(SALU_CYCLE_1) | instskip(NEXT) | instid1(SALU_CYCLE_1)
	s_or_b32 exec_lo, exec_lo, s51
	s_and_not1_b32 vcc_lo, exec_lo, s49
	s_wait_alu 0xfffe
	s_cbranch_vccnz .LBB151_26
; %bb.21:                               ;   in Loop: Header=BB151_5 Depth=1
	v_mov_b32_e32 v4, 0
	v_dual_mov_b32 v5, 0 :: v_dual_mov_b32 v6, 0
	v_mov_b32_e32 v7, 0
	v_cmp_gt_i32_e32 vcc_lo, s41, v22
	s_and_saveexec_b32 s51, vcc_lo
	s_cbranch_execz .LBB151_23
; %bb.22:                               ;   in Loop: Header=BB151_5 Depth=1
	v_mad_co_u64_u32 v[4:5], null, s16, v22, 0
	s_mul_u64 s[52:53], s[18:19], s[34:35]
	s_wait_alu 0xfffe
	s_lshl_b64 s[52:53], s[52:53], 4
	s_wait_alu 0xfffe
	s_add_nc_u64 s[52:53], s[12:13], s[52:53]
	v_mad_co_u64_u32 v[5:6], null, s17, v22, v[5:6]
	s_delay_alu instid0(VALU_DEP_1) | instskip(SKIP_1) | instid1(VALU_DEP_1)
	v_lshlrev_b64_e32 v[4:5], 4, v[4:5]
	s_wait_alu 0xfffe
	v_add_co_u32 v4, s4, s52, v4
	s_wait_alu 0xf1ff
	s_delay_alu instid0(VALU_DEP_2)
	v_add_co_ci_u32_e64 v5, null, s53, v5, s4
	global_load_b128 v[4:7], v[4:5], off
.LBB151_23:                             ;   in Loop: Header=BB151_5 Depth=1
	s_or_b32 exec_lo, exec_lo, s51
	s_and_saveexec_b32 s4, s1
	s_cbranch_execz .LBB151_25
; %bb.24:                               ;   in Loop: Header=BB151_5 Depth=1
	v_mad_co_u64_u32 v[23:24], null, s8, v22, 0
	s_mul_u64 s[52:53], s[10:11], s[34:35]
	s_wait_alu 0xfffe
	s_lshl_b64 s[52:53], s[52:53], 4
	s_wait_alu 0xfffe
	s_add_nc_u64 s[52:53], s[6:7], s[52:53]
	v_mad_co_u64_u32 v[24:25], null, s9, v22, v[24:25]
	s_delay_alu instid0(VALU_DEP_1) | instskip(NEXT) | instid1(VALU_DEP_1)
	v_dual_cndmask_b32 v22, 0, v23 :: v_dual_cndmask_b32 v23, 0, v24
	v_lshlrev_b64_e32 v[22:23], 4, v[22:23]
	s_wait_alu 0xfffe
	s_delay_alu instid0(VALU_DEP_1) | instskip(SKIP_1) | instid1(VALU_DEP_2)
	v_add_co_u32 v22, vcc_lo, s52, v22
	s_wait_alu 0xfffd
	v_add_co_ci_u32_e64 v23, null, s53, v23, vcc_lo
	s_delay_alu instid0(VALU_DEP_2) | instskip(SKIP_1) | instid1(VALU_DEP_2)
	v_add_co_u32 v22, vcc_lo, v22, v12
	s_wait_alu 0xfffd
	v_add_co_ci_u32_e64 v23, null, v23, v13, vcc_lo
	global_load_b128 v[22:25], v[22:23], off
	s_wait_loadcnt 0x0
	v_mul_f64_e32 v[26:27], v[6:7], v[24:25]
	v_mul_f64_e32 v[24:25], v[4:5], v[24:25]
	s_delay_alu instid0(VALU_DEP_2) | instskip(NEXT) | instid1(VALU_DEP_2)
	v_fma_f64 v[4:5], v[4:5], v[22:23], -v[26:27]
	v_fma_f64 v[6:7], v[6:7], v[22:23], v[24:25]
	s_delay_alu instid0(VALU_DEP_2) | instskip(NEXT) | instid1(VALU_DEP_2)
	v_add_f64_e32 v[0:1], v[0:1], v[4:5]
	v_add_f64_e32 v[2:3], v[2:3], v[6:7]
.LBB151_25:                             ;   in Loop: Header=BB151_5 Depth=1
	s_wait_alu 0xfffe
	s_or_b32 exec_lo, exec_lo, s4
.LBB151_26:                             ;   in Loop: Header=BB151_5 Depth=1
	ds_store_b128 v21, v[0:3]
	s_wait_loadcnt_dscnt 0x0
	s_barrier_signal -1
	s_barrier_wait -1
	global_inv scope:SCOPE_SE
                                        ; implicit-def: $vgpr2_vgpr3
	s_and_saveexec_b32 s4, s0
	s_cbranch_execz .LBB151_32
; %bb.27:                               ;   in Loop: Header=BB151_5 Depth=1
	ds_load_b128 v[0:3], v21
	ds_load_b128 v[4:7], v21 offset:1024
	s_mov_b32 s52, s50
	s_wait_dscnt 0x0
	v_add_f64_e32 v[22:23], v[0:1], v[4:5]
	v_add_f64_e32 v[24:25], v[2:3], v[6:7]
	ds_load_b128 v[0:3], v21 offset:2048
	ds_load_b128 v[4:7], v21 offset:3072
	s_wait_dscnt 0x1
	v_add_f64_e32 v[0:1], v[22:23], v[0:1]
	v_add_f64_e32 v[2:3], v[24:25], v[2:3]
	s_wait_dscnt 0x0
	s_delay_alu instid0(VALU_DEP_2) | instskip(NEXT) | instid1(VALU_DEP_2)
	v_add_f64_e32 v[4:5], v[0:1], v[4:5]
	v_add_f64_e32 v[6:7], v[2:3], v[6:7]
                                        ; implicit-def: $vgpr2_vgpr3
	ds_store_b128 v21, v[4:7]
	s_and_saveexec_b32 s51, s3
	s_cbranch_execz .LBB151_31
; %bb.28:                               ;   in Loop: Header=BB151_5 Depth=1
	v_mul_f64_e32 v[0:1], s[30:31], v[6:7]
	v_mul_f64_e32 v[2:3], s[28:29], v[6:7]
	s_and_not1_b32 vcc_lo, exec_lo, s47
	s_delay_alu instid0(VALU_DEP_2) | instskip(NEXT) | instid1(VALU_DEP_2)
	v_fma_f64 v[0:1], s[28:29], v[4:5], -v[0:1]
	v_fma_f64 v[2:3], s[30:31], v[4:5], v[2:3]
	s_wait_alu 0xfffe
	s_cbranch_vccnz .LBB151_30
; %bb.29:                               ;   in Loop: Header=BB151_5 Depth=1
	v_lshlrev_b64_e32 v[4:5], 4, v[10:11]
	s_delay_alu instid0(VALU_DEP_1) | instskip(SKIP_1) | instid1(VALU_DEP_2)
	v_add_co_u32 v4, vcc_lo, s44, v4
	s_wait_alu 0xfffd
	v_add_co_ci_u32_e64 v5, null, s45, v5, vcc_lo
	global_load_b128 v[4:7], v[4:5], off
	s_wait_loadcnt 0x0
	v_mul_f64_e32 v[22:23], s[38:39], v[6:7]
	v_mul_f64_e32 v[6:7], s[36:37], v[6:7]
	s_delay_alu instid0(VALU_DEP_2) | instskip(NEXT) | instid1(VALU_DEP_2)
	v_fma_f64 v[22:23], s[36:37], v[4:5], -v[22:23]
	v_fma_f64 v[4:5], s[38:39], v[4:5], v[6:7]
	s_delay_alu instid0(VALU_DEP_2) | instskip(NEXT) | instid1(VALU_DEP_2)
	v_add_f64_e32 v[0:1], v[0:1], v[22:23]
	v_add_f64_e32 v[2:3], v[2:3], v[4:5]
.LBB151_30:                             ;   in Loop: Header=BB151_5 Depth=1
	s_or_b32 s52, s50, exec_lo
.LBB151_31:                             ;   in Loop: Header=BB151_5 Depth=1
	s_or_b32 exec_lo, exec_lo, s51
	s_delay_alu instid0(SALU_CYCLE_1) | instskip(SKIP_2) | instid1(SALU_CYCLE_1)
	s_and_not1_b32 s50, s50, exec_lo
	s_wait_alu 0xfffe
	s_and_b32 s51, s52, exec_lo
	s_or_b32 s50, s50, s51
.LBB151_32:                             ;   in Loop: Header=BB151_5 Depth=1
	s_wait_alu 0xfffe
	s_or_b32 exec_lo, exec_lo, s4
	v_dual_mov_b32 v4, v10 :: v_dual_mov_b32 v5, v11
	s_and_saveexec_b32 s4, s50
	s_cbranch_execz .LBB151_3
.LBB151_33:                             ;   in Loop: Header=BB151_5 Depth=1
	s_delay_alu instid0(VALU_DEP_1) | instskip(SKIP_1) | instid1(VALU_DEP_1)
	v_lshlrev_b64_e32 v[4:5], 4, v[4:5]
	s_wait_alu 0xfffe
	v_add_co_u32 v4, vcc_lo, s44, v4
	s_wait_alu 0xfffd
	s_delay_alu instid0(VALU_DEP_2)
	v_add_co_ci_u32_e64 v5, null, s45, v5, vcc_lo
	global_store_b128 v[4:5], v[0:3], off
	s_branch .LBB151_3
.LBB151_34:
	s_endpgm
	.section	.rodata,"a",@progbits
	.p2align	6, 0x0
	.amdhsa_kernel _ZL20rocblas_gemvn_kernelILi64ELi4El19rocblas_complex_numIdES1_S1_EviiT3_lPKT2_lT1_lS5_lS6_lS2_lPT4_lS6_li
		.amdhsa_group_segment_fixed_size 4096
		.amdhsa_private_segment_fixed_size 0
		.amdhsa_kernarg_size 416
		.amdhsa_user_sgpr_count 2
		.amdhsa_user_sgpr_dispatch_ptr 0
		.amdhsa_user_sgpr_queue_ptr 0
		.amdhsa_user_sgpr_kernarg_segment_ptr 1
		.amdhsa_user_sgpr_dispatch_id 0
		.amdhsa_user_sgpr_private_segment_size 0
		.amdhsa_wavefront_size32 1
		.amdhsa_uses_dynamic_stack 0
		.amdhsa_enable_private_segment 0
		.amdhsa_system_sgpr_workgroup_id_x 1
		.amdhsa_system_sgpr_workgroup_id_y 0
		.amdhsa_system_sgpr_workgroup_id_z 1
		.amdhsa_system_sgpr_workgroup_info 0
		.amdhsa_system_vgpr_workitem_id 1
		.amdhsa_next_free_vgpr 33
		.amdhsa_next_free_sgpr 54
		.amdhsa_reserve_vcc 1
		.amdhsa_float_round_mode_32 0
		.amdhsa_float_round_mode_16_64 0
		.amdhsa_float_denorm_mode_32 3
		.amdhsa_float_denorm_mode_16_64 3
		.amdhsa_fp16_overflow 0
		.amdhsa_workgroup_processor_mode 1
		.amdhsa_memory_ordered 1
		.amdhsa_forward_progress 1
		.amdhsa_inst_pref_size 15
		.amdhsa_round_robin_scheduling 0
		.amdhsa_exception_fp_ieee_invalid_op 0
		.amdhsa_exception_fp_denorm_src 0
		.amdhsa_exception_fp_ieee_div_zero 0
		.amdhsa_exception_fp_ieee_overflow 0
		.amdhsa_exception_fp_ieee_underflow 0
		.amdhsa_exception_fp_ieee_inexact 0
		.amdhsa_exception_int_div_zero 0
	.end_amdhsa_kernel
	.section	.text._ZL20rocblas_gemvn_kernelILi64ELi4El19rocblas_complex_numIdES1_S1_EviiT3_lPKT2_lT1_lS5_lS6_lS2_lPT4_lS6_li,"axG",@progbits,_ZL20rocblas_gemvn_kernelILi64ELi4El19rocblas_complex_numIdES1_S1_EviiT3_lPKT2_lT1_lS5_lS6_lS2_lPT4_lS6_li,comdat
.Lfunc_end151:
	.size	_ZL20rocblas_gemvn_kernelILi64ELi4El19rocblas_complex_numIdES1_S1_EviiT3_lPKT2_lT1_lS5_lS6_lS2_lPT4_lS6_li, .Lfunc_end151-_ZL20rocblas_gemvn_kernelILi64ELi4El19rocblas_complex_numIdES1_S1_EviiT3_lPKT2_lT1_lS5_lS6_lS2_lPT4_lS6_li
                                        ; -- End function
	.set _ZL20rocblas_gemvn_kernelILi64ELi4El19rocblas_complex_numIdES1_S1_EviiT3_lPKT2_lT1_lS5_lS6_lS2_lPT4_lS6_li.num_vgpr, 33
	.set _ZL20rocblas_gemvn_kernelILi64ELi4El19rocblas_complex_numIdES1_S1_EviiT3_lPKT2_lT1_lS5_lS6_lS2_lPT4_lS6_li.num_agpr, 0
	.set _ZL20rocblas_gemvn_kernelILi64ELi4El19rocblas_complex_numIdES1_S1_EviiT3_lPKT2_lT1_lS5_lS6_lS2_lPT4_lS6_li.numbered_sgpr, 54
	.set _ZL20rocblas_gemvn_kernelILi64ELi4El19rocblas_complex_numIdES1_S1_EviiT3_lPKT2_lT1_lS5_lS6_lS2_lPT4_lS6_li.num_named_barrier, 0
	.set _ZL20rocblas_gemvn_kernelILi64ELi4El19rocblas_complex_numIdES1_S1_EviiT3_lPKT2_lT1_lS5_lS6_lS2_lPT4_lS6_li.private_seg_size, 0
	.set _ZL20rocblas_gemvn_kernelILi64ELi4El19rocblas_complex_numIdES1_S1_EviiT3_lPKT2_lT1_lS5_lS6_lS2_lPT4_lS6_li.uses_vcc, 1
	.set _ZL20rocblas_gemvn_kernelILi64ELi4El19rocblas_complex_numIdES1_S1_EviiT3_lPKT2_lT1_lS5_lS6_lS2_lPT4_lS6_li.uses_flat_scratch, 0
	.set _ZL20rocblas_gemvn_kernelILi64ELi4El19rocblas_complex_numIdES1_S1_EviiT3_lPKT2_lT1_lS5_lS6_lS2_lPT4_lS6_li.has_dyn_sized_stack, 0
	.set _ZL20rocblas_gemvn_kernelILi64ELi4El19rocblas_complex_numIdES1_S1_EviiT3_lPKT2_lT1_lS5_lS6_lS2_lPT4_lS6_li.has_recursion, 0
	.set _ZL20rocblas_gemvn_kernelILi64ELi4El19rocblas_complex_numIdES1_S1_EviiT3_lPKT2_lT1_lS5_lS6_lS2_lPT4_lS6_li.has_indirect_call, 0
	.section	.AMDGPU.csdata,"",@progbits
; Kernel info:
; codeLenInByte = 1836
; TotalNumSgprs: 56
; NumVgprs: 33
; ScratchSize: 0
; MemoryBound: 0
; FloatMode: 240
; IeeeMode: 1
; LDSByteSize: 4096 bytes/workgroup (compile time only)
; SGPRBlocks: 0
; VGPRBlocks: 4
; NumSGPRsForWavesPerEU: 56
; NumVGPRsForWavesPerEU: 33
; Occupancy: 16
; WaveLimiterHint : 1
; COMPUTE_PGM_RSRC2:SCRATCH_EN: 0
; COMPUTE_PGM_RSRC2:USER_SGPR: 2
; COMPUTE_PGM_RSRC2:TRAP_HANDLER: 0
; COMPUTE_PGM_RSRC2:TGID_X_EN: 1
; COMPUTE_PGM_RSRC2:TGID_Y_EN: 0
; COMPUTE_PGM_RSRC2:TGID_Z_EN: 1
; COMPUTE_PGM_RSRC2:TIDIG_COMP_CNT: 1
	.section	.text._ZL20rocblas_gemvn_kernelILi32ELi16Ei19rocblas_complex_numIdEPKS1_S1_EviiT3_lPKT2_lT1_lS7_lS8_lS4_lPT4_lS8_li,"axG",@progbits,_ZL20rocblas_gemvn_kernelILi32ELi16Ei19rocblas_complex_numIdEPKS1_S1_EviiT3_lPKT2_lT1_lS7_lS8_lS4_lPT4_lS8_li,comdat
	.globl	_ZL20rocblas_gemvn_kernelILi32ELi16Ei19rocblas_complex_numIdEPKS1_S1_EviiT3_lPKT2_lT1_lS7_lS8_lS4_lPT4_lS8_li ; -- Begin function _ZL20rocblas_gemvn_kernelILi32ELi16Ei19rocblas_complex_numIdEPKS1_S1_EviiT3_lPKT2_lT1_lS7_lS8_lS4_lPT4_lS8_li
	.p2align	8
	.type	_ZL20rocblas_gemvn_kernelILi32ELi16Ei19rocblas_complex_numIdEPKS1_S1_EviiT3_lPKT2_lT1_lS7_lS8_lS4_lPT4_lS8_li,@function
_ZL20rocblas_gemvn_kernelILi32ELi16Ei19rocblas_complex_numIdEPKS1_S1_EviiT3_lPKT2_lT1_lS7_lS8_lS4_lPT4_lS8_li: ; @_ZL20rocblas_gemvn_kernelILi32ELi16Ei19rocblas_complex_numIdEPKS1_S1_EviiT3_lPKT2_lT1_lS7_lS8_lS4_lPT4_lS8_li
; %bb.0:
	s_load_b64 s[2:3], s[0:1], 0x9c
	s_wait_kmcnt 0x0
	s_lshr_b32 s4, s2, 16
	s_and_b32 s2, s2, 0xffff
	s_and_b32 s3, s3, 0xffff
	s_mul_i32 s4, s4, s2
	s_delay_alu instid0(SALU_CYCLE_1) | instskip(NEXT) | instid1(SALU_CYCLE_1)
	s_mul_i32 s4, s4, s3
	s_cmp_lg_u32 s4, 0x200
	s_cbranch_scc1 .LBB152_36
; %bb.1:
	s_load_b32 s7, s[0:1], 0x88
	s_lshr_b32 s34, ttmp7, 16
	s_wait_kmcnt 0x0
	s_cmp_ge_u32 s34, s7
	s_cbranch_scc1 .LBB152_36
; %bb.2:
	s_clause 0x2
	s_load_b256 s[8:15], s[0:1], 0x8
	s_load_b96 s[4:6], s[0:1], 0x40
	s_load_b96 s[28:30], s[0:1], 0x70
	v_dual_mov_b32 v16, 0 :: v_dual_and_b32 v1, 0x3ff, v0
	v_bfe_u32 v0, v0, 10, 10
	s_lshl_b32 s33, ttmp9, 5
	s_clause 0x4
	s_load_b64 s[36:37], s[0:1], 0x0
	s_load_b32 s31, s[0:1], 0x28
	s_load_b128 s[24:27], s[0:1], 0x30
	s_load_b256 s[16:23], s[0:1], 0x50
	s_load_b64 s[38:39], s[0:1], 0x80
	s_mov_b32 s35, 0
	v_mad_u32_u24 v2, v0, s2, v1
	s_delay_alu instid0(VALU_DEP_1)
	v_add_nc_u32_e32 v15, s33, v2
	v_or_b32_e32 v4, s33, v2
	v_lshrrev_b32_e32 v25, 5, v2
	v_lshlrev_b32_e32 v27, 4, v2
	s_wait_kmcnt 0x0
	s_lshl_b64 s[2:3], s[14:15], 4
	s_lshl_b64 s[4:5], s[4:5], 4
	v_mad_co_u64_u32 v[17:18], null, v15, s30, 0
	v_and_b32_e32 v3, 31, v2
	s_ashr_i32 s1, s30, 31
	v_mul_lo_u32 v19, v4, s30
	s_ashr_i32 s14, s37, 31
	s_wait_alu 0xfffe
	s_add_nc_u64 s[12:13], s[12:13], s[2:3]
	s_lshr_b32 s2, s14, 28
	v_mov_b32_e32 v0, v18
	v_or_b32_e32 v26, s33, v3
	s_ashr_i32 s41, s36, 31
	s_mov_b32 s40, s36
	v_ashrrev_i32_e32 v20, 31, v19
	v_mad_co_u64_u32 v[0:1], null, v15, s1, v[0:1]
	s_wait_alu 0xfffe
	s_add_co_i32 s1, s37, s2
	s_lshl_b64 s[28:29], s[28:29], 4
	s_wait_alu 0xfffe
	s_and_b32 s30, s1, -16
	v_mul_lo_u32 v28, s6, v25
	s_wait_alu 0xfffe
	s_sub_co_i32 s2, s37, s30
	v_lshlrev_b64_e32 v[23:24], 4, v[19:20]
	v_mov_b32_e32 v18, v0
	v_mul_lo_u32 v0, s31, v25
	v_cmp_gt_i64_e32 vcc_lo, s[40:41], v[15:16]
	s_wait_alu 0xfffe
	s_cmp_gt_i32 s2, 0
	v_cmp_gt_u32_e64 s2, 32, v2
	v_lshlrev_b64_e32 v[21:22], 4, v[17:18]
	v_cmp_gt_i32_e64 s0, s36, v26
	v_cmp_gt_i32_e64 s1, s30, v25
	;; [unrolled: 1-line block ×3, first 2 shown]
	v_add3_u32 v29, v0, s33, v3
	s_add_nc_u64 s[14:15], s[26:27], s[4:5]
	s_add_nc_u64 s[22:23], s[22:23], s[28:29]
	s_cselect_b32 s33, -1, 0
	s_and_b32 s36, s2, vcc_lo
	s_lshl_b32 s40, s6, 4
	s_lshl_b32 s41, s31, 4
	s_branch .LBB152_5
.LBB152_3:                              ;   in Loop: Header=BB152_5 Depth=1
	s_wait_alu 0xfffe
	s_or_b32 exec_lo, exec_lo, s4
.LBB152_4:                              ;   in Loop: Header=BB152_5 Depth=1
	s_add_co_i32 s34, s34, 0x10000
	s_delay_alu instid0(SALU_CYCLE_1)
	s_cmp_lt_u32 s34, s7
	s_cbranch_scc0 .LBB152_36
.LBB152_5:                              ; =>This Loop Header: Depth=1
                                        ;     Child Loop BB152_17 Depth 2
	s_mul_u64 s[4:5], s[10:11], s[34:35]
	s_wait_alu 0xfffe
	s_lshl_b64 s[4:5], s[4:5], 4
	s_wait_alu 0xfffe
	s_add_nc_u64 s[4:5], s[8:9], s[4:5]
	global_load_b128 v[4:7], v16, s[4:5]
	s_mul_u64 s[4:5], s[20:21], s[34:35]
	s_wait_alu 0xfffe
	s_lshl_b64 s[4:5], s[4:5], 4
	s_wait_alu 0xfffe
	s_add_nc_u64 s[4:5], s[18:19], s[4:5]
	s_wait_loadcnt 0x1
	global_load_b128 v[0:3], v16, s[4:5]
	s_wait_loadcnt 0x1
	v_cmp_neq_f64_e32 vcc_lo, 0, v[4:5]
	v_cmp_neq_f64_e64 s4, 0, v[6:7]
	s_wait_alu 0xfffe
	s_or_b32 s5, vcc_lo, s4
	s_mov_b32 s4, -1
	s_wait_alu 0xfffe
	s_and_b32 vcc_lo, exec_lo, s5
	s_wait_alu 0xfffe
	s_cbranch_vccz .LBB152_7
; %bb.6:                                ;   in Loop: Header=BB152_5 Depth=1
	s_and_not1_b32 vcc_lo, exec_lo, s4
	s_wait_alu 0xfffe
	s_cbranch_vccnz .LBB152_4
	s_branch .LBB152_8
.LBB152_7:                              ;   in Loop: Header=BB152_5 Depth=1
	s_wait_loadcnt 0x0
	v_cmp_neq_f64_e32 vcc_lo, 1.0, v[0:1]
	v_cmp_neq_f64_e64 s4, 0, v[2:3]
	s_or_b32 s4, vcc_lo, s4
	s_wait_alu 0xfffe
	s_and_not1_b32 vcc_lo, exec_lo, s4
	s_wait_alu 0xfffe
	s_cbranch_vccnz .LBB152_4
.LBB152_8:                              ;   in Loop: Header=BB152_5 Depth=1
	s_xor_b32 s26, s5, -1
	s_mul_u64 s[4:5], s[38:39], s[34:35]
	s_wait_alu 0xfffe
	s_and_not1_b32 vcc_lo, exec_lo, s26
	s_lshl_b64 s[4:5], s[4:5], 4
	s_wait_alu 0xfffe
	s_add_nc_u64 s[26:27], s[22:23], s[4:5]
	s_cbranch_vccnz .LBB152_13
; %bb.9:                                ;   in Loop: Header=BB152_5 Depth=1
	s_mov_b32 s5, 0
	s_mov_b32 s42, 0
                                        ; implicit-def: $vgpr10_vgpr11
	s_and_saveexec_b32 s28, s36
	s_cbranch_execz .LBB152_19
; %bb.10:                               ;   in Loop: Header=BB152_5 Depth=1
	s_wait_loadcnt 0x0
	v_cmp_neq_f64_e32 vcc_lo, 0, v[0:1]
	v_cmp_neq_f64_e64 s4, 0, v[2:3]
	v_mov_b32_e32 v10, 0
	v_dual_mov_b32 v11, 0 :: v_dual_mov_b32 v8, 0
	v_mov_b32_e32 v9, 0
	s_or_b32 s4, vcc_lo, s4
	s_wait_alu 0xfffe
	s_and_not1_b32 vcc_lo, exec_lo, s4
	s_wait_alu 0xfffe
	s_cbranch_vccnz .LBB152_12
; %bb.11:                               ;   in Loop: Header=BB152_5 Depth=1
	v_add_co_u32 v8, vcc_lo, s26, v21
	s_wait_alu 0xfffd
	v_add_co_ci_u32_e64 v9, null, s27, v22, vcc_lo
	global_load_b128 v[10:13], v[8:9], off
	s_wait_loadcnt 0x0
	v_mul_f64_e32 v[8:9], v[2:3], v[12:13]
	v_mul_f64_e32 v[12:13], v[0:1], v[12:13]
	s_delay_alu instid0(VALU_DEP_2) | instskip(NEXT) | instid1(VALU_DEP_2)
	v_fma_f64 v[8:9], v[0:1], v[10:11], -v[8:9]
	v_fma_f64 v[10:11], v[2:3], v[10:11], v[12:13]
.LBB152_12:                             ;   in Loop: Header=BB152_5 Depth=1
	s_mov_b32 s42, exec_lo
	s_or_b32 exec_lo, exec_lo, s28
	s_delay_alu instid0(SALU_CYCLE_1)
	s_and_b32 vcc_lo, exec_lo, s5
	s_wait_alu 0xfffe
	s_cbranch_vccnz .LBB152_14
	s_branch .LBB152_20
.LBB152_13:                             ;   in Loop: Header=BB152_5 Depth=1
	s_mov_b32 s42, 0
                                        ; implicit-def: $vgpr10_vgpr11
	s_cbranch_execz .LBB152_20
.LBB152_14:                             ;   in Loop: Header=BB152_5 Depth=1
	v_mov_b32_e32 v10, 0
	s_mul_u64 s[4:5], s[24:25], s[34:35]
	s_mul_u64 s[28:29], s[16:17], s[34:35]
	v_dual_mov_b32 v11, 0 :: v_dual_mov_b32 v8, 0
	v_dual_mov_b32 v9, 0 :: v_dual_mov_b32 v30, v25
	s_wait_alu 0xfffe
	s_lshl_b64 s[4:5], s[4:5], 4
	s_lshl_b64 s[44:45], s[28:29], 4
	s_wait_alu 0xfffe
	s_add_nc_u64 s[28:29], s[12:13], s[4:5]
	s_add_nc_u64 s[4:5], s[14:15], s[44:45]
	s_and_saveexec_b32 s43, s1
	s_cbranch_execz .LBB152_22
; %bb.15:                               ;   in Loop: Header=BB152_5 Depth=1
	v_mov_b32_e32 v10, 0
	v_dual_mov_b32 v11, 0 :: v_dual_mov_b32 v12, v29
	s_delay_alu instid0(VALU_DEP_2) | instskip(SKIP_1) | instid1(VALU_DEP_3)
	v_mov_b32_e32 v8, v10
	v_mov_b32_e32 v14, v28
	v_dual_mov_b32 v30, v25 :: v_dual_mov_b32 v9, v11
	s_mov_b32 s44, 0
	s_branch .LBB152_17
.LBB152_16:                             ;   in Loop: Header=BB152_17 Depth=2
	s_or_b32 exec_lo, exec_lo, s45
	v_add_nc_u32_e32 v30, 16, v30
	s_wait_alu 0xfffe
	v_add_nc_u32_e32 v14, s40, v14
	v_add_nc_u32_e32 v12, s41, v12
	s_delay_alu instid0(VALU_DEP_3) | instskip(SKIP_1) | instid1(SALU_CYCLE_1)
	v_cmp_le_i32_e32 vcc_lo, s30, v30
	s_or_b32 s44, vcc_lo, s44
	s_and_not1_b32 exec_lo, exec_lo, s44
	s_cbranch_execz .LBB152_21
.LBB152_17:                             ;   Parent Loop BB152_5 Depth=1
                                        ; =>  This Inner Loop Header: Depth=2
	s_and_saveexec_b32 s45, s0
	s_cbranch_execz .LBB152_16
; %bb.18:                               ;   in Loop: Header=BB152_17 Depth=2
	v_ashrrev_i32_e32 v15, 31, v14
	v_ashrrev_i32_e32 v13, 31, v12
	s_delay_alu instid0(VALU_DEP_2) | instskip(NEXT) | instid1(VALU_DEP_2)
	v_lshlrev_b64_e32 v[31:32], 4, v[14:15]
	v_lshlrev_b64_e32 v[33:34], 4, v[12:13]
	s_wait_alu 0xfffe
	s_delay_alu instid0(VALU_DEP_2) | instskip(SKIP_1) | instid1(VALU_DEP_3)
	v_add_co_u32 v31, vcc_lo, s4, v31
	s_wait_alu 0xfffd
	v_add_co_ci_u32_e64 v32, null, s5, v32, vcc_lo
	s_delay_alu instid0(VALU_DEP_3)
	v_add_co_u32 v35, vcc_lo, s28, v33
	s_wait_alu 0xfffd
	v_add_co_ci_u32_e64 v36, null, s29, v34, vcc_lo
	global_load_b128 v[31:34], v[31:32], off
	global_load_b128 v[35:38], v[35:36], off
	s_wait_loadcnt 0x0
	v_mul_f64_e32 v[39:40], v[33:34], v[37:38]
	v_mul_f64_e32 v[37:38], v[31:32], v[37:38]
	s_delay_alu instid0(VALU_DEP_2) | instskip(NEXT) | instid1(VALU_DEP_2)
	v_fma_f64 v[31:32], v[31:32], v[35:36], -v[39:40]
	v_fma_f64 v[33:34], v[33:34], v[35:36], v[37:38]
	s_delay_alu instid0(VALU_DEP_2) | instskip(NEXT) | instid1(VALU_DEP_2)
	v_add_f64_e32 v[8:9], v[8:9], v[31:32]
	v_add_f64_e32 v[10:11], v[10:11], v[33:34]
	s_branch .LBB152_16
.LBB152_19:                             ;   in Loop: Header=BB152_5 Depth=1
	s_wait_alu 0xfffe
	s_or_b32 exec_lo, exec_lo, s28
	s_delay_alu instid0(SALU_CYCLE_1)
	s_and_b32 vcc_lo, exec_lo, s5
	s_wait_alu 0xfffe
	s_cbranch_vccnz .LBB152_14
.LBB152_20:                             ;   in Loop: Header=BB152_5 Depth=1
	s_wait_loadcnt 0x0
	v_dual_mov_b32 v0, v17 :: v_dual_mov_b32 v1, v18
	s_and_saveexec_b32 s4, s42
	s_cbranch_execz .LBB152_3
	s_branch .LBB152_35
.LBB152_21:                             ;   in Loop: Header=BB152_5 Depth=1
	s_or_b32 exec_lo, exec_lo, s44
.LBB152_22:                             ;   in Loop: Header=BB152_5 Depth=1
	s_delay_alu instid0(SALU_CYCLE_1)
	s_or_b32 exec_lo, exec_lo, s43
	s_wait_alu 0xfffe
	s_and_not1_b32 vcc_lo, exec_lo, s33
	s_wait_alu 0xfffe
	s_cbranch_vccnz .LBB152_28
; %bb.23:                               ;   in Loop: Header=BB152_5 Depth=1
	v_mov_b32_e32 v12, 0
	v_dual_mov_b32 v13, 0 :: v_dual_mov_b32 v14, 0
	v_mov_b32_e32 v15, 0
	v_cmp_gt_i32_e32 vcc_lo, s37, v30
	s_and_saveexec_b32 s43, vcc_lo
	s_cbranch_execz .LBB152_25
; %bb.24:                               ;   in Loop: Header=BB152_5 Depth=1
	v_mul_lo_u32 v12, v30, s6
	s_delay_alu instid0(VALU_DEP_1) | instskip(NEXT) | instid1(VALU_DEP_1)
	v_ashrrev_i32_e32 v13, 31, v12
	v_lshlrev_b64_e32 v[12:13], 4, v[12:13]
	s_delay_alu instid0(VALU_DEP_1) | instskip(SKIP_1) | instid1(VALU_DEP_2)
	v_add_co_u32 v12, s4, s4, v12
	s_wait_alu 0xf1ff
	v_add_co_ci_u32_e64 v13, null, s5, v13, s4
	global_load_b128 v[12:15], v[12:13], off
.LBB152_25:                             ;   in Loop: Header=BB152_5 Depth=1
	s_or_b32 exec_lo, exec_lo, s43
	s_and_saveexec_b32 s4, s0
	s_cbranch_execz .LBB152_27
; %bb.26:                               ;   in Loop: Header=BB152_5 Depth=1
	v_mul_lo_u32 v30, v30, s31
	s_delay_alu instid0(VALU_DEP_1) | instskip(NEXT) | instid1(VALU_DEP_1)
	v_cndmask_b32_e32 v30, 0, v30, vcc_lo
	v_add_nc_u32_e32 v30, v30, v26
	s_delay_alu instid0(VALU_DEP_1) | instskip(NEXT) | instid1(VALU_DEP_1)
	v_ashrrev_i32_e32 v31, 31, v30
	v_lshlrev_b64_e32 v[30:31], 4, v[30:31]
	s_delay_alu instid0(VALU_DEP_1) | instskip(SKIP_1) | instid1(VALU_DEP_2)
	v_add_co_u32 v30, vcc_lo, s28, v30
	s_wait_alu 0xfffd
	v_add_co_ci_u32_e64 v31, null, s29, v31, vcc_lo
	global_load_b128 v[30:33], v[30:31], off
	s_wait_loadcnt 0x0
	v_mul_f64_e32 v[34:35], v[14:15], v[32:33]
	v_mul_f64_e32 v[32:33], v[12:13], v[32:33]
	s_delay_alu instid0(VALU_DEP_2) | instskip(NEXT) | instid1(VALU_DEP_2)
	v_fma_f64 v[12:13], v[12:13], v[30:31], -v[34:35]
	v_fma_f64 v[14:15], v[14:15], v[30:31], v[32:33]
	s_delay_alu instid0(VALU_DEP_2) | instskip(NEXT) | instid1(VALU_DEP_2)
	v_add_f64_e32 v[8:9], v[8:9], v[12:13]
	v_add_f64_e32 v[10:11], v[10:11], v[14:15]
.LBB152_27:                             ;   in Loop: Header=BB152_5 Depth=1
	s_wait_alu 0xfffe
	s_or_b32 exec_lo, exec_lo, s4
.LBB152_28:                             ;   in Loop: Header=BB152_5 Depth=1
	ds_store_b128 v27, v[8:11]
	s_wait_loadcnt_dscnt 0x0
	s_barrier_signal -1
	s_barrier_wait -1
	global_inv scope:SCOPE_SE
                                        ; implicit-def: $vgpr10_vgpr11
	s_and_saveexec_b32 s5, s2
	s_cbranch_execz .LBB152_34
; %bb.29:                               ;   in Loop: Header=BB152_5 Depth=1
	ds_load_b128 v[8:11], v27
	ds_load_b128 v[12:15], v27 offset:512
	s_mov_b32 s4, s42
	s_wait_dscnt 0x0
	v_add_f64_e32 v[30:31], v[8:9], v[12:13]
	v_add_f64_e32 v[32:33], v[10:11], v[14:15]
	ds_load_b128 v[8:11], v27 offset:1024
	ds_load_b128 v[12:15], v27 offset:1536
	s_wait_dscnt 0x1
	v_add_f64_e32 v[8:9], v[30:31], v[8:9]
	v_add_f64_e32 v[10:11], v[32:33], v[10:11]
	s_wait_dscnt 0x0
	s_delay_alu instid0(VALU_DEP_2) | instskip(NEXT) | instid1(VALU_DEP_2)
	v_add_f64_e32 v[30:31], v[8:9], v[12:13]
	v_add_f64_e32 v[32:33], v[10:11], v[14:15]
	ds_load_b128 v[8:11], v27 offset:2048
	ds_load_b128 v[12:15], v27 offset:2560
	s_wait_dscnt 0x1
	v_add_f64_e32 v[8:9], v[30:31], v[8:9]
	v_add_f64_e32 v[10:11], v[32:33], v[10:11]
	s_wait_dscnt 0x0
	s_delay_alu instid0(VALU_DEP_2) | instskip(NEXT) | instid1(VALU_DEP_2)
	;; [unrolled: 9-line block ×7, first 2 shown]
	v_add_f64_e32 v[12:13], v[8:9], v[12:13]
	v_add_f64_e32 v[14:15], v[10:11], v[14:15]
                                        ; implicit-def: $vgpr10_vgpr11
	ds_store_b128 v27, v[12:15]
	s_and_saveexec_b32 s28, s3
	s_cbranch_execz .LBB152_33
; %bb.30:                               ;   in Loop: Header=BB152_5 Depth=1
	v_mul_f64_e32 v[8:9], v[6:7], v[14:15]
	v_mul_f64_e32 v[10:11], v[4:5], v[14:15]
	v_cmp_neq_f64_e32 vcc_lo, 0, v[0:1]
	v_cmp_neq_f64_e64 s4, 0, v[2:3]
	s_delay_alu instid0(VALU_DEP_4) | instskip(NEXT) | instid1(VALU_DEP_4)
	v_fma_f64 v[8:9], v[4:5], v[12:13], -v[8:9]
	v_fma_f64 v[10:11], v[6:7], v[12:13], v[10:11]
	s_wait_alu 0xfffe
	s_or_b32 s4, vcc_lo, s4
	s_wait_alu 0xfffe
	s_and_not1_b32 vcc_lo, exec_lo, s4
	s_wait_alu 0xfffe
	s_cbranch_vccnz .LBB152_32
; %bb.31:                               ;   in Loop: Header=BB152_5 Depth=1
	v_add_co_u32 v4, vcc_lo, s26, v23
	s_wait_alu 0xfffd
	v_add_co_ci_u32_e64 v5, null, s27, v24, vcc_lo
	global_load_b128 v[4:7], v[4:5], off
	s_wait_loadcnt 0x0
	v_mul_f64_e32 v[12:13], v[2:3], v[6:7]
	v_mul_f64_e32 v[6:7], v[0:1], v[6:7]
	s_delay_alu instid0(VALU_DEP_2) | instskip(NEXT) | instid1(VALU_DEP_2)
	v_fma_f64 v[0:1], v[0:1], v[4:5], -v[12:13]
	v_fma_f64 v[2:3], v[2:3], v[4:5], v[6:7]
	s_delay_alu instid0(VALU_DEP_2) | instskip(NEXT) | instid1(VALU_DEP_2)
	v_add_f64_e32 v[8:9], v[8:9], v[0:1]
	v_add_f64_e32 v[10:11], v[10:11], v[2:3]
.LBB152_32:                             ;   in Loop: Header=BB152_5 Depth=1
	s_or_b32 s4, s42, exec_lo
.LBB152_33:                             ;   in Loop: Header=BB152_5 Depth=1
	s_wait_alu 0xfffe
	s_or_b32 exec_lo, exec_lo, s28
	s_delay_alu instid0(SALU_CYCLE_1)
	s_and_not1_b32 s28, s42, exec_lo
	s_and_b32 s4, s4, exec_lo
	s_wait_alu 0xfffe
	s_or_b32 s42, s28, s4
.LBB152_34:                             ;   in Loop: Header=BB152_5 Depth=1
	s_wait_alu 0xfffe
	s_or_b32 exec_lo, exec_lo, s5
	v_dual_mov_b32 v0, v19 :: v_dual_mov_b32 v1, v20
	s_and_saveexec_b32 s4, s42
	s_cbranch_execz .LBB152_3
.LBB152_35:                             ;   in Loop: Header=BB152_5 Depth=1
	s_delay_alu instid0(VALU_DEP_1) | instskip(SKIP_1) | instid1(VALU_DEP_1)
	v_lshlrev_b64_e32 v[0:1], 4, v[0:1]
	s_wait_alu 0xfffe
	v_add_co_u32 v0, vcc_lo, s26, v0
	s_wait_alu 0xfffd
	s_delay_alu instid0(VALU_DEP_2)
	v_add_co_ci_u32_e64 v1, null, s27, v1, vcc_lo
	global_store_b128 v[0:1], v[8:11], off
	s_branch .LBB152_3
.LBB152_36:
	s_endpgm
	.section	.rodata,"a",@progbits
	.p2align	6, 0x0
	.amdhsa_kernel _ZL20rocblas_gemvn_kernelILi32ELi16Ei19rocblas_complex_numIdEPKS1_S1_EviiT3_lPKT2_lT1_lS7_lS8_lS4_lPT4_lS8_li
		.amdhsa_group_segment_fixed_size 8192
		.amdhsa_private_segment_fixed_size 0
		.amdhsa_kernarg_size 400
		.amdhsa_user_sgpr_count 2
		.amdhsa_user_sgpr_dispatch_ptr 0
		.amdhsa_user_sgpr_queue_ptr 0
		.amdhsa_user_sgpr_kernarg_segment_ptr 1
		.amdhsa_user_sgpr_dispatch_id 0
		.amdhsa_user_sgpr_private_segment_size 0
		.amdhsa_wavefront_size32 1
		.amdhsa_uses_dynamic_stack 0
		.amdhsa_enable_private_segment 0
		.amdhsa_system_sgpr_workgroup_id_x 1
		.amdhsa_system_sgpr_workgroup_id_y 0
		.amdhsa_system_sgpr_workgroup_id_z 1
		.amdhsa_system_sgpr_workgroup_info 0
		.amdhsa_system_vgpr_workitem_id 1
		.amdhsa_next_free_vgpr 41
		.amdhsa_next_free_sgpr 46
		.amdhsa_reserve_vcc 1
		.amdhsa_float_round_mode_32 0
		.amdhsa_float_round_mode_16_64 0
		.amdhsa_float_denorm_mode_32 3
		.amdhsa_float_denorm_mode_16_64 3
		.amdhsa_fp16_overflow 0
		.amdhsa_workgroup_processor_mode 1
		.amdhsa_memory_ordered 1
		.amdhsa_forward_progress 1
		.amdhsa_inst_pref_size 16
		.amdhsa_round_robin_scheduling 0
		.amdhsa_exception_fp_ieee_invalid_op 0
		.amdhsa_exception_fp_denorm_src 0
		.amdhsa_exception_fp_ieee_div_zero 0
		.amdhsa_exception_fp_ieee_overflow 0
		.amdhsa_exception_fp_ieee_underflow 0
		.amdhsa_exception_fp_ieee_inexact 0
		.amdhsa_exception_int_div_zero 0
	.end_amdhsa_kernel
	.section	.text._ZL20rocblas_gemvn_kernelILi32ELi16Ei19rocblas_complex_numIdEPKS1_S1_EviiT3_lPKT2_lT1_lS7_lS8_lS4_lPT4_lS8_li,"axG",@progbits,_ZL20rocblas_gemvn_kernelILi32ELi16Ei19rocblas_complex_numIdEPKS1_S1_EviiT3_lPKT2_lT1_lS7_lS8_lS4_lPT4_lS8_li,comdat
.Lfunc_end152:
	.size	_ZL20rocblas_gemvn_kernelILi32ELi16Ei19rocblas_complex_numIdEPKS1_S1_EviiT3_lPKT2_lT1_lS7_lS8_lS4_lPT4_lS8_li, .Lfunc_end152-_ZL20rocblas_gemvn_kernelILi32ELi16Ei19rocblas_complex_numIdEPKS1_S1_EviiT3_lPKT2_lT1_lS7_lS8_lS4_lPT4_lS8_li
                                        ; -- End function
	.set _ZL20rocblas_gemvn_kernelILi32ELi16Ei19rocblas_complex_numIdEPKS1_S1_EviiT3_lPKT2_lT1_lS7_lS8_lS4_lPT4_lS8_li.num_vgpr, 41
	.set _ZL20rocblas_gemvn_kernelILi32ELi16Ei19rocblas_complex_numIdEPKS1_S1_EviiT3_lPKT2_lT1_lS7_lS8_lS4_lPT4_lS8_li.num_agpr, 0
	.set _ZL20rocblas_gemvn_kernelILi32ELi16Ei19rocblas_complex_numIdEPKS1_S1_EviiT3_lPKT2_lT1_lS7_lS8_lS4_lPT4_lS8_li.numbered_sgpr, 46
	.set _ZL20rocblas_gemvn_kernelILi32ELi16Ei19rocblas_complex_numIdEPKS1_S1_EviiT3_lPKT2_lT1_lS7_lS8_lS4_lPT4_lS8_li.num_named_barrier, 0
	.set _ZL20rocblas_gemvn_kernelILi32ELi16Ei19rocblas_complex_numIdEPKS1_S1_EviiT3_lPKT2_lT1_lS7_lS8_lS4_lPT4_lS8_li.private_seg_size, 0
	.set _ZL20rocblas_gemvn_kernelILi32ELi16Ei19rocblas_complex_numIdEPKS1_S1_EviiT3_lPKT2_lT1_lS7_lS8_lS4_lPT4_lS8_li.uses_vcc, 1
	.set _ZL20rocblas_gemvn_kernelILi32ELi16Ei19rocblas_complex_numIdEPKS1_S1_EviiT3_lPKT2_lT1_lS7_lS8_lS4_lPT4_lS8_li.uses_flat_scratch, 0
	.set _ZL20rocblas_gemvn_kernelILi32ELi16Ei19rocblas_complex_numIdEPKS1_S1_EviiT3_lPKT2_lT1_lS7_lS8_lS4_lPT4_lS8_li.has_dyn_sized_stack, 0
	.set _ZL20rocblas_gemvn_kernelILi32ELi16Ei19rocblas_complex_numIdEPKS1_S1_EviiT3_lPKT2_lT1_lS7_lS8_lS4_lPT4_lS8_li.has_recursion, 0
	.set _ZL20rocblas_gemvn_kernelILi32ELi16Ei19rocblas_complex_numIdEPKS1_S1_EviiT3_lPKT2_lT1_lS7_lS8_lS4_lPT4_lS8_li.has_indirect_call, 0
	.section	.AMDGPU.csdata,"",@progbits
; Kernel info:
; codeLenInByte = 2048
; TotalNumSgprs: 48
; NumVgprs: 41
; ScratchSize: 0
; MemoryBound: 1
; FloatMode: 240
; IeeeMode: 1
; LDSByteSize: 8192 bytes/workgroup (compile time only)
; SGPRBlocks: 0
; VGPRBlocks: 5
; NumSGPRsForWavesPerEU: 48
; NumVGPRsForWavesPerEU: 41
; Occupancy: 16
; WaveLimiterHint : 1
; COMPUTE_PGM_RSRC2:SCRATCH_EN: 0
; COMPUTE_PGM_RSRC2:USER_SGPR: 2
; COMPUTE_PGM_RSRC2:TRAP_HANDLER: 0
; COMPUTE_PGM_RSRC2:TGID_X_EN: 1
; COMPUTE_PGM_RSRC2:TGID_Y_EN: 0
; COMPUTE_PGM_RSRC2:TGID_Z_EN: 1
; COMPUTE_PGM_RSRC2:TIDIG_COMP_CNT: 1
	.section	.text._ZL20rocblas_gemvn_kernelILi32ELi16El19rocblas_complex_numIdEPKS1_S1_EviiT3_lPKT2_lT1_lS7_lS8_lS4_lPT4_lS8_li,"axG",@progbits,_ZL20rocblas_gemvn_kernelILi32ELi16El19rocblas_complex_numIdEPKS1_S1_EviiT3_lPKT2_lT1_lS7_lS8_lS4_lPT4_lS8_li,comdat
	.globl	_ZL20rocblas_gemvn_kernelILi32ELi16El19rocblas_complex_numIdEPKS1_S1_EviiT3_lPKT2_lT1_lS7_lS8_lS4_lPT4_lS8_li ; -- Begin function _ZL20rocblas_gemvn_kernelILi32ELi16El19rocblas_complex_numIdEPKS1_S1_EviiT3_lPKT2_lT1_lS7_lS8_lS4_lPT4_lS8_li
	.p2align	8
	.type	_ZL20rocblas_gemvn_kernelILi32ELi16El19rocblas_complex_numIdEPKS1_S1_EviiT3_lPKT2_lT1_lS7_lS8_lS4_lPT4_lS8_li,@function
_ZL20rocblas_gemvn_kernelILi32ELi16El19rocblas_complex_numIdEPKS1_S1_EviiT3_lPKT2_lT1_lS7_lS8_lS4_lPT4_lS8_li: ; @_ZL20rocblas_gemvn_kernelILi32ELi16El19rocblas_complex_numIdEPKS1_S1_EviiT3_lPKT2_lT1_lS7_lS8_lS4_lPT4_lS8_li
; %bb.0:
	s_load_b64 s[2:3], s[0:1], 0x9c
	s_wait_kmcnt 0x0
	s_lshr_b32 s4, s2, 16
	s_and_b32 s2, s2, 0xffff
	s_and_b32 s3, s3, 0xffff
	s_mul_i32 s4, s4, s2
	s_delay_alu instid0(SALU_CYCLE_1) | instskip(NEXT) | instid1(SALU_CYCLE_1)
	s_mul_i32 s4, s4, s3
	s_cmp_lg_u32 s4, 0x200
	s_cbranch_scc1 .LBB153_36
; %bb.1:
	s_load_b32 s33, s[0:1], 0x88
	s_lshr_b32 s6, ttmp7, 16
	s_wait_kmcnt 0x0
	s_cmp_ge_u32 s6, s33
	s_cbranch_scc1 .LBB153_36
; %bb.2:
	s_clause 0x2
	s_load_b512 s[8:23], s[0:1], 0x8
	s_load_b64 s[4:5], s[0:1], 0x0
	s_load_b512 s[36:51], s[0:1], 0x48
	v_dual_mov_b32 v16, 0 :: v_dual_and_b32 v1, 0x3ff, v0
	v_bfe_u32 v0, v0, 10, 10
	s_lshl_b32 s28, ttmp9, 5
	s_mov_b32 s7, 0
	s_delay_alu instid0(VALU_DEP_1) | instskip(NEXT) | instid1(VALU_DEP_1)
	v_mad_u32_u24 v8, v0, s2, v1
	v_add_nc_u32_e32 v15, s28, v8
	v_lshrrev_b32_e32 v29, 5, v8
	v_and_or_b32 v0, v8, 31, s28
	v_or_b32_e32 v9, s28, v8
	v_lshlrev_b32_e32 v30, 4, v8
	s_wait_kmcnt 0x0
	s_lshl_b64 s[2:3], s[22:23], 4
	v_mad_co_u64_u32 v[4:5], null, s16, v29, 0
	v_mad_co_u64_u32 v[17:18], null, s48, v15, 0
	;; [unrolled: 1-line block ×3, first 2 shown]
	s_ashr_i32 s1, s5, 31
	s_ashr_i32 s27, s4, 31
	s_lshr_b32 s1, s1, 28
	s_mov_b32 s26, s4
	v_mov_b32_e32 v6, v18
	s_add_co_i32 s1, s5, s1
	s_wait_alu 0xfffe
	s_add_nc_u64 s[20:21], s[20:21], s[2:3]
	s_and_b32 s34, s1, -16
	v_ashrrev_i32_e32 v1, 31, v0
	v_mad_co_u64_u32 v[6:7], null, s49, v15, v[6:7]
	s_sub_co_i32 s2, s5, s34
	s_lshl_b64 s[24:25], s[14:15], 4
	s_lshl_b64 s[22:23], s[46:47], 4
	v_cmp_gt_i64_e32 vcc_lo, s[26:27], v[15:16]
	s_wait_alu 0xfffe
	s_cmp_gt_i32 s2, 0
	v_cmp_gt_u32_e64 s2, 32, v8
	v_mov_b32_e32 v18, v6
	v_mad_co_u64_u32 v[5:6], null, s17, v29, v[5:6]
	v_mad_co_u64_u32 v[6:7], null, s37, v29, v[3:4]
	v_lshlrev_b64_e32 v[21:22], 4, v[0:1]
	s_add_nc_u64 s[22:23], s[44:45], s[22:23]
	s_cselect_b32 s35, -1, 0
	s_and_b32 s44, s2, vcc_lo
	s_delay_alu instid0(VALU_DEP_3) | instskip(SKIP_1) | instid1(VALU_DEP_4)
	v_lshlrev_b64_e32 v[4:5], 4, v[4:5]
	v_cmp_gt_i32_e64 s0, s4, v0
	v_mov_b32_e32 v3, v6
	v_mul_lo_u32 v7, s49, v9
	v_mad_co_u64_u32 v[19:20], null, s48, v9, 0
	v_add_co_u32 v4, vcc_lo, v4, s24
	s_delay_alu instid0(VALU_DEP_4)
	v_lshlrev_b64_e32 v[2:3], 4, v[2:3]
	v_add_co_ci_u32_e64 v5, null, s25, v5, vcc_lo
	s_ashr_i32 s3, s28, 31
	v_lshlrev_b64_e32 v[27:28], 4, v[17:18]
	s_wait_alu 0xfffe
	s_mul_i32 s26, s48, s3
	v_add_co_u32 v0, vcc_lo, s20, v2
	s_wait_alu 0xfffd
	v_add_co_ci_u32_e64 v1, null, s21, v3, vcc_lo
	v_add_co_u32 v2, vcc_lo, v4, v21
	s_wait_alu 0xfffd
	v_add_co_ci_u32_e64 v3, null, v5, v22, vcc_lo
	;; [unrolled: 3-line block ×4, first 2 shown]
	v_cmp_gt_i32_e64 s1, s34, v29
	s_delay_alu instid0(VALU_DEP_3)
	v_add_co_u32 v25, vcc_lo, v0, 8
	v_cmp_gt_i32_e64 s3, s4, v9
	s_wait_alu 0xfffe
	v_add3_u32 v20, v20, s26, v7
	s_wait_alu 0xfffd
	v_add_co_ci_u32_e64 v26, null, 0, v1, vcc_lo
	s_add_nc_u64 s[14:15], s[12:13], s[24:25]
	s_lshl_b64 s[12:13], s[38:39], 4
	s_lshl_b64 s[24:25], s[36:37], 8
	;; [unrolled: 1-line block ×4, first 2 shown]
	s_branch .LBB153_5
.LBB153_3:                              ;   in Loop: Header=BB153_5 Depth=1
	s_wait_alu 0xfffe
	s_or_b32 exec_lo, exec_lo, s4
.LBB153_4:                              ;   in Loop: Header=BB153_5 Depth=1
	s_add_co_i32 s6, s6, 0x10000
	s_wait_alu 0xfffe
	s_cmp_lt_u32 s6, s33
	s_cbranch_scc0 .LBB153_36
.LBB153_5:                              ; =>This Loop Header: Depth=1
                                        ;     Child Loop BB153_17 Depth 2
	s_mul_u64 s[30:31], s[10:11], s[6:7]
	s_wait_alu 0xfffe
	s_lshl_b64 s[30:31], s[30:31], 4
	s_wait_alu 0xfffe
	s_add_nc_u64 s[30:31], s[8:9], s[30:31]
	global_load_b128 v[4:7], v16, s[30:31]
	s_mul_u64 s[30:31], s[42:43], s[6:7]
	s_wait_alu 0xfffe
	s_lshl_b64 s[30:31], s[30:31], 4
	s_wait_alu 0xfffe
	s_add_nc_u64 s[30:31], s[40:41], s[30:31]
	s_wait_loadcnt 0x1
	global_load_b128 v[0:3], v16, s[30:31]
	s_wait_loadcnt 0x1
	v_cmp_neq_f64_e32 vcc_lo, 0, v[4:5]
	v_cmp_neq_f64_e64 s4, 0, v[6:7]
	s_or_b32 s30, vcc_lo, s4
	s_mov_b32 s4, -1
	s_wait_alu 0xfffe
	s_and_b32 vcc_lo, exec_lo, s30
	s_wait_alu 0xfffe
	s_cbranch_vccz .LBB153_7
; %bb.6:                                ;   in Loop: Header=BB153_5 Depth=1
	s_and_not1_b32 vcc_lo, exec_lo, s4
	s_wait_alu 0xfffe
	s_cbranch_vccnz .LBB153_4
	s_branch .LBB153_8
.LBB153_7:                              ;   in Loop: Header=BB153_5 Depth=1
	s_wait_loadcnt 0x0
	v_cmp_neq_f64_e32 vcc_lo, 1.0, v[0:1]
	v_cmp_neq_f64_e64 s4, 0, v[2:3]
	s_or_b32 s4, vcc_lo, s4
	s_wait_alu 0xfffe
	s_and_not1_b32 vcc_lo, exec_lo, s4
	s_wait_alu 0xfffe
	s_cbranch_vccnz .LBB153_4
.LBB153_8:                              ;   in Loop: Header=BB153_5 Depth=1
	s_xor_b32 s4, s30, -1
	s_mul_u64 s[30:31], s[50:51], s[6:7]
	s_wait_alu 0xfffe
	s_and_not1_b32 vcc_lo, exec_lo, s4
	s_lshl_b64 s[30:31], s[30:31], 4
	s_wait_alu 0xfffe
	s_add_nc_u64 s[30:31], s[22:23], s[30:31]
	s_cbranch_vccnz .LBB153_13
; %bb.9:                                ;   in Loop: Header=BB153_5 Depth=1
	s_mov_b32 s46, 0
	s_mov_b32 s45, 0
                                        ; implicit-def: $vgpr10_vgpr11
	s_and_saveexec_b32 s47, s44
	s_cbranch_execz .LBB153_19
; %bb.10:                               ;   in Loop: Header=BB153_5 Depth=1
	s_wait_loadcnt 0x0
	v_cmp_neq_f64_e32 vcc_lo, 0, v[0:1]
	v_cmp_neq_f64_e64 s4, 0, v[2:3]
	v_mov_b32_e32 v10, 0
	v_dual_mov_b32 v11, 0 :: v_dual_mov_b32 v8, 0
	v_mov_b32_e32 v9, 0
	s_or_b32 s4, vcc_lo, s4
	s_wait_alu 0xfffe
	s_and_not1_b32 vcc_lo, exec_lo, s4
	s_wait_alu 0xfffe
	s_cbranch_vccnz .LBB153_12
; %bb.11:                               ;   in Loop: Header=BB153_5 Depth=1
	v_add_co_u32 v8, vcc_lo, s30, v27
	s_wait_alu 0xfffd
	v_add_co_ci_u32_e64 v9, null, s31, v28, vcc_lo
	global_load_b128 v[10:13], v[8:9], off
	s_wait_loadcnt 0x0
	v_mul_f64_e32 v[8:9], v[2:3], v[12:13]
	v_mul_f64_e32 v[12:13], v[0:1], v[12:13]
	s_delay_alu instid0(VALU_DEP_2) | instskip(NEXT) | instid1(VALU_DEP_2)
	v_fma_f64 v[8:9], v[0:1], v[10:11], -v[8:9]
	v_fma_f64 v[10:11], v[2:3], v[10:11], v[12:13]
.LBB153_12:                             ;   in Loop: Header=BB153_5 Depth=1
	s_mov_b32 s45, exec_lo
	s_or_b32 exec_lo, exec_lo, s47
	s_delay_alu instid0(SALU_CYCLE_1)
	s_and_b32 vcc_lo, exec_lo, s46
	s_wait_alu 0xfffe
	s_cbranch_vccnz .LBB153_14
	s_branch .LBB153_20
.LBB153_13:                             ;   in Loop: Header=BB153_5 Depth=1
	s_mov_b32 s45, 0
                                        ; implicit-def: $vgpr10_vgpr11
	s_cbranch_execz .LBB153_20
.LBB153_14:                             ;   in Loop: Header=BB153_5 Depth=1
	v_mov_b32_e32 v10, 0
	v_dual_mov_b32 v11, 0 :: v_dual_mov_b32 v8, 0
	v_mov_b32_e32 v9, 0
	v_mov_b32_e32 v31, v29
	s_and_saveexec_b32 s46, s1
	s_cbranch_execz .LBB153_22
; %bb.15:                               ;   in Loop: Header=BB153_5 Depth=1
	v_mad_co_u64_u32 v[12:13], null, s12, s6, v[23:24]
	v_mad_co_u64_u32 v[14:15], null, s26, s6, v[25:26]
	s_mov_b32 s47, 0
	v_dual_mov_b32 v31, v29 :: v_dual_mov_b32 v8, v13
	v_mov_b32_e32 v9, v15
	s_delay_alu instid0(VALU_DEP_1) | instskip(SKIP_3) | instid1(VALU_DEP_4)
	v_mad_co_u64_u32 v[32:33], null, s13, s6, v[8:9]
	v_mad_co_u64_u32 v[8:9], null, s27, s6, v[9:10]
	v_mov_b32_e32 v10, 0
	v_mov_b32_e32 v11, 0
	;; [unrolled: 1-line block ×3, first 2 shown]
	s_delay_alu instid0(VALU_DEP_3) | instskip(NEXT) | instid1(VALU_DEP_3)
	v_dual_mov_b32 v15, v8 :: v_dual_mov_b32 v8, v10
	v_mov_b32_e32 v9, v11
	s_branch .LBB153_17
.LBB153_16:                             ;   in Loop: Header=BB153_17 Depth=2
	s_wait_alu 0xfffe
	s_or_b32 exec_lo, exec_lo, s4
	v_add_nc_u32_e32 v31, 16, v31
	v_add_co_u32 v12, vcc_lo, v12, s24
	s_wait_alu 0xfffd
	v_add_co_ci_u32_e64 v13, null, s25, v13, vcc_lo
	s_delay_alu instid0(VALU_DEP_3)
	v_cmp_le_i32_e32 vcc_lo, s34, v31
	v_add_co_u32 v14, s4, v14, s28
	s_wait_alu 0xf1ff
	v_add_co_ci_u32_e64 v15, null, s29, v15, s4
	s_or_b32 s47, vcc_lo, s47
	s_wait_alu 0xfffe
	s_and_not1_b32 exec_lo, exec_lo, s47
	s_cbranch_execz .LBB153_21
.LBB153_17:                             ;   Parent Loop BB153_5 Depth=1
                                        ; =>  This Inner Loop Header: Depth=2
	s_and_saveexec_b32 s4, s0
	s_cbranch_execz .LBB153_16
; %bb.18:                               ;   in Loop: Header=BB153_17 Depth=2
	global_load_b128 v[32:35], v[12:13], off offset:-8
	global_load_b128 v[36:39], v[14:15], off offset:-8
	s_wait_loadcnt 0x0
	v_mul_f64_e32 v[40:41], v[34:35], v[38:39]
	v_mul_f64_e32 v[38:39], v[32:33], v[38:39]
	s_delay_alu instid0(VALU_DEP_2) | instskip(NEXT) | instid1(VALU_DEP_2)
	v_fma_f64 v[32:33], v[32:33], v[36:37], -v[40:41]
	v_fma_f64 v[34:35], v[34:35], v[36:37], v[38:39]
	s_delay_alu instid0(VALU_DEP_2) | instskip(NEXT) | instid1(VALU_DEP_2)
	v_add_f64_e32 v[8:9], v[8:9], v[32:33]
	v_add_f64_e32 v[10:11], v[10:11], v[34:35]
	s_branch .LBB153_16
.LBB153_19:                             ;   in Loop: Header=BB153_5 Depth=1
	s_wait_alu 0xfffe
	s_or_b32 exec_lo, exec_lo, s47
	s_delay_alu instid0(SALU_CYCLE_1)
	s_and_b32 vcc_lo, exec_lo, s46
	s_wait_alu 0xfffe
	s_cbranch_vccnz .LBB153_14
.LBB153_20:                             ;   in Loop: Header=BB153_5 Depth=1
	s_wait_loadcnt 0x0
	v_dual_mov_b32 v0, v17 :: v_dual_mov_b32 v1, v18
	s_and_saveexec_b32 s4, s45
	s_cbranch_execz .LBB153_3
	s_branch .LBB153_35
.LBB153_21:                             ;   in Loop: Header=BB153_5 Depth=1
	s_or_b32 exec_lo, exec_lo, s47
.LBB153_22:                             ;   in Loop: Header=BB153_5 Depth=1
	s_wait_alu 0xfffe
	s_or_b32 exec_lo, exec_lo, s46
	s_delay_alu instid0(SALU_CYCLE_1)
	s_and_not1_b32 vcc_lo, exec_lo, s35
	s_wait_alu 0xfffe
	s_cbranch_vccnz .LBB153_28
; %bb.23:                               ;   in Loop: Header=BB153_5 Depth=1
	v_mov_b32_e32 v12, 0
	v_dual_mov_b32 v13, 0 :: v_dual_mov_b32 v14, 0
	v_mov_b32_e32 v15, 0
	v_cmp_gt_i32_e32 vcc_lo, s5, v31
	s_and_saveexec_b32 s46, vcc_lo
	s_cbranch_execz .LBB153_25
; %bb.24:                               ;   in Loop: Header=BB153_5 Depth=1
	v_mad_co_u64_u32 v[12:13], null, s36, v31, 0
	s_mul_u64 s[48:49], s[38:39], s[6:7]
	s_wait_alu 0xfffe
	s_lshl_b64 s[48:49], s[48:49], 4
	s_wait_alu 0xfffe
	s_add_nc_u64 s[48:49], s[20:21], s[48:49]
	v_mad_co_u64_u32 v[13:14], null, s37, v31, v[13:14]
	s_delay_alu instid0(VALU_DEP_1) | instskip(SKIP_1) | instid1(VALU_DEP_1)
	v_lshlrev_b64_e32 v[12:13], 4, v[12:13]
	s_wait_alu 0xfffe
	v_add_co_u32 v12, s4, s48, v12
	s_wait_alu 0xf1ff
	s_delay_alu instid0(VALU_DEP_2)
	v_add_co_ci_u32_e64 v13, null, s49, v13, s4
	global_load_b128 v[12:15], v[12:13], off
.LBB153_25:                             ;   in Loop: Header=BB153_5 Depth=1
	s_wait_alu 0xfffe
	s_or_b32 exec_lo, exec_lo, s46
	s_and_saveexec_b32 s4, s0
	s_cbranch_execz .LBB153_27
; %bb.26:                               ;   in Loop: Header=BB153_5 Depth=1
	v_mad_co_u64_u32 v[32:33], null, s16, v31, 0
	s_mul_u64 s[46:47], s[18:19], s[6:7]
	s_wait_alu 0xfffe
	s_lshl_b64 s[46:47], s[46:47], 4
	s_wait_alu 0xfffe
	s_add_nc_u64 s[46:47], s[14:15], s[46:47]
	v_mad_co_u64_u32 v[33:34], null, s17, v31, v[33:34]
	s_delay_alu instid0(VALU_DEP_1) | instskip(NEXT) | instid1(VALU_DEP_1)
	v_dual_cndmask_b32 v31, 0, v32 :: v_dual_cndmask_b32 v32, 0, v33
	v_lshlrev_b64_e32 v[31:32], 4, v[31:32]
	s_wait_alu 0xfffe
	s_delay_alu instid0(VALU_DEP_1) | instskip(SKIP_1) | instid1(VALU_DEP_2)
	v_add_co_u32 v31, vcc_lo, s46, v31
	s_wait_alu 0xfffd
	v_add_co_ci_u32_e64 v32, null, s47, v32, vcc_lo
	s_delay_alu instid0(VALU_DEP_2) | instskip(SKIP_1) | instid1(VALU_DEP_2)
	v_add_co_u32 v31, vcc_lo, v31, v21
	s_wait_alu 0xfffd
	v_add_co_ci_u32_e64 v32, null, v32, v22, vcc_lo
	global_load_b128 v[31:34], v[31:32], off
	s_wait_loadcnt 0x0
	v_mul_f64_e32 v[35:36], v[14:15], v[33:34]
	v_mul_f64_e32 v[33:34], v[12:13], v[33:34]
	s_delay_alu instid0(VALU_DEP_2) | instskip(NEXT) | instid1(VALU_DEP_2)
	v_fma_f64 v[12:13], v[12:13], v[31:32], -v[35:36]
	v_fma_f64 v[14:15], v[14:15], v[31:32], v[33:34]
	s_delay_alu instid0(VALU_DEP_2) | instskip(NEXT) | instid1(VALU_DEP_2)
	v_add_f64_e32 v[8:9], v[8:9], v[12:13]
	v_add_f64_e32 v[10:11], v[10:11], v[14:15]
.LBB153_27:                             ;   in Loop: Header=BB153_5 Depth=1
	s_wait_alu 0xfffe
	s_or_b32 exec_lo, exec_lo, s4
.LBB153_28:                             ;   in Loop: Header=BB153_5 Depth=1
	ds_store_b128 v30, v[8:11]
	s_wait_loadcnt_dscnt 0x0
	s_barrier_signal -1
	s_barrier_wait -1
	global_inv scope:SCOPE_SE
                                        ; implicit-def: $vgpr10_vgpr11
	s_and_saveexec_b32 s46, s2
	s_cbranch_execz .LBB153_34
; %bb.29:                               ;   in Loop: Header=BB153_5 Depth=1
	ds_load_b128 v[8:11], v30
	ds_load_b128 v[12:15], v30 offset:512
	s_mov_b32 s4, s45
	s_wait_dscnt 0x0
	v_add_f64_e32 v[31:32], v[8:9], v[12:13]
	v_add_f64_e32 v[33:34], v[10:11], v[14:15]
	ds_load_b128 v[8:11], v30 offset:1024
	ds_load_b128 v[12:15], v30 offset:1536
	s_wait_dscnt 0x1
	v_add_f64_e32 v[8:9], v[31:32], v[8:9]
	v_add_f64_e32 v[10:11], v[33:34], v[10:11]
	s_wait_dscnt 0x0
	s_delay_alu instid0(VALU_DEP_2) | instskip(NEXT) | instid1(VALU_DEP_2)
	v_add_f64_e32 v[31:32], v[8:9], v[12:13]
	v_add_f64_e32 v[33:34], v[10:11], v[14:15]
	ds_load_b128 v[8:11], v30 offset:2048
	ds_load_b128 v[12:15], v30 offset:2560
	s_wait_dscnt 0x1
	v_add_f64_e32 v[8:9], v[31:32], v[8:9]
	v_add_f64_e32 v[10:11], v[33:34], v[10:11]
	s_wait_dscnt 0x0
	s_delay_alu instid0(VALU_DEP_2) | instskip(NEXT) | instid1(VALU_DEP_2)
	;; [unrolled: 9-line block ×7, first 2 shown]
	v_add_f64_e32 v[12:13], v[8:9], v[12:13]
	v_add_f64_e32 v[14:15], v[10:11], v[14:15]
                                        ; implicit-def: $vgpr10_vgpr11
	ds_store_b128 v30, v[12:15]
	s_and_saveexec_b32 s47, s3
	s_cbranch_execz .LBB153_33
; %bb.30:                               ;   in Loop: Header=BB153_5 Depth=1
	v_mul_f64_e32 v[8:9], v[6:7], v[14:15]
	v_mul_f64_e32 v[10:11], v[4:5], v[14:15]
	v_cmp_neq_f64_e32 vcc_lo, 0, v[0:1]
	v_cmp_neq_f64_e64 s4, 0, v[2:3]
	s_delay_alu instid0(VALU_DEP_4) | instskip(NEXT) | instid1(VALU_DEP_4)
	v_fma_f64 v[8:9], v[4:5], v[12:13], -v[8:9]
	v_fma_f64 v[10:11], v[6:7], v[12:13], v[10:11]
	s_wait_alu 0xfffe
	s_or_b32 s4, vcc_lo, s4
	s_wait_alu 0xfffe
	s_and_not1_b32 vcc_lo, exec_lo, s4
	s_wait_alu 0xfffe
	s_cbranch_vccnz .LBB153_32
; %bb.31:                               ;   in Loop: Header=BB153_5 Depth=1
	v_lshlrev_b64_e32 v[4:5], 4, v[19:20]
	s_delay_alu instid0(VALU_DEP_1) | instskip(SKIP_1) | instid1(VALU_DEP_2)
	v_add_co_u32 v4, vcc_lo, s30, v4
	s_wait_alu 0xfffd
	v_add_co_ci_u32_e64 v5, null, s31, v5, vcc_lo
	global_load_b128 v[4:7], v[4:5], off
	s_wait_loadcnt 0x0
	v_mul_f64_e32 v[12:13], v[2:3], v[6:7]
	v_mul_f64_e32 v[6:7], v[0:1], v[6:7]
	s_delay_alu instid0(VALU_DEP_2) | instskip(NEXT) | instid1(VALU_DEP_2)
	v_fma_f64 v[0:1], v[0:1], v[4:5], -v[12:13]
	v_fma_f64 v[2:3], v[2:3], v[4:5], v[6:7]
	s_delay_alu instid0(VALU_DEP_2) | instskip(NEXT) | instid1(VALU_DEP_2)
	v_add_f64_e32 v[8:9], v[8:9], v[0:1]
	v_add_f64_e32 v[10:11], v[10:11], v[2:3]
.LBB153_32:                             ;   in Loop: Header=BB153_5 Depth=1
	s_or_b32 s4, s45, exec_lo
.LBB153_33:                             ;   in Loop: Header=BB153_5 Depth=1
	s_wait_alu 0xfffe
	s_or_b32 exec_lo, exec_lo, s47
	s_delay_alu instid0(SALU_CYCLE_1)
	s_and_not1_b32 s45, s45, exec_lo
	s_and_b32 s4, s4, exec_lo
	s_wait_alu 0xfffe
	s_or_b32 s45, s45, s4
.LBB153_34:                             ;   in Loop: Header=BB153_5 Depth=1
	s_wait_alu 0xfffe
	s_or_b32 exec_lo, exec_lo, s46
	v_dual_mov_b32 v0, v19 :: v_dual_mov_b32 v1, v20
	s_and_saveexec_b32 s4, s45
	s_cbranch_execz .LBB153_3
.LBB153_35:                             ;   in Loop: Header=BB153_5 Depth=1
	s_delay_alu instid0(VALU_DEP_1) | instskip(SKIP_1) | instid1(VALU_DEP_1)
	v_lshlrev_b64_e32 v[0:1], 4, v[0:1]
	s_wait_alu 0xfffe
	v_add_co_u32 v0, vcc_lo, s30, v0
	s_wait_alu 0xfffd
	s_delay_alu instid0(VALU_DEP_2)
	v_add_co_ci_u32_e64 v1, null, s31, v1, vcc_lo
	global_store_b128 v[0:1], v[8:11], off
	s_branch .LBB153_3
.LBB153_36:
	s_endpgm
	.section	.rodata,"a",@progbits
	.p2align	6, 0x0
	.amdhsa_kernel _ZL20rocblas_gemvn_kernelILi32ELi16El19rocblas_complex_numIdEPKS1_S1_EviiT3_lPKT2_lT1_lS7_lS8_lS4_lPT4_lS8_li
		.amdhsa_group_segment_fixed_size 8192
		.amdhsa_private_segment_fixed_size 0
		.amdhsa_kernarg_size 400
		.amdhsa_user_sgpr_count 2
		.amdhsa_user_sgpr_dispatch_ptr 0
		.amdhsa_user_sgpr_queue_ptr 0
		.amdhsa_user_sgpr_kernarg_segment_ptr 1
		.amdhsa_user_sgpr_dispatch_id 0
		.amdhsa_user_sgpr_private_segment_size 0
		.amdhsa_wavefront_size32 1
		.amdhsa_uses_dynamic_stack 0
		.amdhsa_enable_private_segment 0
		.amdhsa_system_sgpr_workgroup_id_x 1
		.amdhsa_system_sgpr_workgroup_id_y 0
		.amdhsa_system_sgpr_workgroup_id_z 1
		.amdhsa_system_sgpr_workgroup_info 0
		.amdhsa_system_vgpr_workitem_id 1
		.amdhsa_next_free_vgpr 42
		.amdhsa_next_free_sgpr 52
		.amdhsa_reserve_vcc 1
		.amdhsa_float_round_mode_32 0
		.amdhsa_float_round_mode_16_64 0
		.amdhsa_float_denorm_mode_32 3
		.amdhsa_float_denorm_mode_16_64 3
		.amdhsa_fp16_overflow 0
		.amdhsa_workgroup_processor_mode 1
		.amdhsa_memory_ordered 1
		.amdhsa_forward_progress 1
		.amdhsa_inst_pref_size 18
		.amdhsa_round_robin_scheduling 0
		.amdhsa_exception_fp_ieee_invalid_op 0
		.amdhsa_exception_fp_denorm_src 0
		.amdhsa_exception_fp_ieee_div_zero 0
		.amdhsa_exception_fp_ieee_overflow 0
		.amdhsa_exception_fp_ieee_underflow 0
		.amdhsa_exception_fp_ieee_inexact 0
		.amdhsa_exception_int_div_zero 0
	.end_amdhsa_kernel
	.section	.text._ZL20rocblas_gemvn_kernelILi32ELi16El19rocblas_complex_numIdEPKS1_S1_EviiT3_lPKT2_lT1_lS7_lS8_lS4_lPT4_lS8_li,"axG",@progbits,_ZL20rocblas_gemvn_kernelILi32ELi16El19rocblas_complex_numIdEPKS1_S1_EviiT3_lPKT2_lT1_lS7_lS8_lS4_lPT4_lS8_li,comdat
.Lfunc_end153:
	.size	_ZL20rocblas_gemvn_kernelILi32ELi16El19rocblas_complex_numIdEPKS1_S1_EviiT3_lPKT2_lT1_lS7_lS8_lS4_lPT4_lS8_li, .Lfunc_end153-_ZL20rocblas_gemvn_kernelILi32ELi16El19rocblas_complex_numIdEPKS1_S1_EviiT3_lPKT2_lT1_lS7_lS8_lS4_lPT4_lS8_li
                                        ; -- End function
	.set _ZL20rocblas_gemvn_kernelILi32ELi16El19rocblas_complex_numIdEPKS1_S1_EviiT3_lPKT2_lT1_lS7_lS8_lS4_lPT4_lS8_li.num_vgpr, 42
	.set _ZL20rocblas_gemvn_kernelILi32ELi16El19rocblas_complex_numIdEPKS1_S1_EviiT3_lPKT2_lT1_lS7_lS8_lS4_lPT4_lS8_li.num_agpr, 0
	.set _ZL20rocblas_gemvn_kernelILi32ELi16El19rocblas_complex_numIdEPKS1_S1_EviiT3_lPKT2_lT1_lS7_lS8_lS4_lPT4_lS8_li.numbered_sgpr, 52
	.set _ZL20rocblas_gemvn_kernelILi32ELi16El19rocblas_complex_numIdEPKS1_S1_EviiT3_lPKT2_lT1_lS7_lS8_lS4_lPT4_lS8_li.num_named_barrier, 0
	.set _ZL20rocblas_gemvn_kernelILi32ELi16El19rocblas_complex_numIdEPKS1_S1_EviiT3_lPKT2_lT1_lS7_lS8_lS4_lPT4_lS8_li.private_seg_size, 0
	.set _ZL20rocblas_gemvn_kernelILi32ELi16El19rocblas_complex_numIdEPKS1_S1_EviiT3_lPKT2_lT1_lS7_lS8_lS4_lPT4_lS8_li.uses_vcc, 1
	.set _ZL20rocblas_gemvn_kernelILi32ELi16El19rocblas_complex_numIdEPKS1_S1_EviiT3_lPKT2_lT1_lS7_lS8_lS4_lPT4_lS8_li.uses_flat_scratch, 0
	.set _ZL20rocblas_gemvn_kernelILi32ELi16El19rocblas_complex_numIdEPKS1_S1_EviiT3_lPKT2_lT1_lS7_lS8_lS4_lPT4_lS8_li.has_dyn_sized_stack, 0
	.set _ZL20rocblas_gemvn_kernelILi32ELi16El19rocblas_complex_numIdEPKS1_S1_EviiT3_lPKT2_lT1_lS7_lS8_lS4_lPT4_lS8_li.has_recursion, 0
	.set _ZL20rocblas_gemvn_kernelILi32ELi16El19rocblas_complex_numIdEPKS1_S1_EviiT3_lPKT2_lT1_lS7_lS8_lS4_lPT4_lS8_li.has_indirect_call, 0
	.section	.AMDGPU.csdata,"",@progbits
; Kernel info:
; codeLenInByte = 2236
; TotalNumSgprs: 54
; NumVgprs: 42
; ScratchSize: 0
; MemoryBound: 0
; FloatMode: 240
; IeeeMode: 1
; LDSByteSize: 8192 bytes/workgroup (compile time only)
; SGPRBlocks: 0
; VGPRBlocks: 5
; NumSGPRsForWavesPerEU: 54
; NumVGPRsForWavesPerEU: 42
; Occupancy: 16
; WaveLimiterHint : 1
; COMPUTE_PGM_RSRC2:SCRATCH_EN: 0
; COMPUTE_PGM_RSRC2:USER_SGPR: 2
; COMPUTE_PGM_RSRC2:TRAP_HANDLER: 0
; COMPUTE_PGM_RSRC2:TGID_X_EN: 1
; COMPUTE_PGM_RSRC2:TGID_Y_EN: 0
; COMPUTE_PGM_RSRC2:TGID_Z_EN: 1
; COMPUTE_PGM_RSRC2:TIDIG_COMP_CNT: 1
	.section	.text._ZL20rocblas_gemvn_kernelILi32ELi16Ei19rocblas_complex_numIdES1_S1_EviiT3_lPKT2_lT1_lS5_lS6_lS2_lPT4_lS6_li,"axG",@progbits,_ZL20rocblas_gemvn_kernelILi32ELi16Ei19rocblas_complex_numIdES1_S1_EviiT3_lPKT2_lT1_lS5_lS6_lS2_lPT4_lS6_li,comdat
	.globl	_ZL20rocblas_gemvn_kernelILi32ELi16Ei19rocblas_complex_numIdES1_S1_EviiT3_lPKT2_lT1_lS5_lS6_lS2_lPT4_lS6_li ; -- Begin function _ZL20rocblas_gemvn_kernelILi32ELi16Ei19rocblas_complex_numIdES1_S1_EviiT3_lPKT2_lT1_lS5_lS6_lS2_lPT4_lS6_li
	.p2align	8
	.type	_ZL20rocblas_gemvn_kernelILi32ELi16Ei19rocblas_complex_numIdES1_S1_EviiT3_lPKT2_lT1_lS5_lS6_lS2_lPT4_lS6_li,@function
_ZL20rocblas_gemvn_kernelILi32ELi16Ei19rocblas_complex_numIdES1_S1_EviiT3_lPKT2_lT1_lS5_lS6_lS2_lPT4_lS6_li: ; @_ZL20rocblas_gemvn_kernelILi32ELi16Ei19rocblas_complex_numIdES1_S1_EviiT3_lPKT2_lT1_lS5_lS6_lS2_lPT4_lS6_li
; %bb.0:
	s_load_b64 s[2:3], s[0:1], 0xac
	s_wait_kmcnt 0x0
	s_lshr_b32 s4, s2, 16
	s_and_b32 s2, s2, 0xffff
	s_and_b32 s3, s3, 0xffff
	s_mul_i32 s4, s4, s2
	s_delay_alu instid0(SALU_CYCLE_1) | instskip(NEXT) | instid1(SALU_CYCLE_1)
	s_mul_i32 s4, s4, s3
	s_cmp_lg_u32 s4, 0x200
	s_cbranch_scc1 .LBB154_34
; %bb.1:
	s_load_b32 s27, s[0:1], 0x98
	s_lshr_b32 s28, ttmp7, 16
	s_wait_kmcnt 0x0
	s_cmp_ge_u32 s28, s27
	s_cbranch_scc1 .LBB154_34
; %bb.2:
	s_clause 0xa
	s_load_b128 s[8:11], s[0:1], 0x8
	s_load_b64 s[30:31], s[0:1], 0x68
	s_load_b128 s[12:15], s[0:1], 0x58
	s_load_b64 s[34:35], s[0:1], 0x0
	s_load_b128 s[4:7], s[0:1], 0x20
	s_load_b32 s33, s[0:1], 0x30
	s_load_b128 s[16:19], s[0:1], 0x38
	s_load_b96 s[24:26], s[0:1], 0x48
	s_load_b128 s[20:23], s[0:1], 0x78
	s_load_b32 s3, s[0:1], 0x88
	s_load_b64 s[36:37], s[0:1], 0x90
	v_dual_mov_b32 v1, 0 :: v_dual_and_b32 v2, 0x3ff, v0
	v_bfe_u32 v0, v0, 10, 10
	s_lshl_b32 s40, ttmp9, 5
	s_mov_b32 s29, 0
	s_delay_alu instid0(VALU_DEP_1)
	v_mad_u32_u24 v2, v0, s2, v2
	s_wait_kmcnt 0x0
	v_cmp_neq_f64_e64 s41, s[8:9], 0
	v_cmp_neq_f64_e64 s42, s[10:11], 0
	v_cmp_neq_f64_e64 s43, s[30:31], 0
	v_cmp_neq_f64_e64 s44, s[14:15], 0
	v_cmp_neq_f64_e64 s45, s[14:15], 1.0
	v_add_nc_u32_e32 v0, s40, v2
	v_and_b32_e32 v3, 31, v2
	v_lshrrev_b32_e32 v16, 5, v2
	v_lshlrev_b32_e32 v17, 4, v2
	v_cmp_gt_u32_e64 s0, 32, v2
	v_or_b32_e32 v2, s40, v2
	v_mad_co_u64_u32 v[8:9], null, v0, s3, 0
	s_ashr_i32 s39, s34, 31
	s_mov_b32 s38, s34
	v_cmp_gt_i32_e64 s2, s34, v2
	v_mul_lo_u32 v10, v2, s3
	v_mul_lo_u32 v2, s33, v16
	v_cmp_gt_i64_e32 vcc_lo, s[38:39], v[0:1]
	v_mov_b32_e32 v1, v9
	s_ashr_i32 s46, s3, 31
	s_ashr_i32 s47, s35, 31
	v_or_b32_e32 v18, s40, v3
	s_lshr_b32 s3, s47, 28
	s_lshl_b64 s[6:7], s[6:7], 4
	v_mad_co_u64_u32 v[0:1], null, v0, s46, v[1:2]
	s_wait_alu 0xfffe
	s_add_co_i32 s3, s35, s3
	v_ashrrev_i32_e32 v11, 31, v10
	v_cmp_gt_i32_e64 s1, s34, v18
	s_wait_alu 0xfffe
	s_and_b32 s34, s3, -16
	s_add_nc_u64 s[6:7], s[4:5], s[6:7]
	v_mul_lo_u32 v19, s26, v16
	v_mov_b32_e32 v9, v0
	s_wait_alu 0xfffe
	s_sub_co_i32 s4, s35, s34
	s_lshl_b64 s[24:25], s[24:25], 4
	s_lshl_b64 s[22:23], s[22:23], 4
	v_lshlrev_b64_e32 v[14:15], 4, v[10:11]
	v_lshlrev_b64_e32 v[12:13], 4, v[8:9]
	s_or_b32 s5, s41, s42
	v_cmp_gt_i32_e64 s3, s34, v16
	s_or_b32 s38, s44, s43
	s_xor_b32 s39, s5, -1
	s_cmp_gt_i32 s4, 0
	v_add3_u32 v20, v2, s40, v3
	s_cselect_b32 s40, -1, 0
	s_or_b32 s4, s5, s45
	s_add_nc_u64 s[18:19], s[18:19], s[24:25]
	s_add_nc_u64 s[20:21], s[20:21], s[22:23]
	s_or_b32 s41, s4, s43
	s_and_b32 s42, s0, vcc_lo
	s_lshl_b32 s43, s26, 4
	s_lshl_b32 s44, s33, 4
	s_branch .LBB154_5
.LBB154_3:                              ;   in Loop: Header=BB154_5 Depth=1
	s_wait_alu 0xfffe
	s_or_b32 exec_lo, exec_lo, s4
.LBB154_4:                              ;   in Loop: Header=BB154_5 Depth=1
	s_add_co_i32 s28, s28, 0x10000
	s_delay_alu instid0(SALU_CYCLE_1)
	s_cmp_lt_u32 s28, s27
	s_cbranch_scc0 .LBB154_34
.LBB154_5:                              ; =>This Loop Header: Depth=1
                                        ;     Child Loop BB154_15 Depth 2
	s_wait_alu 0xfffe
	s_and_not1_b32 vcc_lo, exec_lo, s41
	s_wait_alu 0xfffe
	s_cbranch_vccnz .LBB154_4
; %bb.6:                                ;   in Loop: Header=BB154_5 Depth=1
	s_mul_u64 s[4:5], s[36:37], s[28:29]
	s_and_not1_b32 vcc_lo, exec_lo, s39
	s_wait_alu 0xfffe
	s_lshl_b64 s[4:5], s[4:5], 4
	s_wait_alu 0xfffe
	s_add_nc_u64 s[22:23], s[20:21], s[4:5]
	s_cbranch_vccnz .LBB154_11
; %bb.7:                                ;   in Loop: Header=BB154_5 Depth=1
	s_mov_b32 s4, 0
	s_mov_b32 s45, 0
                                        ; implicit-def: $vgpr2_vgpr3
	s_and_saveexec_b32 s5, s42
	s_cbranch_execz .LBB154_17
; %bb.8:                                ;   in Loop: Header=BB154_5 Depth=1
	v_mov_b32_e32 v2, 0
	v_dual_mov_b32 v3, 0 :: v_dual_mov_b32 v0, 0
	v_mov_b32_e32 v1, 0
	s_and_not1_b32 vcc_lo, exec_lo, s38
	s_wait_alu 0xfffe
	s_cbranch_vccnz .LBB154_10
; %bb.9:                                ;   in Loop: Header=BB154_5 Depth=1
	v_add_co_u32 v0, vcc_lo, s22, v12
	s_wait_alu 0xfffd
	v_add_co_ci_u32_e64 v1, null, s23, v13, vcc_lo
	global_load_b128 v[2:5], v[0:1], off
	s_wait_loadcnt 0x0
	v_mul_f64_e32 v[0:1], s[30:31], v[4:5]
	v_mul_f64_e32 v[4:5], s[14:15], v[4:5]
	s_delay_alu instid0(VALU_DEP_2) | instskip(NEXT) | instid1(VALU_DEP_2)
	v_fma_f64 v[0:1], s[14:15], v[2:3], -v[0:1]
	v_fma_f64 v[2:3], s[30:31], v[2:3], v[4:5]
.LBB154_10:                             ;   in Loop: Header=BB154_5 Depth=1
	s_mov_b32 s45, exec_lo
	s_or_b32 exec_lo, exec_lo, s5
	s_delay_alu instid0(SALU_CYCLE_1)
	s_and_b32 vcc_lo, exec_lo, s4
	s_wait_alu 0xfffe
	s_cbranch_vccnz .LBB154_12
	s_branch .LBB154_18
.LBB154_11:                             ;   in Loop: Header=BB154_5 Depth=1
	s_mov_b32 s45, 0
                                        ; implicit-def: $vgpr2_vgpr3
	s_cbranch_execz .LBB154_18
.LBB154_12:                             ;   in Loop: Header=BB154_5 Depth=1
	v_mov_b32_e32 v2, 0
	s_mul_u64 s[4:5], s[16:17], s[28:29]
	s_mul_u64 s[24:25], s[12:13], s[28:29]
	v_dual_mov_b32 v3, 0 :: v_dual_mov_b32 v0, 0
	v_mov_b32_e32 v1, 0
	v_mov_b32_e32 v21, v16
	s_wait_alu 0xfffe
	s_lshl_b64 s[4:5], s[4:5], 4
	s_lshl_b64 s[46:47], s[24:25], 4
	s_wait_alu 0xfffe
	s_add_nc_u64 s[24:25], s[6:7], s[4:5]
	s_add_nc_u64 s[4:5], s[18:19], s[46:47]
	s_and_saveexec_b32 s46, s3
	s_cbranch_execz .LBB154_20
; %bb.13:                               ;   in Loop: Header=BB154_5 Depth=1
	v_dual_mov_b32 v2, 0 :: v_dual_mov_b32 v21, v16
	v_dual_mov_b32 v3, 0 :: v_dual_mov_b32 v4, v20
	s_delay_alu instid0(VALU_DEP_2) | instskip(SKIP_2) | instid1(VALU_DEP_3)
	v_mov_b32_e32 v0, v2
	v_mov_b32_e32 v6, v19
	s_mov_b32 s47, 0
	v_mov_b32_e32 v1, v3
	s_branch .LBB154_15
.LBB154_14:                             ;   in Loop: Header=BB154_15 Depth=2
	s_or_b32 exec_lo, exec_lo, s48
	v_add_nc_u32_e32 v21, 16, v21
	v_add_nc_u32_e32 v6, s43, v6
	;; [unrolled: 1-line block ×3, first 2 shown]
	s_delay_alu instid0(VALU_DEP_3)
	v_cmp_le_i32_e32 vcc_lo, s34, v21
	s_wait_alu 0xfffe
	s_or_b32 s47, vcc_lo, s47
	s_wait_alu 0xfffe
	s_and_not1_b32 exec_lo, exec_lo, s47
	s_cbranch_execz .LBB154_19
.LBB154_15:                             ;   Parent Loop BB154_5 Depth=1
                                        ; =>  This Inner Loop Header: Depth=2
	s_and_saveexec_b32 s48, s1
	s_cbranch_execz .LBB154_14
; %bb.16:                               ;   in Loop: Header=BB154_15 Depth=2
	v_ashrrev_i32_e32 v7, 31, v6
	v_ashrrev_i32_e32 v5, 31, v4
	s_delay_alu instid0(VALU_DEP_2) | instskip(NEXT) | instid1(VALU_DEP_2)
	v_lshlrev_b64_e32 v[22:23], 4, v[6:7]
	v_lshlrev_b64_e32 v[24:25], 4, v[4:5]
	s_wait_alu 0xfffe
	s_delay_alu instid0(VALU_DEP_2) | instskip(SKIP_1) | instid1(VALU_DEP_3)
	v_add_co_u32 v22, vcc_lo, s4, v22
	s_wait_alu 0xfffd
	v_add_co_ci_u32_e64 v23, null, s5, v23, vcc_lo
	s_delay_alu instid0(VALU_DEP_3)
	v_add_co_u32 v26, vcc_lo, s24, v24
	s_wait_alu 0xfffd
	v_add_co_ci_u32_e64 v27, null, s25, v25, vcc_lo
	global_load_b128 v[22:25], v[22:23], off
	global_load_b128 v[26:29], v[26:27], off
	s_wait_loadcnt 0x0
	v_mul_f64_e32 v[30:31], v[24:25], v[28:29]
	v_mul_f64_e32 v[28:29], v[22:23], v[28:29]
	s_delay_alu instid0(VALU_DEP_2) | instskip(NEXT) | instid1(VALU_DEP_2)
	v_fma_f64 v[22:23], v[22:23], v[26:27], -v[30:31]
	v_fma_f64 v[24:25], v[24:25], v[26:27], v[28:29]
	s_delay_alu instid0(VALU_DEP_2) | instskip(NEXT) | instid1(VALU_DEP_2)
	v_add_f64_e32 v[0:1], v[0:1], v[22:23]
	v_add_f64_e32 v[2:3], v[2:3], v[24:25]
	s_branch .LBB154_14
.LBB154_17:                             ;   in Loop: Header=BB154_5 Depth=1
	s_wait_alu 0xfffe
	s_or_b32 exec_lo, exec_lo, s5
	s_delay_alu instid0(SALU_CYCLE_1)
	s_and_b32 vcc_lo, exec_lo, s4
	s_wait_alu 0xfffe
	s_cbranch_vccnz .LBB154_12
.LBB154_18:                             ;   in Loop: Header=BB154_5 Depth=1
	v_dual_mov_b32 v4, v8 :: v_dual_mov_b32 v5, v9
	s_wait_alu 0xfffe
	s_and_saveexec_b32 s4, s45
	s_cbranch_execz .LBB154_3
	s_branch .LBB154_33
.LBB154_19:                             ;   in Loop: Header=BB154_5 Depth=1
	s_or_b32 exec_lo, exec_lo, s47
.LBB154_20:                             ;   in Loop: Header=BB154_5 Depth=1
	s_wait_alu 0xfffe
	s_or_b32 exec_lo, exec_lo, s46
	s_delay_alu instid0(SALU_CYCLE_1)
	s_and_not1_b32 vcc_lo, exec_lo, s40
	s_wait_alu 0xfffe
	s_cbranch_vccnz .LBB154_26
; %bb.21:                               ;   in Loop: Header=BB154_5 Depth=1
	v_mov_b32_e32 v4, 0
	v_dual_mov_b32 v5, 0 :: v_dual_mov_b32 v6, 0
	v_mov_b32_e32 v7, 0
	v_cmp_gt_i32_e32 vcc_lo, s35, v21
	s_and_saveexec_b32 s46, vcc_lo
	s_cbranch_execz .LBB154_23
; %bb.22:                               ;   in Loop: Header=BB154_5 Depth=1
	v_mul_lo_u32 v4, v21, s26
	s_delay_alu instid0(VALU_DEP_1) | instskip(NEXT) | instid1(VALU_DEP_1)
	v_ashrrev_i32_e32 v5, 31, v4
	v_lshlrev_b64_e32 v[4:5], 4, v[4:5]
	s_delay_alu instid0(VALU_DEP_1) | instskip(SKIP_1) | instid1(VALU_DEP_2)
	v_add_co_u32 v4, s4, s4, v4
	s_wait_alu 0xf1ff
	v_add_co_ci_u32_e64 v5, null, s5, v5, s4
	global_load_b128 v[4:7], v[4:5], off
.LBB154_23:                             ;   in Loop: Header=BB154_5 Depth=1
	s_wait_alu 0xfffe
	s_or_b32 exec_lo, exec_lo, s46
	s_and_saveexec_b32 s4, s1
	s_cbranch_execz .LBB154_25
; %bb.24:                               ;   in Loop: Header=BB154_5 Depth=1
	v_mul_lo_u32 v21, v21, s33
	s_delay_alu instid0(VALU_DEP_1) | instskip(NEXT) | instid1(VALU_DEP_1)
	v_cndmask_b32_e32 v21, 0, v21, vcc_lo
	v_add_nc_u32_e32 v21, v21, v18
	s_delay_alu instid0(VALU_DEP_1) | instskip(NEXT) | instid1(VALU_DEP_1)
	v_ashrrev_i32_e32 v22, 31, v21
	v_lshlrev_b64_e32 v[21:22], 4, v[21:22]
	s_delay_alu instid0(VALU_DEP_1) | instskip(SKIP_1) | instid1(VALU_DEP_2)
	v_add_co_u32 v21, vcc_lo, s24, v21
	s_wait_alu 0xfffd
	v_add_co_ci_u32_e64 v22, null, s25, v22, vcc_lo
	global_load_b128 v[21:24], v[21:22], off
	s_wait_loadcnt 0x0
	v_mul_f64_e32 v[25:26], v[6:7], v[23:24]
	v_mul_f64_e32 v[23:24], v[4:5], v[23:24]
	s_delay_alu instid0(VALU_DEP_2) | instskip(NEXT) | instid1(VALU_DEP_2)
	v_fma_f64 v[4:5], v[4:5], v[21:22], -v[25:26]
	v_fma_f64 v[6:7], v[6:7], v[21:22], v[23:24]
	s_delay_alu instid0(VALU_DEP_2) | instskip(NEXT) | instid1(VALU_DEP_2)
	v_add_f64_e32 v[0:1], v[0:1], v[4:5]
	v_add_f64_e32 v[2:3], v[2:3], v[6:7]
.LBB154_25:                             ;   in Loop: Header=BB154_5 Depth=1
	s_wait_alu 0xfffe
	s_or_b32 exec_lo, exec_lo, s4
.LBB154_26:                             ;   in Loop: Header=BB154_5 Depth=1
	ds_store_b128 v17, v[0:3]
	s_wait_loadcnt_dscnt 0x0
	s_barrier_signal -1
	s_barrier_wait -1
	global_inv scope:SCOPE_SE
                                        ; implicit-def: $vgpr2_vgpr3
	s_and_saveexec_b32 s4, s0
	s_cbranch_execz .LBB154_32
; %bb.27:                               ;   in Loop: Header=BB154_5 Depth=1
	ds_load_b128 v[0:3], v17
	ds_load_b128 v[4:7], v17 offset:512
	s_mov_b32 s24, s45
	s_wait_dscnt 0x0
	v_add_f64_e32 v[21:22], v[0:1], v[4:5]
	v_add_f64_e32 v[23:24], v[2:3], v[6:7]
	ds_load_b128 v[0:3], v17 offset:1024
	ds_load_b128 v[4:7], v17 offset:1536
	s_wait_dscnt 0x1
	v_add_f64_e32 v[0:1], v[21:22], v[0:1]
	v_add_f64_e32 v[2:3], v[23:24], v[2:3]
	s_wait_dscnt 0x0
	s_delay_alu instid0(VALU_DEP_2) | instskip(NEXT) | instid1(VALU_DEP_2)
	v_add_f64_e32 v[21:22], v[0:1], v[4:5]
	v_add_f64_e32 v[23:24], v[2:3], v[6:7]
	ds_load_b128 v[0:3], v17 offset:2048
	ds_load_b128 v[4:7], v17 offset:2560
	s_wait_dscnt 0x1
	v_add_f64_e32 v[0:1], v[21:22], v[0:1]
	v_add_f64_e32 v[2:3], v[23:24], v[2:3]
	s_wait_dscnt 0x0
	s_delay_alu instid0(VALU_DEP_2) | instskip(NEXT) | instid1(VALU_DEP_2)
	;; [unrolled: 9-line block ×7, first 2 shown]
	v_add_f64_e32 v[4:5], v[0:1], v[4:5]
	v_add_f64_e32 v[6:7], v[2:3], v[6:7]
                                        ; implicit-def: $vgpr2_vgpr3
	ds_store_b128 v17, v[4:7]
	s_and_saveexec_b32 s5, s2
	s_cbranch_execz .LBB154_31
; %bb.28:                               ;   in Loop: Header=BB154_5 Depth=1
	v_mul_f64_e32 v[0:1], s[10:11], v[6:7]
	v_mul_f64_e32 v[2:3], s[8:9], v[6:7]
	s_and_not1_b32 vcc_lo, exec_lo, s38
	s_delay_alu instid0(VALU_DEP_2) | instskip(NEXT) | instid1(VALU_DEP_2)
	v_fma_f64 v[0:1], s[8:9], v[4:5], -v[0:1]
	v_fma_f64 v[2:3], s[10:11], v[4:5], v[2:3]
	s_wait_alu 0xfffe
	s_cbranch_vccnz .LBB154_30
; %bb.29:                               ;   in Loop: Header=BB154_5 Depth=1
	v_add_co_u32 v4, vcc_lo, s22, v14
	s_wait_alu 0xfffd
	v_add_co_ci_u32_e64 v5, null, s23, v15, vcc_lo
	global_load_b128 v[4:7], v[4:5], off
	s_wait_loadcnt 0x0
	v_mul_f64_e32 v[21:22], s[30:31], v[6:7]
	v_mul_f64_e32 v[6:7], s[14:15], v[6:7]
	s_delay_alu instid0(VALU_DEP_2) | instskip(NEXT) | instid1(VALU_DEP_2)
	v_fma_f64 v[21:22], s[14:15], v[4:5], -v[21:22]
	v_fma_f64 v[4:5], s[30:31], v[4:5], v[6:7]
	s_delay_alu instid0(VALU_DEP_2) | instskip(NEXT) | instid1(VALU_DEP_2)
	v_add_f64_e32 v[0:1], v[0:1], v[21:22]
	v_add_f64_e32 v[2:3], v[2:3], v[4:5]
.LBB154_30:                             ;   in Loop: Header=BB154_5 Depth=1
	s_or_b32 s24, s45, exec_lo
.LBB154_31:                             ;   in Loop: Header=BB154_5 Depth=1
	s_wait_alu 0xfffe
	s_or_b32 exec_lo, exec_lo, s5
	s_delay_alu instid0(SALU_CYCLE_1)
	s_and_not1_b32 s5, s45, exec_lo
	s_and_b32 s24, s24, exec_lo
	s_wait_alu 0xfffe
	s_or_b32 s45, s5, s24
.LBB154_32:                             ;   in Loop: Header=BB154_5 Depth=1
	s_wait_alu 0xfffe
	s_or_b32 exec_lo, exec_lo, s4
	v_dual_mov_b32 v4, v10 :: v_dual_mov_b32 v5, v11
	s_and_saveexec_b32 s4, s45
	s_cbranch_execz .LBB154_3
.LBB154_33:                             ;   in Loop: Header=BB154_5 Depth=1
	s_delay_alu instid0(VALU_DEP_1) | instskip(NEXT) | instid1(VALU_DEP_1)
	v_lshlrev_b64_e32 v[4:5], 4, v[4:5]
	v_add_co_u32 v4, vcc_lo, s22, v4
	s_wait_alu 0xfffd
	s_delay_alu instid0(VALU_DEP_2)
	v_add_co_ci_u32_e64 v5, null, s23, v5, vcc_lo
	global_store_b128 v[4:5], v[0:3], off
	s_branch .LBB154_3
.LBB154_34:
	s_endpgm
	.section	.rodata,"a",@progbits
	.p2align	6, 0x0
	.amdhsa_kernel _ZL20rocblas_gemvn_kernelILi32ELi16Ei19rocblas_complex_numIdES1_S1_EviiT3_lPKT2_lT1_lS5_lS6_lS2_lPT4_lS6_li
		.amdhsa_group_segment_fixed_size 8192
		.amdhsa_private_segment_fixed_size 0
		.amdhsa_kernarg_size 416
		.amdhsa_user_sgpr_count 2
		.amdhsa_user_sgpr_dispatch_ptr 0
		.amdhsa_user_sgpr_queue_ptr 0
		.amdhsa_user_sgpr_kernarg_segment_ptr 1
		.amdhsa_user_sgpr_dispatch_id 0
		.amdhsa_user_sgpr_private_segment_size 0
		.amdhsa_wavefront_size32 1
		.amdhsa_uses_dynamic_stack 0
		.amdhsa_enable_private_segment 0
		.amdhsa_system_sgpr_workgroup_id_x 1
		.amdhsa_system_sgpr_workgroup_id_y 0
		.amdhsa_system_sgpr_workgroup_id_z 1
		.amdhsa_system_sgpr_workgroup_info 0
		.amdhsa_system_vgpr_workitem_id 1
		.amdhsa_next_free_vgpr 32
		.amdhsa_next_free_sgpr 49
		.amdhsa_reserve_vcc 1
		.amdhsa_float_round_mode_32 0
		.amdhsa_float_round_mode_16_64 0
		.amdhsa_float_denorm_mode_32 3
		.amdhsa_float_denorm_mode_16_64 3
		.amdhsa_fp16_overflow 0
		.amdhsa_workgroup_processor_mode 1
		.amdhsa_memory_ordered 1
		.amdhsa_forward_progress 1
		.amdhsa_inst_pref_size 16
		.amdhsa_round_robin_scheduling 0
		.amdhsa_exception_fp_ieee_invalid_op 0
		.amdhsa_exception_fp_denorm_src 0
		.amdhsa_exception_fp_ieee_div_zero 0
		.amdhsa_exception_fp_ieee_overflow 0
		.amdhsa_exception_fp_ieee_underflow 0
		.amdhsa_exception_fp_ieee_inexact 0
		.amdhsa_exception_int_div_zero 0
	.end_amdhsa_kernel
	.section	.text._ZL20rocblas_gemvn_kernelILi32ELi16Ei19rocblas_complex_numIdES1_S1_EviiT3_lPKT2_lT1_lS5_lS6_lS2_lPT4_lS6_li,"axG",@progbits,_ZL20rocblas_gemvn_kernelILi32ELi16Ei19rocblas_complex_numIdES1_S1_EviiT3_lPKT2_lT1_lS5_lS6_lS2_lPT4_lS6_li,comdat
.Lfunc_end154:
	.size	_ZL20rocblas_gemvn_kernelILi32ELi16Ei19rocblas_complex_numIdES1_S1_EviiT3_lPKT2_lT1_lS5_lS6_lS2_lPT4_lS6_li, .Lfunc_end154-_ZL20rocblas_gemvn_kernelILi32ELi16Ei19rocblas_complex_numIdES1_S1_EviiT3_lPKT2_lT1_lS5_lS6_lS2_lPT4_lS6_li
                                        ; -- End function
	.set _ZL20rocblas_gemvn_kernelILi32ELi16Ei19rocblas_complex_numIdES1_S1_EviiT3_lPKT2_lT1_lS5_lS6_lS2_lPT4_lS6_li.num_vgpr, 32
	.set _ZL20rocblas_gemvn_kernelILi32ELi16Ei19rocblas_complex_numIdES1_S1_EviiT3_lPKT2_lT1_lS5_lS6_lS2_lPT4_lS6_li.num_agpr, 0
	.set _ZL20rocblas_gemvn_kernelILi32ELi16Ei19rocblas_complex_numIdES1_S1_EviiT3_lPKT2_lT1_lS5_lS6_lS2_lPT4_lS6_li.numbered_sgpr, 49
	.set _ZL20rocblas_gemvn_kernelILi32ELi16Ei19rocblas_complex_numIdES1_S1_EviiT3_lPKT2_lT1_lS5_lS6_lS2_lPT4_lS6_li.num_named_barrier, 0
	.set _ZL20rocblas_gemvn_kernelILi32ELi16Ei19rocblas_complex_numIdES1_S1_EviiT3_lPKT2_lT1_lS5_lS6_lS2_lPT4_lS6_li.private_seg_size, 0
	.set _ZL20rocblas_gemvn_kernelILi32ELi16Ei19rocblas_complex_numIdES1_S1_EviiT3_lPKT2_lT1_lS5_lS6_lS2_lPT4_lS6_li.uses_vcc, 1
	.set _ZL20rocblas_gemvn_kernelILi32ELi16Ei19rocblas_complex_numIdES1_S1_EviiT3_lPKT2_lT1_lS5_lS6_lS2_lPT4_lS6_li.uses_flat_scratch, 0
	.set _ZL20rocblas_gemvn_kernelILi32ELi16Ei19rocblas_complex_numIdES1_S1_EviiT3_lPKT2_lT1_lS5_lS6_lS2_lPT4_lS6_li.has_dyn_sized_stack, 0
	.set _ZL20rocblas_gemvn_kernelILi32ELi16Ei19rocblas_complex_numIdES1_S1_EviiT3_lPKT2_lT1_lS5_lS6_lS2_lPT4_lS6_li.has_recursion, 0
	.set _ZL20rocblas_gemvn_kernelILi32ELi16Ei19rocblas_complex_numIdES1_S1_EviiT3_lPKT2_lT1_lS5_lS6_lS2_lPT4_lS6_li.has_indirect_call, 0
	.section	.AMDGPU.csdata,"",@progbits
; Kernel info:
; codeLenInByte = 1924
; TotalNumSgprs: 51
; NumVgprs: 32
; ScratchSize: 0
; MemoryBound: 1
; FloatMode: 240
; IeeeMode: 1
; LDSByteSize: 8192 bytes/workgroup (compile time only)
; SGPRBlocks: 0
; VGPRBlocks: 3
; NumSGPRsForWavesPerEU: 51
; NumVGPRsForWavesPerEU: 32
; Occupancy: 16
; WaveLimiterHint : 1
; COMPUTE_PGM_RSRC2:SCRATCH_EN: 0
; COMPUTE_PGM_RSRC2:USER_SGPR: 2
; COMPUTE_PGM_RSRC2:TRAP_HANDLER: 0
; COMPUTE_PGM_RSRC2:TGID_X_EN: 1
; COMPUTE_PGM_RSRC2:TGID_Y_EN: 0
; COMPUTE_PGM_RSRC2:TGID_Z_EN: 1
; COMPUTE_PGM_RSRC2:TIDIG_COMP_CNT: 1
	.section	.text._ZL20rocblas_gemvn_kernelILi32ELi16El19rocblas_complex_numIdES1_S1_EviiT3_lPKT2_lT1_lS5_lS6_lS2_lPT4_lS6_li,"axG",@progbits,_ZL20rocblas_gemvn_kernelILi32ELi16El19rocblas_complex_numIdES1_S1_EviiT3_lPKT2_lT1_lS5_lS6_lS2_lPT4_lS6_li,comdat
	.globl	_ZL20rocblas_gemvn_kernelILi32ELi16El19rocblas_complex_numIdES1_S1_EviiT3_lPKT2_lT1_lS5_lS6_lS2_lPT4_lS6_li ; -- Begin function _ZL20rocblas_gemvn_kernelILi32ELi16El19rocblas_complex_numIdES1_S1_EviiT3_lPKT2_lT1_lS5_lS6_lS2_lPT4_lS6_li
	.p2align	8
	.type	_ZL20rocblas_gemvn_kernelILi32ELi16El19rocblas_complex_numIdES1_S1_EviiT3_lPKT2_lT1_lS5_lS6_lS2_lPT4_lS6_li,@function
_ZL20rocblas_gemvn_kernelILi32ELi16El19rocblas_complex_numIdES1_S1_EviiT3_lPKT2_lT1_lS5_lS6_lS2_lPT4_lS6_li: ; @_ZL20rocblas_gemvn_kernelILi32ELi16El19rocblas_complex_numIdES1_S1_EviiT3_lPKT2_lT1_lS5_lS6_lS2_lPT4_lS6_li
; %bb.0:
	s_load_b64 s[2:3], s[0:1], 0xac
	s_wait_kmcnt 0x0
	s_lshr_b32 s4, s2, 16
	s_and_b32 s2, s2, 0xffff
	s_and_b32 s3, s3, 0xffff
	s_mul_i32 s4, s4, s2
	s_delay_alu instid0(SALU_CYCLE_1) | instskip(NEXT) | instid1(SALU_CYCLE_1)
	s_mul_i32 s4, s4, s3
	s_cmp_lg_u32 s4, 0x200
	s_cbranch_scc1 .LBB155_34
; %bb.1:
	s_load_b32 s33, s[0:1], 0x98
	s_lshr_b32 s34, ttmp7, 16
	s_wait_kmcnt 0x0
	s_cmp_ge_u32 s34, s33
	s_cbranch_scc1 .LBB155_34
; %bb.2:
	s_clause 0x4
	s_load_b128 s[28:31], s[0:1], 0x8
	s_load_b128 s[36:39], s[0:1], 0x60
	s_load_b512 s[4:19], s[0:1], 0x20
	s_load_b256 s[20:27], s[0:1], 0x78
	s_load_b64 s[40:41], s[0:1], 0x0
	v_and_b32_e32 v1, 0x3ff, v0
	v_bfe_u32 v0, v0, 10, 10
	s_lshl_b32 s44, ttmp9, 5
	s_mov_b32 s35, 0
	s_delay_alu instid0(VALU_DEP_1) | instskip(NEXT) | instid1(VALU_DEP_1)
	v_mad_u32_u24 v3, v0, s2, v1
	v_dual_mov_b32 v1, 0 :: v_dual_add_nc_u32 v0, s44, v3
	v_lshrrev_b32_e32 v20, 5, v3
	v_or_b32_e32 v15, s44, v3
	v_and_or_b32 v2, v3, 31, s44
	v_lshlrev_b32_e32 v21, 4, v3
	v_cmp_gt_u32_e64 s0, 32, v3
	s_wait_kmcnt 0x0
	v_cmp_neq_f64_e64 s45, s[28:29], 0
	v_cmp_neq_f64_e64 s47, s[30:31], 0
	;; [unrolled: 1-line block ×4, first 2 shown]
	v_mad_co_u64_u32 v[6:7], null, s8, v20, 0
	v_mad_co_u64_u32 v[8:9], null, s24, v0, 0
	v_mad_co_u64_u32 v[10:11], null, s24, v15, 0
	v_mad_co_u64_u32 v[4:5], null, s16, v20, 0
	s_lshl_b64 s[2:3], s[14:15], 4
	s_lshl_b64 s[14:15], s[22:23], 4
	s_ashr_i32 s23, s40, 31
	s_mov_b32 s22, s40
	v_mad_co_u64_u32 v[12:13], null, s25, v0, v[9:10]
	v_cmp_gt_i64_e32 vcc_lo, s[22:23], v[0:1]
	v_dual_mov_b32 v1, v7 :: v_dual_mov_b32 v0, v5
	v_cmp_neq_f64_e64 s51, s[36:37], 1.0
	s_ashr_i32 s46, s41, 31
	s_wait_alu 0xfffe
	s_add_nc_u64 s[12:13], s[12:13], s[2:3]
	v_mad_co_u64_u32 v[13:14], null, s9, v20, v[1:2]
	v_mad_co_u64_u32 v[0:1], null, s17, v20, v[0:1]
	s_lshr_b32 s2, s46, 28
	v_ashrrev_i32_e32 v3, 31, v2
	s_wait_alu 0xfffe
	s_add_co_i32 s2, s41, s2
	s_add_nc_u64 s[14:15], s[20:21], s[14:15]
	v_mov_b32_e32 v7, v13
	s_wait_alu 0xfffe
	s_and_b32 s46, s2, -16
	v_mov_b32_e32 v5, v0
	s_sub_co_i32 s3, s41, s46
	s_lshl_b64 s[42:43], s[6:7], 4
	v_lshlrev_b64_e32 v[0:1], 4, v[6:7]
	v_mov_b32_e32 v9, v12
	s_or_b32 s20, s45, s47
	v_lshlrev_b64_e32 v[4:5], 4, v[4:5]
	s_or_b32 s47, s48, s50
	s_xor_b32 s48, s20, -1
	s_wait_alu 0xfffe
	s_cmp_gt_i32 s3, 0
	v_lshlrev_b64_e32 v[12:13], 4, v[2:3]
	v_cmp_gt_i32_e64 s1, s40, v2
	s_cselect_b32 s49, -1, 0
	v_cmp_gt_i32_e64 s3, s40, v15
	s_and_b32 s40, s0, vcc_lo
	v_add_co_u32 v0, vcc_lo, v0, s42
	s_delay_alu instid0(VALU_DEP_1)
	v_add_co_ci_u32_e64 v1, null, s43, v1, vcc_lo
	v_add_co_u32 v2, vcc_lo, s12, v4
	s_wait_alu 0xfffd
	v_add_co_ci_u32_e64 v3, null, s13, v5, vcc_lo
	v_add_co_u32 v0, vcc_lo, v0, v12
	v_mul_lo_u32 v16, s25, v15
	s_wait_alu 0xfffd
	v_add_co_ci_u32_e64 v1, null, v1, v13, vcc_lo
	v_add_co_u32 v14, vcc_lo, v2, 8
	s_wait_alu 0xfffd
	v_add_co_ci_u32_e64 v15, null, 0, v3, vcc_lo
	v_add_co_u32 v0, vcc_lo, s4, v0
	s_ashr_i32 s21, s44, 31
	s_wait_alu 0xfffd
	v_add_co_ci_u32_e64 v1, null, s5, v1, vcc_lo
	s_mul_i32 s21, s24, s21
	v_lshlrev_b64_e32 v[18:19], 4, v[8:9]
	v_add3_u32 v11, v11, s21, v16
	v_add_co_u32 v16, vcc_lo, v0, 8
	v_cmp_gt_i32_e64 s2, s46, v20
	s_wait_alu 0xfffd
	v_add_co_ci_u32_e64 v17, null, 0, v1, vcc_lo
	s_or_b32 s22, s20, s51
	s_add_nc_u64 s[6:7], s[4:5], s[42:43]
	s_lshl_b64 s[20:21], s[18:19], 4
	s_wait_alu 0xfffe
	s_or_b32 s5, s22, s50
	s_lshl_b64 s[22:23], s[16:17], 8
	s_lshl_b64 s[24:25], s[10:11], 4
	;; [unrolled: 1-line block ×3, first 2 shown]
	s_branch .LBB155_5
.LBB155_3:                              ;   in Loop: Header=BB155_5 Depth=1
	s_wait_alu 0xfffe
	s_or_b32 exec_lo, exec_lo, s4
.LBB155_4:                              ;   in Loop: Header=BB155_5 Depth=1
	s_add_co_i32 s34, s34, 0x10000
	s_wait_alu 0xfffe
	s_cmp_lt_u32 s34, s33
	s_cbranch_scc0 .LBB155_34
.LBB155_5:                              ; =>This Loop Header: Depth=1
                                        ;     Child Loop BB155_15 Depth 2
	s_wait_alu 0xfffe
	s_and_not1_b32 vcc_lo, exec_lo, s5
	s_wait_alu 0xfffe
	s_cbranch_vccnz .LBB155_4
; %bb.6:                                ;   in Loop: Header=BB155_5 Depth=1
	s_mul_u64 s[44:45], s[26:27], s[34:35]
	s_and_not1_b32 vcc_lo, exec_lo, s48
	s_wait_alu 0xfffe
	s_lshl_b64 s[44:45], s[44:45], 4
	s_wait_alu 0xfffe
	s_add_nc_u64 s[44:45], s[14:15], s[44:45]
	s_cbranch_vccnz .LBB155_11
; %bb.7:                                ;   in Loop: Header=BB155_5 Depth=1
	s_mov_b32 s4, 0
	s_mov_b32 s50, 0
                                        ; implicit-def: $vgpr2_vgpr3
	s_and_saveexec_b32 s51, s40
	s_cbranch_execz .LBB155_17
; %bb.8:                                ;   in Loop: Header=BB155_5 Depth=1
	v_mov_b32_e32 v2, 0
	v_dual_mov_b32 v3, 0 :: v_dual_mov_b32 v0, 0
	v_mov_b32_e32 v1, 0
	s_and_not1_b32 vcc_lo, exec_lo, s47
	s_wait_alu 0xfffe
	s_cbranch_vccnz .LBB155_10
; %bb.9:                                ;   in Loop: Header=BB155_5 Depth=1
	v_add_co_u32 v0, vcc_lo, s44, v18
	s_wait_alu 0xfffd
	v_add_co_ci_u32_e64 v1, null, s45, v19, vcc_lo
	global_load_b128 v[2:5], v[0:1], off
	s_wait_loadcnt 0x0
	v_mul_f64_e32 v[0:1], s[38:39], v[4:5]
	v_mul_f64_e32 v[4:5], s[36:37], v[4:5]
	s_delay_alu instid0(VALU_DEP_2) | instskip(NEXT) | instid1(VALU_DEP_2)
	v_fma_f64 v[0:1], s[36:37], v[2:3], -v[0:1]
	v_fma_f64 v[2:3], s[38:39], v[2:3], v[4:5]
.LBB155_10:                             ;   in Loop: Header=BB155_5 Depth=1
	s_mov_b32 s50, exec_lo
	s_or_b32 exec_lo, exec_lo, s51
	s_delay_alu instid0(SALU_CYCLE_1)
	s_and_b32 vcc_lo, exec_lo, s4
	s_wait_alu 0xfffe
	s_cbranch_vccnz .LBB155_12
	s_branch .LBB155_18
.LBB155_11:                             ;   in Loop: Header=BB155_5 Depth=1
	s_mov_b32 s50, 0
                                        ; implicit-def: $vgpr2_vgpr3
	s_cbranch_execz .LBB155_18
.LBB155_12:                             ;   in Loop: Header=BB155_5 Depth=1
	v_mov_b32_e32 v2, 0
	v_dual_mov_b32 v3, 0 :: v_dual_mov_b32 v0, 0
	v_dual_mov_b32 v1, 0 :: v_dual_mov_b32 v22, v20
	s_and_saveexec_b32 s51, s2
	s_cbranch_execz .LBB155_20
; %bb.13:                               ;   in Loop: Header=BB155_5 Depth=1
	v_mad_co_u64_u32 v[4:5], null, s20, s34, v[14:15]
	v_mad_co_u64_u32 v[6:7], null, s24, s34, v[16:17]
	s_mov_b32 s52, 0
	v_mov_b32_e32 v22, v20
	v_dual_mov_b32 v0, v5 :: v_dual_mov_b32 v1, v7
	s_delay_alu instid0(VALU_DEP_1) | instskip(SKIP_3) | instid1(VALU_DEP_4)
	v_mad_co_u64_u32 v[23:24], null, s21, s34, v[0:1]
	v_mad_co_u64_u32 v[0:1], null, s25, s34, v[1:2]
	v_mov_b32_e32 v2, 0
	v_mov_b32_e32 v3, 0
	;; [unrolled: 1-line block ×3, first 2 shown]
	s_delay_alu instid0(VALU_DEP_3) | instskip(NEXT) | instid1(VALU_DEP_3)
	v_dual_mov_b32 v7, v0 :: v_dual_mov_b32 v0, v2
	v_mov_b32_e32 v1, v3
	s_branch .LBB155_15
.LBB155_14:                             ;   in Loop: Header=BB155_15 Depth=2
	s_wait_alu 0xfffe
	s_or_b32 exec_lo, exec_lo, s4
	v_add_nc_u32_e32 v22, 16, v22
	v_add_co_u32 v4, vcc_lo, v4, s22
	s_wait_alu 0xfffd
	v_add_co_ci_u32_e64 v5, null, s23, v5, vcc_lo
	s_delay_alu instid0(VALU_DEP_3)
	v_cmp_le_i32_e32 vcc_lo, s46, v22
	v_add_co_u32 v6, s4, v6, s42
	s_wait_alu 0xf1ff
	v_add_co_ci_u32_e64 v7, null, s43, v7, s4
	s_or_b32 s52, vcc_lo, s52
	s_wait_alu 0xfffe
	s_and_not1_b32 exec_lo, exec_lo, s52
	s_cbranch_execz .LBB155_19
.LBB155_15:                             ;   Parent Loop BB155_5 Depth=1
                                        ; =>  This Inner Loop Header: Depth=2
	s_and_saveexec_b32 s4, s1
	s_cbranch_execz .LBB155_14
; %bb.16:                               ;   in Loop: Header=BB155_15 Depth=2
	global_load_b128 v[23:26], v[4:5], off offset:-8
	global_load_b128 v[27:30], v[6:7], off offset:-8
	s_wait_loadcnt 0x0
	v_mul_f64_e32 v[31:32], v[25:26], v[29:30]
	v_mul_f64_e32 v[29:30], v[23:24], v[29:30]
	s_delay_alu instid0(VALU_DEP_2) | instskip(NEXT) | instid1(VALU_DEP_2)
	v_fma_f64 v[23:24], v[23:24], v[27:28], -v[31:32]
	v_fma_f64 v[25:26], v[25:26], v[27:28], v[29:30]
	s_delay_alu instid0(VALU_DEP_2) | instskip(NEXT) | instid1(VALU_DEP_2)
	v_add_f64_e32 v[0:1], v[0:1], v[23:24]
	v_add_f64_e32 v[2:3], v[2:3], v[25:26]
	s_branch .LBB155_14
.LBB155_17:                             ;   in Loop: Header=BB155_5 Depth=1
	s_or_b32 exec_lo, exec_lo, s51
	s_wait_alu 0xfffe
	s_and_b32 vcc_lo, exec_lo, s4
	s_wait_alu 0xfffe
	s_cbranch_vccnz .LBB155_12
.LBB155_18:                             ;   in Loop: Header=BB155_5 Depth=1
	v_dual_mov_b32 v4, v8 :: v_dual_mov_b32 v5, v9
	s_and_saveexec_b32 s4, s50
	s_cbranch_execz .LBB155_3
	s_branch .LBB155_33
.LBB155_19:                             ;   in Loop: Header=BB155_5 Depth=1
	s_or_b32 exec_lo, exec_lo, s52
.LBB155_20:                             ;   in Loop: Header=BB155_5 Depth=1
	s_delay_alu instid0(SALU_CYCLE_1) | instskip(NEXT) | instid1(SALU_CYCLE_1)
	s_or_b32 exec_lo, exec_lo, s51
	s_and_not1_b32 vcc_lo, exec_lo, s49
	s_wait_alu 0xfffe
	s_cbranch_vccnz .LBB155_26
; %bb.21:                               ;   in Loop: Header=BB155_5 Depth=1
	v_mov_b32_e32 v4, 0
	v_dual_mov_b32 v5, 0 :: v_dual_mov_b32 v6, 0
	v_mov_b32_e32 v7, 0
	v_cmp_gt_i32_e32 vcc_lo, s41, v22
	s_and_saveexec_b32 s51, vcc_lo
	s_cbranch_execz .LBB155_23
; %bb.22:                               ;   in Loop: Header=BB155_5 Depth=1
	v_mad_co_u64_u32 v[4:5], null, s16, v22, 0
	s_mul_u64 s[52:53], s[18:19], s[34:35]
	s_wait_alu 0xfffe
	s_lshl_b64 s[52:53], s[52:53], 4
	s_wait_alu 0xfffe
	s_add_nc_u64 s[52:53], s[12:13], s[52:53]
	v_mad_co_u64_u32 v[5:6], null, s17, v22, v[5:6]
	s_delay_alu instid0(VALU_DEP_1) | instskip(SKIP_1) | instid1(VALU_DEP_1)
	v_lshlrev_b64_e32 v[4:5], 4, v[4:5]
	s_wait_alu 0xfffe
	v_add_co_u32 v4, s4, s52, v4
	s_wait_alu 0xf1ff
	s_delay_alu instid0(VALU_DEP_2)
	v_add_co_ci_u32_e64 v5, null, s53, v5, s4
	global_load_b128 v[4:7], v[4:5], off
.LBB155_23:                             ;   in Loop: Header=BB155_5 Depth=1
	s_or_b32 exec_lo, exec_lo, s51
	s_and_saveexec_b32 s4, s1
	s_cbranch_execz .LBB155_25
; %bb.24:                               ;   in Loop: Header=BB155_5 Depth=1
	v_mad_co_u64_u32 v[23:24], null, s8, v22, 0
	s_mul_u64 s[52:53], s[10:11], s[34:35]
	s_wait_alu 0xfffe
	s_lshl_b64 s[52:53], s[52:53], 4
	s_wait_alu 0xfffe
	s_add_nc_u64 s[52:53], s[6:7], s[52:53]
	v_mad_co_u64_u32 v[24:25], null, s9, v22, v[24:25]
	s_delay_alu instid0(VALU_DEP_1) | instskip(NEXT) | instid1(VALU_DEP_1)
	v_dual_cndmask_b32 v22, 0, v23 :: v_dual_cndmask_b32 v23, 0, v24
	v_lshlrev_b64_e32 v[22:23], 4, v[22:23]
	s_wait_alu 0xfffe
	s_delay_alu instid0(VALU_DEP_1) | instskip(SKIP_1) | instid1(VALU_DEP_2)
	v_add_co_u32 v22, vcc_lo, s52, v22
	s_wait_alu 0xfffd
	v_add_co_ci_u32_e64 v23, null, s53, v23, vcc_lo
	s_delay_alu instid0(VALU_DEP_2) | instskip(SKIP_1) | instid1(VALU_DEP_2)
	v_add_co_u32 v22, vcc_lo, v22, v12
	s_wait_alu 0xfffd
	v_add_co_ci_u32_e64 v23, null, v23, v13, vcc_lo
	global_load_b128 v[22:25], v[22:23], off
	s_wait_loadcnt 0x0
	v_mul_f64_e32 v[26:27], v[6:7], v[24:25]
	v_mul_f64_e32 v[24:25], v[4:5], v[24:25]
	s_delay_alu instid0(VALU_DEP_2) | instskip(NEXT) | instid1(VALU_DEP_2)
	v_fma_f64 v[4:5], v[4:5], v[22:23], -v[26:27]
	v_fma_f64 v[6:7], v[6:7], v[22:23], v[24:25]
	s_delay_alu instid0(VALU_DEP_2) | instskip(NEXT) | instid1(VALU_DEP_2)
	v_add_f64_e32 v[0:1], v[0:1], v[4:5]
	v_add_f64_e32 v[2:3], v[2:3], v[6:7]
.LBB155_25:                             ;   in Loop: Header=BB155_5 Depth=1
	s_wait_alu 0xfffe
	s_or_b32 exec_lo, exec_lo, s4
.LBB155_26:                             ;   in Loop: Header=BB155_5 Depth=1
	ds_store_b128 v21, v[0:3]
	s_wait_loadcnt_dscnt 0x0
	s_barrier_signal -1
	s_barrier_wait -1
	global_inv scope:SCOPE_SE
                                        ; implicit-def: $vgpr2_vgpr3
	s_and_saveexec_b32 s4, s0
	s_cbranch_execz .LBB155_32
; %bb.27:                               ;   in Loop: Header=BB155_5 Depth=1
	ds_load_b128 v[0:3], v21
	ds_load_b128 v[4:7], v21 offset:512
	s_mov_b32 s52, s50
	s_wait_dscnt 0x0
	v_add_f64_e32 v[22:23], v[0:1], v[4:5]
	v_add_f64_e32 v[24:25], v[2:3], v[6:7]
	ds_load_b128 v[0:3], v21 offset:1024
	ds_load_b128 v[4:7], v21 offset:1536
	s_wait_dscnt 0x1
	v_add_f64_e32 v[0:1], v[22:23], v[0:1]
	v_add_f64_e32 v[2:3], v[24:25], v[2:3]
	s_wait_dscnt 0x0
	s_delay_alu instid0(VALU_DEP_2) | instskip(NEXT) | instid1(VALU_DEP_2)
	v_add_f64_e32 v[22:23], v[0:1], v[4:5]
	v_add_f64_e32 v[24:25], v[2:3], v[6:7]
	ds_load_b128 v[0:3], v21 offset:2048
	ds_load_b128 v[4:7], v21 offset:2560
	s_wait_dscnt 0x1
	v_add_f64_e32 v[0:1], v[22:23], v[0:1]
	v_add_f64_e32 v[2:3], v[24:25], v[2:3]
	s_wait_dscnt 0x0
	s_delay_alu instid0(VALU_DEP_2) | instskip(NEXT) | instid1(VALU_DEP_2)
	v_add_f64_e32 v[22:23], v[0:1], v[4:5]
	v_add_f64_e32 v[24:25], v[2:3], v[6:7]
	ds_load_b128 v[0:3], v21 offset:3072
	ds_load_b128 v[4:7], v21 offset:3584
	s_wait_dscnt 0x1
	v_add_f64_e32 v[0:1], v[22:23], v[0:1]
	v_add_f64_e32 v[2:3], v[24:25], v[2:3]
	s_wait_dscnt 0x0
	s_delay_alu instid0(VALU_DEP_2) | instskip(NEXT) | instid1(VALU_DEP_2)
	v_add_f64_e32 v[22:23], v[0:1], v[4:5]
	v_add_f64_e32 v[24:25], v[2:3], v[6:7]
	ds_load_b128 v[0:3], v21 offset:4096
	ds_load_b128 v[4:7], v21 offset:4608
	s_wait_dscnt 0x1
	v_add_f64_e32 v[0:1], v[22:23], v[0:1]
	v_add_f64_e32 v[2:3], v[24:25], v[2:3]
	s_wait_dscnt 0x0
	s_delay_alu instid0(VALU_DEP_2) | instskip(NEXT) | instid1(VALU_DEP_2)
	v_add_f64_e32 v[22:23], v[0:1], v[4:5]
	v_add_f64_e32 v[24:25], v[2:3], v[6:7]
	ds_load_b128 v[0:3], v21 offset:5120
	ds_load_b128 v[4:7], v21 offset:5632
	s_wait_dscnt 0x1
	v_add_f64_e32 v[0:1], v[22:23], v[0:1]
	v_add_f64_e32 v[2:3], v[24:25], v[2:3]
	s_wait_dscnt 0x0
	s_delay_alu instid0(VALU_DEP_2) | instskip(NEXT) | instid1(VALU_DEP_2)
	v_add_f64_e32 v[22:23], v[0:1], v[4:5]
	v_add_f64_e32 v[24:25], v[2:3], v[6:7]
	ds_load_b128 v[0:3], v21 offset:6144
	ds_load_b128 v[4:7], v21 offset:6656
	s_wait_dscnt 0x1
	v_add_f64_e32 v[0:1], v[22:23], v[0:1]
	v_add_f64_e32 v[2:3], v[24:25], v[2:3]
	s_wait_dscnt 0x0
	s_delay_alu instid0(VALU_DEP_2) | instskip(NEXT) | instid1(VALU_DEP_2)
	v_add_f64_e32 v[22:23], v[0:1], v[4:5]
	v_add_f64_e32 v[24:25], v[2:3], v[6:7]
	ds_load_b128 v[0:3], v21 offset:7168
	ds_load_b128 v[4:7], v21 offset:7680
	s_wait_dscnt 0x1
	v_add_f64_e32 v[0:1], v[22:23], v[0:1]
	v_add_f64_e32 v[2:3], v[24:25], v[2:3]
	s_wait_dscnt 0x0
	s_delay_alu instid0(VALU_DEP_2) | instskip(NEXT) | instid1(VALU_DEP_2)
	v_add_f64_e32 v[4:5], v[0:1], v[4:5]
	v_add_f64_e32 v[6:7], v[2:3], v[6:7]
                                        ; implicit-def: $vgpr2_vgpr3
	ds_store_b128 v21, v[4:7]
	s_and_saveexec_b32 s51, s3
	s_cbranch_execz .LBB155_31
; %bb.28:                               ;   in Loop: Header=BB155_5 Depth=1
	v_mul_f64_e32 v[0:1], s[30:31], v[6:7]
	v_mul_f64_e32 v[2:3], s[28:29], v[6:7]
	s_and_not1_b32 vcc_lo, exec_lo, s47
	s_delay_alu instid0(VALU_DEP_2) | instskip(NEXT) | instid1(VALU_DEP_2)
	v_fma_f64 v[0:1], s[28:29], v[4:5], -v[0:1]
	v_fma_f64 v[2:3], s[30:31], v[4:5], v[2:3]
	s_wait_alu 0xfffe
	s_cbranch_vccnz .LBB155_30
; %bb.29:                               ;   in Loop: Header=BB155_5 Depth=1
	v_lshlrev_b64_e32 v[4:5], 4, v[10:11]
	s_delay_alu instid0(VALU_DEP_1) | instskip(SKIP_1) | instid1(VALU_DEP_2)
	v_add_co_u32 v4, vcc_lo, s44, v4
	s_wait_alu 0xfffd
	v_add_co_ci_u32_e64 v5, null, s45, v5, vcc_lo
	global_load_b128 v[4:7], v[4:5], off
	s_wait_loadcnt 0x0
	v_mul_f64_e32 v[22:23], s[38:39], v[6:7]
	v_mul_f64_e32 v[6:7], s[36:37], v[6:7]
	s_delay_alu instid0(VALU_DEP_2) | instskip(NEXT) | instid1(VALU_DEP_2)
	v_fma_f64 v[22:23], s[36:37], v[4:5], -v[22:23]
	v_fma_f64 v[4:5], s[38:39], v[4:5], v[6:7]
	s_delay_alu instid0(VALU_DEP_2) | instskip(NEXT) | instid1(VALU_DEP_2)
	v_add_f64_e32 v[0:1], v[0:1], v[22:23]
	v_add_f64_e32 v[2:3], v[2:3], v[4:5]
.LBB155_30:                             ;   in Loop: Header=BB155_5 Depth=1
	s_or_b32 s52, s50, exec_lo
.LBB155_31:                             ;   in Loop: Header=BB155_5 Depth=1
	s_or_b32 exec_lo, exec_lo, s51
	s_delay_alu instid0(SALU_CYCLE_1) | instskip(SKIP_2) | instid1(SALU_CYCLE_1)
	s_and_not1_b32 s50, s50, exec_lo
	s_wait_alu 0xfffe
	s_and_b32 s51, s52, exec_lo
	s_or_b32 s50, s50, s51
.LBB155_32:                             ;   in Loop: Header=BB155_5 Depth=1
	s_wait_alu 0xfffe
	s_or_b32 exec_lo, exec_lo, s4
	v_dual_mov_b32 v4, v10 :: v_dual_mov_b32 v5, v11
	s_and_saveexec_b32 s4, s50
	s_cbranch_execz .LBB155_3
.LBB155_33:                             ;   in Loop: Header=BB155_5 Depth=1
	s_delay_alu instid0(VALU_DEP_1) | instskip(SKIP_1) | instid1(VALU_DEP_1)
	v_lshlrev_b64_e32 v[4:5], 4, v[4:5]
	s_wait_alu 0xfffe
	v_add_co_u32 v4, vcc_lo, s44, v4
	s_wait_alu 0xfffd
	s_delay_alu instid0(VALU_DEP_2)
	v_add_co_ci_u32_e64 v5, null, s45, v5, vcc_lo
	global_store_b128 v[4:5], v[0:3], off
	s_branch .LBB155_3
.LBB155_34:
	s_endpgm
	.section	.rodata,"a",@progbits
	.p2align	6, 0x0
	.amdhsa_kernel _ZL20rocblas_gemvn_kernelILi32ELi16El19rocblas_complex_numIdES1_S1_EviiT3_lPKT2_lT1_lS5_lS6_lS2_lPT4_lS6_li
		.amdhsa_group_segment_fixed_size 8192
		.amdhsa_private_segment_fixed_size 0
		.amdhsa_kernarg_size 416
		.amdhsa_user_sgpr_count 2
		.amdhsa_user_sgpr_dispatch_ptr 0
		.amdhsa_user_sgpr_queue_ptr 0
		.amdhsa_user_sgpr_kernarg_segment_ptr 1
		.amdhsa_user_sgpr_dispatch_id 0
		.amdhsa_user_sgpr_private_segment_size 0
		.amdhsa_wavefront_size32 1
		.amdhsa_uses_dynamic_stack 0
		.amdhsa_enable_private_segment 0
		.amdhsa_system_sgpr_workgroup_id_x 1
		.amdhsa_system_sgpr_workgroup_id_y 0
		.amdhsa_system_sgpr_workgroup_id_z 1
		.amdhsa_system_sgpr_workgroup_info 0
		.amdhsa_system_vgpr_workitem_id 1
		.amdhsa_next_free_vgpr 33
		.amdhsa_next_free_sgpr 54
		.amdhsa_reserve_vcc 1
		.amdhsa_float_round_mode_32 0
		.amdhsa_float_round_mode_16_64 0
		.amdhsa_float_denorm_mode_32 3
		.amdhsa_float_denorm_mode_16_64 3
		.amdhsa_fp16_overflow 0
		.amdhsa_workgroup_processor_mode 1
		.amdhsa_memory_ordered 1
		.amdhsa_forward_progress 1
		.amdhsa_inst_pref_size 17
		.amdhsa_round_robin_scheduling 0
		.amdhsa_exception_fp_ieee_invalid_op 0
		.amdhsa_exception_fp_denorm_src 0
		.amdhsa_exception_fp_ieee_div_zero 0
		.amdhsa_exception_fp_ieee_overflow 0
		.amdhsa_exception_fp_ieee_underflow 0
		.amdhsa_exception_fp_ieee_inexact 0
		.amdhsa_exception_int_div_zero 0
	.end_amdhsa_kernel
	.section	.text._ZL20rocblas_gemvn_kernelILi32ELi16El19rocblas_complex_numIdES1_S1_EviiT3_lPKT2_lT1_lS5_lS6_lS2_lPT4_lS6_li,"axG",@progbits,_ZL20rocblas_gemvn_kernelILi32ELi16El19rocblas_complex_numIdES1_S1_EviiT3_lPKT2_lT1_lS5_lS6_lS2_lPT4_lS6_li,comdat
.Lfunc_end155:
	.size	_ZL20rocblas_gemvn_kernelILi32ELi16El19rocblas_complex_numIdES1_S1_EviiT3_lPKT2_lT1_lS5_lS6_lS2_lPT4_lS6_li, .Lfunc_end155-_ZL20rocblas_gemvn_kernelILi32ELi16El19rocblas_complex_numIdES1_S1_EviiT3_lPKT2_lT1_lS5_lS6_lS2_lPT4_lS6_li
                                        ; -- End function
	.set _ZL20rocblas_gemvn_kernelILi32ELi16El19rocblas_complex_numIdES1_S1_EviiT3_lPKT2_lT1_lS5_lS6_lS2_lPT4_lS6_li.num_vgpr, 33
	.set _ZL20rocblas_gemvn_kernelILi32ELi16El19rocblas_complex_numIdES1_S1_EviiT3_lPKT2_lT1_lS5_lS6_lS2_lPT4_lS6_li.num_agpr, 0
	.set _ZL20rocblas_gemvn_kernelILi32ELi16El19rocblas_complex_numIdES1_S1_EviiT3_lPKT2_lT1_lS5_lS6_lS2_lPT4_lS6_li.numbered_sgpr, 54
	.set _ZL20rocblas_gemvn_kernelILi32ELi16El19rocblas_complex_numIdES1_S1_EviiT3_lPKT2_lT1_lS5_lS6_lS2_lPT4_lS6_li.num_named_barrier, 0
	.set _ZL20rocblas_gemvn_kernelILi32ELi16El19rocblas_complex_numIdES1_S1_EviiT3_lPKT2_lT1_lS5_lS6_lS2_lPT4_lS6_li.private_seg_size, 0
	.set _ZL20rocblas_gemvn_kernelILi32ELi16El19rocblas_complex_numIdES1_S1_EviiT3_lPKT2_lT1_lS5_lS6_lS2_lPT4_lS6_li.uses_vcc, 1
	.set _ZL20rocblas_gemvn_kernelILi32ELi16El19rocblas_complex_numIdES1_S1_EviiT3_lPKT2_lT1_lS5_lS6_lS2_lPT4_lS6_li.uses_flat_scratch, 0
	.set _ZL20rocblas_gemvn_kernelILi32ELi16El19rocblas_complex_numIdES1_S1_EviiT3_lPKT2_lT1_lS5_lS6_lS2_lPT4_lS6_li.has_dyn_sized_stack, 0
	.set _ZL20rocblas_gemvn_kernelILi32ELi16El19rocblas_complex_numIdES1_S1_EviiT3_lPKT2_lT1_lS5_lS6_lS2_lPT4_lS6_li.has_recursion, 0
	.set _ZL20rocblas_gemvn_kernelILi32ELi16El19rocblas_complex_numIdES1_S1_EviiT3_lPKT2_lT1_lS5_lS6_lS2_lPT4_lS6_li.has_indirect_call, 0
	.section	.AMDGPU.csdata,"",@progbits
; Kernel info:
; codeLenInByte = 2100
; TotalNumSgprs: 56
; NumVgprs: 33
; ScratchSize: 0
; MemoryBound: 0
; FloatMode: 240
; IeeeMode: 1
; LDSByteSize: 8192 bytes/workgroup (compile time only)
; SGPRBlocks: 0
; VGPRBlocks: 4
; NumSGPRsForWavesPerEU: 56
; NumVGPRsForWavesPerEU: 33
; Occupancy: 16
; WaveLimiterHint : 1
; COMPUTE_PGM_RSRC2:SCRATCH_EN: 0
; COMPUTE_PGM_RSRC2:USER_SGPR: 2
; COMPUTE_PGM_RSRC2:TRAP_HANDLER: 0
; COMPUTE_PGM_RSRC2:TGID_X_EN: 1
; COMPUTE_PGM_RSRC2:TGID_Y_EN: 0
; COMPUTE_PGM_RSRC2:TGID_Z_EN: 1
; COMPUTE_PGM_RSRC2:TIDIG_COMP_CNT: 1
	.section	.text._ZL20rocblas_gemvn_kernelILi64ELi16Ei19rocblas_complex_numIdEPKS1_S1_EviiT3_lPKT2_lT1_lS7_lS8_lS4_lPT4_lS8_li,"axG",@progbits,_ZL20rocblas_gemvn_kernelILi64ELi16Ei19rocblas_complex_numIdEPKS1_S1_EviiT3_lPKT2_lT1_lS7_lS8_lS4_lPT4_lS8_li,comdat
	.globl	_ZL20rocblas_gemvn_kernelILi64ELi16Ei19rocblas_complex_numIdEPKS1_S1_EviiT3_lPKT2_lT1_lS7_lS8_lS4_lPT4_lS8_li ; -- Begin function _ZL20rocblas_gemvn_kernelILi64ELi16Ei19rocblas_complex_numIdEPKS1_S1_EviiT3_lPKT2_lT1_lS7_lS8_lS4_lPT4_lS8_li
	.p2align	8
	.type	_ZL20rocblas_gemvn_kernelILi64ELi16Ei19rocblas_complex_numIdEPKS1_S1_EviiT3_lPKT2_lT1_lS7_lS8_lS4_lPT4_lS8_li,@function
_ZL20rocblas_gemvn_kernelILi64ELi16Ei19rocblas_complex_numIdEPKS1_S1_EviiT3_lPKT2_lT1_lS7_lS8_lS4_lPT4_lS8_li: ; @_ZL20rocblas_gemvn_kernelILi64ELi16Ei19rocblas_complex_numIdEPKS1_S1_EviiT3_lPKT2_lT1_lS7_lS8_lS4_lPT4_lS8_li
; %bb.0:
	s_load_b64 s[2:3], s[0:1], 0x9c
	s_wait_kmcnt 0x0
	s_lshr_b32 s4, s2, 16
	s_and_b32 s2, s2, 0xffff
	s_and_b32 s3, s3, 0xffff
	s_mul_i32 s4, s4, s2
	s_delay_alu instid0(SALU_CYCLE_1) | instskip(NEXT) | instid1(SALU_CYCLE_1)
	s_mul_i32 s4, s4, s3
	s_cmp_lg_u32 s4, 0x400
	s_cbranch_scc1 .LBB156_36
; %bb.1:
	s_load_b32 s7, s[0:1], 0x88
	s_lshr_b32 s34, ttmp7, 16
	s_wait_kmcnt 0x0
	s_cmp_ge_u32 s34, s7
	s_cbranch_scc1 .LBB156_36
; %bb.2:
	s_clause 0x2
	s_load_b256 s[8:15], s[0:1], 0x8
	s_load_b96 s[4:6], s[0:1], 0x40
	s_load_b96 s[28:30], s[0:1], 0x70
	v_dual_mov_b32 v16, 0 :: v_dual_and_b32 v1, 0x3ff, v0
	v_bfe_u32 v0, v0, 10, 10
	s_lshl_b32 s33, ttmp9, 6
	s_clause 0x4
	s_load_b64 s[36:37], s[0:1], 0x0
	s_load_b32 s31, s[0:1], 0x28
	s_load_b128 s[24:27], s[0:1], 0x30
	s_load_b256 s[16:23], s[0:1], 0x50
	s_load_b64 s[38:39], s[0:1], 0x80
	s_mov_b32 s35, 0
	v_mad_u32_u24 v2, v0, s2, v1
	s_delay_alu instid0(VALU_DEP_1)
	v_add_nc_u32_e32 v15, s33, v2
	v_lshrrev_b32_e32 v23, 6, v2
	v_or_b32_e32 v4, s33, v2
	v_lshlrev_b32_e32 v25, 4, v2
	s_wait_kmcnt 0x0
	s_lshl_b64 s[2:3], s[14:15], 4
	s_lshl_b64 s[4:5], s[4:5], 4
	v_mad_co_u64_u32 v[17:18], null, v15, s30, 0
	v_and_b32_e32 v3, 63, v2
	s_ashr_i32 s1, s30, 31
	s_wait_alu 0xfffe
	s_add_nc_u64 s[12:13], s[12:13], s[2:3]
	s_ashr_i32 s14, s37, 31
	v_mul_lo_u32 v19, v4, s30
	s_lshr_b32 s2, s14, 28
	v_mov_b32_e32 v0, v18
	v_or_b32_e32 v24, s33, v3
	s_ashr_i32 s41, s36, 31
	s_mov_b32 s40, s36
	s_lshl_b64 s[28:29], s[28:29], 4
	v_mad_co_u64_u32 v[0:1], null, v15, s1, v[0:1]
	s_wait_alu 0xfffe
	s_add_co_i32 s1, s37, s2
	v_mul_lo_u32 v26, s6, v23
	s_wait_alu 0xfffe
	s_and_b32 s30, s1, -16
	v_cmp_gt_i32_e64 s0, s36, v24
	s_wait_alu 0xfffe
	s_sub_co_i32 s2, s37, s30
	v_cmp_gt_i32_e64 s1, s30, v23
	v_mov_b32_e32 v18, v0
	v_mul_lo_u32 v0, s31, v23
	v_cmp_gt_i64_e32 vcc_lo, s[40:41], v[15:16]
	s_wait_alu 0xfffe
	s_cmp_gt_i32 s2, 0
	v_cmp_gt_u32_e64 s2, 64, v2
	v_lshlrev_b64_e32 v[21:22], 4, v[17:18]
	v_cmp_gt_i32_e64 s3, s36, v4
	v_ashrrev_i32_e32 v20, 31, v19
	s_add_nc_u64 s[14:15], s[26:27], s[4:5]
	v_add3_u32 v27, v0, s33, v3
	s_add_nc_u64 s[22:23], s[22:23], s[28:29]
	s_cselect_b32 s33, -1, 0
	s_and_b32 s36, s2, vcc_lo
	s_lshl_b32 s40, s6, 4
	s_lshl_b32 s41, s31, 4
	s_branch .LBB156_5
.LBB156_3:                              ;   in Loop: Header=BB156_5 Depth=1
	s_wait_alu 0xfffe
	s_or_b32 exec_lo, exec_lo, s4
.LBB156_4:                              ;   in Loop: Header=BB156_5 Depth=1
	s_add_co_i32 s34, s34, 0x10000
	s_delay_alu instid0(SALU_CYCLE_1)
	s_cmp_lt_u32 s34, s7
	s_cbranch_scc0 .LBB156_36
.LBB156_5:                              ; =>This Loop Header: Depth=1
                                        ;     Child Loop BB156_17 Depth 2
	s_mul_u64 s[4:5], s[10:11], s[34:35]
	s_wait_alu 0xfffe
	s_lshl_b64 s[4:5], s[4:5], 4
	s_wait_alu 0xfffe
	s_add_nc_u64 s[4:5], s[8:9], s[4:5]
	global_load_b128 v[4:7], v16, s[4:5]
	s_mul_u64 s[4:5], s[20:21], s[34:35]
	s_wait_alu 0xfffe
	s_lshl_b64 s[4:5], s[4:5], 4
	s_wait_alu 0xfffe
	s_add_nc_u64 s[4:5], s[18:19], s[4:5]
	s_wait_loadcnt 0x1
	global_load_b128 v[0:3], v16, s[4:5]
	s_wait_loadcnt 0x1
	v_cmp_neq_f64_e32 vcc_lo, 0, v[4:5]
	v_cmp_neq_f64_e64 s4, 0, v[6:7]
	s_wait_alu 0xfffe
	s_or_b32 s5, vcc_lo, s4
	s_mov_b32 s4, -1
	s_wait_alu 0xfffe
	s_and_b32 vcc_lo, exec_lo, s5
	s_wait_alu 0xfffe
	s_cbranch_vccz .LBB156_7
; %bb.6:                                ;   in Loop: Header=BB156_5 Depth=1
	s_and_not1_b32 vcc_lo, exec_lo, s4
	s_wait_alu 0xfffe
	s_cbranch_vccnz .LBB156_4
	s_branch .LBB156_8
.LBB156_7:                              ;   in Loop: Header=BB156_5 Depth=1
	s_wait_loadcnt 0x0
	v_cmp_neq_f64_e32 vcc_lo, 1.0, v[0:1]
	v_cmp_neq_f64_e64 s4, 0, v[2:3]
	s_or_b32 s4, vcc_lo, s4
	s_wait_alu 0xfffe
	s_and_not1_b32 vcc_lo, exec_lo, s4
	s_wait_alu 0xfffe
	s_cbranch_vccnz .LBB156_4
.LBB156_8:                              ;   in Loop: Header=BB156_5 Depth=1
	s_xor_b32 s26, s5, -1
	s_mul_u64 s[4:5], s[38:39], s[34:35]
	s_wait_alu 0xfffe
	s_and_not1_b32 vcc_lo, exec_lo, s26
	s_lshl_b64 s[4:5], s[4:5], 4
	s_wait_alu 0xfffe
	s_add_nc_u64 s[26:27], s[22:23], s[4:5]
	s_cbranch_vccnz .LBB156_13
; %bb.9:                                ;   in Loop: Header=BB156_5 Depth=1
	s_mov_b32 s5, 0
	s_mov_b32 s42, 0
                                        ; implicit-def: $vgpr10_vgpr11
	s_and_saveexec_b32 s28, s36
	s_cbranch_execz .LBB156_19
; %bb.10:                               ;   in Loop: Header=BB156_5 Depth=1
	s_wait_loadcnt 0x0
	v_cmp_neq_f64_e32 vcc_lo, 0, v[0:1]
	v_cmp_neq_f64_e64 s4, 0, v[2:3]
	v_mov_b32_e32 v10, 0
	v_dual_mov_b32 v11, 0 :: v_dual_mov_b32 v8, 0
	v_mov_b32_e32 v9, 0
	s_or_b32 s4, vcc_lo, s4
	s_wait_alu 0xfffe
	s_and_not1_b32 vcc_lo, exec_lo, s4
	s_wait_alu 0xfffe
	s_cbranch_vccnz .LBB156_12
; %bb.11:                               ;   in Loop: Header=BB156_5 Depth=1
	v_add_co_u32 v8, vcc_lo, s26, v21
	s_wait_alu 0xfffd
	v_add_co_ci_u32_e64 v9, null, s27, v22, vcc_lo
	global_load_b128 v[10:13], v[8:9], off
	s_wait_loadcnt 0x0
	v_mul_f64_e32 v[8:9], v[2:3], v[12:13]
	v_mul_f64_e32 v[12:13], v[0:1], v[12:13]
	s_delay_alu instid0(VALU_DEP_2) | instskip(NEXT) | instid1(VALU_DEP_2)
	v_fma_f64 v[8:9], v[0:1], v[10:11], -v[8:9]
	v_fma_f64 v[10:11], v[2:3], v[10:11], v[12:13]
.LBB156_12:                             ;   in Loop: Header=BB156_5 Depth=1
	s_mov_b32 s42, exec_lo
	s_or_b32 exec_lo, exec_lo, s28
	s_delay_alu instid0(SALU_CYCLE_1)
	s_and_b32 vcc_lo, exec_lo, s5
	s_wait_alu 0xfffe
	s_cbranch_vccnz .LBB156_14
	s_branch .LBB156_20
.LBB156_13:                             ;   in Loop: Header=BB156_5 Depth=1
	s_mov_b32 s42, 0
                                        ; implicit-def: $vgpr10_vgpr11
	s_cbranch_execz .LBB156_20
.LBB156_14:                             ;   in Loop: Header=BB156_5 Depth=1
	v_mov_b32_e32 v10, 0
	s_mul_u64 s[4:5], s[24:25], s[34:35]
	s_mul_u64 s[28:29], s[16:17], s[34:35]
	v_dual_mov_b32 v11, 0 :: v_dual_mov_b32 v8, 0
	v_dual_mov_b32 v9, 0 :: v_dual_mov_b32 v28, v23
	s_wait_alu 0xfffe
	s_lshl_b64 s[4:5], s[4:5], 4
	s_lshl_b64 s[44:45], s[28:29], 4
	s_wait_alu 0xfffe
	s_add_nc_u64 s[28:29], s[12:13], s[4:5]
	s_add_nc_u64 s[4:5], s[14:15], s[44:45]
	s_and_saveexec_b32 s43, s1
	s_cbranch_execz .LBB156_22
; %bb.15:                               ;   in Loop: Header=BB156_5 Depth=1
	v_mov_b32_e32 v10, 0
	v_dual_mov_b32 v11, 0 :: v_dual_mov_b32 v12, v27
	s_delay_alu instid0(VALU_DEP_2) | instskip(SKIP_1) | instid1(VALU_DEP_3)
	v_mov_b32_e32 v8, v10
	v_mov_b32_e32 v14, v26
	v_dual_mov_b32 v28, v23 :: v_dual_mov_b32 v9, v11
	s_mov_b32 s44, 0
	s_branch .LBB156_17
.LBB156_16:                             ;   in Loop: Header=BB156_17 Depth=2
	s_or_b32 exec_lo, exec_lo, s45
	v_add_nc_u32_e32 v28, 16, v28
	s_wait_alu 0xfffe
	v_add_nc_u32_e32 v14, s40, v14
	v_add_nc_u32_e32 v12, s41, v12
	s_delay_alu instid0(VALU_DEP_3) | instskip(SKIP_1) | instid1(SALU_CYCLE_1)
	v_cmp_le_i32_e32 vcc_lo, s30, v28
	s_or_b32 s44, vcc_lo, s44
	s_and_not1_b32 exec_lo, exec_lo, s44
	s_cbranch_execz .LBB156_21
.LBB156_17:                             ;   Parent Loop BB156_5 Depth=1
                                        ; =>  This Inner Loop Header: Depth=2
	s_and_saveexec_b32 s45, s0
	s_cbranch_execz .LBB156_16
; %bb.18:                               ;   in Loop: Header=BB156_17 Depth=2
	v_ashrrev_i32_e32 v15, 31, v14
	v_ashrrev_i32_e32 v13, 31, v12
	s_delay_alu instid0(VALU_DEP_2) | instskip(NEXT) | instid1(VALU_DEP_2)
	v_lshlrev_b64_e32 v[29:30], 4, v[14:15]
	v_lshlrev_b64_e32 v[31:32], 4, v[12:13]
	s_wait_alu 0xfffe
	s_delay_alu instid0(VALU_DEP_2) | instskip(SKIP_1) | instid1(VALU_DEP_3)
	v_add_co_u32 v29, vcc_lo, s4, v29
	s_wait_alu 0xfffd
	v_add_co_ci_u32_e64 v30, null, s5, v30, vcc_lo
	s_delay_alu instid0(VALU_DEP_3)
	v_add_co_u32 v33, vcc_lo, s28, v31
	s_wait_alu 0xfffd
	v_add_co_ci_u32_e64 v34, null, s29, v32, vcc_lo
	global_load_b128 v[29:32], v[29:30], off
	global_load_b128 v[33:36], v[33:34], off
	s_wait_loadcnt 0x0
	v_mul_f64_e32 v[37:38], v[31:32], v[35:36]
	v_mul_f64_e32 v[35:36], v[29:30], v[35:36]
	s_delay_alu instid0(VALU_DEP_2) | instskip(NEXT) | instid1(VALU_DEP_2)
	v_fma_f64 v[29:30], v[29:30], v[33:34], -v[37:38]
	v_fma_f64 v[31:32], v[31:32], v[33:34], v[35:36]
	s_delay_alu instid0(VALU_DEP_2) | instskip(NEXT) | instid1(VALU_DEP_2)
	v_add_f64_e32 v[8:9], v[8:9], v[29:30]
	v_add_f64_e32 v[10:11], v[10:11], v[31:32]
	s_branch .LBB156_16
.LBB156_19:                             ;   in Loop: Header=BB156_5 Depth=1
	s_wait_alu 0xfffe
	s_or_b32 exec_lo, exec_lo, s28
	s_delay_alu instid0(SALU_CYCLE_1)
	s_and_b32 vcc_lo, exec_lo, s5
	s_wait_alu 0xfffe
	s_cbranch_vccnz .LBB156_14
.LBB156_20:                             ;   in Loop: Header=BB156_5 Depth=1
	s_wait_loadcnt 0x0
	v_dual_mov_b32 v0, v17 :: v_dual_mov_b32 v1, v18
	s_and_saveexec_b32 s4, s42
	s_cbranch_execz .LBB156_3
	s_branch .LBB156_35
.LBB156_21:                             ;   in Loop: Header=BB156_5 Depth=1
	s_or_b32 exec_lo, exec_lo, s44
.LBB156_22:                             ;   in Loop: Header=BB156_5 Depth=1
	s_delay_alu instid0(SALU_CYCLE_1)
	s_or_b32 exec_lo, exec_lo, s43
	s_wait_alu 0xfffe
	s_and_not1_b32 vcc_lo, exec_lo, s33
	s_wait_alu 0xfffe
	s_cbranch_vccnz .LBB156_28
; %bb.23:                               ;   in Loop: Header=BB156_5 Depth=1
	v_mov_b32_e32 v12, 0
	v_dual_mov_b32 v13, 0 :: v_dual_mov_b32 v14, 0
	v_mov_b32_e32 v15, 0
	v_cmp_gt_i32_e32 vcc_lo, s37, v28
	s_and_saveexec_b32 s43, vcc_lo
	s_cbranch_execz .LBB156_25
; %bb.24:                               ;   in Loop: Header=BB156_5 Depth=1
	v_mul_lo_u32 v12, v28, s6
	s_delay_alu instid0(VALU_DEP_1) | instskip(NEXT) | instid1(VALU_DEP_1)
	v_ashrrev_i32_e32 v13, 31, v12
	v_lshlrev_b64_e32 v[12:13], 4, v[12:13]
	s_delay_alu instid0(VALU_DEP_1) | instskip(SKIP_1) | instid1(VALU_DEP_2)
	v_add_co_u32 v12, s4, s4, v12
	s_wait_alu 0xf1ff
	v_add_co_ci_u32_e64 v13, null, s5, v13, s4
	global_load_b128 v[12:15], v[12:13], off
.LBB156_25:                             ;   in Loop: Header=BB156_5 Depth=1
	s_or_b32 exec_lo, exec_lo, s43
	s_and_saveexec_b32 s4, s0
	s_cbranch_execz .LBB156_27
; %bb.26:                               ;   in Loop: Header=BB156_5 Depth=1
	v_mul_lo_u32 v28, v28, s31
	s_delay_alu instid0(VALU_DEP_1) | instskip(NEXT) | instid1(VALU_DEP_1)
	v_cndmask_b32_e32 v28, 0, v28, vcc_lo
	v_add_nc_u32_e32 v28, v28, v24
	s_delay_alu instid0(VALU_DEP_1) | instskip(NEXT) | instid1(VALU_DEP_1)
	v_ashrrev_i32_e32 v29, 31, v28
	v_lshlrev_b64_e32 v[28:29], 4, v[28:29]
	s_delay_alu instid0(VALU_DEP_1) | instskip(SKIP_1) | instid1(VALU_DEP_2)
	v_add_co_u32 v28, vcc_lo, s28, v28
	s_wait_alu 0xfffd
	v_add_co_ci_u32_e64 v29, null, s29, v29, vcc_lo
	global_load_b128 v[28:31], v[28:29], off
	s_wait_loadcnt 0x0
	v_mul_f64_e32 v[32:33], v[14:15], v[30:31]
	v_mul_f64_e32 v[30:31], v[12:13], v[30:31]
	s_delay_alu instid0(VALU_DEP_2) | instskip(NEXT) | instid1(VALU_DEP_2)
	v_fma_f64 v[12:13], v[12:13], v[28:29], -v[32:33]
	v_fma_f64 v[14:15], v[14:15], v[28:29], v[30:31]
	s_delay_alu instid0(VALU_DEP_2) | instskip(NEXT) | instid1(VALU_DEP_2)
	v_add_f64_e32 v[8:9], v[8:9], v[12:13]
	v_add_f64_e32 v[10:11], v[10:11], v[14:15]
.LBB156_27:                             ;   in Loop: Header=BB156_5 Depth=1
	s_wait_alu 0xfffe
	s_or_b32 exec_lo, exec_lo, s4
.LBB156_28:                             ;   in Loop: Header=BB156_5 Depth=1
	ds_store_b128 v25, v[8:11]
	s_wait_loadcnt_dscnt 0x0
	s_barrier_signal -1
	s_barrier_wait -1
	global_inv scope:SCOPE_SE
                                        ; implicit-def: $vgpr10_vgpr11
	s_and_saveexec_b32 s5, s2
	s_cbranch_execz .LBB156_34
; %bb.29:                               ;   in Loop: Header=BB156_5 Depth=1
	ds_load_b128 v[8:11], v25
	ds_load_b128 v[12:15], v25 offset:1024
	s_mov_b32 s4, s42
	s_wait_dscnt 0x0
	v_add_f64_e32 v[28:29], v[8:9], v[12:13]
	v_add_f64_e32 v[30:31], v[10:11], v[14:15]
	ds_load_b128 v[8:11], v25 offset:2048
	ds_load_b128 v[12:15], v25 offset:3072
	s_wait_dscnt 0x1
	v_add_f64_e32 v[8:9], v[28:29], v[8:9]
	v_add_f64_e32 v[10:11], v[30:31], v[10:11]
	s_wait_dscnt 0x0
	s_delay_alu instid0(VALU_DEP_2) | instskip(NEXT) | instid1(VALU_DEP_2)
	v_add_f64_e32 v[28:29], v[8:9], v[12:13]
	v_add_f64_e32 v[30:31], v[10:11], v[14:15]
	ds_load_b128 v[8:11], v25 offset:4096
	ds_load_b128 v[12:15], v25 offset:5120
	s_wait_dscnt 0x1
	v_add_f64_e32 v[8:9], v[28:29], v[8:9]
	v_add_f64_e32 v[10:11], v[30:31], v[10:11]
	s_wait_dscnt 0x0
	s_delay_alu instid0(VALU_DEP_2) | instskip(NEXT) | instid1(VALU_DEP_2)
	;; [unrolled: 9-line block ×7, first 2 shown]
	v_add_f64_e32 v[12:13], v[8:9], v[12:13]
	v_add_f64_e32 v[14:15], v[10:11], v[14:15]
                                        ; implicit-def: $vgpr10_vgpr11
	ds_store_b128 v25, v[12:15]
	s_and_saveexec_b32 s28, s3
	s_cbranch_execz .LBB156_33
; %bb.30:                               ;   in Loop: Header=BB156_5 Depth=1
	v_mul_f64_e32 v[8:9], v[6:7], v[14:15]
	v_mul_f64_e32 v[10:11], v[4:5], v[14:15]
	v_cmp_neq_f64_e32 vcc_lo, 0, v[0:1]
	v_cmp_neq_f64_e64 s4, 0, v[2:3]
	s_delay_alu instid0(VALU_DEP_4) | instskip(NEXT) | instid1(VALU_DEP_4)
	v_fma_f64 v[8:9], v[4:5], v[12:13], -v[8:9]
	v_fma_f64 v[10:11], v[6:7], v[12:13], v[10:11]
	s_wait_alu 0xfffe
	s_or_b32 s4, vcc_lo, s4
	s_wait_alu 0xfffe
	s_and_not1_b32 vcc_lo, exec_lo, s4
	s_wait_alu 0xfffe
	s_cbranch_vccnz .LBB156_32
; %bb.31:                               ;   in Loop: Header=BB156_5 Depth=1
	v_lshlrev_b64_e32 v[4:5], 4, v[19:20]
	s_delay_alu instid0(VALU_DEP_1) | instskip(SKIP_1) | instid1(VALU_DEP_2)
	v_add_co_u32 v4, vcc_lo, s26, v4
	s_wait_alu 0xfffd
	v_add_co_ci_u32_e64 v5, null, s27, v5, vcc_lo
	global_load_b128 v[4:7], v[4:5], off
	s_wait_loadcnt 0x0
	v_mul_f64_e32 v[12:13], v[2:3], v[6:7]
	v_mul_f64_e32 v[6:7], v[0:1], v[6:7]
	s_delay_alu instid0(VALU_DEP_2) | instskip(NEXT) | instid1(VALU_DEP_2)
	v_fma_f64 v[0:1], v[0:1], v[4:5], -v[12:13]
	v_fma_f64 v[2:3], v[2:3], v[4:5], v[6:7]
	s_delay_alu instid0(VALU_DEP_2) | instskip(NEXT) | instid1(VALU_DEP_2)
	v_add_f64_e32 v[8:9], v[8:9], v[0:1]
	v_add_f64_e32 v[10:11], v[10:11], v[2:3]
.LBB156_32:                             ;   in Loop: Header=BB156_5 Depth=1
	s_or_b32 s4, s42, exec_lo
.LBB156_33:                             ;   in Loop: Header=BB156_5 Depth=1
	s_wait_alu 0xfffe
	s_or_b32 exec_lo, exec_lo, s28
	s_delay_alu instid0(SALU_CYCLE_1)
	s_and_not1_b32 s28, s42, exec_lo
	s_and_b32 s4, s4, exec_lo
	s_wait_alu 0xfffe
	s_or_b32 s42, s28, s4
.LBB156_34:                             ;   in Loop: Header=BB156_5 Depth=1
	s_wait_alu 0xfffe
	s_or_b32 exec_lo, exec_lo, s5
	v_dual_mov_b32 v0, v19 :: v_dual_mov_b32 v1, v20
	s_and_saveexec_b32 s4, s42
	s_cbranch_execz .LBB156_3
.LBB156_35:                             ;   in Loop: Header=BB156_5 Depth=1
	s_delay_alu instid0(VALU_DEP_1) | instskip(SKIP_1) | instid1(VALU_DEP_1)
	v_lshlrev_b64_e32 v[0:1], 4, v[0:1]
	s_wait_alu 0xfffe
	v_add_co_u32 v0, vcc_lo, s26, v0
	s_wait_alu 0xfffd
	s_delay_alu instid0(VALU_DEP_2)
	v_add_co_ci_u32_e64 v1, null, s27, v1, vcc_lo
	global_store_b128 v[0:1], v[8:11], off
	s_branch .LBB156_3
.LBB156_36:
	s_endpgm
	.section	.rodata,"a",@progbits
	.p2align	6, 0x0
	.amdhsa_kernel _ZL20rocblas_gemvn_kernelILi64ELi16Ei19rocblas_complex_numIdEPKS1_S1_EviiT3_lPKT2_lT1_lS7_lS8_lS4_lPT4_lS8_li
		.amdhsa_group_segment_fixed_size 16384
		.amdhsa_private_segment_fixed_size 0
		.amdhsa_kernarg_size 400
		.amdhsa_user_sgpr_count 2
		.amdhsa_user_sgpr_dispatch_ptr 0
		.amdhsa_user_sgpr_queue_ptr 0
		.amdhsa_user_sgpr_kernarg_segment_ptr 1
		.amdhsa_user_sgpr_dispatch_id 0
		.amdhsa_user_sgpr_private_segment_size 0
		.amdhsa_wavefront_size32 1
		.amdhsa_uses_dynamic_stack 0
		.amdhsa_enable_private_segment 0
		.amdhsa_system_sgpr_workgroup_id_x 1
		.amdhsa_system_sgpr_workgroup_id_y 0
		.amdhsa_system_sgpr_workgroup_id_z 1
		.amdhsa_system_sgpr_workgroup_info 0
		.amdhsa_system_vgpr_workitem_id 1
		.amdhsa_next_free_vgpr 39
		.amdhsa_next_free_sgpr 46
		.amdhsa_reserve_vcc 1
		.amdhsa_float_round_mode_32 0
		.amdhsa_float_round_mode_16_64 0
		.amdhsa_float_denorm_mode_32 3
		.amdhsa_float_denorm_mode_16_64 3
		.amdhsa_fp16_overflow 0
		.amdhsa_workgroup_processor_mode 1
		.amdhsa_memory_ordered 1
		.amdhsa_forward_progress 1
		.amdhsa_inst_pref_size 17
		.amdhsa_round_robin_scheduling 0
		.amdhsa_exception_fp_ieee_invalid_op 0
		.amdhsa_exception_fp_denorm_src 0
		.amdhsa_exception_fp_ieee_div_zero 0
		.amdhsa_exception_fp_ieee_overflow 0
		.amdhsa_exception_fp_ieee_underflow 0
		.amdhsa_exception_fp_ieee_inexact 0
		.amdhsa_exception_int_div_zero 0
	.end_amdhsa_kernel
	.section	.text._ZL20rocblas_gemvn_kernelILi64ELi16Ei19rocblas_complex_numIdEPKS1_S1_EviiT3_lPKT2_lT1_lS7_lS8_lS4_lPT4_lS8_li,"axG",@progbits,_ZL20rocblas_gemvn_kernelILi64ELi16Ei19rocblas_complex_numIdEPKS1_S1_EviiT3_lPKT2_lT1_lS7_lS8_lS4_lPT4_lS8_li,comdat
.Lfunc_end156:
	.size	_ZL20rocblas_gemvn_kernelILi64ELi16Ei19rocblas_complex_numIdEPKS1_S1_EviiT3_lPKT2_lT1_lS7_lS8_lS4_lPT4_lS8_li, .Lfunc_end156-_ZL20rocblas_gemvn_kernelILi64ELi16Ei19rocblas_complex_numIdEPKS1_S1_EviiT3_lPKT2_lT1_lS7_lS8_lS4_lPT4_lS8_li
                                        ; -- End function
	.set _ZL20rocblas_gemvn_kernelILi64ELi16Ei19rocblas_complex_numIdEPKS1_S1_EviiT3_lPKT2_lT1_lS7_lS8_lS4_lPT4_lS8_li.num_vgpr, 39
	.set _ZL20rocblas_gemvn_kernelILi64ELi16Ei19rocblas_complex_numIdEPKS1_S1_EviiT3_lPKT2_lT1_lS7_lS8_lS4_lPT4_lS8_li.num_agpr, 0
	.set _ZL20rocblas_gemvn_kernelILi64ELi16Ei19rocblas_complex_numIdEPKS1_S1_EviiT3_lPKT2_lT1_lS7_lS8_lS4_lPT4_lS8_li.numbered_sgpr, 46
	.set _ZL20rocblas_gemvn_kernelILi64ELi16Ei19rocblas_complex_numIdEPKS1_S1_EviiT3_lPKT2_lT1_lS7_lS8_lS4_lPT4_lS8_li.num_named_barrier, 0
	.set _ZL20rocblas_gemvn_kernelILi64ELi16Ei19rocblas_complex_numIdEPKS1_S1_EviiT3_lPKT2_lT1_lS7_lS8_lS4_lPT4_lS8_li.private_seg_size, 0
	.set _ZL20rocblas_gemvn_kernelILi64ELi16Ei19rocblas_complex_numIdEPKS1_S1_EviiT3_lPKT2_lT1_lS7_lS8_lS4_lPT4_lS8_li.uses_vcc, 1
	.set _ZL20rocblas_gemvn_kernelILi64ELi16Ei19rocblas_complex_numIdEPKS1_S1_EviiT3_lPKT2_lT1_lS7_lS8_lS4_lPT4_lS8_li.uses_flat_scratch, 0
	.set _ZL20rocblas_gemvn_kernelILi64ELi16Ei19rocblas_complex_numIdEPKS1_S1_EviiT3_lPKT2_lT1_lS7_lS8_lS4_lPT4_lS8_li.has_dyn_sized_stack, 0
	.set _ZL20rocblas_gemvn_kernelILi64ELi16Ei19rocblas_complex_numIdEPKS1_S1_EviiT3_lPKT2_lT1_lS7_lS8_lS4_lPT4_lS8_li.has_recursion, 0
	.set _ZL20rocblas_gemvn_kernelILi64ELi16Ei19rocblas_complex_numIdEPKS1_S1_EviiT3_lPKT2_lT1_lS7_lS8_lS4_lPT4_lS8_li.has_indirect_call, 0
	.section	.AMDGPU.csdata,"",@progbits
; Kernel info:
; codeLenInByte = 2052
; TotalNumSgprs: 48
; NumVgprs: 39
; ScratchSize: 0
; MemoryBound: 1
; FloatMode: 240
; IeeeMode: 1
; LDSByteSize: 16384 bytes/workgroup (compile time only)
; SGPRBlocks: 0
; VGPRBlocks: 4
; NumSGPRsForWavesPerEU: 48
; NumVGPRsForWavesPerEU: 39
; Occupancy: 16
; WaveLimiterHint : 1
; COMPUTE_PGM_RSRC2:SCRATCH_EN: 0
; COMPUTE_PGM_RSRC2:USER_SGPR: 2
; COMPUTE_PGM_RSRC2:TRAP_HANDLER: 0
; COMPUTE_PGM_RSRC2:TGID_X_EN: 1
; COMPUTE_PGM_RSRC2:TGID_Y_EN: 0
; COMPUTE_PGM_RSRC2:TGID_Z_EN: 1
; COMPUTE_PGM_RSRC2:TIDIG_COMP_CNT: 1
	.section	.text._ZL20rocblas_gemvn_kernelILi64ELi16El19rocblas_complex_numIdEPKS1_S1_EviiT3_lPKT2_lT1_lS7_lS8_lS4_lPT4_lS8_li,"axG",@progbits,_ZL20rocblas_gemvn_kernelILi64ELi16El19rocblas_complex_numIdEPKS1_S1_EviiT3_lPKT2_lT1_lS7_lS8_lS4_lPT4_lS8_li,comdat
	.globl	_ZL20rocblas_gemvn_kernelILi64ELi16El19rocblas_complex_numIdEPKS1_S1_EviiT3_lPKT2_lT1_lS7_lS8_lS4_lPT4_lS8_li ; -- Begin function _ZL20rocblas_gemvn_kernelILi64ELi16El19rocblas_complex_numIdEPKS1_S1_EviiT3_lPKT2_lT1_lS7_lS8_lS4_lPT4_lS8_li
	.p2align	8
	.type	_ZL20rocblas_gemvn_kernelILi64ELi16El19rocblas_complex_numIdEPKS1_S1_EviiT3_lPKT2_lT1_lS7_lS8_lS4_lPT4_lS8_li,@function
_ZL20rocblas_gemvn_kernelILi64ELi16El19rocblas_complex_numIdEPKS1_S1_EviiT3_lPKT2_lT1_lS7_lS8_lS4_lPT4_lS8_li: ; @_ZL20rocblas_gemvn_kernelILi64ELi16El19rocblas_complex_numIdEPKS1_S1_EviiT3_lPKT2_lT1_lS7_lS8_lS4_lPT4_lS8_li
; %bb.0:
	s_load_b64 s[2:3], s[0:1], 0x9c
	s_wait_kmcnt 0x0
	s_lshr_b32 s4, s2, 16
	s_and_b32 s2, s2, 0xffff
	s_and_b32 s3, s3, 0xffff
	s_mul_i32 s4, s4, s2
	s_delay_alu instid0(SALU_CYCLE_1) | instskip(NEXT) | instid1(SALU_CYCLE_1)
	s_mul_i32 s4, s4, s3
	s_cmp_lg_u32 s4, 0x400
	s_cbranch_scc1 .LBB157_36
; %bb.1:
	s_load_b32 s33, s[0:1], 0x88
	s_lshr_b32 s6, ttmp7, 16
	s_wait_kmcnt 0x0
	s_cmp_ge_u32 s6, s33
	s_cbranch_scc1 .LBB157_36
; %bb.2:
	s_clause 0x2
	s_load_b512 s[8:23], s[0:1], 0x8
	s_load_b64 s[4:5], s[0:1], 0x0
	s_load_b512 s[36:51], s[0:1], 0x48
	v_dual_mov_b32 v16, 0 :: v_dual_and_b32 v1, 0x3ff, v0
	v_bfe_u32 v0, v0, 10, 10
	s_lshl_b32 s28, ttmp9, 6
	s_mov_b32 s7, 0
	s_delay_alu instid0(VALU_DEP_1) | instskip(NEXT) | instid1(VALU_DEP_1)
	v_mad_u32_u24 v8, v0, s2, v1
	v_add_nc_u32_e32 v15, s28, v8
	v_lshrrev_b32_e32 v29, 6, v8
	v_and_or_b32 v0, v8, 63, s28
	v_or_b32_e32 v9, s28, v8
	v_lshlrev_b32_e32 v30, 4, v8
	s_wait_kmcnt 0x0
	s_lshl_b64 s[2:3], s[22:23], 4
	v_mad_co_u64_u32 v[4:5], null, s16, v29, 0
	v_mad_co_u64_u32 v[17:18], null, s48, v15, 0
	;; [unrolled: 1-line block ×3, first 2 shown]
	s_ashr_i32 s1, s5, 31
	s_ashr_i32 s27, s4, 31
	s_lshr_b32 s1, s1, 28
	s_mov_b32 s26, s4
	v_mov_b32_e32 v6, v18
	s_add_co_i32 s1, s5, s1
	s_wait_alu 0xfffe
	s_add_nc_u64 s[20:21], s[20:21], s[2:3]
	s_and_b32 s34, s1, -16
	v_ashrrev_i32_e32 v1, 31, v0
	v_mad_co_u64_u32 v[6:7], null, s49, v15, v[6:7]
	s_sub_co_i32 s2, s5, s34
	s_lshl_b64 s[24:25], s[14:15], 4
	s_lshl_b64 s[22:23], s[46:47], 4
	v_cmp_gt_i64_e32 vcc_lo, s[26:27], v[15:16]
	s_wait_alu 0xfffe
	s_cmp_gt_i32 s2, 0
	v_cmp_gt_u32_e64 s2, 64, v8
	v_mov_b32_e32 v18, v6
	v_mad_co_u64_u32 v[5:6], null, s17, v29, v[5:6]
	v_mad_co_u64_u32 v[6:7], null, s37, v29, v[3:4]
	v_lshlrev_b64_e32 v[21:22], 4, v[0:1]
	s_add_nc_u64 s[22:23], s[44:45], s[22:23]
	s_cselect_b32 s35, -1, 0
	s_and_b32 s44, s2, vcc_lo
	s_delay_alu instid0(VALU_DEP_3) | instskip(SKIP_1) | instid1(VALU_DEP_4)
	v_lshlrev_b64_e32 v[4:5], 4, v[4:5]
	v_cmp_gt_i32_e64 s0, s4, v0
	v_mov_b32_e32 v3, v6
	v_mul_lo_u32 v7, s49, v9
	v_mad_co_u64_u32 v[19:20], null, s48, v9, 0
	v_add_co_u32 v4, vcc_lo, v4, s24
	s_delay_alu instid0(VALU_DEP_4)
	v_lshlrev_b64_e32 v[2:3], 4, v[2:3]
	v_add_co_ci_u32_e64 v5, null, s25, v5, vcc_lo
	s_ashr_i32 s3, s28, 31
	v_lshlrev_b64_e32 v[27:28], 4, v[17:18]
	s_wait_alu 0xfffe
	s_mul_i32 s26, s48, s3
	v_add_co_u32 v0, vcc_lo, s20, v2
	s_wait_alu 0xfffd
	v_add_co_ci_u32_e64 v1, null, s21, v3, vcc_lo
	v_add_co_u32 v2, vcc_lo, v4, v21
	s_wait_alu 0xfffd
	v_add_co_ci_u32_e64 v3, null, v5, v22, vcc_lo
	;; [unrolled: 3-line block ×4, first 2 shown]
	v_cmp_gt_i32_e64 s1, s34, v29
	s_delay_alu instid0(VALU_DEP_3)
	v_add_co_u32 v25, vcc_lo, v0, 8
	v_cmp_gt_i32_e64 s3, s4, v9
	s_wait_alu 0xfffe
	v_add3_u32 v20, v20, s26, v7
	s_wait_alu 0xfffd
	v_add_co_ci_u32_e64 v26, null, 0, v1, vcc_lo
	s_add_nc_u64 s[14:15], s[12:13], s[24:25]
	s_lshl_b64 s[12:13], s[38:39], 4
	s_lshl_b64 s[24:25], s[36:37], 8
	;; [unrolled: 1-line block ×4, first 2 shown]
	s_branch .LBB157_5
.LBB157_3:                              ;   in Loop: Header=BB157_5 Depth=1
	s_wait_alu 0xfffe
	s_or_b32 exec_lo, exec_lo, s4
.LBB157_4:                              ;   in Loop: Header=BB157_5 Depth=1
	s_add_co_i32 s6, s6, 0x10000
	s_wait_alu 0xfffe
	s_cmp_lt_u32 s6, s33
	s_cbranch_scc0 .LBB157_36
.LBB157_5:                              ; =>This Loop Header: Depth=1
                                        ;     Child Loop BB157_17 Depth 2
	s_mul_u64 s[30:31], s[10:11], s[6:7]
	s_wait_alu 0xfffe
	s_lshl_b64 s[30:31], s[30:31], 4
	s_wait_alu 0xfffe
	s_add_nc_u64 s[30:31], s[8:9], s[30:31]
	global_load_b128 v[4:7], v16, s[30:31]
	s_mul_u64 s[30:31], s[42:43], s[6:7]
	s_wait_alu 0xfffe
	s_lshl_b64 s[30:31], s[30:31], 4
	s_wait_alu 0xfffe
	s_add_nc_u64 s[30:31], s[40:41], s[30:31]
	s_wait_loadcnt 0x1
	global_load_b128 v[0:3], v16, s[30:31]
	s_wait_loadcnt 0x1
	v_cmp_neq_f64_e32 vcc_lo, 0, v[4:5]
	v_cmp_neq_f64_e64 s4, 0, v[6:7]
	s_or_b32 s30, vcc_lo, s4
	s_mov_b32 s4, -1
	s_wait_alu 0xfffe
	s_and_b32 vcc_lo, exec_lo, s30
	s_wait_alu 0xfffe
	s_cbranch_vccz .LBB157_7
; %bb.6:                                ;   in Loop: Header=BB157_5 Depth=1
	s_and_not1_b32 vcc_lo, exec_lo, s4
	s_wait_alu 0xfffe
	s_cbranch_vccnz .LBB157_4
	s_branch .LBB157_8
.LBB157_7:                              ;   in Loop: Header=BB157_5 Depth=1
	s_wait_loadcnt 0x0
	v_cmp_neq_f64_e32 vcc_lo, 1.0, v[0:1]
	v_cmp_neq_f64_e64 s4, 0, v[2:3]
	s_or_b32 s4, vcc_lo, s4
	s_wait_alu 0xfffe
	s_and_not1_b32 vcc_lo, exec_lo, s4
	s_wait_alu 0xfffe
	s_cbranch_vccnz .LBB157_4
.LBB157_8:                              ;   in Loop: Header=BB157_5 Depth=1
	s_xor_b32 s4, s30, -1
	s_mul_u64 s[30:31], s[50:51], s[6:7]
	s_wait_alu 0xfffe
	s_and_not1_b32 vcc_lo, exec_lo, s4
	s_lshl_b64 s[30:31], s[30:31], 4
	s_wait_alu 0xfffe
	s_add_nc_u64 s[30:31], s[22:23], s[30:31]
	s_cbranch_vccnz .LBB157_13
; %bb.9:                                ;   in Loop: Header=BB157_5 Depth=1
	s_mov_b32 s46, 0
	s_mov_b32 s45, 0
                                        ; implicit-def: $vgpr10_vgpr11
	s_and_saveexec_b32 s47, s44
	s_cbranch_execz .LBB157_19
; %bb.10:                               ;   in Loop: Header=BB157_5 Depth=1
	s_wait_loadcnt 0x0
	v_cmp_neq_f64_e32 vcc_lo, 0, v[0:1]
	v_cmp_neq_f64_e64 s4, 0, v[2:3]
	v_mov_b32_e32 v10, 0
	v_dual_mov_b32 v11, 0 :: v_dual_mov_b32 v8, 0
	v_mov_b32_e32 v9, 0
	s_or_b32 s4, vcc_lo, s4
	s_wait_alu 0xfffe
	s_and_not1_b32 vcc_lo, exec_lo, s4
	s_wait_alu 0xfffe
	s_cbranch_vccnz .LBB157_12
; %bb.11:                               ;   in Loop: Header=BB157_5 Depth=1
	v_add_co_u32 v8, vcc_lo, s30, v27
	s_wait_alu 0xfffd
	v_add_co_ci_u32_e64 v9, null, s31, v28, vcc_lo
	global_load_b128 v[10:13], v[8:9], off
	s_wait_loadcnt 0x0
	v_mul_f64_e32 v[8:9], v[2:3], v[12:13]
	v_mul_f64_e32 v[12:13], v[0:1], v[12:13]
	s_delay_alu instid0(VALU_DEP_2) | instskip(NEXT) | instid1(VALU_DEP_2)
	v_fma_f64 v[8:9], v[0:1], v[10:11], -v[8:9]
	v_fma_f64 v[10:11], v[2:3], v[10:11], v[12:13]
.LBB157_12:                             ;   in Loop: Header=BB157_5 Depth=1
	s_mov_b32 s45, exec_lo
	s_or_b32 exec_lo, exec_lo, s47
	s_delay_alu instid0(SALU_CYCLE_1)
	s_and_b32 vcc_lo, exec_lo, s46
	s_wait_alu 0xfffe
	s_cbranch_vccnz .LBB157_14
	s_branch .LBB157_20
.LBB157_13:                             ;   in Loop: Header=BB157_5 Depth=1
	s_mov_b32 s45, 0
                                        ; implicit-def: $vgpr10_vgpr11
	s_cbranch_execz .LBB157_20
.LBB157_14:                             ;   in Loop: Header=BB157_5 Depth=1
	v_mov_b32_e32 v10, 0
	v_dual_mov_b32 v11, 0 :: v_dual_mov_b32 v8, 0
	v_mov_b32_e32 v9, 0
	v_mov_b32_e32 v31, v29
	s_and_saveexec_b32 s46, s1
	s_cbranch_execz .LBB157_22
; %bb.15:                               ;   in Loop: Header=BB157_5 Depth=1
	v_mad_co_u64_u32 v[12:13], null, s12, s6, v[23:24]
	v_mad_co_u64_u32 v[14:15], null, s26, s6, v[25:26]
	s_mov_b32 s47, 0
	v_dual_mov_b32 v31, v29 :: v_dual_mov_b32 v8, v13
	v_mov_b32_e32 v9, v15
	s_delay_alu instid0(VALU_DEP_1) | instskip(SKIP_3) | instid1(VALU_DEP_4)
	v_mad_co_u64_u32 v[32:33], null, s13, s6, v[8:9]
	v_mad_co_u64_u32 v[8:9], null, s27, s6, v[9:10]
	v_mov_b32_e32 v10, 0
	v_mov_b32_e32 v11, 0
	;; [unrolled: 1-line block ×3, first 2 shown]
	s_delay_alu instid0(VALU_DEP_3) | instskip(NEXT) | instid1(VALU_DEP_3)
	v_dual_mov_b32 v15, v8 :: v_dual_mov_b32 v8, v10
	v_mov_b32_e32 v9, v11
	s_branch .LBB157_17
.LBB157_16:                             ;   in Loop: Header=BB157_17 Depth=2
	s_wait_alu 0xfffe
	s_or_b32 exec_lo, exec_lo, s4
	v_add_nc_u32_e32 v31, 16, v31
	v_add_co_u32 v12, vcc_lo, v12, s24
	s_wait_alu 0xfffd
	v_add_co_ci_u32_e64 v13, null, s25, v13, vcc_lo
	s_delay_alu instid0(VALU_DEP_3)
	v_cmp_le_i32_e32 vcc_lo, s34, v31
	v_add_co_u32 v14, s4, v14, s28
	s_wait_alu 0xf1ff
	v_add_co_ci_u32_e64 v15, null, s29, v15, s4
	s_or_b32 s47, vcc_lo, s47
	s_wait_alu 0xfffe
	s_and_not1_b32 exec_lo, exec_lo, s47
	s_cbranch_execz .LBB157_21
.LBB157_17:                             ;   Parent Loop BB157_5 Depth=1
                                        ; =>  This Inner Loop Header: Depth=2
	s_and_saveexec_b32 s4, s0
	s_cbranch_execz .LBB157_16
; %bb.18:                               ;   in Loop: Header=BB157_17 Depth=2
	global_load_b128 v[32:35], v[12:13], off offset:-8
	global_load_b128 v[36:39], v[14:15], off offset:-8
	s_wait_loadcnt 0x0
	v_mul_f64_e32 v[40:41], v[34:35], v[38:39]
	v_mul_f64_e32 v[38:39], v[32:33], v[38:39]
	s_delay_alu instid0(VALU_DEP_2) | instskip(NEXT) | instid1(VALU_DEP_2)
	v_fma_f64 v[32:33], v[32:33], v[36:37], -v[40:41]
	v_fma_f64 v[34:35], v[34:35], v[36:37], v[38:39]
	s_delay_alu instid0(VALU_DEP_2) | instskip(NEXT) | instid1(VALU_DEP_2)
	v_add_f64_e32 v[8:9], v[8:9], v[32:33]
	v_add_f64_e32 v[10:11], v[10:11], v[34:35]
	s_branch .LBB157_16
.LBB157_19:                             ;   in Loop: Header=BB157_5 Depth=1
	s_wait_alu 0xfffe
	s_or_b32 exec_lo, exec_lo, s47
	s_delay_alu instid0(SALU_CYCLE_1)
	s_and_b32 vcc_lo, exec_lo, s46
	s_wait_alu 0xfffe
	s_cbranch_vccnz .LBB157_14
.LBB157_20:                             ;   in Loop: Header=BB157_5 Depth=1
	s_wait_loadcnt 0x0
	v_dual_mov_b32 v0, v17 :: v_dual_mov_b32 v1, v18
	s_and_saveexec_b32 s4, s45
	s_cbranch_execz .LBB157_3
	s_branch .LBB157_35
.LBB157_21:                             ;   in Loop: Header=BB157_5 Depth=1
	s_or_b32 exec_lo, exec_lo, s47
.LBB157_22:                             ;   in Loop: Header=BB157_5 Depth=1
	s_wait_alu 0xfffe
	s_or_b32 exec_lo, exec_lo, s46
	s_delay_alu instid0(SALU_CYCLE_1)
	s_and_not1_b32 vcc_lo, exec_lo, s35
	s_wait_alu 0xfffe
	s_cbranch_vccnz .LBB157_28
; %bb.23:                               ;   in Loop: Header=BB157_5 Depth=1
	v_mov_b32_e32 v12, 0
	v_dual_mov_b32 v13, 0 :: v_dual_mov_b32 v14, 0
	v_mov_b32_e32 v15, 0
	v_cmp_gt_i32_e32 vcc_lo, s5, v31
	s_and_saveexec_b32 s46, vcc_lo
	s_cbranch_execz .LBB157_25
; %bb.24:                               ;   in Loop: Header=BB157_5 Depth=1
	v_mad_co_u64_u32 v[12:13], null, s36, v31, 0
	s_mul_u64 s[48:49], s[38:39], s[6:7]
	s_wait_alu 0xfffe
	s_lshl_b64 s[48:49], s[48:49], 4
	s_wait_alu 0xfffe
	s_add_nc_u64 s[48:49], s[20:21], s[48:49]
	v_mad_co_u64_u32 v[13:14], null, s37, v31, v[13:14]
	s_delay_alu instid0(VALU_DEP_1) | instskip(SKIP_1) | instid1(VALU_DEP_1)
	v_lshlrev_b64_e32 v[12:13], 4, v[12:13]
	s_wait_alu 0xfffe
	v_add_co_u32 v12, s4, s48, v12
	s_wait_alu 0xf1ff
	s_delay_alu instid0(VALU_DEP_2)
	v_add_co_ci_u32_e64 v13, null, s49, v13, s4
	global_load_b128 v[12:15], v[12:13], off
.LBB157_25:                             ;   in Loop: Header=BB157_5 Depth=1
	s_wait_alu 0xfffe
	s_or_b32 exec_lo, exec_lo, s46
	s_and_saveexec_b32 s4, s0
	s_cbranch_execz .LBB157_27
; %bb.26:                               ;   in Loop: Header=BB157_5 Depth=1
	v_mad_co_u64_u32 v[32:33], null, s16, v31, 0
	s_mul_u64 s[46:47], s[18:19], s[6:7]
	s_wait_alu 0xfffe
	s_lshl_b64 s[46:47], s[46:47], 4
	s_wait_alu 0xfffe
	s_add_nc_u64 s[46:47], s[14:15], s[46:47]
	v_mad_co_u64_u32 v[33:34], null, s17, v31, v[33:34]
	s_delay_alu instid0(VALU_DEP_1) | instskip(NEXT) | instid1(VALU_DEP_1)
	v_dual_cndmask_b32 v31, 0, v32 :: v_dual_cndmask_b32 v32, 0, v33
	v_lshlrev_b64_e32 v[31:32], 4, v[31:32]
	s_wait_alu 0xfffe
	s_delay_alu instid0(VALU_DEP_1) | instskip(SKIP_1) | instid1(VALU_DEP_2)
	v_add_co_u32 v31, vcc_lo, s46, v31
	s_wait_alu 0xfffd
	v_add_co_ci_u32_e64 v32, null, s47, v32, vcc_lo
	s_delay_alu instid0(VALU_DEP_2) | instskip(SKIP_1) | instid1(VALU_DEP_2)
	v_add_co_u32 v31, vcc_lo, v31, v21
	s_wait_alu 0xfffd
	v_add_co_ci_u32_e64 v32, null, v32, v22, vcc_lo
	global_load_b128 v[31:34], v[31:32], off
	s_wait_loadcnt 0x0
	v_mul_f64_e32 v[35:36], v[14:15], v[33:34]
	v_mul_f64_e32 v[33:34], v[12:13], v[33:34]
	s_delay_alu instid0(VALU_DEP_2) | instskip(NEXT) | instid1(VALU_DEP_2)
	v_fma_f64 v[12:13], v[12:13], v[31:32], -v[35:36]
	v_fma_f64 v[14:15], v[14:15], v[31:32], v[33:34]
	s_delay_alu instid0(VALU_DEP_2) | instskip(NEXT) | instid1(VALU_DEP_2)
	v_add_f64_e32 v[8:9], v[8:9], v[12:13]
	v_add_f64_e32 v[10:11], v[10:11], v[14:15]
.LBB157_27:                             ;   in Loop: Header=BB157_5 Depth=1
	s_wait_alu 0xfffe
	s_or_b32 exec_lo, exec_lo, s4
.LBB157_28:                             ;   in Loop: Header=BB157_5 Depth=1
	ds_store_b128 v30, v[8:11]
	s_wait_loadcnt_dscnt 0x0
	s_barrier_signal -1
	s_barrier_wait -1
	global_inv scope:SCOPE_SE
                                        ; implicit-def: $vgpr10_vgpr11
	s_and_saveexec_b32 s46, s2
	s_cbranch_execz .LBB157_34
; %bb.29:                               ;   in Loop: Header=BB157_5 Depth=1
	ds_load_b128 v[8:11], v30
	ds_load_b128 v[12:15], v30 offset:1024
	s_mov_b32 s4, s45
	s_wait_dscnt 0x0
	v_add_f64_e32 v[31:32], v[8:9], v[12:13]
	v_add_f64_e32 v[33:34], v[10:11], v[14:15]
	ds_load_b128 v[8:11], v30 offset:2048
	ds_load_b128 v[12:15], v30 offset:3072
	s_wait_dscnt 0x1
	v_add_f64_e32 v[8:9], v[31:32], v[8:9]
	v_add_f64_e32 v[10:11], v[33:34], v[10:11]
	s_wait_dscnt 0x0
	s_delay_alu instid0(VALU_DEP_2) | instskip(NEXT) | instid1(VALU_DEP_2)
	v_add_f64_e32 v[31:32], v[8:9], v[12:13]
	v_add_f64_e32 v[33:34], v[10:11], v[14:15]
	ds_load_b128 v[8:11], v30 offset:4096
	ds_load_b128 v[12:15], v30 offset:5120
	s_wait_dscnt 0x1
	v_add_f64_e32 v[8:9], v[31:32], v[8:9]
	v_add_f64_e32 v[10:11], v[33:34], v[10:11]
	s_wait_dscnt 0x0
	s_delay_alu instid0(VALU_DEP_2) | instskip(NEXT) | instid1(VALU_DEP_2)
	;; [unrolled: 9-line block ×7, first 2 shown]
	v_add_f64_e32 v[12:13], v[8:9], v[12:13]
	v_add_f64_e32 v[14:15], v[10:11], v[14:15]
                                        ; implicit-def: $vgpr10_vgpr11
	ds_store_b128 v30, v[12:15]
	s_and_saveexec_b32 s47, s3
	s_cbranch_execz .LBB157_33
; %bb.30:                               ;   in Loop: Header=BB157_5 Depth=1
	v_mul_f64_e32 v[8:9], v[6:7], v[14:15]
	v_mul_f64_e32 v[10:11], v[4:5], v[14:15]
	v_cmp_neq_f64_e32 vcc_lo, 0, v[0:1]
	v_cmp_neq_f64_e64 s4, 0, v[2:3]
	s_delay_alu instid0(VALU_DEP_4) | instskip(NEXT) | instid1(VALU_DEP_4)
	v_fma_f64 v[8:9], v[4:5], v[12:13], -v[8:9]
	v_fma_f64 v[10:11], v[6:7], v[12:13], v[10:11]
	s_wait_alu 0xfffe
	s_or_b32 s4, vcc_lo, s4
	s_wait_alu 0xfffe
	s_and_not1_b32 vcc_lo, exec_lo, s4
	s_wait_alu 0xfffe
	s_cbranch_vccnz .LBB157_32
; %bb.31:                               ;   in Loop: Header=BB157_5 Depth=1
	v_lshlrev_b64_e32 v[4:5], 4, v[19:20]
	s_delay_alu instid0(VALU_DEP_1) | instskip(SKIP_1) | instid1(VALU_DEP_2)
	v_add_co_u32 v4, vcc_lo, s30, v4
	s_wait_alu 0xfffd
	v_add_co_ci_u32_e64 v5, null, s31, v5, vcc_lo
	global_load_b128 v[4:7], v[4:5], off
	s_wait_loadcnt 0x0
	v_mul_f64_e32 v[12:13], v[2:3], v[6:7]
	v_mul_f64_e32 v[6:7], v[0:1], v[6:7]
	s_delay_alu instid0(VALU_DEP_2) | instskip(NEXT) | instid1(VALU_DEP_2)
	v_fma_f64 v[0:1], v[0:1], v[4:5], -v[12:13]
	v_fma_f64 v[2:3], v[2:3], v[4:5], v[6:7]
	s_delay_alu instid0(VALU_DEP_2) | instskip(NEXT) | instid1(VALU_DEP_2)
	v_add_f64_e32 v[8:9], v[8:9], v[0:1]
	v_add_f64_e32 v[10:11], v[10:11], v[2:3]
.LBB157_32:                             ;   in Loop: Header=BB157_5 Depth=1
	s_or_b32 s4, s45, exec_lo
.LBB157_33:                             ;   in Loop: Header=BB157_5 Depth=1
	s_wait_alu 0xfffe
	s_or_b32 exec_lo, exec_lo, s47
	s_delay_alu instid0(SALU_CYCLE_1)
	s_and_not1_b32 s45, s45, exec_lo
	s_and_b32 s4, s4, exec_lo
	s_wait_alu 0xfffe
	s_or_b32 s45, s45, s4
.LBB157_34:                             ;   in Loop: Header=BB157_5 Depth=1
	s_wait_alu 0xfffe
	s_or_b32 exec_lo, exec_lo, s46
	v_dual_mov_b32 v0, v19 :: v_dual_mov_b32 v1, v20
	s_and_saveexec_b32 s4, s45
	s_cbranch_execz .LBB157_3
.LBB157_35:                             ;   in Loop: Header=BB157_5 Depth=1
	s_delay_alu instid0(VALU_DEP_1) | instskip(SKIP_1) | instid1(VALU_DEP_1)
	v_lshlrev_b64_e32 v[0:1], 4, v[0:1]
	s_wait_alu 0xfffe
	v_add_co_u32 v0, vcc_lo, s30, v0
	s_wait_alu 0xfffd
	s_delay_alu instid0(VALU_DEP_2)
	v_add_co_ci_u32_e64 v1, null, s31, v1, vcc_lo
	global_store_b128 v[0:1], v[8:11], off
	s_branch .LBB157_3
.LBB157_36:
	s_endpgm
	.section	.rodata,"a",@progbits
	.p2align	6, 0x0
	.amdhsa_kernel _ZL20rocblas_gemvn_kernelILi64ELi16El19rocblas_complex_numIdEPKS1_S1_EviiT3_lPKT2_lT1_lS7_lS8_lS4_lPT4_lS8_li
		.amdhsa_group_segment_fixed_size 16384
		.amdhsa_private_segment_fixed_size 0
		.amdhsa_kernarg_size 400
		.amdhsa_user_sgpr_count 2
		.amdhsa_user_sgpr_dispatch_ptr 0
		.amdhsa_user_sgpr_queue_ptr 0
		.amdhsa_user_sgpr_kernarg_segment_ptr 1
		.amdhsa_user_sgpr_dispatch_id 0
		.amdhsa_user_sgpr_private_segment_size 0
		.amdhsa_wavefront_size32 1
		.amdhsa_uses_dynamic_stack 0
		.amdhsa_enable_private_segment 0
		.amdhsa_system_sgpr_workgroup_id_x 1
		.amdhsa_system_sgpr_workgroup_id_y 0
		.amdhsa_system_sgpr_workgroup_id_z 1
		.amdhsa_system_sgpr_workgroup_info 0
		.amdhsa_system_vgpr_workitem_id 1
		.amdhsa_next_free_vgpr 42
		.amdhsa_next_free_sgpr 52
		.amdhsa_reserve_vcc 1
		.amdhsa_float_round_mode_32 0
		.amdhsa_float_round_mode_16_64 0
		.amdhsa_float_denorm_mode_32 3
		.amdhsa_float_denorm_mode_16_64 3
		.amdhsa_fp16_overflow 0
		.amdhsa_workgroup_processor_mode 1
		.amdhsa_memory_ordered 1
		.amdhsa_forward_progress 1
		.amdhsa_inst_pref_size 18
		.amdhsa_round_robin_scheduling 0
		.amdhsa_exception_fp_ieee_invalid_op 0
		.amdhsa_exception_fp_denorm_src 0
		.amdhsa_exception_fp_ieee_div_zero 0
		.amdhsa_exception_fp_ieee_overflow 0
		.amdhsa_exception_fp_ieee_underflow 0
		.amdhsa_exception_fp_ieee_inexact 0
		.amdhsa_exception_int_div_zero 0
	.end_amdhsa_kernel
	.section	.text._ZL20rocblas_gemvn_kernelILi64ELi16El19rocblas_complex_numIdEPKS1_S1_EviiT3_lPKT2_lT1_lS7_lS8_lS4_lPT4_lS8_li,"axG",@progbits,_ZL20rocblas_gemvn_kernelILi64ELi16El19rocblas_complex_numIdEPKS1_S1_EviiT3_lPKT2_lT1_lS7_lS8_lS4_lPT4_lS8_li,comdat
.Lfunc_end157:
	.size	_ZL20rocblas_gemvn_kernelILi64ELi16El19rocblas_complex_numIdEPKS1_S1_EviiT3_lPKT2_lT1_lS7_lS8_lS4_lPT4_lS8_li, .Lfunc_end157-_ZL20rocblas_gemvn_kernelILi64ELi16El19rocblas_complex_numIdEPKS1_S1_EviiT3_lPKT2_lT1_lS7_lS8_lS4_lPT4_lS8_li
                                        ; -- End function
	.set _ZL20rocblas_gemvn_kernelILi64ELi16El19rocblas_complex_numIdEPKS1_S1_EviiT3_lPKT2_lT1_lS7_lS8_lS4_lPT4_lS8_li.num_vgpr, 42
	.set _ZL20rocblas_gemvn_kernelILi64ELi16El19rocblas_complex_numIdEPKS1_S1_EviiT3_lPKT2_lT1_lS7_lS8_lS4_lPT4_lS8_li.num_agpr, 0
	.set _ZL20rocblas_gemvn_kernelILi64ELi16El19rocblas_complex_numIdEPKS1_S1_EviiT3_lPKT2_lT1_lS7_lS8_lS4_lPT4_lS8_li.numbered_sgpr, 52
	.set _ZL20rocblas_gemvn_kernelILi64ELi16El19rocblas_complex_numIdEPKS1_S1_EviiT3_lPKT2_lT1_lS7_lS8_lS4_lPT4_lS8_li.num_named_barrier, 0
	.set _ZL20rocblas_gemvn_kernelILi64ELi16El19rocblas_complex_numIdEPKS1_S1_EviiT3_lPKT2_lT1_lS7_lS8_lS4_lPT4_lS8_li.private_seg_size, 0
	.set _ZL20rocblas_gemvn_kernelILi64ELi16El19rocblas_complex_numIdEPKS1_S1_EviiT3_lPKT2_lT1_lS7_lS8_lS4_lPT4_lS8_li.uses_vcc, 1
	.set _ZL20rocblas_gemvn_kernelILi64ELi16El19rocblas_complex_numIdEPKS1_S1_EviiT3_lPKT2_lT1_lS7_lS8_lS4_lPT4_lS8_li.uses_flat_scratch, 0
	.set _ZL20rocblas_gemvn_kernelILi64ELi16El19rocblas_complex_numIdEPKS1_S1_EviiT3_lPKT2_lT1_lS7_lS8_lS4_lPT4_lS8_li.has_dyn_sized_stack, 0
	.set _ZL20rocblas_gemvn_kernelILi64ELi16El19rocblas_complex_numIdEPKS1_S1_EviiT3_lPKT2_lT1_lS7_lS8_lS4_lPT4_lS8_li.has_recursion, 0
	.set _ZL20rocblas_gemvn_kernelILi64ELi16El19rocblas_complex_numIdEPKS1_S1_EviiT3_lPKT2_lT1_lS7_lS8_lS4_lPT4_lS8_li.has_indirect_call, 0
	.section	.AMDGPU.csdata,"",@progbits
; Kernel info:
; codeLenInByte = 2236
; TotalNumSgprs: 54
; NumVgprs: 42
; ScratchSize: 0
; MemoryBound: 0
; FloatMode: 240
; IeeeMode: 1
; LDSByteSize: 16384 bytes/workgroup (compile time only)
; SGPRBlocks: 0
; VGPRBlocks: 5
; NumSGPRsForWavesPerEU: 54
; NumVGPRsForWavesPerEU: 42
; Occupancy: 16
; WaveLimiterHint : 1
; COMPUTE_PGM_RSRC2:SCRATCH_EN: 0
; COMPUTE_PGM_RSRC2:USER_SGPR: 2
; COMPUTE_PGM_RSRC2:TRAP_HANDLER: 0
; COMPUTE_PGM_RSRC2:TGID_X_EN: 1
; COMPUTE_PGM_RSRC2:TGID_Y_EN: 0
; COMPUTE_PGM_RSRC2:TGID_Z_EN: 1
; COMPUTE_PGM_RSRC2:TIDIG_COMP_CNT: 1
	.section	.text._ZL20rocblas_gemvn_kernelILi64ELi16Ei19rocblas_complex_numIdES1_S1_EviiT3_lPKT2_lT1_lS5_lS6_lS2_lPT4_lS6_li,"axG",@progbits,_ZL20rocblas_gemvn_kernelILi64ELi16Ei19rocblas_complex_numIdES1_S1_EviiT3_lPKT2_lT1_lS5_lS6_lS2_lPT4_lS6_li,comdat
	.globl	_ZL20rocblas_gemvn_kernelILi64ELi16Ei19rocblas_complex_numIdES1_S1_EviiT3_lPKT2_lT1_lS5_lS6_lS2_lPT4_lS6_li ; -- Begin function _ZL20rocblas_gemvn_kernelILi64ELi16Ei19rocblas_complex_numIdES1_S1_EviiT3_lPKT2_lT1_lS5_lS6_lS2_lPT4_lS6_li
	.p2align	8
	.type	_ZL20rocblas_gemvn_kernelILi64ELi16Ei19rocblas_complex_numIdES1_S1_EviiT3_lPKT2_lT1_lS5_lS6_lS2_lPT4_lS6_li,@function
_ZL20rocblas_gemvn_kernelILi64ELi16Ei19rocblas_complex_numIdES1_S1_EviiT3_lPKT2_lT1_lS5_lS6_lS2_lPT4_lS6_li: ; @_ZL20rocblas_gemvn_kernelILi64ELi16Ei19rocblas_complex_numIdES1_S1_EviiT3_lPKT2_lT1_lS5_lS6_lS2_lPT4_lS6_li
; %bb.0:
	s_load_b64 s[2:3], s[0:1], 0xac
	s_wait_kmcnt 0x0
	s_lshr_b32 s4, s2, 16
	s_and_b32 s2, s2, 0xffff
	s_and_b32 s3, s3, 0xffff
	s_mul_i32 s4, s4, s2
	s_delay_alu instid0(SALU_CYCLE_1) | instskip(NEXT) | instid1(SALU_CYCLE_1)
	s_mul_i32 s4, s4, s3
	s_cmp_lg_u32 s4, 0x400
	s_cbranch_scc1 .LBB158_34
; %bb.1:
	s_load_b32 s27, s[0:1], 0x98
	s_lshr_b32 s28, ttmp7, 16
	s_wait_kmcnt 0x0
	s_cmp_ge_u32 s28, s27
	s_cbranch_scc1 .LBB158_34
; %bb.2:
	s_clause 0xa
	s_load_b128 s[8:11], s[0:1], 0x8
	s_load_b64 s[30:31], s[0:1], 0x68
	s_load_b128 s[12:15], s[0:1], 0x58
	s_load_b64 s[34:35], s[0:1], 0x0
	s_load_b128 s[4:7], s[0:1], 0x20
	s_load_b32 s33, s[0:1], 0x30
	s_load_b128 s[16:19], s[0:1], 0x38
	s_load_b96 s[24:26], s[0:1], 0x48
	s_load_b128 s[20:23], s[0:1], 0x78
	s_load_b32 s3, s[0:1], 0x88
	s_load_b64 s[36:37], s[0:1], 0x90
	v_dual_mov_b32 v1, 0 :: v_dual_and_b32 v2, 0x3ff, v0
	v_bfe_u32 v0, v0, 10, 10
	s_lshl_b32 s40, ttmp9, 6
	s_mov_b32 s29, 0
	s_delay_alu instid0(VALU_DEP_1)
	v_mad_u32_u24 v2, v0, s2, v2
	s_wait_kmcnt 0x0
	v_cmp_neq_f64_e64 s41, s[8:9], 0
	v_cmp_neq_f64_e64 s42, s[10:11], 0
	;; [unrolled: 1-line block ×4, first 2 shown]
	v_cmp_neq_f64_e64 s45, s[14:15], 1.0
	v_add_nc_u32_e32 v0, s40, v2
	v_and_b32_e32 v3, 63, v2
	v_lshrrev_b32_e32 v14, 6, v2
	v_lshlrev_b32_e32 v15, 4, v2
	v_cmp_gt_u32_e64 s0, 64, v2
	v_or_b32_e32 v2, s40, v2
	v_mad_co_u64_u32 v[8:9], null, v0, s3, 0
	s_ashr_i32 s39, s34, 31
	s_mov_b32 s38, s34
	v_cmp_gt_i32_e64 s2, s34, v2
	v_mul_lo_u32 v10, v2, s3
	v_mul_lo_u32 v2, s33, v14
	v_cmp_gt_i64_e32 vcc_lo, s[38:39], v[0:1]
	v_mov_b32_e32 v1, v9
	s_ashr_i32 s46, s3, 31
	s_ashr_i32 s47, s35, 31
	v_or_b32_e32 v16, s40, v3
	s_lshr_b32 s3, s47, 28
	s_lshl_b64 s[6:7], s[6:7], 4
	v_mad_co_u64_u32 v[0:1], null, v0, s46, v[1:2]
	s_wait_alu 0xfffe
	s_add_co_i32 s3, s35, s3
	v_cmp_gt_i32_e64 s1, s34, v16
	s_wait_alu 0xfffe
	s_and_b32 s34, s3, -16
	s_add_nc_u64 s[6:7], s[4:5], s[6:7]
	v_mul_lo_u32 v17, s26, v14
	s_wait_alu 0xfffe
	s_sub_co_i32 s4, s35, s34
	v_mov_b32_e32 v9, v0
	s_lshl_b64 s[24:25], s[24:25], 4
	s_lshl_b64 s[22:23], s[22:23], 4
	v_cmp_gt_i32_e64 s3, s34, v14
	v_ashrrev_i32_e32 v11, 31, v10
	v_lshlrev_b64_e32 v[12:13], 4, v[8:9]
	s_or_b32 s5, s41, s42
	v_add3_u32 v18, v2, s40, v3
	s_or_b32 s38, s44, s43
	s_xor_b32 s39, s5, -1
	s_cmp_gt_i32 s4, 0
	s_add_nc_u64 s[18:19], s[18:19], s[24:25]
	s_cselect_b32 s40, -1, 0
	s_or_b32 s4, s5, s45
	s_add_nc_u64 s[20:21], s[20:21], s[22:23]
	s_or_b32 s41, s4, s43
	s_and_b32 s42, s0, vcc_lo
	s_lshl_b32 s43, s26, 4
	s_lshl_b32 s44, s33, 4
	s_branch .LBB158_5
.LBB158_3:                              ;   in Loop: Header=BB158_5 Depth=1
	s_wait_alu 0xfffe
	s_or_b32 exec_lo, exec_lo, s4
.LBB158_4:                              ;   in Loop: Header=BB158_5 Depth=1
	s_add_co_i32 s28, s28, 0x10000
	s_delay_alu instid0(SALU_CYCLE_1)
	s_cmp_lt_u32 s28, s27
	s_cbranch_scc0 .LBB158_34
.LBB158_5:                              ; =>This Loop Header: Depth=1
                                        ;     Child Loop BB158_15 Depth 2
	s_wait_alu 0xfffe
	s_and_not1_b32 vcc_lo, exec_lo, s41
	s_wait_alu 0xfffe
	s_cbranch_vccnz .LBB158_4
; %bb.6:                                ;   in Loop: Header=BB158_5 Depth=1
	s_mul_u64 s[4:5], s[36:37], s[28:29]
	s_and_not1_b32 vcc_lo, exec_lo, s39
	s_wait_alu 0xfffe
	s_lshl_b64 s[4:5], s[4:5], 4
	s_wait_alu 0xfffe
	s_add_nc_u64 s[22:23], s[20:21], s[4:5]
	s_cbranch_vccnz .LBB158_11
; %bb.7:                                ;   in Loop: Header=BB158_5 Depth=1
	s_mov_b32 s4, 0
	s_mov_b32 s45, 0
                                        ; implicit-def: $vgpr2_vgpr3
	s_and_saveexec_b32 s5, s42
	s_cbranch_execz .LBB158_17
; %bb.8:                                ;   in Loop: Header=BB158_5 Depth=1
	v_mov_b32_e32 v2, 0
	v_dual_mov_b32 v3, 0 :: v_dual_mov_b32 v0, 0
	v_mov_b32_e32 v1, 0
	s_and_not1_b32 vcc_lo, exec_lo, s38
	s_wait_alu 0xfffe
	s_cbranch_vccnz .LBB158_10
; %bb.9:                                ;   in Loop: Header=BB158_5 Depth=1
	v_add_co_u32 v0, vcc_lo, s22, v12
	s_wait_alu 0xfffd
	v_add_co_ci_u32_e64 v1, null, s23, v13, vcc_lo
	global_load_b128 v[2:5], v[0:1], off
	s_wait_loadcnt 0x0
	v_mul_f64_e32 v[0:1], s[30:31], v[4:5]
	v_mul_f64_e32 v[4:5], s[14:15], v[4:5]
	s_delay_alu instid0(VALU_DEP_2) | instskip(NEXT) | instid1(VALU_DEP_2)
	v_fma_f64 v[0:1], s[14:15], v[2:3], -v[0:1]
	v_fma_f64 v[2:3], s[30:31], v[2:3], v[4:5]
.LBB158_10:                             ;   in Loop: Header=BB158_5 Depth=1
	s_mov_b32 s45, exec_lo
	s_or_b32 exec_lo, exec_lo, s5
	s_delay_alu instid0(SALU_CYCLE_1)
	s_and_b32 vcc_lo, exec_lo, s4
	s_wait_alu 0xfffe
	s_cbranch_vccnz .LBB158_12
	s_branch .LBB158_18
.LBB158_11:                             ;   in Loop: Header=BB158_5 Depth=1
	s_mov_b32 s45, 0
                                        ; implicit-def: $vgpr2_vgpr3
	s_cbranch_execz .LBB158_18
.LBB158_12:                             ;   in Loop: Header=BB158_5 Depth=1
	v_mov_b32_e32 v2, 0
	s_mul_u64 s[4:5], s[16:17], s[28:29]
	s_mul_u64 s[24:25], s[12:13], s[28:29]
	v_dual_mov_b32 v3, 0 :: v_dual_mov_b32 v0, 0
	v_mov_b32_e32 v1, 0
	v_mov_b32_e32 v19, v14
	s_wait_alu 0xfffe
	s_lshl_b64 s[4:5], s[4:5], 4
	s_lshl_b64 s[46:47], s[24:25], 4
	s_wait_alu 0xfffe
	s_add_nc_u64 s[24:25], s[6:7], s[4:5]
	s_add_nc_u64 s[4:5], s[18:19], s[46:47]
	s_and_saveexec_b32 s46, s3
	s_cbranch_execz .LBB158_20
; %bb.13:                               ;   in Loop: Header=BB158_5 Depth=1
	v_dual_mov_b32 v2, 0 :: v_dual_mov_b32 v19, v14
	v_dual_mov_b32 v3, 0 :: v_dual_mov_b32 v4, v18
	s_delay_alu instid0(VALU_DEP_2) | instskip(SKIP_2) | instid1(VALU_DEP_3)
	v_mov_b32_e32 v0, v2
	v_mov_b32_e32 v6, v17
	s_mov_b32 s47, 0
	v_mov_b32_e32 v1, v3
	s_branch .LBB158_15
.LBB158_14:                             ;   in Loop: Header=BB158_15 Depth=2
	s_or_b32 exec_lo, exec_lo, s48
	v_add_nc_u32_e32 v19, 16, v19
	v_add_nc_u32_e32 v6, s43, v6
	;; [unrolled: 1-line block ×3, first 2 shown]
	s_delay_alu instid0(VALU_DEP_3)
	v_cmp_le_i32_e32 vcc_lo, s34, v19
	s_wait_alu 0xfffe
	s_or_b32 s47, vcc_lo, s47
	s_wait_alu 0xfffe
	s_and_not1_b32 exec_lo, exec_lo, s47
	s_cbranch_execz .LBB158_19
.LBB158_15:                             ;   Parent Loop BB158_5 Depth=1
                                        ; =>  This Inner Loop Header: Depth=2
	s_and_saveexec_b32 s48, s1
	s_cbranch_execz .LBB158_14
; %bb.16:                               ;   in Loop: Header=BB158_15 Depth=2
	v_ashrrev_i32_e32 v7, 31, v6
	v_ashrrev_i32_e32 v5, 31, v4
	s_delay_alu instid0(VALU_DEP_2) | instskip(NEXT) | instid1(VALU_DEP_2)
	v_lshlrev_b64_e32 v[20:21], 4, v[6:7]
	v_lshlrev_b64_e32 v[22:23], 4, v[4:5]
	s_wait_alu 0xfffe
	s_delay_alu instid0(VALU_DEP_2) | instskip(SKIP_1) | instid1(VALU_DEP_3)
	v_add_co_u32 v20, vcc_lo, s4, v20
	s_wait_alu 0xfffd
	v_add_co_ci_u32_e64 v21, null, s5, v21, vcc_lo
	s_delay_alu instid0(VALU_DEP_3)
	v_add_co_u32 v24, vcc_lo, s24, v22
	s_wait_alu 0xfffd
	v_add_co_ci_u32_e64 v25, null, s25, v23, vcc_lo
	global_load_b128 v[20:23], v[20:21], off
	global_load_b128 v[24:27], v[24:25], off
	s_wait_loadcnt 0x0
	v_mul_f64_e32 v[28:29], v[22:23], v[26:27]
	v_mul_f64_e32 v[26:27], v[20:21], v[26:27]
	s_delay_alu instid0(VALU_DEP_2) | instskip(NEXT) | instid1(VALU_DEP_2)
	v_fma_f64 v[20:21], v[20:21], v[24:25], -v[28:29]
	v_fma_f64 v[22:23], v[22:23], v[24:25], v[26:27]
	s_delay_alu instid0(VALU_DEP_2) | instskip(NEXT) | instid1(VALU_DEP_2)
	v_add_f64_e32 v[0:1], v[0:1], v[20:21]
	v_add_f64_e32 v[2:3], v[2:3], v[22:23]
	s_branch .LBB158_14
.LBB158_17:                             ;   in Loop: Header=BB158_5 Depth=1
	s_wait_alu 0xfffe
	s_or_b32 exec_lo, exec_lo, s5
	s_delay_alu instid0(SALU_CYCLE_1)
	s_and_b32 vcc_lo, exec_lo, s4
	s_wait_alu 0xfffe
	s_cbranch_vccnz .LBB158_12
.LBB158_18:                             ;   in Loop: Header=BB158_5 Depth=1
	v_dual_mov_b32 v4, v8 :: v_dual_mov_b32 v5, v9
	s_wait_alu 0xfffe
	s_and_saveexec_b32 s4, s45
	s_cbranch_execz .LBB158_3
	s_branch .LBB158_33
.LBB158_19:                             ;   in Loop: Header=BB158_5 Depth=1
	s_or_b32 exec_lo, exec_lo, s47
.LBB158_20:                             ;   in Loop: Header=BB158_5 Depth=1
	s_wait_alu 0xfffe
	s_or_b32 exec_lo, exec_lo, s46
	s_delay_alu instid0(SALU_CYCLE_1)
	s_and_not1_b32 vcc_lo, exec_lo, s40
	s_wait_alu 0xfffe
	s_cbranch_vccnz .LBB158_26
; %bb.21:                               ;   in Loop: Header=BB158_5 Depth=1
	v_mov_b32_e32 v4, 0
	v_dual_mov_b32 v5, 0 :: v_dual_mov_b32 v6, 0
	v_mov_b32_e32 v7, 0
	v_cmp_gt_i32_e32 vcc_lo, s35, v19
	s_and_saveexec_b32 s46, vcc_lo
	s_cbranch_execz .LBB158_23
; %bb.22:                               ;   in Loop: Header=BB158_5 Depth=1
	v_mul_lo_u32 v4, v19, s26
	s_delay_alu instid0(VALU_DEP_1) | instskip(NEXT) | instid1(VALU_DEP_1)
	v_ashrrev_i32_e32 v5, 31, v4
	v_lshlrev_b64_e32 v[4:5], 4, v[4:5]
	s_delay_alu instid0(VALU_DEP_1) | instskip(SKIP_1) | instid1(VALU_DEP_2)
	v_add_co_u32 v4, s4, s4, v4
	s_wait_alu 0xf1ff
	v_add_co_ci_u32_e64 v5, null, s5, v5, s4
	global_load_b128 v[4:7], v[4:5], off
.LBB158_23:                             ;   in Loop: Header=BB158_5 Depth=1
	s_wait_alu 0xfffe
	s_or_b32 exec_lo, exec_lo, s46
	s_and_saveexec_b32 s4, s1
	s_cbranch_execz .LBB158_25
; %bb.24:                               ;   in Loop: Header=BB158_5 Depth=1
	v_mul_lo_u32 v19, v19, s33
	s_delay_alu instid0(VALU_DEP_1) | instskip(NEXT) | instid1(VALU_DEP_1)
	v_cndmask_b32_e32 v19, 0, v19, vcc_lo
	v_add_nc_u32_e32 v19, v19, v16
	s_delay_alu instid0(VALU_DEP_1) | instskip(NEXT) | instid1(VALU_DEP_1)
	v_ashrrev_i32_e32 v20, 31, v19
	v_lshlrev_b64_e32 v[19:20], 4, v[19:20]
	s_delay_alu instid0(VALU_DEP_1) | instskip(SKIP_1) | instid1(VALU_DEP_2)
	v_add_co_u32 v19, vcc_lo, s24, v19
	s_wait_alu 0xfffd
	v_add_co_ci_u32_e64 v20, null, s25, v20, vcc_lo
	global_load_b128 v[19:22], v[19:20], off
	s_wait_loadcnt 0x0
	v_mul_f64_e32 v[23:24], v[6:7], v[21:22]
	v_mul_f64_e32 v[21:22], v[4:5], v[21:22]
	s_delay_alu instid0(VALU_DEP_2) | instskip(NEXT) | instid1(VALU_DEP_2)
	v_fma_f64 v[4:5], v[4:5], v[19:20], -v[23:24]
	v_fma_f64 v[6:7], v[6:7], v[19:20], v[21:22]
	s_delay_alu instid0(VALU_DEP_2) | instskip(NEXT) | instid1(VALU_DEP_2)
	v_add_f64_e32 v[0:1], v[0:1], v[4:5]
	v_add_f64_e32 v[2:3], v[2:3], v[6:7]
.LBB158_25:                             ;   in Loop: Header=BB158_5 Depth=1
	s_wait_alu 0xfffe
	s_or_b32 exec_lo, exec_lo, s4
.LBB158_26:                             ;   in Loop: Header=BB158_5 Depth=1
	ds_store_b128 v15, v[0:3]
	s_wait_loadcnt_dscnt 0x0
	s_barrier_signal -1
	s_barrier_wait -1
	global_inv scope:SCOPE_SE
                                        ; implicit-def: $vgpr2_vgpr3
	s_and_saveexec_b32 s4, s0
	s_cbranch_execz .LBB158_32
; %bb.27:                               ;   in Loop: Header=BB158_5 Depth=1
	ds_load_b128 v[0:3], v15
	ds_load_b128 v[4:7], v15 offset:1024
	s_mov_b32 s24, s45
	s_wait_dscnt 0x0
	v_add_f64_e32 v[19:20], v[0:1], v[4:5]
	v_add_f64_e32 v[21:22], v[2:3], v[6:7]
	ds_load_b128 v[0:3], v15 offset:2048
	ds_load_b128 v[4:7], v15 offset:3072
	s_wait_dscnt 0x1
	v_add_f64_e32 v[0:1], v[19:20], v[0:1]
	v_add_f64_e32 v[2:3], v[21:22], v[2:3]
	s_wait_dscnt 0x0
	s_delay_alu instid0(VALU_DEP_2) | instskip(NEXT) | instid1(VALU_DEP_2)
	v_add_f64_e32 v[19:20], v[0:1], v[4:5]
	v_add_f64_e32 v[21:22], v[2:3], v[6:7]
	ds_load_b128 v[0:3], v15 offset:4096
	ds_load_b128 v[4:7], v15 offset:5120
	s_wait_dscnt 0x1
	v_add_f64_e32 v[0:1], v[19:20], v[0:1]
	v_add_f64_e32 v[2:3], v[21:22], v[2:3]
	s_wait_dscnt 0x0
	s_delay_alu instid0(VALU_DEP_2) | instskip(NEXT) | instid1(VALU_DEP_2)
	;; [unrolled: 9-line block ×7, first 2 shown]
	v_add_f64_e32 v[4:5], v[0:1], v[4:5]
	v_add_f64_e32 v[6:7], v[2:3], v[6:7]
                                        ; implicit-def: $vgpr2_vgpr3
	ds_store_b128 v15, v[4:7]
	s_and_saveexec_b32 s5, s2
	s_cbranch_execz .LBB158_31
; %bb.28:                               ;   in Loop: Header=BB158_5 Depth=1
	v_mul_f64_e32 v[0:1], s[10:11], v[6:7]
	v_mul_f64_e32 v[2:3], s[8:9], v[6:7]
	s_and_not1_b32 vcc_lo, exec_lo, s38
	s_delay_alu instid0(VALU_DEP_2) | instskip(NEXT) | instid1(VALU_DEP_2)
	v_fma_f64 v[0:1], s[8:9], v[4:5], -v[0:1]
	v_fma_f64 v[2:3], s[10:11], v[4:5], v[2:3]
	s_wait_alu 0xfffe
	s_cbranch_vccnz .LBB158_30
; %bb.29:                               ;   in Loop: Header=BB158_5 Depth=1
	v_lshlrev_b64_e32 v[4:5], 4, v[10:11]
	s_delay_alu instid0(VALU_DEP_1) | instskip(SKIP_1) | instid1(VALU_DEP_2)
	v_add_co_u32 v4, vcc_lo, s22, v4
	s_wait_alu 0xfffd
	v_add_co_ci_u32_e64 v5, null, s23, v5, vcc_lo
	global_load_b128 v[4:7], v[4:5], off
	s_wait_loadcnt 0x0
	v_mul_f64_e32 v[19:20], s[30:31], v[6:7]
	v_mul_f64_e32 v[6:7], s[14:15], v[6:7]
	s_delay_alu instid0(VALU_DEP_2) | instskip(NEXT) | instid1(VALU_DEP_2)
	v_fma_f64 v[19:20], s[14:15], v[4:5], -v[19:20]
	v_fma_f64 v[4:5], s[30:31], v[4:5], v[6:7]
	s_delay_alu instid0(VALU_DEP_2) | instskip(NEXT) | instid1(VALU_DEP_2)
	v_add_f64_e32 v[0:1], v[0:1], v[19:20]
	v_add_f64_e32 v[2:3], v[2:3], v[4:5]
.LBB158_30:                             ;   in Loop: Header=BB158_5 Depth=1
	s_or_b32 s24, s45, exec_lo
.LBB158_31:                             ;   in Loop: Header=BB158_5 Depth=1
	s_wait_alu 0xfffe
	s_or_b32 exec_lo, exec_lo, s5
	s_delay_alu instid0(SALU_CYCLE_1)
	s_and_not1_b32 s5, s45, exec_lo
	s_and_b32 s24, s24, exec_lo
	s_wait_alu 0xfffe
	s_or_b32 s45, s5, s24
.LBB158_32:                             ;   in Loop: Header=BB158_5 Depth=1
	s_wait_alu 0xfffe
	s_or_b32 exec_lo, exec_lo, s4
	v_dual_mov_b32 v4, v10 :: v_dual_mov_b32 v5, v11
	s_and_saveexec_b32 s4, s45
	s_cbranch_execz .LBB158_3
.LBB158_33:                             ;   in Loop: Header=BB158_5 Depth=1
	s_delay_alu instid0(VALU_DEP_1) | instskip(NEXT) | instid1(VALU_DEP_1)
	v_lshlrev_b64_e32 v[4:5], 4, v[4:5]
	v_add_co_u32 v4, vcc_lo, s22, v4
	s_wait_alu 0xfffd
	s_delay_alu instid0(VALU_DEP_2)
	v_add_co_ci_u32_e64 v5, null, s23, v5, vcc_lo
	global_store_b128 v[4:5], v[0:3], off
	s_branch .LBB158_3
.LBB158_34:
	s_endpgm
	.section	.rodata,"a",@progbits
	.p2align	6, 0x0
	.amdhsa_kernel _ZL20rocblas_gemvn_kernelILi64ELi16Ei19rocblas_complex_numIdES1_S1_EviiT3_lPKT2_lT1_lS5_lS6_lS2_lPT4_lS6_li
		.amdhsa_group_segment_fixed_size 16384
		.amdhsa_private_segment_fixed_size 0
		.amdhsa_kernarg_size 416
		.amdhsa_user_sgpr_count 2
		.amdhsa_user_sgpr_dispatch_ptr 0
		.amdhsa_user_sgpr_queue_ptr 0
		.amdhsa_user_sgpr_kernarg_segment_ptr 1
		.amdhsa_user_sgpr_dispatch_id 0
		.amdhsa_user_sgpr_private_segment_size 0
		.amdhsa_wavefront_size32 1
		.amdhsa_uses_dynamic_stack 0
		.amdhsa_enable_private_segment 0
		.amdhsa_system_sgpr_workgroup_id_x 1
		.amdhsa_system_sgpr_workgroup_id_y 0
		.amdhsa_system_sgpr_workgroup_id_z 1
		.amdhsa_system_sgpr_workgroup_info 0
		.amdhsa_system_vgpr_workitem_id 1
		.amdhsa_next_free_vgpr 30
		.amdhsa_next_free_sgpr 49
		.amdhsa_reserve_vcc 1
		.amdhsa_float_round_mode_32 0
		.amdhsa_float_round_mode_16_64 0
		.amdhsa_float_denorm_mode_32 3
		.amdhsa_float_denorm_mode_16_64 3
		.amdhsa_fp16_overflow 0
		.amdhsa_workgroup_processor_mode 1
		.amdhsa_memory_ordered 1
		.amdhsa_forward_progress 1
		.amdhsa_inst_pref_size 16
		.amdhsa_round_robin_scheduling 0
		.amdhsa_exception_fp_ieee_invalid_op 0
		.amdhsa_exception_fp_denorm_src 0
		.amdhsa_exception_fp_ieee_div_zero 0
		.amdhsa_exception_fp_ieee_overflow 0
		.amdhsa_exception_fp_ieee_underflow 0
		.amdhsa_exception_fp_ieee_inexact 0
		.amdhsa_exception_int_div_zero 0
	.end_amdhsa_kernel
	.section	.text._ZL20rocblas_gemvn_kernelILi64ELi16Ei19rocblas_complex_numIdES1_S1_EviiT3_lPKT2_lT1_lS5_lS6_lS2_lPT4_lS6_li,"axG",@progbits,_ZL20rocblas_gemvn_kernelILi64ELi16Ei19rocblas_complex_numIdES1_S1_EviiT3_lPKT2_lT1_lS5_lS6_lS2_lPT4_lS6_li,comdat
.Lfunc_end158:
	.size	_ZL20rocblas_gemvn_kernelILi64ELi16Ei19rocblas_complex_numIdES1_S1_EviiT3_lPKT2_lT1_lS5_lS6_lS2_lPT4_lS6_li, .Lfunc_end158-_ZL20rocblas_gemvn_kernelILi64ELi16Ei19rocblas_complex_numIdES1_S1_EviiT3_lPKT2_lT1_lS5_lS6_lS2_lPT4_lS6_li
                                        ; -- End function
	.set _ZL20rocblas_gemvn_kernelILi64ELi16Ei19rocblas_complex_numIdES1_S1_EviiT3_lPKT2_lT1_lS5_lS6_lS2_lPT4_lS6_li.num_vgpr, 30
	.set _ZL20rocblas_gemvn_kernelILi64ELi16Ei19rocblas_complex_numIdES1_S1_EviiT3_lPKT2_lT1_lS5_lS6_lS2_lPT4_lS6_li.num_agpr, 0
	.set _ZL20rocblas_gemvn_kernelILi64ELi16Ei19rocblas_complex_numIdES1_S1_EviiT3_lPKT2_lT1_lS5_lS6_lS2_lPT4_lS6_li.numbered_sgpr, 49
	.set _ZL20rocblas_gemvn_kernelILi64ELi16Ei19rocblas_complex_numIdES1_S1_EviiT3_lPKT2_lT1_lS5_lS6_lS2_lPT4_lS6_li.num_named_barrier, 0
	.set _ZL20rocblas_gemvn_kernelILi64ELi16Ei19rocblas_complex_numIdES1_S1_EviiT3_lPKT2_lT1_lS5_lS6_lS2_lPT4_lS6_li.private_seg_size, 0
	.set _ZL20rocblas_gemvn_kernelILi64ELi16Ei19rocblas_complex_numIdES1_S1_EviiT3_lPKT2_lT1_lS5_lS6_lS2_lPT4_lS6_li.uses_vcc, 1
	.set _ZL20rocblas_gemvn_kernelILi64ELi16Ei19rocblas_complex_numIdES1_S1_EviiT3_lPKT2_lT1_lS5_lS6_lS2_lPT4_lS6_li.uses_flat_scratch, 0
	.set _ZL20rocblas_gemvn_kernelILi64ELi16Ei19rocblas_complex_numIdES1_S1_EviiT3_lPKT2_lT1_lS5_lS6_lS2_lPT4_lS6_li.has_dyn_sized_stack, 0
	.set _ZL20rocblas_gemvn_kernelILi64ELi16Ei19rocblas_complex_numIdES1_S1_EviiT3_lPKT2_lT1_lS5_lS6_lS2_lPT4_lS6_li.has_recursion, 0
	.set _ZL20rocblas_gemvn_kernelILi64ELi16Ei19rocblas_complex_numIdES1_S1_EviiT3_lPKT2_lT1_lS5_lS6_lS2_lPT4_lS6_li.has_indirect_call, 0
	.section	.AMDGPU.csdata,"",@progbits
; Kernel info:
; codeLenInByte = 1928
; TotalNumSgprs: 51
; NumVgprs: 30
; ScratchSize: 0
; MemoryBound: 1
; FloatMode: 240
; IeeeMode: 1
; LDSByteSize: 16384 bytes/workgroup (compile time only)
; SGPRBlocks: 0
; VGPRBlocks: 3
; NumSGPRsForWavesPerEU: 51
; NumVGPRsForWavesPerEU: 30
; Occupancy: 16
; WaveLimiterHint : 1
; COMPUTE_PGM_RSRC2:SCRATCH_EN: 0
; COMPUTE_PGM_RSRC2:USER_SGPR: 2
; COMPUTE_PGM_RSRC2:TRAP_HANDLER: 0
; COMPUTE_PGM_RSRC2:TGID_X_EN: 1
; COMPUTE_PGM_RSRC2:TGID_Y_EN: 0
; COMPUTE_PGM_RSRC2:TGID_Z_EN: 1
; COMPUTE_PGM_RSRC2:TIDIG_COMP_CNT: 1
	.section	.text._ZL20rocblas_gemvn_kernelILi64ELi16El19rocblas_complex_numIdES1_S1_EviiT3_lPKT2_lT1_lS5_lS6_lS2_lPT4_lS6_li,"axG",@progbits,_ZL20rocblas_gemvn_kernelILi64ELi16El19rocblas_complex_numIdES1_S1_EviiT3_lPKT2_lT1_lS5_lS6_lS2_lPT4_lS6_li,comdat
	.globl	_ZL20rocblas_gemvn_kernelILi64ELi16El19rocblas_complex_numIdES1_S1_EviiT3_lPKT2_lT1_lS5_lS6_lS2_lPT4_lS6_li ; -- Begin function _ZL20rocblas_gemvn_kernelILi64ELi16El19rocblas_complex_numIdES1_S1_EviiT3_lPKT2_lT1_lS5_lS6_lS2_lPT4_lS6_li
	.p2align	8
	.type	_ZL20rocblas_gemvn_kernelILi64ELi16El19rocblas_complex_numIdES1_S1_EviiT3_lPKT2_lT1_lS5_lS6_lS2_lPT4_lS6_li,@function
_ZL20rocblas_gemvn_kernelILi64ELi16El19rocblas_complex_numIdES1_S1_EviiT3_lPKT2_lT1_lS5_lS6_lS2_lPT4_lS6_li: ; @_ZL20rocblas_gemvn_kernelILi64ELi16El19rocblas_complex_numIdES1_S1_EviiT3_lPKT2_lT1_lS5_lS6_lS2_lPT4_lS6_li
; %bb.0:
	s_load_b64 s[2:3], s[0:1], 0xac
	s_wait_kmcnt 0x0
	s_lshr_b32 s4, s2, 16
	s_and_b32 s2, s2, 0xffff
	s_and_b32 s3, s3, 0xffff
	s_mul_i32 s4, s4, s2
	s_delay_alu instid0(SALU_CYCLE_1) | instskip(NEXT) | instid1(SALU_CYCLE_1)
	s_mul_i32 s4, s4, s3
	s_cmp_lg_u32 s4, 0x400
	s_cbranch_scc1 .LBB159_34
; %bb.1:
	s_load_b32 s33, s[0:1], 0x98
	s_lshr_b32 s34, ttmp7, 16
	s_wait_kmcnt 0x0
	s_cmp_ge_u32 s34, s33
	s_cbranch_scc1 .LBB159_34
; %bb.2:
	s_clause 0x4
	s_load_b128 s[28:31], s[0:1], 0x8
	s_load_b128 s[36:39], s[0:1], 0x60
	s_load_b512 s[4:19], s[0:1], 0x20
	s_load_b256 s[20:27], s[0:1], 0x78
	s_load_b64 s[40:41], s[0:1], 0x0
	v_and_b32_e32 v1, 0x3ff, v0
	v_bfe_u32 v0, v0, 10, 10
	s_lshl_b32 s44, ttmp9, 6
	s_mov_b32 s35, 0
	s_delay_alu instid0(VALU_DEP_1) | instskip(NEXT) | instid1(VALU_DEP_1)
	v_mad_u32_u24 v3, v0, s2, v1
	v_dual_mov_b32 v1, 0 :: v_dual_add_nc_u32 v0, s44, v3
	v_lshrrev_b32_e32 v20, 6, v3
	v_or_b32_e32 v15, s44, v3
	v_and_or_b32 v2, v3, 63, s44
	v_lshlrev_b32_e32 v21, 4, v3
	v_cmp_gt_u32_e64 s0, 64, v3
	s_wait_kmcnt 0x0
	v_cmp_neq_f64_e64 s45, s[28:29], 0
	v_cmp_neq_f64_e64 s47, s[30:31], 0
	;; [unrolled: 1-line block ×4, first 2 shown]
	v_mad_co_u64_u32 v[6:7], null, s8, v20, 0
	v_mad_co_u64_u32 v[8:9], null, s24, v0, 0
	;; [unrolled: 1-line block ×4, first 2 shown]
	s_lshl_b64 s[2:3], s[14:15], 4
	s_lshl_b64 s[14:15], s[22:23], 4
	s_ashr_i32 s23, s40, 31
	s_mov_b32 s22, s40
	v_mad_co_u64_u32 v[12:13], null, s25, v0, v[9:10]
	v_cmp_gt_i64_e32 vcc_lo, s[22:23], v[0:1]
	v_dual_mov_b32 v1, v7 :: v_dual_mov_b32 v0, v5
	v_cmp_neq_f64_e64 s51, s[36:37], 1.0
	s_ashr_i32 s46, s41, 31
	s_wait_alu 0xfffe
	s_add_nc_u64 s[12:13], s[12:13], s[2:3]
	v_mad_co_u64_u32 v[13:14], null, s9, v20, v[1:2]
	v_mad_co_u64_u32 v[0:1], null, s17, v20, v[0:1]
	s_lshr_b32 s2, s46, 28
	v_ashrrev_i32_e32 v3, 31, v2
	s_wait_alu 0xfffe
	s_add_co_i32 s2, s41, s2
	s_add_nc_u64 s[14:15], s[20:21], s[14:15]
	v_mov_b32_e32 v7, v13
	s_wait_alu 0xfffe
	s_and_b32 s46, s2, -16
	v_mov_b32_e32 v5, v0
	s_sub_co_i32 s3, s41, s46
	s_lshl_b64 s[42:43], s[6:7], 4
	v_lshlrev_b64_e32 v[0:1], 4, v[6:7]
	v_mov_b32_e32 v9, v12
	s_or_b32 s20, s45, s47
	v_lshlrev_b64_e32 v[4:5], 4, v[4:5]
	s_or_b32 s47, s48, s50
	s_xor_b32 s48, s20, -1
	s_wait_alu 0xfffe
	s_cmp_gt_i32 s3, 0
	v_lshlrev_b64_e32 v[12:13], 4, v[2:3]
	v_cmp_gt_i32_e64 s1, s40, v2
	s_cselect_b32 s49, -1, 0
	v_cmp_gt_i32_e64 s3, s40, v15
	s_and_b32 s40, s0, vcc_lo
	v_add_co_u32 v0, vcc_lo, v0, s42
	s_delay_alu instid0(VALU_DEP_1)
	v_add_co_ci_u32_e64 v1, null, s43, v1, vcc_lo
	v_add_co_u32 v2, vcc_lo, s12, v4
	s_wait_alu 0xfffd
	v_add_co_ci_u32_e64 v3, null, s13, v5, vcc_lo
	v_add_co_u32 v0, vcc_lo, v0, v12
	v_mul_lo_u32 v16, s25, v15
	s_wait_alu 0xfffd
	v_add_co_ci_u32_e64 v1, null, v1, v13, vcc_lo
	v_add_co_u32 v14, vcc_lo, v2, 8
	s_wait_alu 0xfffd
	v_add_co_ci_u32_e64 v15, null, 0, v3, vcc_lo
	v_add_co_u32 v0, vcc_lo, s4, v0
	s_ashr_i32 s21, s44, 31
	s_wait_alu 0xfffd
	v_add_co_ci_u32_e64 v1, null, s5, v1, vcc_lo
	s_mul_i32 s21, s24, s21
	v_lshlrev_b64_e32 v[18:19], 4, v[8:9]
	v_add3_u32 v11, v11, s21, v16
	v_add_co_u32 v16, vcc_lo, v0, 8
	v_cmp_gt_i32_e64 s2, s46, v20
	s_wait_alu 0xfffd
	v_add_co_ci_u32_e64 v17, null, 0, v1, vcc_lo
	s_or_b32 s22, s20, s51
	s_add_nc_u64 s[6:7], s[4:5], s[42:43]
	s_lshl_b64 s[20:21], s[18:19], 4
	s_wait_alu 0xfffe
	s_or_b32 s5, s22, s50
	s_lshl_b64 s[22:23], s[16:17], 8
	s_lshl_b64 s[24:25], s[10:11], 4
	;; [unrolled: 1-line block ×3, first 2 shown]
	s_branch .LBB159_5
.LBB159_3:                              ;   in Loop: Header=BB159_5 Depth=1
	s_wait_alu 0xfffe
	s_or_b32 exec_lo, exec_lo, s4
.LBB159_4:                              ;   in Loop: Header=BB159_5 Depth=1
	s_add_co_i32 s34, s34, 0x10000
	s_wait_alu 0xfffe
	s_cmp_lt_u32 s34, s33
	s_cbranch_scc0 .LBB159_34
.LBB159_5:                              ; =>This Loop Header: Depth=1
                                        ;     Child Loop BB159_15 Depth 2
	s_wait_alu 0xfffe
	s_and_not1_b32 vcc_lo, exec_lo, s5
	s_wait_alu 0xfffe
	s_cbranch_vccnz .LBB159_4
; %bb.6:                                ;   in Loop: Header=BB159_5 Depth=1
	s_mul_u64 s[44:45], s[26:27], s[34:35]
	s_and_not1_b32 vcc_lo, exec_lo, s48
	s_wait_alu 0xfffe
	s_lshl_b64 s[44:45], s[44:45], 4
	s_wait_alu 0xfffe
	s_add_nc_u64 s[44:45], s[14:15], s[44:45]
	s_cbranch_vccnz .LBB159_11
; %bb.7:                                ;   in Loop: Header=BB159_5 Depth=1
	s_mov_b32 s4, 0
	s_mov_b32 s50, 0
                                        ; implicit-def: $vgpr2_vgpr3
	s_and_saveexec_b32 s51, s40
	s_cbranch_execz .LBB159_17
; %bb.8:                                ;   in Loop: Header=BB159_5 Depth=1
	v_mov_b32_e32 v2, 0
	v_dual_mov_b32 v3, 0 :: v_dual_mov_b32 v0, 0
	v_mov_b32_e32 v1, 0
	s_and_not1_b32 vcc_lo, exec_lo, s47
	s_wait_alu 0xfffe
	s_cbranch_vccnz .LBB159_10
; %bb.9:                                ;   in Loop: Header=BB159_5 Depth=1
	v_add_co_u32 v0, vcc_lo, s44, v18
	s_wait_alu 0xfffd
	v_add_co_ci_u32_e64 v1, null, s45, v19, vcc_lo
	global_load_b128 v[2:5], v[0:1], off
	s_wait_loadcnt 0x0
	v_mul_f64_e32 v[0:1], s[38:39], v[4:5]
	v_mul_f64_e32 v[4:5], s[36:37], v[4:5]
	s_delay_alu instid0(VALU_DEP_2) | instskip(NEXT) | instid1(VALU_DEP_2)
	v_fma_f64 v[0:1], s[36:37], v[2:3], -v[0:1]
	v_fma_f64 v[2:3], s[38:39], v[2:3], v[4:5]
.LBB159_10:                             ;   in Loop: Header=BB159_5 Depth=1
	s_mov_b32 s50, exec_lo
	s_or_b32 exec_lo, exec_lo, s51
	s_delay_alu instid0(SALU_CYCLE_1)
	s_and_b32 vcc_lo, exec_lo, s4
	s_wait_alu 0xfffe
	s_cbranch_vccnz .LBB159_12
	s_branch .LBB159_18
.LBB159_11:                             ;   in Loop: Header=BB159_5 Depth=1
	s_mov_b32 s50, 0
                                        ; implicit-def: $vgpr2_vgpr3
	s_cbranch_execz .LBB159_18
.LBB159_12:                             ;   in Loop: Header=BB159_5 Depth=1
	v_mov_b32_e32 v2, 0
	v_dual_mov_b32 v3, 0 :: v_dual_mov_b32 v0, 0
	v_dual_mov_b32 v1, 0 :: v_dual_mov_b32 v22, v20
	s_and_saveexec_b32 s51, s2
	s_cbranch_execz .LBB159_20
; %bb.13:                               ;   in Loop: Header=BB159_5 Depth=1
	v_mad_co_u64_u32 v[4:5], null, s20, s34, v[14:15]
	v_mad_co_u64_u32 v[6:7], null, s24, s34, v[16:17]
	s_mov_b32 s52, 0
	v_mov_b32_e32 v22, v20
	v_dual_mov_b32 v0, v5 :: v_dual_mov_b32 v1, v7
	s_delay_alu instid0(VALU_DEP_1) | instskip(SKIP_3) | instid1(VALU_DEP_4)
	v_mad_co_u64_u32 v[23:24], null, s21, s34, v[0:1]
	v_mad_co_u64_u32 v[0:1], null, s25, s34, v[1:2]
	v_mov_b32_e32 v2, 0
	v_mov_b32_e32 v3, 0
	;; [unrolled: 1-line block ×3, first 2 shown]
	s_delay_alu instid0(VALU_DEP_3) | instskip(NEXT) | instid1(VALU_DEP_3)
	v_dual_mov_b32 v7, v0 :: v_dual_mov_b32 v0, v2
	v_mov_b32_e32 v1, v3
	s_branch .LBB159_15
.LBB159_14:                             ;   in Loop: Header=BB159_15 Depth=2
	s_wait_alu 0xfffe
	s_or_b32 exec_lo, exec_lo, s4
	v_add_nc_u32_e32 v22, 16, v22
	v_add_co_u32 v4, vcc_lo, v4, s22
	s_wait_alu 0xfffd
	v_add_co_ci_u32_e64 v5, null, s23, v5, vcc_lo
	s_delay_alu instid0(VALU_DEP_3)
	v_cmp_le_i32_e32 vcc_lo, s46, v22
	v_add_co_u32 v6, s4, v6, s42
	s_wait_alu 0xf1ff
	v_add_co_ci_u32_e64 v7, null, s43, v7, s4
	s_or_b32 s52, vcc_lo, s52
	s_wait_alu 0xfffe
	s_and_not1_b32 exec_lo, exec_lo, s52
	s_cbranch_execz .LBB159_19
.LBB159_15:                             ;   Parent Loop BB159_5 Depth=1
                                        ; =>  This Inner Loop Header: Depth=2
	s_and_saveexec_b32 s4, s1
	s_cbranch_execz .LBB159_14
; %bb.16:                               ;   in Loop: Header=BB159_15 Depth=2
	global_load_b128 v[23:26], v[4:5], off offset:-8
	global_load_b128 v[27:30], v[6:7], off offset:-8
	s_wait_loadcnt 0x0
	v_mul_f64_e32 v[31:32], v[25:26], v[29:30]
	v_mul_f64_e32 v[29:30], v[23:24], v[29:30]
	s_delay_alu instid0(VALU_DEP_2) | instskip(NEXT) | instid1(VALU_DEP_2)
	v_fma_f64 v[23:24], v[23:24], v[27:28], -v[31:32]
	v_fma_f64 v[25:26], v[25:26], v[27:28], v[29:30]
	s_delay_alu instid0(VALU_DEP_2) | instskip(NEXT) | instid1(VALU_DEP_2)
	v_add_f64_e32 v[0:1], v[0:1], v[23:24]
	v_add_f64_e32 v[2:3], v[2:3], v[25:26]
	s_branch .LBB159_14
.LBB159_17:                             ;   in Loop: Header=BB159_5 Depth=1
	s_or_b32 exec_lo, exec_lo, s51
	s_wait_alu 0xfffe
	s_and_b32 vcc_lo, exec_lo, s4
	s_wait_alu 0xfffe
	s_cbranch_vccnz .LBB159_12
.LBB159_18:                             ;   in Loop: Header=BB159_5 Depth=1
	v_dual_mov_b32 v4, v8 :: v_dual_mov_b32 v5, v9
	s_and_saveexec_b32 s4, s50
	s_cbranch_execz .LBB159_3
	s_branch .LBB159_33
.LBB159_19:                             ;   in Loop: Header=BB159_5 Depth=1
	s_or_b32 exec_lo, exec_lo, s52
.LBB159_20:                             ;   in Loop: Header=BB159_5 Depth=1
	s_delay_alu instid0(SALU_CYCLE_1) | instskip(NEXT) | instid1(SALU_CYCLE_1)
	s_or_b32 exec_lo, exec_lo, s51
	s_and_not1_b32 vcc_lo, exec_lo, s49
	s_wait_alu 0xfffe
	s_cbranch_vccnz .LBB159_26
; %bb.21:                               ;   in Loop: Header=BB159_5 Depth=1
	v_mov_b32_e32 v4, 0
	v_dual_mov_b32 v5, 0 :: v_dual_mov_b32 v6, 0
	v_mov_b32_e32 v7, 0
	v_cmp_gt_i32_e32 vcc_lo, s41, v22
	s_and_saveexec_b32 s51, vcc_lo
	s_cbranch_execz .LBB159_23
; %bb.22:                               ;   in Loop: Header=BB159_5 Depth=1
	v_mad_co_u64_u32 v[4:5], null, s16, v22, 0
	s_mul_u64 s[52:53], s[18:19], s[34:35]
	s_wait_alu 0xfffe
	s_lshl_b64 s[52:53], s[52:53], 4
	s_wait_alu 0xfffe
	s_add_nc_u64 s[52:53], s[12:13], s[52:53]
	v_mad_co_u64_u32 v[5:6], null, s17, v22, v[5:6]
	s_delay_alu instid0(VALU_DEP_1) | instskip(SKIP_1) | instid1(VALU_DEP_1)
	v_lshlrev_b64_e32 v[4:5], 4, v[4:5]
	s_wait_alu 0xfffe
	v_add_co_u32 v4, s4, s52, v4
	s_wait_alu 0xf1ff
	s_delay_alu instid0(VALU_DEP_2)
	v_add_co_ci_u32_e64 v5, null, s53, v5, s4
	global_load_b128 v[4:7], v[4:5], off
.LBB159_23:                             ;   in Loop: Header=BB159_5 Depth=1
	s_or_b32 exec_lo, exec_lo, s51
	s_and_saveexec_b32 s4, s1
	s_cbranch_execz .LBB159_25
; %bb.24:                               ;   in Loop: Header=BB159_5 Depth=1
	v_mad_co_u64_u32 v[23:24], null, s8, v22, 0
	s_mul_u64 s[52:53], s[10:11], s[34:35]
	s_wait_alu 0xfffe
	s_lshl_b64 s[52:53], s[52:53], 4
	s_wait_alu 0xfffe
	s_add_nc_u64 s[52:53], s[6:7], s[52:53]
	v_mad_co_u64_u32 v[24:25], null, s9, v22, v[24:25]
	s_delay_alu instid0(VALU_DEP_1) | instskip(NEXT) | instid1(VALU_DEP_1)
	v_dual_cndmask_b32 v22, 0, v23 :: v_dual_cndmask_b32 v23, 0, v24
	v_lshlrev_b64_e32 v[22:23], 4, v[22:23]
	s_wait_alu 0xfffe
	s_delay_alu instid0(VALU_DEP_1) | instskip(SKIP_1) | instid1(VALU_DEP_2)
	v_add_co_u32 v22, vcc_lo, s52, v22
	s_wait_alu 0xfffd
	v_add_co_ci_u32_e64 v23, null, s53, v23, vcc_lo
	s_delay_alu instid0(VALU_DEP_2) | instskip(SKIP_1) | instid1(VALU_DEP_2)
	v_add_co_u32 v22, vcc_lo, v22, v12
	s_wait_alu 0xfffd
	v_add_co_ci_u32_e64 v23, null, v23, v13, vcc_lo
	global_load_b128 v[22:25], v[22:23], off
	s_wait_loadcnt 0x0
	v_mul_f64_e32 v[26:27], v[6:7], v[24:25]
	v_mul_f64_e32 v[24:25], v[4:5], v[24:25]
	s_delay_alu instid0(VALU_DEP_2) | instskip(NEXT) | instid1(VALU_DEP_2)
	v_fma_f64 v[4:5], v[4:5], v[22:23], -v[26:27]
	v_fma_f64 v[6:7], v[6:7], v[22:23], v[24:25]
	s_delay_alu instid0(VALU_DEP_2) | instskip(NEXT) | instid1(VALU_DEP_2)
	v_add_f64_e32 v[0:1], v[0:1], v[4:5]
	v_add_f64_e32 v[2:3], v[2:3], v[6:7]
.LBB159_25:                             ;   in Loop: Header=BB159_5 Depth=1
	s_wait_alu 0xfffe
	s_or_b32 exec_lo, exec_lo, s4
.LBB159_26:                             ;   in Loop: Header=BB159_5 Depth=1
	ds_store_b128 v21, v[0:3]
	s_wait_loadcnt_dscnt 0x0
	s_barrier_signal -1
	s_barrier_wait -1
	global_inv scope:SCOPE_SE
                                        ; implicit-def: $vgpr2_vgpr3
	s_and_saveexec_b32 s4, s0
	s_cbranch_execz .LBB159_32
; %bb.27:                               ;   in Loop: Header=BB159_5 Depth=1
	ds_load_b128 v[0:3], v21
	ds_load_b128 v[4:7], v21 offset:1024
	s_mov_b32 s52, s50
	s_wait_dscnt 0x0
	v_add_f64_e32 v[22:23], v[0:1], v[4:5]
	v_add_f64_e32 v[24:25], v[2:3], v[6:7]
	ds_load_b128 v[0:3], v21 offset:2048
	ds_load_b128 v[4:7], v21 offset:3072
	s_wait_dscnt 0x1
	v_add_f64_e32 v[0:1], v[22:23], v[0:1]
	v_add_f64_e32 v[2:3], v[24:25], v[2:3]
	s_wait_dscnt 0x0
	s_delay_alu instid0(VALU_DEP_2) | instskip(NEXT) | instid1(VALU_DEP_2)
	v_add_f64_e32 v[22:23], v[0:1], v[4:5]
	v_add_f64_e32 v[24:25], v[2:3], v[6:7]
	ds_load_b128 v[0:3], v21 offset:4096
	ds_load_b128 v[4:7], v21 offset:5120
	s_wait_dscnt 0x1
	v_add_f64_e32 v[0:1], v[22:23], v[0:1]
	v_add_f64_e32 v[2:3], v[24:25], v[2:3]
	s_wait_dscnt 0x0
	s_delay_alu instid0(VALU_DEP_2) | instskip(NEXT) | instid1(VALU_DEP_2)
	;; [unrolled: 9-line block ×7, first 2 shown]
	v_add_f64_e32 v[4:5], v[0:1], v[4:5]
	v_add_f64_e32 v[6:7], v[2:3], v[6:7]
                                        ; implicit-def: $vgpr2_vgpr3
	ds_store_b128 v21, v[4:7]
	s_and_saveexec_b32 s51, s3
	s_cbranch_execz .LBB159_31
; %bb.28:                               ;   in Loop: Header=BB159_5 Depth=1
	v_mul_f64_e32 v[0:1], s[30:31], v[6:7]
	v_mul_f64_e32 v[2:3], s[28:29], v[6:7]
	s_and_not1_b32 vcc_lo, exec_lo, s47
	s_delay_alu instid0(VALU_DEP_2) | instskip(NEXT) | instid1(VALU_DEP_2)
	v_fma_f64 v[0:1], s[28:29], v[4:5], -v[0:1]
	v_fma_f64 v[2:3], s[30:31], v[4:5], v[2:3]
	s_wait_alu 0xfffe
	s_cbranch_vccnz .LBB159_30
; %bb.29:                               ;   in Loop: Header=BB159_5 Depth=1
	v_lshlrev_b64_e32 v[4:5], 4, v[10:11]
	s_delay_alu instid0(VALU_DEP_1) | instskip(SKIP_1) | instid1(VALU_DEP_2)
	v_add_co_u32 v4, vcc_lo, s44, v4
	s_wait_alu 0xfffd
	v_add_co_ci_u32_e64 v5, null, s45, v5, vcc_lo
	global_load_b128 v[4:7], v[4:5], off
	s_wait_loadcnt 0x0
	v_mul_f64_e32 v[22:23], s[38:39], v[6:7]
	v_mul_f64_e32 v[6:7], s[36:37], v[6:7]
	s_delay_alu instid0(VALU_DEP_2) | instskip(NEXT) | instid1(VALU_DEP_2)
	v_fma_f64 v[22:23], s[36:37], v[4:5], -v[22:23]
	v_fma_f64 v[4:5], s[38:39], v[4:5], v[6:7]
	s_delay_alu instid0(VALU_DEP_2) | instskip(NEXT) | instid1(VALU_DEP_2)
	v_add_f64_e32 v[0:1], v[0:1], v[22:23]
	v_add_f64_e32 v[2:3], v[2:3], v[4:5]
.LBB159_30:                             ;   in Loop: Header=BB159_5 Depth=1
	s_or_b32 s52, s50, exec_lo
.LBB159_31:                             ;   in Loop: Header=BB159_5 Depth=1
	s_or_b32 exec_lo, exec_lo, s51
	s_delay_alu instid0(SALU_CYCLE_1) | instskip(SKIP_2) | instid1(SALU_CYCLE_1)
	s_and_not1_b32 s50, s50, exec_lo
	s_wait_alu 0xfffe
	s_and_b32 s51, s52, exec_lo
	s_or_b32 s50, s50, s51
.LBB159_32:                             ;   in Loop: Header=BB159_5 Depth=1
	s_wait_alu 0xfffe
	s_or_b32 exec_lo, exec_lo, s4
	v_dual_mov_b32 v4, v10 :: v_dual_mov_b32 v5, v11
	s_and_saveexec_b32 s4, s50
	s_cbranch_execz .LBB159_3
.LBB159_33:                             ;   in Loop: Header=BB159_5 Depth=1
	s_delay_alu instid0(VALU_DEP_1) | instskip(SKIP_1) | instid1(VALU_DEP_1)
	v_lshlrev_b64_e32 v[4:5], 4, v[4:5]
	s_wait_alu 0xfffe
	v_add_co_u32 v4, vcc_lo, s44, v4
	s_wait_alu 0xfffd
	s_delay_alu instid0(VALU_DEP_2)
	v_add_co_ci_u32_e64 v5, null, s45, v5, vcc_lo
	global_store_b128 v[4:5], v[0:3], off
	s_branch .LBB159_3
.LBB159_34:
	s_endpgm
	.section	.rodata,"a",@progbits
	.p2align	6, 0x0
	.amdhsa_kernel _ZL20rocblas_gemvn_kernelILi64ELi16El19rocblas_complex_numIdES1_S1_EviiT3_lPKT2_lT1_lS5_lS6_lS2_lPT4_lS6_li
		.amdhsa_group_segment_fixed_size 16384
		.amdhsa_private_segment_fixed_size 0
		.amdhsa_kernarg_size 416
		.amdhsa_user_sgpr_count 2
		.amdhsa_user_sgpr_dispatch_ptr 0
		.amdhsa_user_sgpr_queue_ptr 0
		.amdhsa_user_sgpr_kernarg_segment_ptr 1
		.amdhsa_user_sgpr_dispatch_id 0
		.amdhsa_user_sgpr_private_segment_size 0
		.amdhsa_wavefront_size32 1
		.amdhsa_uses_dynamic_stack 0
		.amdhsa_enable_private_segment 0
		.amdhsa_system_sgpr_workgroup_id_x 1
		.amdhsa_system_sgpr_workgroup_id_y 0
		.amdhsa_system_sgpr_workgroup_id_z 1
		.amdhsa_system_sgpr_workgroup_info 0
		.amdhsa_system_vgpr_workitem_id 1
		.amdhsa_next_free_vgpr 33
		.amdhsa_next_free_sgpr 54
		.amdhsa_reserve_vcc 1
		.amdhsa_float_round_mode_32 0
		.amdhsa_float_round_mode_16_64 0
		.amdhsa_float_denorm_mode_32 3
		.amdhsa_float_denorm_mode_16_64 3
		.amdhsa_fp16_overflow 0
		.amdhsa_workgroup_processor_mode 1
		.amdhsa_memory_ordered 1
		.amdhsa_forward_progress 1
		.amdhsa_inst_pref_size 17
		.amdhsa_round_robin_scheduling 0
		.amdhsa_exception_fp_ieee_invalid_op 0
		.amdhsa_exception_fp_denorm_src 0
		.amdhsa_exception_fp_ieee_div_zero 0
		.amdhsa_exception_fp_ieee_overflow 0
		.amdhsa_exception_fp_ieee_underflow 0
		.amdhsa_exception_fp_ieee_inexact 0
		.amdhsa_exception_int_div_zero 0
	.end_amdhsa_kernel
	.section	.text._ZL20rocblas_gemvn_kernelILi64ELi16El19rocblas_complex_numIdES1_S1_EviiT3_lPKT2_lT1_lS5_lS6_lS2_lPT4_lS6_li,"axG",@progbits,_ZL20rocblas_gemvn_kernelILi64ELi16El19rocblas_complex_numIdES1_S1_EviiT3_lPKT2_lT1_lS5_lS6_lS2_lPT4_lS6_li,comdat
.Lfunc_end159:
	.size	_ZL20rocblas_gemvn_kernelILi64ELi16El19rocblas_complex_numIdES1_S1_EviiT3_lPKT2_lT1_lS5_lS6_lS2_lPT4_lS6_li, .Lfunc_end159-_ZL20rocblas_gemvn_kernelILi64ELi16El19rocblas_complex_numIdES1_S1_EviiT3_lPKT2_lT1_lS5_lS6_lS2_lPT4_lS6_li
                                        ; -- End function
	.set _ZL20rocblas_gemvn_kernelILi64ELi16El19rocblas_complex_numIdES1_S1_EviiT3_lPKT2_lT1_lS5_lS6_lS2_lPT4_lS6_li.num_vgpr, 33
	.set _ZL20rocblas_gemvn_kernelILi64ELi16El19rocblas_complex_numIdES1_S1_EviiT3_lPKT2_lT1_lS5_lS6_lS2_lPT4_lS6_li.num_agpr, 0
	.set _ZL20rocblas_gemvn_kernelILi64ELi16El19rocblas_complex_numIdES1_S1_EviiT3_lPKT2_lT1_lS5_lS6_lS2_lPT4_lS6_li.numbered_sgpr, 54
	.set _ZL20rocblas_gemvn_kernelILi64ELi16El19rocblas_complex_numIdES1_S1_EviiT3_lPKT2_lT1_lS5_lS6_lS2_lPT4_lS6_li.num_named_barrier, 0
	.set _ZL20rocblas_gemvn_kernelILi64ELi16El19rocblas_complex_numIdES1_S1_EviiT3_lPKT2_lT1_lS5_lS6_lS2_lPT4_lS6_li.private_seg_size, 0
	.set _ZL20rocblas_gemvn_kernelILi64ELi16El19rocblas_complex_numIdES1_S1_EviiT3_lPKT2_lT1_lS5_lS6_lS2_lPT4_lS6_li.uses_vcc, 1
	.set _ZL20rocblas_gemvn_kernelILi64ELi16El19rocblas_complex_numIdES1_S1_EviiT3_lPKT2_lT1_lS5_lS6_lS2_lPT4_lS6_li.uses_flat_scratch, 0
	.set _ZL20rocblas_gemvn_kernelILi64ELi16El19rocblas_complex_numIdES1_S1_EviiT3_lPKT2_lT1_lS5_lS6_lS2_lPT4_lS6_li.has_dyn_sized_stack, 0
	.set _ZL20rocblas_gemvn_kernelILi64ELi16El19rocblas_complex_numIdES1_S1_EviiT3_lPKT2_lT1_lS5_lS6_lS2_lPT4_lS6_li.has_recursion, 0
	.set _ZL20rocblas_gemvn_kernelILi64ELi16El19rocblas_complex_numIdES1_S1_EviiT3_lPKT2_lT1_lS5_lS6_lS2_lPT4_lS6_li.has_indirect_call, 0
	.section	.AMDGPU.csdata,"",@progbits
; Kernel info:
; codeLenInByte = 2100
; TotalNumSgprs: 56
; NumVgprs: 33
; ScratchSize: 0
; MemoryBound: 0
; FloatMode: 240
; IeeeMode: 1
; LDSByteSize: 16384 bytes/workgroup (compile time only)
; SGPRBlocks: 0
; VGPRBlocks: 4
; NumSGPRsForWavesPerEU: 56
; NumVGPRsForWavesPerEU: 33
; Occupancy: 16
; WaveLimiterHint : 1
; COMPUTE_PGM_RSRC2:SCRATCH_EN: 0
; COMPUTE_PGM_RSRC2:USER_SGPR: 2
; COMPUTE_PGM_RSRC2:TRAP_HANDLER: 0
; COMPUTE_PGM_RSRC2:TGID_X_EN: 1
; COMPUTE_PGM_RSRC2:TGID_Y_EN: 0
; COMPUTE_PGM_RSRC2:TGID_Z_EN: 1
; COMPUTE_PGM_RSRC2:TIDIG_COMP_CNT: 1
	.section	.text._ZL22rocblas_gemvtsm_kernelILb0ELi256E19rocblas_complex_numIdEPKS1_S1_EviiT2_lPKT1_lilS7_lilS4_lPT3_lil,"axG",@progbits,_ZL22rocblas_gemvtsm_kernelILb0ELi256E19rocblas_complex_numIdEPKS1_S1_EviiT2_lPKT1_lilS7_lilS4_lPT3_lil,comdat
	.globl	_ZL22rocblas_gemvtsm_kernelILb0ELi256E19rocblas_complex_numIdEPKS1_S1_EviiT2_lPKT1_lilS7_lilS4_lPT3_lil ; -- Begin function _ZL22rocblas_gemvtsm_kernelILb0ELi256E19rocblas_complex_numIdEPKS1_S1_EviiT2_lPKT1_lilS7_lilS4_lPT3_lil
	.p2align	8
	.type	_ZL22rocblas_gemvtsm_kernelILb0ELi256E19rocblas_complex_numIdEPKS1_S1_EviiT2_lPKT1_lilS7_lilS4_lPT3_lil,@function
_ZL22rocblas_gemvtsm_kernelILb0ELi256E19rocblas_complex_numIdEPKS1_S1_EviiT2_lPKT1_lilS7_lilS4_lPT3_lil: ; @_ZL22rocblas_gemvtsm_kernelILb0ELi256E19rocblas_complex_numIdEPKS1_S1_EviiT2_lPKT1_lilS7_lilS4_lPT3_lil
; %bb.0:
	s_load_b256 s[4:11], s[0:1], 0x8
	s_mov_b32 s34, ttmp9
	s_mov_b32 s35, 0
	s_wait_kmcnt 0x0
	s_mul_u64 s[2:3], s[6:7], s[34:35]
	s_delay_alu instid0(SALU_CYCLE_1) | instskip(NEXT) | instid1(SALU_CYCLE_1)
	s_lshl_b64 s[2:3], s[2:3], 4
	s_add_nc_u64 s[2:3], s[4:5], s[2:3]
	s_load_b128 s[20:23], s[2:3], 0x0
	s_load_b256 s[12:19], s[0:1], 0x50
	s_wait_kmcnt 0x0
	v_cmp_neq_f64_e64 s24, s[20:21], 0
	v_cmp_neq_f64_e64 s25, s[22:23], 0
	s_mul_u64 s[2:3], s[16:17], s[34:35]
	s_delay_alu instid0(SALU_CYCLE_1) | instskip(NEXT) | instid1(SALU_CYCLE_1)
	s_lshl_b64 s[2:3], s[2:3], 4
	s_add_nc_u64 s[2:3], s[14:15], s[2:3]
	s_load_b128 s[4:7], s[2:3], 0x0
	s_mov_b32 s2, -1
	s_or_b32 s14, s24, s25
	s_delay_alu instid0(SALU_CYCLE_1)
	s_and_b32 vcc_lo, exec_lo, s14
	s_cbranch_vccnz .LBB160_2
; %bb.1:
	s_wait_kmcnt 0x0
	v_cmp_neq_f64_e64 s2, s[4:5], 1.0
	v_cmp_neq_f64_e64 s3, s[6:7], 0
	s_or_b32 s2, s2, s3
.LBB160_2:
	s_delay_alu instid0(SALU_CYCLE_1)
	s_and_not1_b32 vcc_lo, exec_lo, s2
	s_cbranch_vccnz .LBB160_36
; %bb.3:
	s_clause 0x2
	s_load_b64 s[16:17], s[0:1], 0x80
	s_load_b96 s[28:30], s[0:1], 0x70
	s_load_b64 s[2:3], s[0:1], 0x0
	s_xor_b32 s14, s14, -1
	s_delay_alu instid0(SALU_CYCLE_1)
	s_and_not1_b32 vcc_lo, exec_lo, s14
	s_wait_kmcnt 0x0
	s_mul_u64 s[14:15], s[16:17], s[34:35]
	s_mov_b32 s16, -1
	s_cbranch_vccnz .LBB160_18
; %bb.4:
	v_cmp_neq_f64_e64 s16, s[4:5], 0
	v_cmp_neq_f64_e64 s17, s[6:7], 0
	s_or_b32 s16, s16, s17
	s_cmp_gt_i32 s3, 0
	s_cselect_b32 s24, -1, 0
	s_and_b32 vcc_lo, exec_lo, s16
	s_mov_b32 s16, -1
	s_cbranch_vccnz .LBB160_11
; %bb.5:
	s_and_not1_b32 vcc_lo, exec_lo, s24
	s_cbranch_vccnz .LBB160_10
; %bb.6:
	v_mad_co_i64_i32 v[1:2], null, s30, v0, 0
	s_lshl_b64 s[16:17], s[28:29], 4
	s_lshl_b64 s[26:27], s[14:15], 4
	s_add_nc_u64 s[16:17], s[18:19], s[16:17]
	s_ashr_i32 s37, s30, 31
	s_add_nc_u64 s[16:17], s[16:17], s[26:27]
	s_mov_b32 s36, s30
	v_lshlrev_b64_e32 v[1:2], 4, v[1:2]
	s_mov_b32 s25, 0
	s_delay_alu instid0(VALU_DEP_1) | instskip(NEXT) | instid1(VALU_DEP_1)
	v_add_co_u32 v1, vcc_lo, s16, v1
	v_add_co_ci_u32_e64 v2, null, s17, v2, vcc_lo
	s_lshl_b64 s[16:17], s[36:37], 12
	v_add_co_u32 v5, vcc_lo, v1, 8
	s_wait_alu 0xfffd
	v_add_co_ci_u32_e64 v6, null, 0, v2, vcc_lo
	v_mov_b32_e32 v1, 0
	s_branch .LBB160_8
.LBB160_7:                              ;   in Loop: Header=BB160_8 Depth=1
	s_or_b32 exec_lo, exec_lo, s26
	s_wait_alu 0xfffe
	v_add_co_u32 v5, vcc_lo, v5, s16
	s_wait_alu 0xfffd
	v_add_co_ci_u32_e64 v6, null, s17, v6, vcc_lo
	s_addk_co_i32 s25, 0x100
	s_wait_alu 0xfffe
	s_cmp_ge_i32 s25, s3
	s_cbranch_scc1 .LBB160_10
.LBB160_8:                              ; =>This Inner Loop Header: Depth=1
	v_add_nc_u32_e32 v2, s25, v0
	s_mov_b32 s26, exec_lo
	s_delay_alu instid0(VALU_DEP_1)
	v_cmpx_gt_i32_e64 s3, v2
	s_cbranch_execz .LBB160_7
; %bb.9:                                ;   in Loop: Header=BB160_8 Depth=1
	v_dual_mov_b32 v2, v1 :: v_dual_mov_b32 v3, v1
	v_mov_b32_e32 v4, v1
	global_store_b128 v[5:6], v[1:4], off offset:-8
	s_branch .LBB160_7
.LBB160_10:
	s_mov_b32 s16, 0
.LBB160_11:
	s_wait_alu 0xfffe
	s_and_not1_b32 vcc_lo, exec_lo, s16
	s_wait_alu 0xfffe
	s_cbranch_vccnz .LBB160_17
; %bb.12:
	s_and_not1_b32 vcc_lo, exec_lo, s24
	s_wait_alu 0xfffe
	s_cbranch_vccnz .LBB160_17
; %bb.13:
	v_mad_co_i64_i32 v[1:2], null, s30, v0, 0
	s_lshl_b64 s[16:17], s[28:29], 4
	s_lshl_b64 s[24:25], s[14:15], 4
	s_wait_alu 0xfffe
	s_add_nc_u64 s[16:17], s[18:19], s[16:17]
	s_ashr_i32 s27, s30, 31
	s_wait_alu 0xfffe
	s_add_nc_u64 s[16:17], s[16:17], s[24:25]
	s_mov_b32 s26, s30
	v_lshlrev_b64_e32 v[1:2], 4, v[1:2]
	s_mov_b32 s24, 0
	s_wait_alu 0xfffe
	s_delay_alu instid0(VALU_DEP_1) | instskip(SKIP_1) | instid1(VALU_DEP_2)
	v_add_co_u32 v1, vcc_lo, s16, v1
	s_wait_alu 0xfffd
	v_add_co_ci_u32_e64 v2, null, s17, v2, vcc_lo
	s_lshl_b64 s[16:17], s[26:27], 12
	v_add_co_u32 v1, vcc_lo, v1, 8
	s_wait_alu 0xfffd
	v_add_co_ci_u32_e64 v2, null, 0, v2, vcc_lo
	s_branch .LBB160_15
.LBB160_14:                             ;   in Loop: Header=BB160_15 Depth=1
	s_wait_alu 0xfffe
	s_or_b32 exec_lo, exec_lo, s25
	v_add_co_u32 v1, vcc_lo, v1, s16
	s_wait_alu 0xfffd
	v_add_co_ci_u32_e64 v2, null, s17, v2, vcc_lo
	s_addk_co_i32 s24, 0x100
	s_wait_alu 0xfffe
	s_cmp_ge_i32 s24, s3
	s_cbranch_scc1 .LBB160_17
.LBB160_15:                             ; =>This Inner Loop Header: Depth=1
	v_add_nc_u32_e32 v3, s24, v0
	s_mov_b32 s25, exec_lo
	s_delay_alu instid0(VALU_DEP_1)
	v_cmpx_gt_i32_e64 s3, v3
	s_cbranch_execz .LBB160_14
; %bb.16:                               ;   in Loop: Header=BB160_15 Depth=1
	global_load_b128 v[3:6], v[1:2], off offset:-8
	s_wait_loadcnt 0x0
	v_mul_f64_e32 v[7:8], s[6:7], v[5:6]
	v_mul_f64_e32 v[9:10], s[4:5], v[5:6]
	s_delay_alu instid0(VALU_DEP_2) | instskip(NEXT) | instid1(VALU_DEP_2)
	v_fma_f64 v[5:6], s[4:5], v[3:4], -v[7:8]
	v_fma_f64 v[7:8], s[6:7], v[3:4], v[9:10]
	global_store_b128 v[1:2], v[5:8], off offset:-8
	s_branch .LBB160_14
.LBB160_17:
	s_mov_b32 s16, 0
.LBB160_18:
	s_wait_alu 0xfffe
	s_and_not1_b32 vcc_lo, exec_lo, s16
	s_wait_alu 0xfffe
	s_cbranch_vccnz .LBB160_36
; %bb.19:
	s_clause 0x1
	s_load_b128 s[24:27], s[0:1], 0x30
	s_load_b64 s[16:17], s[0:1], 0x40
	s_mov_b32 s31, exec_lo
	v_cmpx_gt_i32_e64 s2, v0
	s_cbranch_execz .LBB160_21
; %bb.20:
	s_load_b32 s33, s[0:1], 0x48
	s_mul_u64 s[12:13], s[12:13], s[34:35]
	s_wait_kmcnt 0x0
	s_lshl_b64 s[16:17], s[16:17], 4
	s_lshl_b64 s[12:13], s[12:13], 4
	s_delay_alu instid0(SALU_CYCLE_1) | instskip(SKIP_3) | instid1(VALU_DEP_1)
	s_add_nc_u64 s[12:13], s[26:27], s[12:13]
	s_wait_alu 0xfffe
	s_add_nc_u64 s[12:13], s[12:13], s[16:17]
	v_mad_co_i64_i32 v[1:2], null, s33, v0, 0
	v_lshlrev_b64_e32 v[1:2], 4, v[1:2]
	s_delay_alu instid0(VALU_DEP_1) | instskip(SKIP_1) | instid1(VALU_DEP_2)
	v_add_co_u32 v1, vcc_lo, s12, v1
	s_wait_alu 0xfffd
	v_add_co_ci_u32_e64 v2, null, s13, v2, vcc_lo
	global_load_b128 v[1:4], v[1:2], off
	s_wait_loadcnt 0x0
	v_mul_f64_e32 v[5:6], s[22:23], v[3:4]
	v_mul_f64_e32 v[7:8], s[20:21], v[3:4]
	s_delay_alu instid0(VALU_DEP_2) | instskip(NEXT) | instid1(VALU_DEP_2)
	v_fma_f64 v[3:4], s[20:21], v[1:2], -v[5:6]
	v_fma_f64 v[5:6], s[22:23], v[1:2], v[7:8]
	v_lshlrev_b32_e32 v1, 4, v0
	ds_store_b128 v1, v[3:6]
.LBB160_21:
	s_wait_alu 0xfffe
	s_or_b32 exec_lo, exec_lo, s31
	s_cmp_lt_i32 s3, 1
	s_wait_storecnt_dscnt 0x0
	s_barrier_signal -1
	s_barrier_wait -1
	global_inv scope:SCOPE_SE
	s_cbranch_scc1 .LBB160_36
; %bb.22:
	s_wait_kmcnt 0x0
	v_cmp_neq_f64_e64 s16, s[4:5], 0
	v_cmp_neq_f64_e64 s17, s[6:7], 0
	s_load_b32 s20, s[0:1], 0x28
	s_lshl_b64 s[0:1], s[14:15], 4
	s_lshl_b64 s[22:23], s[28:29], 4
	s_ashr_i32 s12, s30, 31
	s_mul_u64 s[24:25], s[24:25], s[34:35]
	s_add_nc_u64 s[0:1], s[18:19], s[0:1]
	s_mov_b32 s13, s30
	s_wait_alu 0xfffe
	s_add_nc_u64 s[0:1], s[0:1], s[22:23]
	s_mov_b32 s19, 0
	s_wait_kmcnt 0x0
	s_ashr_i32 s21, s20, 31
	v_mad_co_i64_i32 v[1:2], null, s20, v0, 0
	s_delay_alu instid0(VALU_DEP_1)
	v_lshlrev_b64_e32 v[1:2], 4, v[1:2]
	s_or_b32 s14, s16, s17
	s_cmp_gt_i32 s2, 0
	s_cselect_b32 s15, -1, 0
	s_and_b32 s16, s2, 7
	s_cmp_gt_u32 s2, 7
	s_cselect_b32 s17, -1, 0
	s_and_b32 s2, s2, 0x7ffffff8
	s_wait_alu 0xfffe
	s_cmp_lg_u32 s16, 0
	s_cselect_b32 s18, -1, 0
	s_lshl_b64 s[10:11], s[10:11], 4
	s_lshl_b64 s[22:23], s[24:25], 4
	s_add_nc_u64 s[8:9], s[8:9], s[10:11]
	s_lshl_b64 s[10:11], s[20:21], 12
	s_wait_alu 0xfffe
	s_add_nc_u64 s[8:9], s[8:9], s[22:23]
	s_delay_alu instid0(SALU_CYCLE_1)
	v_add_co_u32 v11, vcc_lo, s8, v1
	s_wait_alu 0xfffd
	v_add_co_ci_u32_e64 v12, null, s9, v2, vcc_lo
	s_mov_b32 s9, 0
	v_add_co_u32 v5, vcc_lo, 0x78, v11
	s_wait_alu 0xfffd
	v_add_co_ci_u32_e64 v6, null, 0, v12, vcc_lo
	s_branch .LBB160_25
.LBB160_23:                             ;   in Loop: Header=BB160_25 Depth=1
	v_add_co_u32 v7, vcc_lo, s0, v7
	s_wait_alu 0xfffd
	v_add_co_ci_u32_e64 v8, null, s1, v8, vcc_lo
	global_store_b128 v[7:8], v[1:4], off
.LBB160_24:                             ;   in Loop: Header=BB160_25 Depth=1
	s_wait_alu 0xfffe
	s_or_b32 exec_lo, exec_lo, s20
	v_add_co_u32 v5, vcc_lo, v5, s10
	s_wait_alu 0xfffd
	v_add_co_ci_u32_e64 v6, null, s11, v6, vcc_lo
	v_add_co_u32 v11, vcc_lo, v11, s10
	s_wait_alu 0xfffd
	v_add_co_ci_u32_e64 v12, null, s11, v12, vcc_lo
	s_addk_co_i32 s19, 0x100
	s_wait_alu 0xfffe
	s_cmp_ge_i32 s19, s3
	s_cbranch_scc1 .LBB160_36
.LBB160_25:                             ; =>This Loop Header: Depth=1
                                        ;     Child Loop BB160_31 Depth 2
                                        ;     Child Loop BB160_35 Depth 2
	v_add_nc_u32_e32 v1, s19, v0
	s_mov_b32 s20, exec_lo
	s_delay_alu instid0(VALU_DEP_1)
	v_cmpx_gt_i32_e64 s3, v1
	s_cbranch_execz .LBB160_24
; %bb.26:                               ;   in Loop: Header=BB160_25 Depth=1
	v_mad_co_u64_u32 v[3:4], null, v1, s13, 0
	s_and_not1_b32 vcc_lo, exec_lo, s14
	v_mov_b32_e32 v2, v4
	s_delay_alu instid0(VALU_DEP_1) | instskip(NEXT) | instid1(VALU_DEP_1)
	v_mad_co_u64_u32 v[1:2], null, v1, s12, v[2:3]
	v_dual_mov_b32 v4, v1 :: v_dual_mov_b32 v1, 0
	v_mov_b32_e32 v2, 0
	s_delay_alu instid0(VALU_DEP_2)
	v_lshlrev_b64_e32 v[7:8], 4, v[3:4]
	v_mov_b32_e32 v3, 0
	v_mov_b32_e32 v4, 0
	s_wait_alu 0xfffe
	s_cbranch_vccnz .LBB160_28
; %bb.27:                               ;   in Loop: Header=BB160_25 Depth=1
	s_delay_alu instid0(VALU_DEP_3)
	v_add_co_u32 v1, vcc_lo, s0, v7
	s_wait_alu 0xfffd
	v_add_co_ci_u32_e64 v2, null, s1, v8, vcc_lo
	global_load_b128 v[13:16], v[1:2], off
	s_wait_loadcnt 0x0
	v_mul_f64_e32 v[1:2], s[6:7], v[15:16]
	v_mul_f64_e32 v[3:4], s[4:5], v[15:16]
	s_delay_alu instid0(VALU_DEP_2) | instskip(NEXT) | instid1(VALU_DEP_2)
	v_fma_f64 v[1:2], s[4:5], v[13:14], -v[1:2]
	v_fma_f64 v[3:4], s[6:7], v[13:14], v[3:4]
.LBB160_28:                             ;   in Loop: Header=BB160_25 Depth=1
	s_and_not1_b32 vcc_lo, exec_lo, s15
	s_wait_alu 0xfffe
	s_cbranch_vccnz .LBB160_23
; %bb.29:                               ;   in Loop: Header=BB160_25 Depth=1
	s_and_not1_b32 vcc_lo, exec_lo, s17
	s_mov_b32 s8, 0
	s_wait_alu 0xfffe
	s_cbranch_vccnz .LBB160_33
; %bb.30:                               ;   in Loop: Header=BB160_25 Depth=1
	v_dual_mov_b32 v10, v6 :: v_dual_mov_b32 v9, v5
	s_mov_b32 s21, 0
.LBB160_31:                             ;   Parent Loop BB160_25 Depth=1
                                        ; =>  This Inner Loop Header: Depth=2
	s_clause 0x7
	global_load_b128 v[13:16], v[9:10], off offset:-120
	global_load_b128 v[17:20], v[9:10], off offset:-104
	;; [unrolled: 1-line block ×8, first 2 shown]
	v_mov_b32_e32 v61, s8
	v_add_co_u32 v9, vcc_lo, 0x80, v9
	s_wait_alu 0xfffd
	v_add_co_ci_u32_e64 v10, null, 0, v10, vcc_lo
	ds_load_b128 v[45:48], v61
	ds_load_b128 v[49:52], v61 offset:16
	s_wait_alu 0xfffe
	s_add_co_i32 s21, s21, 8
	s_addk_co_i32 s8, 0x80
	s_wait_alu 0xfffe
	s_cmp_eq_u32 s2, s21
	s_wait_loadcnt_dscnt 0x701
	v_mul_f64_e32 v[53:54], v[15:16], v[47:48]
	v_mul_f64_e32 v[47:48], v[13:14], v[47:48]
	s_wait_loadcnt_dscnt 0x600
	v_mul_f64_e32 v[55:56], v[19:20], v[51:52]
	v_mul_f64_e32 v[51:52], v[17:18], v[51:52]
	s_delay_alu instid0(VALU_DEP_4) | instskip(NEXT) | instid1(VALU_DEP_4)
	v_fma_f64 v[53:54], v[13:14], v[45:46], -v[53:54]
	v_fma_f64 v[57:58], v[15:16], v[45:46], v[47:48]
	ds_load_b128 v[13:16], v61 offset:32
	ds_load_b128 v[45:48], v61 offset:48
	v_fma_f64 v[17:18], v[17:18], v[49:50], -v[55:56]
	v_fma_f64 v[19:20], v[19:20], v[49:50], v[51:52]
	s_wait_loadcnt_dscnt 0x501
	v_mul_f64_e32 v[59:60], v[23:24], v[15:16]
	v_mul_f64_e32 v[15:16], v[21:22], v[15:16]
	s_wait_loadcnt_dscnt 0x400
	v_mul_f64_e32 v[49:50], v[27:28], v[47:48]
	v_mul_f64_e32 v[47:48], v[25:26], v[47:48]
	v_add_f64_e32 v[1:2], v[1:2], v[53:54]
	v_add_f64_e32 v[3:4], v[3:4], v[57:58]
	v_fma_f64 v[21:22], v[21:22], v[13:14], -v[59:60]
	v_fma_f64 v[23:24], v[23:24], v[13:14], v[15:16]
	v_fma_f64 v[25:26], v[25:26], v[45:46], -v[49:50]
	v_fma_f64 v[27:28], v[27:28], v[45:46], v[47:48]
	v_add_f64_e32 v[17:18], v[1:2], v[17:18]
	v_add_f64_e32 v[19:20], v[3:4], v[19:20]
	ds_load_b128 v[1:4], v61 offset:64
	ds_load_b128 v[13:16], v61 offset:80
	s_wait_loadcnt_dscnt 0x301
	v_mul_f64_e32 v[51:52], v[31:32], v[3:4]
	v_mul_f64_e32 v[3:4], v[29:30], v[3:4]
	v_add_f64_e32 v[17:18], v[17:18], v[21:22]
	v_add_f64_e32 v[19:20], v[19:20], v[23:24]
	s_wait_loadcnt_dscnt 0x200
	v_mul_f64_e32 v[21:22], v[35:36], v[15:16]
	v_mul_f64_e32 v[23:24], v[33:34], v[15:16]
	v_fma_f64 v[29:30], v[29:30], v[1:2], -v[51:52]
	v_fma_f64 v[31:32], v[31:32], v[1:2], v[3:4]
	v_add_f64_e32 v[25:26], v[17:18], v[25:26]
	v_add_f64_e32 v[19:20], v[19:20], v[27:28]
	ds_load_b128 v[1:4], v61 offset:96
	ds_load_b128 v[15:18], v61 offset:112
	v_fma_f64 v[21:22], v[33:34], v[13:14], -v[21:22]
	v_fma_f64 v[13:14], v[35:36], v[13:14], v[23:24]
	s_wait_loadcnt_dscnt 0x101
	v_mul_f64_e32 v[27:28], v[39:40], v[3:4]
	v_mul_f64_e32 v[3:4], v[37:38], v[3:4]
	v_add_f64_e32 v[23:24], v[25:26], v[29:30]
	v_add_f64_e32 v[19:20], v[19:20], v[31:32]
	s_wait_loadcnt_dscnt 0x0
	v_mul_f64_e32 v[25:26], v[43:44], v[17:18]
	v_mul_f64_e32 v[17:18], v[41:42], v[17:18]
	v_fma_f64 v[27:28], v[37:38], v[1:2], -v[27:28]
	v_fma_f64 v[1:2], v[39:40], v[1:2], v[3:4]
	v_add_f64_e32 v[3:4], v[23:24], v[21:22]
	v_add_f64_e32 v[13:14], v[19:20], v[13:14]
	v_fma_f64 v[19:20], v[41:42], v[15:16], -v[25:26]
	v_fma_f64 v[15:16], v[43:44], v[15:16], v[17:18]
	s_delay_alu instid0(VALU_DEP_4) | instskip(NEXT) | instid1(VALU_DEP_4)
	v_add_f64_e32 v[3:4], v[3:4], v[27:28]
	v_add_f64_e32 v[13:14], v[13:14], v[1:2]
	s_delay_alu instid0(VALU_DEP_2) | instskip(NEXT) | instid1(VALU_DEP_2)
	v_add_f64_e32 v[1:2], v[3:4], v[19:20]
	v_add_f64_e32 v[3:4], v[13:14], v[15:16]
	s_cbranch_scc0 .LBB160_31
; %bb.32:                               ;   in Loop: Header=BB160_25 Depth=1
	s_mov_b32 s8, s2
.LBB160_33:                             ;   in Loop: Header=BB160_25 Depth=1
	s_and_not1_b32 vcc_lo, exec_lo, s18
	s_wait_alu 0xfffe
	s_cbranch_vccnz .LBB160_23
; %bb.34:                               ;   in Loop: Header=BB160_25 Depth=1
	s_lshl_b64 s[22:23], s[8:9], 4
	s_lshl_b32 s8, s8, 4
	s_wait_alu 0xfffe
	v_add_co_u32 v9, vcc_lo, v11, s22
	s_wait_alu 0xfffd
	v_add_co_ci_u32_e64 v10, null, s23, v12, vcc_lo
	s_mov_b32 s21, s16
.LBB160_35:                             ;   Parent Loop BB160_25 Depth=1
                                        ; =>  This Inner Loop Header: Depth=2
	global_load_b128 v[13:16], v[9:10], off
	v_mov_b32_e32 v17, s8
	v_add_co_u32 v9, vcc_lo, v9, 16
	s_wait_alu 0xfffd
	v_add_co_ci_u32_e64 v10, null, 0, v10, vcc_lo
	ds_load_b128 v[17:20], v17
	s_wait_alu 0xfffe
	s_add_co_i32 s21, s21, -1
	s_add_co_i32 s8, s8, 16
	s_wait_alu 0xfffe
	s_cmp_lg_u32 s21, 0
	s_wait_loadcnt_dscnt 0x0
	v_mul_f64_e32 v[21:22], v[15:16], v[19:20]
	v_mul_f64_e32 v[19:20], v[13:14], v[19:20]
	s_delay_alu instid0(VALU_DEP_2) | instskip(NEXT) | instid1(VALU_DEP_2)
	v_fma_f64 v[13:14], v[13:14], v[17:18], -v[21:22]
	v_fma_f64 v[15:16], v[15:16], v[17:18], v[19:20]
	s_delay_alu instid0(VALU_DEP_2) | instskip(NEXT) | instid1(VALU_DEP_2)
	v_add_f64_e32 v[1:2], v[1:2], v[13:14]
	v_add_f64_e32 v[3:4], v[3:4], v[15:16]
	s_cbranch_scc1 .LBB160_35
	s_branch .LBB160_23
.LBB160_36:
	s_endpgm
	.section	.rodata,"a",@progbits
	.p2align	6, 0x0
	.amdhsa_kernel _ZL22rocblas_gemvtsm_kernelILb0ELi256E19rocblas_complex_numIdEPKS1_S1_EviiT2_lPKT1_lilS7_lilS4_lPT3_lil
		.amdhsa_group_segment_fixed_size 1024
		.amdhsa_private_segment_fixed_size 0
		.amdhsa_kernarg_size 136
		.amdhsa_user_sgpr_count 2
		.amdhsa_user_sgpr_dispatch_ptr 0
		.amdhsa_user_sgpr_queue_ptr 0
		.amdhsa_user_sgpr_kernarg_segment_ptr 1
		.amdhsa_user_sgpr_dispatch_id 0
		.amdhsa_user_sgpr_private_segment_size 0
		.amdhsa_wavefront_size32 1
		.amdhsa_uses_dynamic_stack 0
		.amdhsa_enable_private_segment 0
		.amdhsa_system_sgpr_workgroup_id_x 1
		.amdhsa_system_sgpr_workgroup_id_y 0
		.amdhsa_system_sgpr_workgroup_id_z 0
		.amdhsa_system_sgpr_workgroup_info 0
		.amdhsa_system_vgpr_workitem_id 0
		.amdhsa_next_free_vgpr 62
		.amdhsa_next_free_sgpr 38
		.amdhsa_reserve_vcc 1
		.amdhsa_float_round_mode_32 0
		.amdhsa_float_round_mode_16_64 0
		.amdhsa_float_denorm_mode_32 3
		.amdhsa_float_denorm_mode_16_64 3
		.amdhsa_fp16_overflow 0
		.amdhsa_workgroup_processor_mode 1
		.amdhsa_memory_ordered 1
		.amdhsa_forward_progress 1
		.amdhsa_inst_pref_size 17
		.amdhsa_round_robin_scheduling 0
		.amdhsa_exception_fp_ieee_invalid_op 0
		.amdhsa_exception_fp_denorm_src 0
		.amdhsa_exception_fp_ieee_div_zero 0
		.amdhsa_exception_fp_ieee_overflow 0
		.amdhsa_exception_fp_ieee_underflow 0
		.amdhsa_exception_fp_ieee_inexact 0
		.amdhsa_exception_int_div_zero 0
	.end_amdhsa_kernel
	.section	.text._ZL22rocblas_gemvtsm_kernelILb0ELi256E19rocblas_complex_numIdEPKS1_S1_EviiT2_lPKT1_lilS7_lilS4_lPT3_lil,"axG",@progbits,_ZL22rocblas_gemvtsm_kernelILb0ELi256E19rocblas_complex_numIdEPKS1_S1_EviiT2_lPKT1_lilS7_lilS4_lPT3_lil,comdat
.Lfunc_end160:
	.size	_ZL22rocblas_gemvtsm_kernelILb0ELi256E19rocblas_complex_numIdEPKS1_S1_EviiT2_lPKT1_lilS7_lilS4_lPT3_lil, .Lfunc_end160-_ZL22rocblas_gemvtsm_kernelILb0ELi256E19rocblas_complex_numIdEPKS1_S1_EviiT2_lPKT1_lilS7_lilS4_lPT3_lil
                                        ; -- End function
	.set _ZL22rocblas_gemvtsm_kernelILb0ELi256E19rocblas_complex_numIdEPKS1_S1_EviiT2_lPKT1_lilS7_lilS4_lPT3_lil.num_vgpr, 62
	.set _ZL22rocblas_gemvtsm_kernelILb0ELi256E19rocblas_complex_numIdEPKS1_S1_EviiT2_lPKT1_lilS7_lilS4_lPT3_lil.num_agpr, 0
	.set _ZL22rocblas_gemvtsm_kernelILb0ELi256E19rocblas_complex_numIdEPKS1_S1_EviiT2_lPKT1_lilS7_lilS4_lPT3_lil.numbered_sgpr, 38
	.set _ZL22rocblas_gemvtsm_kernelILb0ELi256E19rocblas_complex_numIdEPKS1_S1_EviiT2_lPKT1_lilS7_lilS4_lPT3_lil.num_named_barrier, 0
	.set _ZL22rocblas_gemvtsm_kernelILb0ELi256E19rocblas_complex_numIdEPKS1_S1_EviiT2_lPKT1_lilS7_lilS4_lPT3_lil.private_seg_size, 0
	.set _ZL22rocblas_gemvtsm_kernelILb0ELi256E19rocblas_complex_numIdEPKS1_S1_EviiT2_lPKT1_lilS7_lilS4_lPT3_lil.uses_vcc, 1
	.set _ZL22rocblas_gemvtsm_kernelILb0ELi256E19rocblas_complex_numIdEPKS1_S1_EviiT2_lPKT1_lilS7_lilS4_lPT3_lil.uses_flat_scratch, 0
	.set _ZL22rocblas_gemvtsm_kernelILb0ELi256E19rocblas_complex_numIdEPKS1_S1_EviiT2_lPKT1_lilS7_lilS4_lPT3_lil.has_dyn_sized_stack, 0
	.set _ZL22rocblas_gemvtsm_kernelILb0ELi256E19rocblas_complex_numIdEPKS1_S1_EviiT2_lPKT1_lilS7_lilS4_lPT3_lil.has_recursion, 0
	.set _ZL22rocblas_gemvtsm_kernelILb0ELi256E19rocblas_complex_numIdEPKS1_S1_EviiT2_lPKT1_lilS7_lilS4_lPT3_lil.has_indirect_call, 0
	.section	.AMDGPU.csdata,"",@progbits
; Kernel info:
; codeLenInByte = 2128
; TotalNumSgprs: 40
; NumVgprs: 62
; ScratchSize: 0
; MemoryBound: 0
; FloatMode: 240
; IeeeMode: 1
; LDSByteSize: 1024 bytes/workgroup (compile time only)
; SGPRBlocks: 0
; VGPRBlocks: 7
; NumSGPRsForWavesPerEU: 40
; NumVGPRsForWavesPerEU: 62
; Occupancy: 16
; WaveLimiterHint : 1
; COMPUTE_PGM_RSRC2:SCRATCH_EN: 0
; COMPUTE_PGM_RSRC2:USER_SGPR: 2
; COMPUTE_PGM_RSRC2:TRAP_HANDLER: 0
; COMPUTE_PGM_RSRC2:TGID_X_EN: 1
; COMPUTE_PGM_RSRC2:TGID_Y_EN: 0
; COMPUTE_PGM_RSRC2:TGID_Z_EN: 0
; COMPUTE_PGM_RSRC2:TIDIG_COMP_CNT: 0
	.section	.text._ZL22rocblas_gemvtsm_kernelILb0ELi256E19rocblas_complex_numIdES1_S1_EviiT2_lPKT1_lilS5_lilS2_lPT3_lil,"axG",@progbits,_ZL22rocblas_gemvtsm_kernelILb0ELi256E19rocblas_complex_numIdES1_S1_EviiT2_lPKT1_lilS5_lilS2_lPT3_lil,comdat
	.globl	_ZL22rocblas_gemvtsm_kernelILb0ELi256E19rocblas_complex_numIdES1_S1_EviiT2_lPKT1_lilS5_lilS2_lPT3_lil ; -- Begin function _ZL22rocblas_gemvtsm_kernelILb0ELi256E19rocblas_complex_numIdES1_S1_EviiT2_lPKT1_lilS5_lilS2_lPT3_lil
	.p2align	8
	.type	_ZL22rocblas_gemvtsm_kernelILb0ELi256E19rocblas_complex_numIdES1_S1_EviiT2_lPKT1_lilS5_lilS2_lPT3_lil,@function
_ZL22rocblas_gemvtsm_kernelILb0ELi256E19rocblas_complex_numIdES1_S1_EviiT2_lPKT1_lilS5_lilS2_lPT3_lil: ; @_ZL22rocblas_gemvtsm_kernelILb0ELi256E19rocblas_complex_numIdES1_S1_EviiT2_lPKT1_lilS5_lilS2_lPT3_lil
; %bb.0:
	s_clause 0x2
	s_load_b128 s[12:15], s[0:1], 0x8
	s_load_b128 s[4:7], s[0:1], 0x58
	s_load_b64 s[2:3], s[0:1], 0x68
	s_wait_kmcnt 0x0
	v_cmp_neq_f64_e64 s8, s[12:13], 0
	v_cmp_neq_f64_e64 s9, s[14:15], 0
	s_or_b32 s16, s8, s9
	s_mov_b32 s8, -1
	s_and_b32 vcc_lo, exec_lo, s16
	s_cbranch_vccnz .LBB161_2
; %bb.1:
	v_cmp_neq_f64_e64 s8, s[6:7], 1.0
	v_cmp_neq_f64_e64 s9, s[2:3], 0
	s_or_b32 s8, s8, s9
.LBB161_2:
	s_delay_alu instid0(SALU_CYCLE_1)
	s_and_not1_b32 vcc_lo, exec_lo, s8
	s_cbranch_vccnz .LBB161_36
; %bb.3:
	s_clause 0x3
	s_load_b64 s[18:19], s[0:1], 0x90
	s_load_b32 s20, s[0:1], 0x88
	s_load_b64 s[22:23], s[0:1], 0x0
	s_load_b128 s[8:11], s[0:1], 0x78
	s_mov_b32 s24, ttmp9
	s_xor_b32 s16, s16, -1
	s_mov_b32 s25, 0
	s_and_not1_b32 vcc_lo, exec_lo, s16
	s_mov_b32 s16, -1
	s_wait_kmcnt 0x0
	s_mul_u64 s[26:27], s[18:19], s[24:25]
	s_cbranch_vccnz .LBB161_18
; %bb.4:
	v_cmp_neq_f64_e64 s16, s[6:7], 0
	v_cmp_neq_f64_e64 s17, s[2:3], 0
	s_or_b32 s16, s16, s17
	s_cmp_gt_i32 s23, 0
	s_cselect_b32 s18, -1, 0
	s_and_b32 vcc_lo, exec_lo, s16
	s_mov_b32 s16, -1
	s_cbranch_vccnz .LBB161_11
; %bb.5:
	s_and_not1_b32 vcc_lo, exec_lo, s18
	s_cbranch_vccnz .LBB161_10
; %bb.6:
	v_mad_co_i64_i32 v[1:2], null, s20, v0, 0
	s_lshl_b64 s[16:17], s[10:11], 4
	s_lshl_b64 s[28:29], s[26:27], 4
	s_add_nc_u64 s[16:17], s[8:9], s[16:17]
	s_ashr_i32 s21, s20, 31
	s_add_nc_u64 s[16:17], s[16:17], s[28:29]
	s_mov_b32 s19, 0
	v_lshlrev_b64_e32 v[1:2], 4, v[1:2]
	s_delay_alu instid0(VALU_DEP_1) | instskip(NEXT) | instid1(VALU_DEP_1)
	v_add_co_u32 v1, vcc_lo, s16, v1
	v_add_co_ci_u32_e64 v2, null, s17, v2, vcc_lo
	s_wait_alu 0xfffe
	s_lshl_b64 s[16:17], s[20:21], 12
	s_delay_alu instid0(VALU_DEP_2)
	v_add_co_u32 v5, vcc_lo, v1, 8
	s_wait_alu 0xfffd
	v_add_co_ci_u32_e64 v6, null, 0, v2, vcc_lo
	v_mov_b32_e32 v1, 0
	s_branch .LBB161_8
.LBB161_7:                              ;   in Loop: Header=BB161_8 Depth=1
	s_wait_alu 0xfffe
	s_or_b32 exec_lo, exec_lo, s21
	v_add_co_u32 v5, vcc_lo, v5, s16
	s_wait_alu 0xfffd
	v_add_co_ci_u32_e64 v6, null, s17, v6, vcc_lo
	s_addk_co_i32 s19, 0x100
	s_wait_alu 0xfffe
	s_cmp_ge_i32 s19, s23
	s_cbranch_scc1 .LBB161_10
.LBB161_8:                              ; =>This Inner Loop Header: Depth=1
	v_add_nc_u32_e32 v2, s19, v0
	s_mov_b32 s21, exec_lo
	s_delay_alu instid0(VALU_DEP_1)
	v_cmpx_gt_i32_e64 s23, v2
	s_cbranch_execz .LBB161_7
; %bb.9:                                ;   in Loop: Header=BB161_8 Depth=1
	v_dual_mov_b32 v2, v1 :: v_dual_mov_b32 v3, v1
	v_mov_b32_e32 v4, v1
	global_store_b128 v[5:6], v[1:4], off offset:-8
	s_branch .LBB161_7
.LBB161_10:
	s_mov_b32 s16, 0
.LBB161_11:
	s_wait_alu 0xfffe
	s_and_not1_b32 vcc_lo, exec_lo, s16
	s_wait_alu 0xfffe
	s_cbranch_vccnz .LBB161_17
; %bb.12:
	s_and_not1_b32 vcc_lo, exec_lo, s18
	s_wait_alu 0xfffe
	s_cbranch_vccnz .LBB161_17
; %bb.13:
	v_mad_co_i64_i32 v[1:2], null, s20, v0, 0
	s_lshl_b64 s[16:17], s[10:11], 4
	s_lshl_b64 s[18:19], s[26:27], 4
	s_wait_alu 0xfffe
	s_add_nc_u64 s[16:17], s[8:9], s[16:17]
	s_ashr_i32 s21, s20, 31
	s_wait_alu 0xfffe
	s_add_nc_u64 s[16:17], s[16:17], s[18:19]
	s_mov_b32 s18, 0
	v_lshlrev_b64_e32 v[1:2], 4, v[1:2]
	s_wait_alu 0xfffe
	s_delay_alu instid0(VALU_DEP_1) | instskip(SKIP_1) | instid1(VALU_DEP_2)
	v_add_co_u32 v1, vcc_lo, s16, v1
	s_wait_alu 0xfffd
	v_add_co_ci_u32_e64 v2, null, s17, v2, vcc_lo
	s_lshl_b64 s[16:17], s[20:21], 12
	v_add_co_u32 v1, vcc_lo, v1, 8
	s_wait_alu 0xfffd
	v_add_co_ci_u32_e64 v2, null, 0, v2, vcc_lo
	s_branch .LBB161_15
.LBB161_14:                             ;   in Loop: Header=BB161_15 Depth=1
	s_wait_alu 0xfffe
	s_or_b32 exec_lo, exec_lo, s19
	v_add_co_u32 v1, vcc_lo, v1, s16
	s_wait_alu 0xfffd
	v_add_co_ci_u32_e64 v2, null, s17, v2, vcc_lo
	s_addk_co_i32 s18, 0x100
	s_wait_alu 0xfffe
	s_cmp_ge_i32 s18, s23
	s_cbranch_scc1 .LBB161_17
.LBB161_15:                             ; =>This Inner Loop Header: Depth=1
	v_add_nc_u32_e32 v3, s18, v0
	s_mov_b32 s19, exec_lo
	s_delay_alu instid0(VALU_DEP_1)
	v_cmpx_gt_i32_e64 s23, v3
	s_cbranch_execz .LBB161_14
; %bb.16:                               ;   in Loop: Header=BB161_15 Depth=1
	global_load_b128 v[3:6], v[1:2], off offset:-8
	s_wait_loadcnt 0x0
	v_mul_f64_e32 v[7:8], s[2:3], v[5:6]
	v_mul_f64_e32 v[9:10], s[6:7], v[5:6]
	s_delay_alu instid0(VALU_DEP_2) | instskip(NEXT) | instid1(VALU_DEP_2)
	v_fma_f64 v[5:6], s[6:7], v[3:4], -v[7:8]
	v_fma_f64 v[7:8], s[2:3], v[3:4], v[9:10]
	global_store_b128 v[1:2], v[5:8], off offset:-8
	s_branch .LBB161_14
.LBB161_17:
	s_mov_b32 s16, 0
.LBB161_18:
	s_wait_alu 0xfffe
	s_and_not1_b32 vcc_lo, exec_lo, s16
	s_wait_alu 0xfffe
	s_cbranch_vccnz .LBB161_36
; %bb.19:
	s_clause 0x1
	s_load_b128 s[16:19], s[0:1], 0x38
	s_load_b64 s[28:29], s[0:1], 0x48
	s_mov_b32 s21, exec_lo
	v_cmpx_gt_i32_e64 s22, v0
	s_cbranch_execz .LBB161_21
; %bb.20:
	s_load_b32 s30, s[0:1], 0x50
	s_mul_u64 s[4:5], s[4:5], s[24:25]
	s_wait_kmcnt 0x0
	s_lshl_b64 s[28:29], s[28:29], 4
	s_lshl_b64 s[4:5], s[4:5], 4
	s_delay_alu instid0(SALU_CYCLE_1) | instskip(NEXT) | instid1(SALU_CYCLE_1)
	s_add_nc_u64 s[4:5], s[18:19], s[4:5]
	s_add_nc_u64 s[4:5], s[4:5], s[28:29]
	v_mad_co_i64_i32 v[1:2], null, s30, v0, 0
	s_delay_alu instid0(VALU_DEP_1) | instskip(NEXT) | instid1(VALU_DEP_1)
	v_lshlrev_b64_e32 v[1:2], 4, v[1:2]
	v_add_co_u32 v1, vcc_lo, s4, v1
	s_wait_alu 0xfffd
	s_delay_alu instid0(VALU_DEP_2) | instskip(SKIP_4) | instid1(VALU_DEP_2)
	v_add_co_ci_u32_e64 v2, null, s5, v2, vcc_lo
	global_load_b128 v[1:4], v[1:2], off
	s_wait_loadcnt 0x0
	v_mul_f64_e32 v[5:6], s[14:15], v[3:4]
	v_mul_f64_e32 v[7:8], s[12:13], v[3:4]
	v_fma_f64 v[3:4], s[12:13], v[1:2], -v[5:6]
	s_delay_alu instid0(VALU_DEP_2)
	v_fma_f64 v[5:6], s[14:15], v[1:2], v[7:8]
	v_lshlrev_b32_e32 v1, 4, v0
	ds_store_b128 v1, v[3:6]
.LBB161_21:
	s_wait_alu 0xfffe
	s_or_b32 exec_lo, exec_lo, s21
	s_cmp_lt_i32 s23, 1
	s_wait_storecnt_dscnt 0x0
	s_barrier_signal -1
	s_barrier_wait -1
	global_inv scope:SCOPE_SE
	s_cbranch_scc1 .LBB161_36
; %bb.22:
	v_cmp_neq_f64_e64 s12, s[6:7], 0
	v_cmp_neq_f64_e64 s13, s[2:3], 0
	s_wait_kmcnt 0x0
	s_clause 0x1
	s_load_b32 s18, s[0:1], 0x30
	s_load_b128 s[28:31], s[0:1], 0x20
	s_lshl_b64 s[0:1], s[26:27], 4
	s_lshl_b64 s[4:5], s[10:11], 4
	s_ashr_i32 s10, s20, 31
	s_add_nc_u64 s[0:1], s[8:9], s[0:1]
	s_mul_u64 s[24:25], s[16:17], s[24:25]
	s_wait_alu 0xfffe
	s_add_nc_u64 s[0:1], s[0:1], s[4:5]
	s_mov_b32 s17, 0
	s_wait_kmcnt 0x0
	s_ashr_i32 s19, s18, 31
	v_mad_co_i64_i32 v[1:2], null, s18, v0, 0
	s_delay_alu instid0(VALU_DEP_1)
	v_lshlrev_b64_e32 v[1:2], 4, v[1:2]
	s_or_b32 s11, s12, s13
	s_cmp_gt_i32 s22, 0
	s_cselect_b32 s12, -1, 0
	s_and_b32 s13, s22, 7
	s_cmp_gt_u32 s22, 7
	s_cselect_b32 s14, -1, 0
	s_and_b32 s15, s22, 0x7ffffff8
	s_wait_alu 0xfffe
	s_cmp_lg_u32 s13, 0
	s_cselect_b32 s16, -1, 0
	s_lshl_b64 s[4:5], s[30:31], 4
	s_lshl_b64 s[8:9], s[24:25], 4
	s_wait_alu 0xfffe
	s_add_nc_u64 s[4:5], s[28:29], s[4:5]
	s_wait_alu 0xfffe
	s_add_nc_u64 s[4:5], s[4:5], s[8:9]
	s_lshl_b64 s[8:9], s[18:19], 12
	s_wait_alu 0xfffe
	v_add_co_u32 v11, vcc_lo, s4, v1
	s_wait_alu 0xfffd
	v_add_co_ci_u32_e64 v12, null, s5, v2, vcc_lo
	s_mov_b32 s5, 0
	v_add_co_u32 v5, vcc_lo, 0x78, v11
	s_wait_alu 0xfffd
	v_add_co_ci_u32_e64 v6, null, 0, v12, vcc_lo
	s_branch .LBB161_25
.LBB161_23:                             ;   in Loop: Header=BB161_25 Depth=1
	v_add_co_u32 v7, vcc_lo, s0, v7
	s_wait_alu 0xfffd
	v_add_co_ci_u32_e64 v8, null, s1, v8, vcc_lo
	global_store_b128 v[7:8], v[1:4], off
.LBB161_24:                             ;   in Loop: Header=BB161_25 Depth=1
	s_wait_alu 0xfffe
	s_or_b32 exec_lo, exec_lo, s18
	v_add_co_u32 v5, vcc_lo, v5, s8
	s_wait_alu 0xfffd
	v_add_co_ci_u32_e64 v6, null, s9, v6, vcc_lo
	v_add_co_u32 v11, vcc_lo, v11, s8
	s_wait_alu 0xfffd
	v_add_co_ci_u32_e64 v12, null, s9, v12, vcc_lo
	s_addk_co_i32 s17, 0x100
	s_wait_alu 0xfffe
	s_cmp_ge_i32 s17, s23
	s_cbranch_scc1 .LBB161_36
.LBB161_25:                             ; =>This Loop Header: Depth=1
                                        ;     Child Loop BB161_31 Depth 2
                                        ;     Child Loop BB161_35 Depth 2
	v_add_nc_u32_e32 v1, s17, v0
	s_mov_b32 s18, exec_lo
	s_delay_alu instid0(VALU_DEP_1)
	v_cmpx_gt_i32_e64 s23, v1
	s_cbranch_execz .LBB161_24
; %bb.26:                               ;   in Loop: Header=BB161_25 Depth=1
	v_mad_co_u64_u32 v[3:4], null, v1, s20, 0
	s_and_not1_b32 vcc_lo, exec_lo, s11
	v_mov_b32_e32 v2, v4
	s_delay_alu instid0(VALU_DEP_1) | instskip(NEXT) | instid1(VALU_DEP_1)
	v_mad_co_u64_u32 v[1:2], null, v1, s10, v[2:3]
	v_dual_mov_b32 v4, v1 :: v_dual_mov_b32 v1, 0
	v_mov_b32_e32 v2, 0
	s_delay_alu instid0(VALU_DEP_2)
	v_lshlrev_b64_e32 v[7:8], 4, v[3:4]
	v_mov_b32_e32 v3, 0
	v_mov_b32_e32 v4, 0
	s_wait_alu 0xfffe
	s_cbranch_vccnz .LBB161_28
; %bb.27:                               ;   in Loop: Header=BB161_25 Depth=1
	s_delay_alu instid0(VALU_DEP_3)
	v_add_co_u32 v1, vcc_lo, s0, v7
	s_wait_alu 0xfffd
	v_add_co_ci_u32_e64 v2, null, s1, v8, vcc_lo
	global_load_b128 v[13:16], v[1:2], off
	s_wait_loadcnt 0x0
	v_mul_f64_e32 v[1:2], s[2:3], v[15:16]
	v_mul_f64_e32 v[3:4], s[6:7], v[15:16]
	s_delay_alu instid0(VALU_DEP_2) | instskip(NEXT) | instid1(VALU_DEP_2)
	v_fma_f64 v[1:2], s[6:7], v[13:14], -v[1:2]
	v_fma_f64 v[3:4], s[2:3], v[13:14], v[3:4]
.LBB161_28:                             ;   in Loop: Header=BB161_25 Depth=1
	s_and_not1_b32 vcc_lo, exec_lo, s12
	s_wait_alu 0xfffe
	s_cbranch_vccnz .LBB161_23
; %bb.29:                               ;   in Loop: Header=BB161_25 Depth=1
	s_and_not1_b32 vcc_lo, exec_lo, s14
	s_mov_b32 s4, 0
	s_wait_alu 0xfffe
	s_cbranch_vccnz .LBB161_33
; %bb.30:                               ;   in Loop: Header=BB161_25 Depth=1
	v_dual_mov_b32 v10, v6 :: v_dual_mov_b32 v9, v5
	s_mov_b32 s19, 0
.LBB161_31:                             ;   Parent Loop BB161_25 Depth=1
                                        ; =>  This Inner Loop Header: Depth=2
	s_clause 0x7
	global_load_b128 v[13:16], v[9:10], off offset:-120
	global_load_b128 v[17:20], v[9:10], off offset:-104
	;; [unrolled: 1-line block ×8, first 2 shown]
	v_mov_b32_e32 v61, s4
	v_add_co_u32 v9, vcc_lo, 0x80, v9
	s_wait_alu 0xfffd
	v_add_co_ci_u32_e64 v10, null, 0, v10, vcc_lo
	ds_load_b128 v[45:48], v61
	ds_load_b128 v[49:52], v61 offset:16
	s_wait_alu 0xfffe
	s_add_co_i32 s19, s19, 8
	s_addk_co_i32 s4, 0x80
	s_wait_alu 0xfffe
	s_cmp_eq_u32 s15, s19
	s_wait_loadcnt_dscnt 0x701
	v_mul_f64_e32 v[53:54], v[15:16], v[47:48]
	v_mul_f64_e32 v[47:48], v[13:14], v[47:48]
	s_wait_loadcnt_dscnt 0x600
	v_mul_f64_e32 v[55:56], v[19:20], v[51:52]
	v_mul_f64_e32 v[51:52], v[17:18], v[51:52]
	s_delay_alu instid0(VALU_DEP_4) | instskip(NEXT) | instid1(VALU_DEP_4)
	v_fma_f64 v[53:54], v[13:14], v[45:46], -v[53:54]
	v_fma_f64 v[57:58], v[15:16], v[45:46], v[47:48]
	ds_load_b128 v[13:16], v61 offset:32
	ds_load_b128 v[45:48], v61 offset:48
	v_fma_f64 v[17:18], v[17:18], v[49:50], -v[55:56]
	v_fma_f64 v[19:20], v[19:20], v[49:50], v[51:52]
	s_wait_loadcnt_dscnt 0x501
	v_mul_f64_e32 v[59:60], v[23:24], v[15:16]
	v_mul_f64_e32 v[15:16], v[21:22], v[15:16]
	s_wait_loadcnt_dscnt 0x400
	v_mul_f64_e32 v[49:50], v[27:28], v[47:48]
	v_mul_f64_e32 v[47:48], v[25:26], v[47:48]
	v_add_f64_e32 v[1:2], v[1:2], v[53:54]
	v_add_f64_e32 v[3:4], v[3:4], v[57:58]
	v_fma_f64 v[21:22], v[21:22], v[13:14], -v[59:60]
	v_fma_f64 v[23:24], v[23:24], v[13:14], v[15:16]
	v_fma_f64 v[25:26], v[25:26], v[45:46], -v[49:50]
	v_fma_f64 v[27:28], v[27:28], v[45:46], v[47:48]
	v_add_f64_e32 v[17:18], v[1:2], v[17:18]
	v_add_f64_e32 v[19:20], v[3:4], v[19:20]
	ds_load_b128 v[1:4], v61 offset:64
	ds_load_b128 v[13:16], v61 offset:80
	s_wait_loadcnt_dscnt 0x301
	v_mul_f64_e32 v[51:52], v[31:32], v[3:4]
	v_mul_f64_e32 v[3:4], v[29:30], v[3:4]
	v_add_f64_e32 v[17:18], v[17:18], v[21:22]
	v_add_f64_e32 v[19:20], v[19:20], v[23:24]
	s_wait_loadcnt_dscnt 0x200
	v_mul_f64_e32 v[21:22], v[35:36], v[15:16]
	v_mul_f64_e32 v[23:24], v[33:34], v[15:16]
	v_fma_f64 v[29:30], v[29:30], v[1:2], -v[51:52]
	v_fma_f64 v[31:32], v[31:32], v[1:2], v[3:4]
	v_add_f64_e32 v[25:26], v[17:18], v[25:26]
	v_add_f64_e32 v[19:20], v[19:20], v[27:28]
	ds_load_b128 v[1:4], v61 offset:96
	ds_load_b128 v[15:18], v61 offset:112
	v_fma_f64 v[21:22], v[33:34], v[13:14], -v[21:22]
	v_fma_f64 v[13:14], v[35:36], v[13:14], v[23:24]
	s_wait_loadcnt_dscnt 0x101
	v_mul_f64_e32 v[27:28], v[39:40], v[3:4]
	v_mul_f64_e32 v[3:4], v[37:38], v[3:4]
	v_add_f64_e32 v[23:24], v[25:26], v[29:30]
	v_add_f64_e32 v[19:20], v[19:20], v[31:32]
	s_wait_loadcnt_dscnt 0x0
	v_mul_f64_e32 v[25:26], v[43:44], v[17:18]
	v_mul_f64_e32 v[17:18], v[41:42], v[17:18]
	v_fma_f64 v[27:28], v[37:38], v[1:2], -v[27:28]
	v_fma_f64 v[1:2], v[39:40], v[1:2], v[3:4]
	v_add_f64_e32 v[3:4], v[23:24], v[21:22]
	v_add_f64_e32 v[13:14], v[19:20], v[13:14]
	v_fma_f64 v[19:20], v[41:42], v[15:16], -v[25:26]
	v_fma_f64 v[15:16], v[43:44], v[15:16], v[17:18]
	s_delay_alu instid0(VALU_DEP_4) | instskip(NEXT) | instid1(VALU_DEP_4)
	v_add_f64_e32 v[3:4], v[3:4], v[27:28]
	v_add_f64_e32 v[13:14], v[13:14], v[1:2]
	s_delay_alu instid0(VALU_DEP_2) | instskip(NEXT) | instid1(VALU_DEP_2)
	v_add_f64_e32 v[1:2], v[3:4], v[19:20]
	v_add_f64_e32 v[3:4], v[13:14], v[15:16]
	s_cbranch_scc0 .LBB161_31
; %bb.32:                               ;   in Loop: Header=BB161_25 Depth=1
	s_mov_b32 s4, s15
.LBB161_33:                             ;   in Loop: Header=BB161_25 Depth=1
	s_and_not1_b32 vcc_lo, exec_lo, s16
	s_wait_alu 0xfffe
	s_cbranch_vccnz .LBB161_23
; %bb.34:                               ;   in Loop: Header=BB161_25 Depth=1
	s_lshl_b64 s[24:25], s[4:5], 4
	s_lshl_b32 s4, s4, 4
	s_wait_alu 0xfffe
	v_add_co_u32 v9, vcc_lo, v11, s24
	s_wait_alu 0xfffd
	v_add_co_ci_u32_e64 v10, null, s25, v12, vcc_lo
	s_mov_b32 s19, s13
.LBB161_35:                             ;   Parent Loop BB161_25 Depth=1
                                        ; =>  This Inner Loop Header: Depth=2
	global_load_b128 v[13:16], v[9:10], off
	s_wait_alu 0xfffe
	v_mov_b32_e32 v17, s4
	v_add_co_u32 v9, vcc_lo, v9, 16
	s_wait_alu 0xfffd
	v_add_co_ci_u32_e64 v10, null, 0, v10, vcc_lo
	ds_load_b128 v[17:20], v17
	s_add_co_i32 s19, s19, -1
	s_add_co_i32 s4, s4, 16
	s_wait_alu 0xfffe
	s_cmp_lg_u32 s19, 0
	s_wait_loadcnt_dscnt 0x0
	v_mul_f64_e32 v[21:22], v[15:16], v[19:20]
	v_mul_f64_e32 v[19:20], v[13:14], v[19:20]
	s_delay_alu instid0(VALU_DEP_2) | instskip(NEXT) | instid1(VALU_DEP_2)
	v_fma_f64 v[13:14], v[13:14], v[17:18], -v[21:22]
	v_fma_f64 v[15:16], v[15:16], v[17:18], v[19:20]
	s_delay_alu instid0(VALU_DEP_2) | instskip(NEXT) | instid1(VALU_DEP_2)
	v_add_f64_e32 v[1:2], v[1:2], v[13:14]
	v_add_f64_e32 v[3:4], v[3:4], v[15:16]
	s_cbranch_scc1 .LBB161_35
	s_branch .LBB161_23
.LBB161_36:
	s_endpgm
	.section	.rodata,"a",@progbits
	.p2align	6, 0x0
	.amdhsa_kernel _ZL22rocblas_gemvtsm_kernelILb0ELi256E19rocblas_complex_numIdES1_S1_EviiT2_lPKT1_lilS5_lilS2_lPT3_lil
		.amdhsa_group_segment_fixed_size 1024
		.amdhsa_private_segment_fixed_size 0
		.amdhsa_kernarg_size 152
		.amdhsa_user_sgpr_count 2
		.amdhsa_user_sgpr_dispatch_ptr 0
		.amdhsa_user_sgpr_queue_ptr 0
		.amdhsa_user_sgpr_kernarg_segment_ptr 1
		.amdhsa_user_sgpr_dispatch_id 0
		.amdhsa_user_sgpr_private_segment_size 0
		.amdhsa_wavefront_size32 1
		.amdhsa_uses_dynamic_stack 0
		.amdhsa_enable_private_segment 0
		.amdhsa_system_sgpr_workgroup_id_x 1
		.amdhsa_system_sgpr_workgroup_id_y 0
		.amdhsa_system_sgpr_workgroup_id_z 0
		.amdhsa_system_sgpr_workgroup_info 0
		.amdhsa_system_vgpr_workitem_id 0
		.amdhsa_next_free_vgpr 62
		.amdhsa_next_free_sgpr 32
		.amdhsa_reserve_vcc 1
		.amdhsa_float_round_mode_32 0
		.amdhsa_float_round_mode_16_64 0
		.amdhsa_float_denorm_mode_32 3
		.amdhsa_float_denorm_mode_16_64 3
		.amdhsa_fp16_overflow 0
		.amdhsa_workgroup_processor_mode 1
		.amdhsa_memory_ordered 1
		.amdhsa_forward_progress 1
		.amdhsa_inst_pref_size 17
		.amdhsa_round_robin_scheduling 0
		.amdhsa_exception_fp_ieee_invalid_op 0
		.amdhsa_exception_fp_denorm_src 0
		.amdhsa_exception_fp_ieee_div_zero 0
		.amdhsa_exception_fp_ieee_overflow 0
		.amdhsa_exception_fp_ieee_underflow 0
		.amdhsa_exception_fp_ieee_inexact 0
		.amdhsa_exception_int_div_zero 0
	.end_amdhsa_kernel
	.section	.text._ZL22rocblas_gemvtsm_kernelILb0ELi256E19rocblas_complex_numIdES1_S1_EviiT2_lPKT1_lilS5_lilS2_lPT3_lil,"axG",@progbits,_ZL22rocblas_gemvtsm_kernelILb0ELi256E19rocblas_complex_numIdES1_S1_EviiT2_lPKT1_lilS5_lilS2_lPT3_lil,comdat
.Lfunc_end161:
	.size	_ZL22rocblas_gemvtsm_kernelILb0ELi256E19rocblas_complex_numIdES1_S1_EviiT2_lPKT1_lilS5_lilS2_lPT3_lil, .Lfunc_end161-_ZL22rocblas_gemvtsm_kernelILb0ELi256E19rocblas_complex_numIdES1_S1_EviiT2_lPKT1_lilS5_lilS2_lPT3_lil
                                        ; -- End function
	.set _ZL22rocblas_gemvtsm_kernelILb0ELi256E19rocblas_complex_numIdES1_S1_EviiT2_lPKT1_lilS5_lilS2_lPT3_lil.num_vgpr, 62
	.set _ZL22rocblas_gemvtsm_kernelILb0ELi256E19rocblas_complex_numIdES1_S1_EviiT2_lPKT1_lilS5_lilS2_lPT3_lil.num_agpr, 0
	.set _ZL22rocblas_gemvtsm_kernelILb0ELi256E19rocblas_complex_numIdES1_S1_EviiT2_lPKT1_lilS5_lilS2_lPT3_lil.numbered_sgpr, 32
	.set _ZL22rocblas_gemvtsm_kernelILb0ELi256E19rocblas_complex_numIdES1_S1_EviiT2_lPKT1_lilS5_lilS2_lPT3_lil.num_named_barrier, 0
	.set _ZL22rocblas_gemvtsm_kernelILb0ELi256E19rocblas_complex_numIdES1_S1_EviiT2_lPKT1_lilS5_lilS2_lPT3_lil.private_seg_size, 0
	.set _ZL22rocblas_gemvtsm_kernelILb0ELi256E19rocblas_complex_numIdES1_S1_EviiT2_lPKT1_lilS5_lilS2_lPT3_lil.uses_vcc, 1
	.set _ZL22rocblas_gemvtsm_kernelILb0ELi256E19rocblas_complex_numIdES1_S1_EviiT2_lPKT1_lilS5_lilS2_lPT3_lil.uses_flat_scratch, 0
	.set _ZL22rocblas_gemvtsm_kernelILb0ELi256E19rocblas_complex_numIdES1_S1_EviiT2_lPKT1_lilS5_lilS2_lPT3_lil.has_dyn_sized_stack, 0
	.set _ZL22rocblas_gemvtsm_kernelILb0ELi256E19rocblas_complex_numIdES1_S1_EviiT2_lPKT1_lilS5_lilS2_lPT3_lil.has_recursion, 0
	.set _ZL22rocblas_gemvtsm_kernelILb0ELi256E19rocblas_complex_numIdES1_S1_EviiT2_lPKT1_lilS5_lilS2_lPT3_lil.has_indirect_call, 0
	.section	.AMDGPU.csdata,"",@progbits
; Kernel info:
; codeLenInByte = 2096
; TotalNumSgprs: 34
; NumVgprs: 62
; ScratchSize: 0
; MemoryBound: 0
; FloatMode: 240
; IeeeMode: 1
; LDSByteSize: 1024 bytes/workgroup (compile time only)
; SGPRBlocks: 0
; VGPRBlocks: 7
; NumSGPRsForWavesPerEU: 34
; NumVGPRsForWavesPerEU: 62
; Occupancy: 16
; WaveLimiterHint : 1
; COMPUTE_PGM_RSRC2:SCRATCH_EN: 0
; COMPUTE_PGM_RSRC2:USER_SGPR: 2
; COMPUTE_PGM_RSRC2:TRAP_HANDLER: 0
; COMPUTE_PGM_RSRC2:TGID_X_EN: 1
; COMPUTE_PGM_RSRC2:TGID_Y_EN: 0
; COMPUTE_PGM_RSRC2:TGID_Z_EN: 0
; COMPUTE_PGM_RSRC2:TIDIG_COMP_CNT: 0
	.section	.text._ZL23rocblas_gemvt_sn_kernelILb0ELi256ELi4Ei19rocblas_complex_numIdEPKS1_S1_EviiT4_lPKT3_lilS7_lilPT5_i,"axG",@progbits,_ZL23rocblas_gemvt_sn_kernelILb0ELi256ELi4Ei19rocblas_complex_numIdEPKS1_S1_EviiT4_lPKT3_lilS7_lilPT5_i,comdat
	.globl	_ZL23rocblas_gemvt_sn_kernelILb0ELi256ELi4Ei19rocblas_complex_numIdEPKS1_S1_EviiT4_lPKT3_lilS7_lilPT5_i ; -- Begin function _ZL23rocblas_gemvt_sn_kernelILb0ELi256ELi4Ei19rocblas_complex_numIdEPKS1_S1_EviiT4_lPKT3_lilS7_lilPT5_i
	.p2align	8
	.type	_ZL23rocblas_gemvt_sn_kernelILb0ELi256ELi4Ei19rocblas_complex_numIdEPKS1_S1_EviiT4_lPKT3_lilS7_lilPT5_i,@function
_ZL23rocblas_gemvt_sn_kernelILb0ELi256ELi4Ei19rocblas_complex_numIdEPKS1_S1_EviiT4_lPKT3_lilS7_lilPT5_i: ; @_ZL23rocblas_gemvt_sn_kernelILb0ELi256ELi4Ei19rocblas_complex_numIdEPKS1_S1_EviiT4_lPKT3_lilS7_lilPT5_i
; %bb.0:
	s_load_b32 s11, s[0:1], 0x60
	s_lshr_b32 s28, ttmp7, 16
	s_wait_kmcnt 0x0
	s_cmp_ge_u32 s28, s11
	s_cbranch_scc1 .LBB162_80
; %bb.1:
	s_clause 0x6
	s_load_b96 s[8:10], s[0:1], 0x40
	s_load_b256 s[12:19], s[0:1], 0x8
	s_load_b64 s[34:35], s[0:1], 0x0
	s_load_b128 s[20:23], s[0:1], 0x30
	s_load_b32 s36, s[0:1], 0x68
	s_load_b32 s33, s[0:1], 0x28
	s_load_b128 s[24:27], s[0:1], 0x50
	v_cmp_eq_u32_e64 s0, 0, v0
	s_mov_b32 s39, 0
	v_mbcnt_lo_u32_b32 v51, -1, 0
	s_mov_b32 s30, ttmp9
	s_mov_b32 s31, s39
	s_mov_b32 s37, s39
	;; [unrolled: 1-line block ×3, first 2 shown]
	v_lshl_or_b32 v52, v51, 2, 64
	s_mov_b32 s63, 32
	s_mov_b32 s64, 48
	s_wait_kmcnt 0x0
	s_lshl_b64 s[2:3], s[8:9], 4
	s_lshl_b64 s[4:5], s[18:19], 4
	s_ashr_i32 s7, s35, 31
	s_cmp_gt_i32 s35, 0
	s_add_nc_u64 s[18:19], s[22:23], s[2:3]
	s_add_nc_u64 s[2:3], s[16:17], s[4:5]
	s_cselect_b32 s1, -1, 0
	s_lshl_b32 s4, ttmp9, 10
	s_lshr_b32 s5, s7, 30
	v_lshl_or_b32 v1, v0, 2, s4
	s_ashr_i32 s4, s34, 31
	s_and_b32 s58, s0, s1
	s_wait_alu 0xfffe
	s_lshr_b32 s4, s4, 30
	s_add_co_i32 s1, s35, s5
	v_ashrrev_i32_e32 v2, 31, v1
	s_wait_alu 0xfffe
	s_add_co_i32 s4, s34, s4
	s_and_b32 s59, s1, -4
	s_wait_alu 0xfffe
	s_and_b32 s1, s4, -4
	v_mul_lo_u32 v24, s10, v1
	v_lshlrev_b64_e32 v[2:3], 4, v[1:2]
	s_sub_co_i32 s60, s34, s1
	v_add_nc_u32_e32 v4, 4, v1
	v_add_nc_u32_e32 v1, s60, v1
	v_cmp_gt_u32_e64 s5, 8, v0
	s_cmp_gt_i32 s59, 0
	v_add_co_u32 v45, vcc_lo, s2, v2
	s_delay_alu instid0(VALU_DEP_1)
	v_add_co_ci_u32_e64 v46, null, s3, v3, vcc_lo
	v_cmp_ge_i32_e64 s1, s34, v4
	v_and_b32_e32 v2, 31, v0
	v_cmp_gt_u32_e64 s3, 32, v0
	v_lshrrev_b32_e32 v4, 1, v0
	v_mov_b32_e32 v0, 0
	v_cmp_ge_i32_e64 s2, s34, v1
	v_add_nc_u32_e32 v1, s10, v24
	v_cmp_eq_u32_e64 s4, 0, v2
	v_lshlrev_b32_e32 v47, 4, v2
	v_and_b32_e32 v48, 0x70, v4
	v_ashrrev_i32_e32 v25, 31, v24
	v_add_nc_u32_e32 v3, s10, v1
	v_ashrrev_i32_e32 v2, 31, v1
	s_cselect_b32 s61, -1, 0
	s_cmp_gt_i32 s60, 0
	v_add_co_u32 v49, vcc_lo, v45, 8
	v_add_nc_u32_e32 v5, s10, v3
	v_ashrrev_i32_e32 v4, 31, v3
	s_mov_b32 s6, s35
	s_cselect_b32 s34, -1, 0
	s_lshl_b64 s[22:23], s[30:31], 4
	v_ashrrev_i32_e32 v6, 31, v5
	v_lshlrev_b64_e32 v[25:26], 4, v[24:25]
	v_lshlrev_b64_e32 v[27:28], 4, v[1:2]
	;; [unrolled: 1-line block ×3, first 2 shown]
	s_wait_alu 0xfffd
	v_add_co_ci_u32_e64 v50, null, 0, v46, vcc_lo
	v_lshlrev_b64_e32 v[31:32], 4, v[5:6]
	s_mul_u64 s[16:17], s[6:7], s[36:37]
	s_add_nc_u64 s[6:7], s[26:27], s[22:23]
	s_or_b32 s31, 0, 8
	s_wait_alu 0xfffe
	s_and_b32 s65, s34, s2
	s_add_nc_u64 s[40:41], s[6:7], 8
	s_lshl_b64 s[42:43], s[16:17], 4
	s_lshl_b64 s[44:45], s[36:37], 4
	s_lshl_b32 s66, s33, 2
	s_lshl_b32 s67, s33, 1
	s_mul_i32 s68, s33, 3
	s_lshl_b64 s[46:47], s[20:21], 4
	s_branch .LBB162_3
.LBB162_2:                              ;   in Loop: Header=BB162_3 Depth=1
	s_add_co_i32 s28, s28, 0x10000
	s_delay_alu instid0(SALU_CYCLE_1)
	s_cmp_lt_u32 s28, s11
	s_cbranch_scc0 .LBB162_80
.LBB162_3:                              ; =>This Loop Header: Depth=1
                                        ;     Child Loop BB162_6 Depth 2
                                        ;     Child Loop BB162_12 Depth 2
                                        ;       Child Loop BB162_43 Depth 3
                                        ;       Child Loop BB162_45 Depth 3
                                        ;     Child Loop BB162_61 Depth 2
                                        ;       Child Loop BB162_73 Depth 3
                                        ;       Child Loop BB162_75 Depth 3
	s_mov_b32 s29, s39
	s_delay_alu instid0(SALU_CYCLE_1)
	s_mul_u64 s[6:7], s[14:15], s[28:29]
	s_wait_alu 0xfffe
	s_lshl_b64 s[6:7], s[6:7], 4
	s_wait_alu 0xfffe
	s_add_nc_u64 s[6:7], s[12:13], s[6:7]
	global_load_b128 v[4:7], v0, s[6:7]
	s_wait_loadcnt 0x0
	v_cmp_neq_f64_e32 vcc_lo, 0, v[4:5]
	v_cmp_neq_f64_e64 s6, 0, v[6:7]
	s_wait_alu 0xfffe
	s_or_b32 s6, vcc_lo, s6
	s_wait_alu 0xfffe
	s_and_b32 vcc_lo, exec_lo, s6
	s_mov_b32 s6, -1
	s_wait_alu 0xfffe
	s_cbranch_vccnz .LBB162_8
; %bb.4:                                ;   in Loop: Header=BB162_3 Depth=1
	s_and_saveexec_b32 s8, s58
	s_cbranch_execz .LBB162_7
; %bb.5:                                ;   in Loop: Header=BB162_3 Depth=1
	s_mul_u64 s[6:7], s[42:43], s[28:29]
	s_mov_b32 s9, s35
	s_wait_alu 0xfffe
	s_add_nc_u64 s[6:7], s[40:41], s[6:7]
.LBB162_6:                              ;   Parent Loop BB162_3 Depth=1
                                        ; =>  This Inner Loop Header: Depth=2
	v_dual_mov_b32 v1, v0 :: v_dual_mov_b32 v2, v0
	v_mov_b32_e32 v3, v0
	s_add_co_i32 s9, s9, -1
	s_wait_alu 0xfffe
	s_cmp_eq_u32 s9, 0
	global_store_b128 v0, v[0:3], s[6:7] offset:-8
	s_add_nc_u64 s[6:7], s[6:7], s[44:45]
	s_cbranch_scc0 .LBB162_6
.LBB162_7:                              ;   in Loop: Header=BB162_3 Depth=1
	s_wait_alu 0xfffe
	s_or_b32 exec_lo, exec_lo, s8
	s_mov_b32 s6, 0
.LBB162_8:                              ;   in Loop: Header=BB162_3 Depth=1
	s_wait_alu 0xfffe
	s_and_not1_b32 vcc_lo, exec_lo, s6
	s_wait_alu 0xfffe
	s_cbranch_vccnz .LBB162_2
; %bb.9:                                ;   in Loop: Header=BB162_3 Depth=1
	s_mul_u64 s[6:7], s[24:25], s[28:29]
	s_mul_u64 s[8:9], s[20:21], s[28:29]
	s_wait_alu 0xfffe
	s_lshl_b64 s[6:7], s[6:7], 4
	s_mul_u64 s[52:53], s[16:17], s[28:29]
	s_wait_alu 0xfffe
	s_add_nc_u64 s[48:49], s[18:19], s[6:7]
	s_lshl_b64 s[6:7], s[8:9], 4
	v_cmp_gt_u32_e64 s9, 24, v51
	s_wait_alu 0xfffe
	v_add_co_u32 v53, vcc_lo, v45, s6
	s_wait_alu 0xfffd
	v_add_co_ci_u32_e64 v54, null, s7, v46, vcc_lo
	v_cmp_gt_u32_e64 s8, 28, v51
	v_cmp_gt_u32_e64 s7, 30, v51
	v_cmp_ne_u32_e64 s6, 31, v51
	s_lshl_b64 s[52:53], s[52:53], 4
	s_mul_u64 s[50:51], s[46:47], s[28:29]
	s_and_not1_b32 vcc_lo, exec_lo, s61
	s_wait_alu 0xfffe
	s_add_nc_u64 s[52:53], s[26:27], s[52:53]
	s_cbranch_vccnz .LBB162_57
; %bb.10:                               ;   in Loop: Header=BB162_3 Depth=1
	v_add_co_u32 v33, vcc_lo, s48, v25
	s_wait_alu 0xfffd
	v_add_co_ci_u32_e64 v34, null, s49, v26, vcc_lo
	v_add_co_u32 v35, vcc_lo, s48, v27
	s_wait_alu 0xfffd
	v_add_co_ci_u32_e64 v36, null, s49, v28, vcc_lo
	v_add_co_u32 v37, vcc_lo, s48, v29
	v_cndmask_b32_e64 v1, 0, 8, s9
	v_cndmask_b32_e64 v2, 0, 4, s8
	;; [unrolled: 1-line block ×3, first 2 shown]
	s_wait_dscnt 0x0
	v_add_co_ci_u32_e64 v8, null, 0, v51, s6
	s_wait_alu 0xfffd
	v_add_co_ci_u32_e64 v38, null, s49, v30, vcc_lo
	v_add_co_u32 v39, vcc_lo, s48, v31
	s_wait_alu 0xfffd
	v_add_co_ci_u32_e64 v40, null, s49, v32, vcc_lo
	v_add_co_u32 v59, vcc_lo, v49, s50
	v_add_lshl_u32 v55, v1, v51, 2
	v_add_lshl_u32 v56, v2, v51, 2
	;; [unrolled: 1-line block ×3, first 2 shown]
	v_lshlrev_b32_e32 v58, 2, v8
	s_wait_alu 0xfffd
	v_add_co_ci_u32_e64 v60, null, s51, v50, vcc_lo
	s_mov_b32 s6, 0
	s_mov_b32 s69, s68
	;; [unrolled: 1-line block ×5, first 2 shown]
	s_branch .LBB162_12
.LBB162_11:                             ;   in Loop: Header=BB162_12 Depth=2
	s_wait_alu 0xfffe
	s_or_b32 exec_lo, exec_lo, s7
	s_add_co_i32 s29, s29, 4
	s_add_co_i32 s71, s71, s66
	;; [unrolled: 1-line block ×5, first 2 shown]
	s_cmp_ge_i32 s29, s59
	s_cbranch_scc1 .LBB162_58
.LBB162_12:                             ;   Parent Loop BB162_3 Depth=1
                                        ; =>  This Loop Header: Depth=2
                                        ;       Child Loop BB162_43 Depth 3
                                        ;       Child Loop BB162_45 Depth 3
                                        ; implicit-def: $vgpr20_vgpr21
                                        ; implicit-def: $vgpr22_vgpr23
                                        ; implicit-def: $vgpr16_vgpr17
                                        ; implicit-def: $vgpr18_vgpr19
                                        ; implicit-def: $vgpr12_vgpr13
                                        ; implicit-def: $vgpr14_vgpr15
                                        ; implicit-def: $vgpr43_vgpr44
                                        ; implicit-def: $vgpr41_vgpr42
	s_and_saveexec_b32 s7, s1
	s_wait_alu 0xfffe
	s_xor_b32 s7, exec_lo, s7
	s_cbranch_execnz .LBB162_39
; %bb.13:                               ;   in Loop: Header=BB162_12 Depth=2
	s_wait_alu 0xfffe
	s_and_not1_saveexec_b32 s38, s7
	s_cbranch_execnz .LBB162_40
.LBB162_14:                             ;   in Loop: Header=BB162_12 Depth=2
	s_or_b32 exec_lo, exec_lo, s38
	s_and_saveexec_b32 s7, s3
.LBB162_15:                             ;   in Loop: Header=BB162_12 Depth=2
	v_dual_mov_b32 v1, v0 :: v_dual_mov_b32 v2, v0
	v_mov_b32_e32 v3, v0
	ds_store_b128 v47, v[0:3]
.LBB162_16:                             ;   in Loop: Header=BB162_12 Depth=2
	s_wait_alu 0xfffe
	s_or_b32 exec_lo, exec_lo, s7
	ds_bpermute_b32 v1, v52, v43
	ds_bpermute_b32 v2, v52, v44
	;; [unrolled: 1-line block ×4, first 2 shown]
	s_wait_storecnt_dscnt 0x0
	s_barrier_signal -1
	s_barrier_wait -1
	global_inv scope:SCOPE_SE
	v_add_f64_e32 v[1:2], v[43:44], v[1:2]
	v_add_f64_e32 v[8:9], v[41:42], v[8:9]
	ds_bpermute_b32 v10, v55, v1
	ds_bpermute_b32 v11, v55, v2
	ds_bpermute_b32 v41, v55, v8
	ds_bpermute_b32 v42, v55, v9
	s_wait_dscnt 0x2
	v_add_f64_e32 v[1:2], v[1:2], v[10:11]
	s_wait_dscnt 0x0
	v_add_f64_e32 v[8:9], v[8:9], v[41:42]
	ds_bpermute_b32 v10, v56, v1
	ds_bpermute_b32 v11, v56, v2
	ds_bpermute_b32 v41, v56, v8
	ds_bpermute_b32 v42, v56, v9
	s_wait_dscnt 0x2
	v_add_f64_e32 v[1:2], v[1:2], v[10:11]
	s_wait_dscnt 0x0
	;; [unrolled: 8-line block ×3, first 2 shown]
	v_add_f64_e32 v[10:11], v[8:9], v[41:42]
	ds_bpermute_b32 v8, v58, v1
	ds_bpermute_b32 v9, v58, v2
	;; [unrolled: 1-line block ×4, first 2 shown]
	s_and_saveexec_b32 s7, s4
	s_cbranch_execz .LBB162_18
; %bb.17:                               ;   in Loop: Header=BB162_12 Depth=2
	s_wait_dscnt 0x0
	v_add_f64_e32 v[10:11], v[10:11], v[41:42]
	v_add_f64_e32 v[8:9], v[1:2], v[8:9]
	ds_store_b128 v48, v[8:11]
.LBB162_18:                             ;   in Loop: Header=BB162_12 Depth=2
	s_wait_alu 0xfffe
	s_or_b32 exec_lo, exec_lo, s7
	v_mov_b32_e32 v10, 0
	s_wait_dscnt 0x2
	v_dual_mov_b32 v11, 0 :: v_dual_mov_b32 v8, 0
	v_mov_b32_e32 v9, 0
	s_wait_loadcnt_dscnt 0x0
	s_barrier_signal -1
	s_barrier_wait -1
	global_inv scope:SCOPE_SE
	s_and_saveexec_b32 s7, s5
	s_cbranch_execnz .LBB162_46
; %bb.19:                               ;   in Loop: Header=BB162_12 Depth=2
	s_wait_alu 0xfffe
	s_or_b32 exec_lo, exec_lo, s7
	s_and_saveexec_b32 s7, s3
	s_cbranch_execnz .LBB162_47
.LBB162_20:                             ;   in Loop: Header=BB162_12 Depth=2
	s_wait_alu 0xfffe
	s_or_b32 exec_lo, exec_lo, s7
	s_and_saveexec_b32 s7, s3
.LBB162_21:                             ;   in Loop: Header=BB162_12 Depth=2
	v_dual_mov_b32 v1, v0 :: v_dual_mov_b32 v2, v0
	v_mov_b32_e32 v3, v0
	ds_store_b128 v47, v[0:3]
.LBB162_22:                             ;   in Loop: Header=BB162_12 Depth=2
	s_wait_alu 0xfffe
	s_or_b32 exec_lo, exec_lo, s7
	ds_bpermute_b32 v1, v52, v12
	ds_bpermute_b32 v2, v52, v13
	;; [unrolled: 1-line block ×4, first 2 shown]
	s_wait_loadcnt_dscnt 0x0
	s_barrier_signal -1
	s_barrier_wait -1
	global_inv scope:SCOPE_SE
	v_add_f64_e32 v[1:2], v[12:13], v[1:2]
	v_add_f64_e32 v[12:13], v[14:15], v[41:42]
	ds_bpermute_b32 v14, v55, v1
	ds_bpermute_b32 v15, v55, v2
	ds_bpermute_b32 v41, v55, v12
	ds_bpermute_b32 v42, v55, v13
	s_wait_dscnt 0x2
	v_add_f64_e32 v[1:2], v[1:2], v[14:15]
	s_wait_dscnt 0x0
	v_add_f64_e32 v[12:13], v[12:13], v[41:42]
	ds_bpermute_b32 v14, v56, v1
	ds_bpermute_b32 v15, v56, v2
	ds_bpermute_b32 v41, v56, v12
	ds_bpermute_b32 v42, v56, v13
	s_wait_dscnt 0x2
	v_add_f64_e32 v[1:2], v[1:2], v[14:15]
	s_wait_dscnt 0x0
	;; [unrolled: 8-line block ×3, first 2 shown]
	v_add_f64_e32 v[14:15], v[12:13], v[41:42]
	ds_bpermute_b32 v12, v58, v1
	ds_bpermute_b32 v13, v58, v2
	;; [unrolled: 1-line block ×4, first 2 shown]
	s_and_saveexec_b32 s7, s4
	s_cbranch_execz .LBB162_24
; %bb.23:                               ;   in Loop: Header=BB162_12 Depth=2
	s_wait_dscnt 0x0
	v_add_f64_e32 v[14:15], v[14:15], v[41:42]
	v_add_f64_e32 v[12:13], v[1:2], v[12:13]
	ds_store_b128 v48, v[12:15]
.LBB162_24:                             ;   in Loop: Header=BB162_12 Depth=2
	s_wait_alu 0xfffe
	s_or_b32 exec_lo, exec_lo, s7
	v_mov_b32_e32 v14, 0
	s_wait_dscnt 0x2
	v_dual_mov_b32 v15, 0 :: v_dual_mov_b32 v12, 0
	v_mov_b32_e32 v13, 0
	s_wait_loadcnt_dscnt 0x0
	s_barrier_signal -1
	s_barrier_wait -1
	global_inv scope:SCOPE_SE
	s_and_saveexec_b32 s7, s5
	s_cbranch_execnz .LBB162_48
; %bb.25:                               ;   in Loop: Header=BB162_12 Depth=2
	s_wait_alu 0xfffe
	s_or_b32 exec_lo, exec_lo, s7
	s_and_saveexec_b32 s7, s3
	s_cbranch_execnz .LBB162_49
.LBB162_26:                             ;   in Loop: Header=BB162_12 Depth=2
	s_wait_alu 0xfffe
	s_or_b32 exec_lo, exec_lo, s7
	s_and_saveexec_b32 s7, s3
.LBB162_27:                             ;   in Loop: Header=BB162_12 Depth=2
	v_dual_mov_b32 v1, v0 :: v_dual_mov_b32 v2, v0
	v_mov_b32_e32 v3, v0
	ds_store_b128 v47, v[0:3]
.LBB162_28:                             ;   in Loop: Header=BB162_12 Depth=2
	s_wait_alu 0xfffe
	s_or_b32 exec_lo, exec_lo, s7
	ds_bpermute_b32 v1, v52, v16
	ds_bpermute_b32 v2, v52, v17
	;; [unrolled: 1-line block ×4, first 2 shown]
	s_wait_loadcnt_dscnt 0x0
	s_barrier_signal -1
	s_barrier_wait -1
	global_inv scope:SCOPE_SE
	v_add_f64_e32 v[1:2], v[16:17], v[1:2]
	v_add_f64_e32 v[16:17], v[18:19], v[41:42]
	ds_bpermute_b32 v18, v55, v1
	ds_bpermute_b32 v19, v55, v2
	ds_bpermute_b32 v41, v55, v16
	ds_bpermute_b32 v42, v55, v17
	s_wait_dscnt 0x2
	v_add_f64_e32 v[1:2], v[1:2], v[18:19]
	s_wait_dscnt 0x0
	v_add_f64_e32 v[16:17], v[16:17], v[41:42]
	ds_bpermute_b32 v18, v56, v1
	ds_bpermute_b32 v19, v56, v2
	ds_bpermute_b32 v41, v56, v16
	ds_bpermute_b32 v42, v56, v17
	s_wait_dscnt 0x2
	v_add_f64_e32 v[1:2], v[1:2], v[18:19]
	s_wait_dscnt 0x0
	;; [unrolled: 8-line block ×3, first 2 shown]
	v_add_f64_e32 v[18:19], v[16:17], v[41:42]
	ds_bpermute_b32 v16, v58, v1
	ds_bpermute_b32 v17, v58, v2
	;; [unrolled: 1-line block ×4, first 2 shown]
	s_and_saveexec_b32 s7, s4
	s_cbranch_execz .LBB162_30
; %bb.29:                               ;   in Loop: Header=BB162_12 Depth=2
	s_wait_dscnt 0x0
	v_add_f64_e32 v[18:19], v[18:19], v[41:42]
	v_add_f64_e32 v[16:17], v[1:2], v[16:17]
	ds_store_b128 v48, v[16:19]
.LBB162_30:                             ;   in Loop: Header=BB162_12 Depth=2
	s_wait_alu 0xfffe
	s_or_b32 exec_lo, exec_lo, s7
	v_mov_b32_e32 v18, 0
	s_wait_dscnt 0x2
	v_dual_mov_b32 v19, 0 :: v_dual_mov_b32 v16, 0
	v_mov_b32_e32 v17, 0
	s_wait_loadcnt_dscnt 0x0
	s_barrier_signal -1
	s_barrier_wait -1
	global_inv scope:SCOPE_SE
	s_and_saveexec_b32 s7, s5
	s_cbranch_execnz .LBB162_50
; %bb.31:                               ;   in Loop: Header=BB162_12 Depth=2
	s_wait_alu 0xfffe
	s_or_b32 exec_lo, exec_lo, s7
	s_and_saveexec_b32 s7, s3
	s_cbranch_execnz .LBB162_51
.LBB162_32:                             ;   in Loop: Header=BB162_12 Depth=2
	s_wait_alu 0xfffe
	s_or_b32 exec_lo, exec_lo, s7
	s_and_saveexec_b32 s7, s3
.LBB162_33:                             ;   in Loop: Header=BB162_12 Depth=2
	v_dual_mov_b32 v1, v0 :: v_dual_mov_b32 v2, v0
	v_mov_b32_e32 v3, v0
	ds_store_b128 v47, v[0:3]
.LBB162_34:                             ;   in Loop: Header=BB162_12 Depth=2
	s_wait_alu 0xfffe
	s_or_b32 exec_lo, exec_lo, s7
	ds_bpermute_b32 v1, v52, v20
	ds_bpermute_b32 v2, v52, v21
	;; [unrolled: 1-line block ×4, first 2 shown]
	s_wait_loadcnt_dscnt 0x0
	s_barrier_signal -1
	s_barrier_wait -1
	global_inv scope:SCOPE_SE
	v_add_f64_e32 v[1:2], v[20:21], v[1:2]
	v_add_f64_e32 v[20:21], v[22:23], v[41:42]
	ds_bpermute_b32 v22, v55, v1
	ds_bpermute_b32 v23, v55, v2
	ds_bpermute_b32 v41, v55, v20
	ds_bpermute_b32 v42, v55, v21
	s_wait_dscnt 0x2
	v_add_f64_e32 v[1:2], v[1:2], v[22:23]
	s_wait_dscnt 0x0
	v_add_f64_e32 v[20:21], v[20:21], v[41:42]
	ds_bpermute_b32 v22, v56, v1
	ds_bpermute_b32 v23, v56, v2
	ds_bpermute_b32 v41, v56, v20
	ds_bpermute_b32 v42, v56, v21
	s_wait_dscnt 0x2
	v_add_f64_e32 v[1:2], v[1:2], v[22:23]
	s_wait_dscnt 0x0
	;; [unrolled: 8-line block ×3, first 2 shown]
	v_add_f64_e32 v[22:23], v[20:21], v[41:42]
	ds_bpermute_b32 v20, v58, v1
	ds_bpermute_b32 v21, v58, v2
	;; [unrolled: 1-line block ×4, first 2 shown]
	s_and_saveexec_b32 s7, s4
	s_cbranch_execz .LBB162_36
; %bb.35:                               ;   in Loop: Header=BB162_12 Depth=2
	s_wait_dscnt 0x0
	v_add_f64_e32 v[22:23], v[22:23], v[41:42]
	v_add_f64_e32 v[20:21], v[1:2], v[20:21]
	ds_store_b128 v48, v[20:23]
.LBB162_36:                             ;   in Loop: Header=BB162_12 Depth=2
	s_wait_alu 0xfffe
	s_or_b32 exec_lo, exec_lo, s7
	v_mov_b32_e32 v22, 0
	s_wait_dscnt 0x2
	v_dual_mov_b32 v23, 0 :: v_dual_mov_b32 v20, 0
	v_mov_b32_e32 v21, 0
	s_wait_loadcnt_dscnt 0x0
	s_barrier_signal -1
	s_barrier_wait -1
	global_inv scope:SCOPE_SE
	s_and_saveexec_b32 s7, s5
	s_cbranch_execnz .LBB162_52
; %bb.37:                               ;   in Loop: Header=BB162_12 Depth=2
	s_wait_alu 0xfffe
	s_or_b32 exec_lo, exec_lo, s7
	s_and_saveexec_b32 s7, s3
	s_cbranch_execnz .LBB162_53
.LBB162_38:                             ;   in Loop: Header=BB162_12 Depth=2
	s_wait_alu 0xfffe
	s_or_b32 exec_lo, exec_lo, s7
	s_and_saveexec_b32 s7, s0
	s_cbranch_execz .LBB162_11
	s_branch .LBB162_54
.LBB162_39:                             ;   in Loop: Header=BB162_12 Depth=2
	s_clause 0x1
	global_load_b128 v[8:11], v[35:36], off
	global_load_b128 v[12:15], v[37:38], off
	s_mul_i32 s8, s29, s33
	s_wait_alu 0xfffe
	s_ashr_i32 s9, s8, 31
	s_add_co_i32 s54, s8, s33
	s_wait_alu 0xfffe
	s_lshl_b64 s[8:9], s[8:9], 4
	s_ashr_i32 s55, s54, 31
	s_add_co_i32 s56, s54, s33
	s_wait_alu 0xfffe
	v_add_co_u32 v101, vcc_lo, v53, s8
	s_lshl_b64 s[54:55], s[54:55], 4
	s_ashr_i32 s57, s56, 31
	s_add_co_i32 s8, s56, s33
	s_wait_alu 0xfffd
	v_add_co_ci_u32_e64 v102, null, s9, v54, vcc_lo
	s_wait_alu 0xfffe
	v_add_co_u32 v18, vcc_lo, v53, s54
	s_lshl_b64 s[56:57], s[56:57], 4
	s_ashr_i32 s9, s8, 31
	s_wait_alu 0xfffd
	v_add_co_ci_u32_e64 v19, null, s55, v54, vcc_lo
	s_wait_dscnt 0x0
	s_wait_alu 0xfffe
	v_add_co_u32 v20, vcc_lo, v53, s56
	s_lshl_b64 s[8:9], s[8:9], 4
	s_wait_alu 0xfffd
	v_add_co_ci_u32_e64 v21, null, s57, v54, vcc_lo
	s_wait_alu 0xfffe
	v_add_co_u32 v22, vcc_lo, v53, s8
	s_wait_alu 0xfffd
	v_add_co_ci_u32_e64 v23, null, s9, v54, vcc_lo
	s_clause 0x2
	global_load_b128 v[41:44], v[101:102], off offset:16
	global_load_b128 v[65:68], v[18:19], off offset:16
	;; [unrolled: 1-line block ×3, first 2 shown]
	s_wait_loadcnt 0x4
	scratch_store_b128 off, v[8:11], s62
	scratch_load_b128 v[61:64], off, off offset:16
	s_clause 0x1
	global_load_b128 v[73:76], v[22:23], off offset:16
	global_load_b128 v[77:80], v[101:102], off offset:32
	s_wait_loadcnt 0x6
	scratch_store_b128 off, v[12:15], s63
	scratch_load_b128 v[81:84], off, off offset:32
	s_clause 0x2
	global_load_b128 v[85:88], v[18:19], off offset:32
	global_load_b128 v[89:92], v[20:21], off offset:32
	;; [unrolled: 1-line block ×3, first 2 shown]
	global_load_b128 v[8:11], v[33:34], off
	global_load_b128 v[97:100], v[101:102], off
	s_wait_loadcnt 0x8
	v_mul_f64_e32 v[1:2], v[63:64], v[43:44]
	v_mul_f64_e32 v[12:13], v[61:62], v[43:44]
	;; [unrolled: 1-line block ×6, first 2 shown]
	s_wait_loadcnt 0x7
	v_mul_f64_e32 v[107:108], v[63:64], v[75:76]
	v_mul_f64_e32 v[75:76], v[61:62], v[75:76]
	s_wait_loadcnt 0x4
	v_mul_f64_e32 v[109:110], v[83:84], v[87:88]
	v_fma_f64 v[16:17], v[61:62], v[41:42], -v[1:2]
	v_fma_f64 v[14:15], v[63:64], v[41:42], v[12:13]
	global_load_b128 v[41:44], v[18:19], off
	v_fma_f64 v[12:13], v[61:62], v[65:66], -v[103:104]
	v_fma_f64 v[1:2], v[63:64], v[65:66], v[67:68]
	global_load_b128 v[65:68], v[39:40], off
	;; [unrolled: 3-line block ×4, first 2 shown]
	v_mul_f64_e32 v[73:74], v[83:84], v[79:80]
	v_mul_f64_e32 v[79:80], v[81:82], v[79:80]
	s_delay_alu instid0(VALU_DEP_2) | instskip(SKIP_1) | instid1(VALU_DEP_3)
	v_fma_f64 v[111:112], v[81:82], v[77:78], -v[73:74]
	v_mul_f64_e32 v[73:74], v[81:82], v[87:88]
	v_fma_f64 v[77:78], v[83:84], v[77:78], v[79:80]
	s_wait_loadcnt 0x7
	v_mul_f64_e32 v[79:80], v[83:84], v[91:92]
	v_fma_f64 v[87:88], v[81:82], v[85:86], -v[109:110]
	s_delay_alu instid0(VALU_DEP_4) | instskip(SKIP_1) | instid1(VALU_DEP_4)
	v_fma_f64 v[85:86], v[83:84], v[85:86], v[73:74]
	v_mul_f64_e32 v[73:74], v[81:82], v[91:92]
	v_fma_f64 v[79:80], v[81:82], v[89:90], -v[79:80]
	s_wait_loadcnt 0x6
	v_mul_f64_e32 v[91:92], v[83:84], v[95:96]
	s_delay_alu instid0(VALU_DEP_3) | instskip(SKIP_3) | instid1(VALU_DEP_4)
	v_fma_f64 v[89:90], v[83:84], v[89:90], v[73:74]
	v_mul_f64_e32 v[73:74], v[81:82], v[95:96]
	s_wait_loadcnt 0x4
	v_mul_f64_e32 v[95:96], v[10:11], v[99:100]
	v_fma_f64 v[81:82], v[81:82], v[93:94], -v[91:92]
	s_delay_alu instid0(VALU_DEP_3) | instskip(SKIP_1) | instid1(VALU_DEP_4)
	v_fma_f64 v[83:84], v[83:84], v[93:94], v[73:74]
	v_mul_f64_e32 v[73:74], v[8:9], v[99:100]
	v_fma_f64 v[95:96], v[8:9], v[97:98], -v[95:96]
	s_delay_alu instid0(VALU_DEP_2)
	v_fma_f64 v[97:98], v[10:11], v[97:98], v[73:74]
	s_wait_loadcnt 0x3
	v_mul_f64_e32 v[91:92], v[10:11], v[43:44]
	v_mul_f64_e32 v[43:44], v[8:9], v[43:44]
	s_wait_loadcnt 0x2
	scratch_store_b128 off, v[65:68], s64
	s_wait_loadcnt 0x1
	v_mul_f64_e32 v[67:68], v[10:11], v[71:72]
	v_mul_f64_e32 v[71:72], v[8:9], v[71:72]
	s_wait_loadcnt 0x0
	v_mul_f64_e32 v[93:94], v[10:11], v[63:64]
	v_mul_f64_e32 v[73:74], v[8:9], v[63:64]
	global_load_b128 v[63:66], v[101:102], off offset:48
	v_fma_f64 v[91:92], v[8:9], v[41:42], -v[91:92]
	v_fma_f64 v[99:100], v[10:11], v[41:42], v[43:44]
	scratch_load_b128 v[41:44], off, off offset:48
	v_fma_f64 v[101:102], v[8:9], v[69:70], -v[67:68]
	v_fma_f64 v[109:110], v[10:11], v[69:70], v[71:72]
	s_clause 0x1
	global_load_b128 v[67:70], v[18:19], off offset:48
	global_load_b128 v[18:21], v[20:21], off offset:48
	v_fma_f64 v[93:94], v[8:9], v[61:62], -v[93:94]
	v_fma_f64 v[61:62], v[10:11], v[61:62], v[73:74]
	global_load_b128 v[71:74], v[22:23], off offset:48
	v_add_f64_e32 v[22:23], 0, v[95:96]
	v_add_f64_e32 v[95:96], 0, v[97:98]
	scratch_store_b128 off, v[8:11], off
	v_add_f64_e32 v[91:92], 0, v[91:92]
	v_add_f64_e32 v[97:98], 0, v[99:100]
	;; [unrolled: 1-line block ×20, first 2 shown]
	s_wait_loadcnt 0x3
	v_mul_f64_e32 v[109:110], v[43:44], v[65:66]
	v_mul_f64_e32 v[22:23], v[41:42], v[65:66]
	s_wait_loadcnt 0x2
	v_mul_f64_e32 v[65:66], v[43:44], v[69:70]
	v_mul_f64_e32 v[69:70], v[41:42], v[69:70]
	;; [unrolled: 3-line block ×4, first 2 shown]
	v_fma_f64 v[75:76], v[41:42], v[63:64], -v[109:110]
	v_fma_f64 v[22:23], v[43:44], v[63:64], v[22:23]
	v_fma_f64 v[63:64], v[41:42], v[67:68], -v[65:66]
	v_fma_f64 v[65:66], v[43:44], v[67:68], v[69:70]
	;; [unrolled: 2-line block ×4, first 2 shown]
	v_add_f64_e32 v[71:72], v[95:96], v[79:80]
	v_add_f64_e32 v[73:74], v[97:98], v[89:90]
	;; [unrolled: 1-line block ×10, first 2 shown]
	s_and_not1_saveexec_b32 s38, s7
	s_cbranch_execz .LBB162_14
.LBB162_40:                             ;   in Loop: Header=BB162_12 Depth=2
	s_wait_dscnt 0x0
	v_mov_b32_e32 v20, 0
	v_mov_b32_e32 v16, 0
	v_dual_mov_b32 v12, 0 :: v_dual_mov_b32 v43, 0
	v_dual_mov_b32 v21, 0 :: v_dual_mov_b32 v22, 0
	;; [unrolled: 1-line block ×5, first 2 shown]
	v_mov_b32_e32 v23, 0
	v_mov_b32_e32 v19, 0
	v_dual_mov_b32 v15, 0 :: v_dual_mov_b32 v42, 0
	s_and_saveexec_b32 s72, s2
	s_cbranch_execz .LBB162_56
; %bb.41:                               ;   in Loop: Header=BB162_12 Depth=2
	s_and_not1_b32 vcc_lo, exec_lo, s34
	s_wait_alu 0xfffe
	s_cbranch_vccnz .LBB162_55
; %bb.42:                               ;   in Loop: Header=BB162_12 Depth=2
	v_mov_b32_e32 v1, v24
	s_mov_b32 s7, 0
	s_mov_b32 s8, s60
.LBB162_43:                             ;   Parent Loop BB162_3 Depth=1
                                        ;     Parent Loop BB162_12 Depth=2
                                        ; =>    This Inner Loop Header: Depth=3
	s_delay_alu instid0(VALU_DEP_1) | instskip(SKIP_2) | instid1(VALU_DEP_1)
	v_ashrrev_i32_e32 v2, 31, v1
	s_wait_alu 0xfffe
	s_add_co_i32 s8, s8, -1
	v_lshlrev_b64_e32 v[2:3], 4, v[1:2]
	v_add_nc_u32_e32 v1, s10, v1
	s_delay_alu instid0(VALU_DEP_2) | instskip(SKIP_1) | instid1(VALU_DEP_3)
	v_add_co_u32 v2, vcc_lo, s48, v2
	s_wait_alu 0xfffd
	v_add_co_ci_u32_e64 v3, null, s49, v3, vcc_lo
	global_load_b128 v[8:11], v[2:3], off
	s_wait_loadcnt 0x0
	scratch_store_b128 off, v[8:11], s7
	s_add_co_i32 s7, s7, 16
	s_wait_alu 0xfffe
	s_cmp_eq_u32 s8, 0
	s_cbranch_scc0 .LBB162_43
; %bb.44:                               ;   in Loop: Header=BB162_12 Depth=2
	s_ashr_i32 s7, s6, 31
	v_mov_b32_e32 v41, 0
	s_wait_alu 0xfffe
	s_lshl_b64 s[8:9], s[6:7], 4
	v_mov_b32_e32 v14, 0
	s_wait_alu 0xfffe
	v_add_co_u32 v1, vcc_lo, v59, s8
	v_mov_b32_e32 v18, 0
	v_mov_b32_e32 v22, 0
	v_dual_mov_b32 v42, 0 :: v_dual_mov_b32 v43, 0
	v_dual_mov_b32 v15, 0 :: v_dual_mov_b32 v12, 0
	;; [unrolled: 1-line block ×4, first 2 shown]
	s_wait_alu 0xfffd
	v_add_co_ci_u32_e64 v2, null, s9, v60, vcc_lo
	v_dual_mov_b32 v44, 0 :: v_dual_mov_b32 v13, 0
	v_mov_b32_e32 v17, 0
	v_mov_b32_e32 v21, 0
	s_mov_b32 s7, s31
	s_mov_b32 s8, s69
	;; [unrolled: 1-line block ×5, first 2 shown]
.LBB162_45:                             ;   Parent Loop BB162_3 Depth=1
                                        ;     Parent Loop BB162_12 Depth=2
                                        ; =>    This Inner Loop Header: Depth=3
	s_wait_alu 0xfffe
	s_ashr_i32 s57, s56, 31
	s_ashr_i32 s55, s54, 31
	s_wait_alu 0xfffe
	s_lshl_b64 s[74:75], s[56:57], 4
	s_ashr_i32 s9, s8, 31
	s_lshl_b64 s[76:77], s[54:55], 4
	s_wait_alu 0xfffe
	v_add_co_u32 v65, vcc_lo, v53, s74
	s_lshl_b64 s[78:79], s[8:9], 4
	s_wait_alu 0xfffd
	v_add_co_ci_u32_e64 v66, null, s75, v54, vcc_lo
	v_add_co_u32 v69, vcc_lo, v53, s76
	s_wait_alu 0xfffd
	v_add_co_ci_u32_e64 v70, null, s77, v54, vcc_lo
	s_wait_alu 0xfffe
	v_add_co_u32 v73, vcc_lo, v53, s78
	s_wait_alu 0xfffd
	v_add_co_ci_u32_e64 v74, null, s79, v54, vcc_lo
	scratch_load_b128 v[8:11], off, s7 offset:-8
	global_load_b128 v[61:64], v[1:2], off offset:-8
	s_clause 0x2
	global_load_b128 v[65:68], v[65:66], off
	global_load_b128 v[69:72], v[69:70], off
	;; [unrolled: 1-line block ×3, first 2 shown]
	v_add_co_u32 v1, vcc_lo, v1, 16
	s_wait_alu 0xfffd
	v_add_co_ci_u32_e64 v2, null, 0, v2, vcc_lo
	s_add_co_i32 s73, s73, -1
	s_add_co_i32 s7, s7, 16
	s_add_co_i32 s56, s56, 1
	;; [unrolled: 1-line block ×4, first 2 shown]
	s_cmp_lg_u32 s73, 0
	s_wait_loadcnt 0x2
	v_mul_f64_e32 v[79:80], v[10:11], v[67:68]
	v_mul_f64_e32 v[77:78], v[10:11], v[63:64]
	;; [unrolled: 1-line block ×4, first 2 shown]
	s_wait_loadcnt 0x1
	v_mul_f64_e32 v[81:82], v[10:11], v[71:72]
	v_mul_f64_e32 v[71:72], v[8:9], v[71:72]
	s_wait_loadcnt 0x0
	v_mul_f64_e32 v[83:84], v[10:11], v[75:76]
	v_mul_f64_e32 v[75:76], v[8:9], v[75:76]
	v_fma_f64 v[77:78], v[8:9], v[61:62], -v[77:78]
	v_fma_f64 v[61:62], v[10:11], v[61:62], v[63:64]
	v_fma_f64 v[63:64], v[8:9], v[65:66], -v[79:80]
	v_fma_f64 v[65:66], v[10:11], v[65:66], v[67:68]
	;; [unrolled: 2-line block ×4, first 2 shown]
	v_add_f64_e32 v[43:44], v[43:44], v[77:78]
	v_add_f64_e32 v[41:42], v[41:42], v[61:62]
	;; [unrolled: 1-line block ×8, first 2 shown]
	s_cbranch_scc1 .LBB162_45
	s_branch .LBB162_56
.LBB162_46:                             ;   in Loop: Header=BB162_12 Depth=2
	ds_load_b128 v[8:11], v47
	s_wait_alu 0xfffe
	s_or_b32 exec_lo, exec_lo, s7
	s_and_saveexec_b32 s7, s3
	s_cbranch_execz .LBB162_20
.LBB162_47:                             ;   in Loop: Header=BB162_12 Depth=2
	s_wait_dscnt 0x0
	ds_bpermute_b32 v1, v56, v8
	ds_bpermute_b32 v2, v56, v9
	ds_bpermute_b32 v41, v56, v10
	ds_bpermute_b32 v42, v56, v11
	s_wait_dscnt 0x2
	v_add_f64_e32 v[1:2], v[8:9], v[1:2]
	s_wait_dscnt 0x0
	v_add_f64_e32 v[8:9], v[10:11], v[41:42]
	ds_bpermute_b32 v10, v57, v1
	ds_bpermute_b32 v11, v57, v2
	ds_bpermute_b32 v41, v57, v8
	ds_bpermute_b32 v42, v57, v9
	s_wait_dscnt 0x2
	v_add_f64_e32 v[1:2], v[1:2], v[10:11]
	s_wait_dscnt 0x0
	v_add_f64_e32 v[10:11], v[8:9], v[41:42]
	ds_bpermute_b32 v8, v58, v1
	ds_bpermute_b32 v9, v58, v2
	ds_bpermute_b32 v41, v58, v10
	ds_bpermute_b32 v42, v58, v11
	s_wait_dscnt 0x2
	v_add_f64_e32 v[8:9], v[1:2], v[8:9]
	s_wait_dscnt 0x0
	v_add_f64_e32 v[10:11], v[10:11], v[41:42]
	s_wait_alu 0xfffe
	s_or_b32 exec_lo, exec_lo, s7
	s_and_saveexec_b32 s7, s3
	s_cbranch_execnz .LBB162_21
	s_branch .LBB162_22
.LBB162_48:                             ;   in Loop: Header=BB162_12 Depth=2
	ds_load_b128 v[12:15], v47
	s_wait_alu 0xfffe
	s_or_b32 exec_lo, exec_lo, s7
	s_and_saveexec_b32 s7, s3
	s_cbranch_execz .LBB162_26
.LBB162_49:                             ;   in Loop: Header=BB162_12 Depth=2
	s_wait_dscnt 0x0
	ds_bpermute_b32 v1, v56, v12
	ds_bpermute_b32 v2, v56, v13
	ds_bpermute_b32 v41, v56, v14
	ds_bpermute_b32 v42, v56, v15
	s_wait_dscnt 0x2
	v_add_f64_e32 v[1:2], v[12:13], v[1:2]
	s_wait_dscnt 0x0
	v_add_f64_e32 v[12:13], v[14:15], v[41:42]
	ds_bpermute_b32 v14, v57, v1
	ds_bpermute_b32 v15, v57, v2
	ds_bpermute_b32 v41, v57, v12
	ds_bpermute_b32 v42, v57, v13
	s_wait_dscnt 0x2
	v_add_f64_e32 v[1:2], v[1:2], v[14:15]
	s_wait_dscnt 0x0
	v_add_f64_e32 v[14:15], v[12:13], v[41:42]
	;; [unrolled: 8-line block ×3, first 2 shown]
	s_wait_alu 0xfffe
	s_or_b32 exec_lo, exec_lo, s7
	s_and_saveexec_b32 s7, s3
	s_cbranch_execnz .LBB162_27
	s_branch .LBB162_28
.LBB162_50:                             ;   in Loop: Header=BB162_12 Depth=2
	ds_load_b128 v[16:19], v47
	s_wait_alu 0xfffe
	s_or_b32 exec_lo, exec_lo, s7
	s_and_saveexec_b32 s7, s3
	s_cbranch_execz .LBB162_32
.LBB162_51:                             ;   in Loop: Header=BB162_12 Depth=2
	s_wait_dscnt 0x0
	ds_bpermute_b32 v1, v56, v16
	ds_bpermute_b32 v2, v56, v17
	ds_bpermute_b32 v41, v56, v18
	ds_bpermute_b32 v42, v56, v19
	s_wait_dscnt 0x2
	v_add_f64_e32 v[1:2], v[16:17], v[1:2]
	s_wait_dscnt 0x0
	v_add_f64_e32 v[16:17], v[18:19], v[41:42]
	ds_bpermute_b32 v18, v57, v1
	ds_bpermute_b32 v19, v57, v2
	ds_bpermute_b32 v41, v57, v16
	ds_bpermute_b32 v42, v57, v17
	s_wait_dscnt 0x2
	v_add_f64_e32 v[1:2], v[1:2], v[18:19]
	s_wait_dscnt 0x0
	v_add_f64_e32 v[18:19], v[16:17], v[41:42]
	;; [unrolled: 8-line block ×3, first 2 shown]
	s_wait_alu 0xfffe
	s_or_b32 exec_lo, exec_lo, s7
	s_and_saveexec_b32 s7, s3
	s_cbranch_execnz .LBB162_33
	s_branch .LBB162_34
.LBB162_52:                             ;   in Loop: Header=BB162_12 Depth=2
	ds_load_b128 v[20:23], v47
	s_wait_alu 0xfffe
	s_or_b32 exec_lo, exec_lo, s7
	s_and_saveexec_b32 s7, s3
	s_cbranch_execz .LBB162_38
.LBB162_53:                             ;   in Loop: Header=BB162_12 Depth=2
	s_wait_dscnt 0x0
	ds_bpermute_b32 v1, v56, v20
	ds_bpermute_b32 v2, v56, v21
	ds_bpermute_b32 v41, v56, v22
	ds_bpermute_b32 v42, v56, v23
	s_wait_dscnt 0x2
	v_add_f64_e32 v[1:2], v[20:21], v[1:2]
	s_wait_dscnt 0x0
	v_add_f64_e32 v[20:21], v[22:23], v[41:42]
	ds_bpermute_b32 v22, v57, v1
	ds_bpermute_b32 v23, v57, v2
	ds_bpermute_b32 v41, v57, v20
	ds_bpermute_b32 v42, v57, v21
	s_wait_dscnt 0x2
	v_add_f64_e32 v[1:2], v[1:2], v[22:23]
	s_wait_dscnt 0x0
	v_add_f64_e32 v[22:23], v[20:21], v[41:42]
	;; [unrolled: 8-line block ×3, first 2 shown]
	s_wait_alu 0xfffe
	s_or_b32 exec_lo, exec_lo, s7
	s_and_saveexec_b32 s7, s0
	s_cbranch_execz .LBB162_11
.LBB162_54:                             ;   in Loop: Header=BB162_12 Depth=2
	v_mul_f64_e32 v[1:2], v[6:7], v[10:11]
	v_mul_f64_e32 v[10:11], v[4:5], v[10:11]
	;; [unrolled: 1-line block ×6, first 2 shown]
	s_wait_dscnt 0x0
	v_mul_f64_e32 v[65:66], v[6:7], v[22:23]
	v_mul_f64_e32 v[22:23], v[4:5], v[22:23]
	s_mul_i32 s8, s29, s36
	s_wait_alu 0xfffe
	s_add_co_i32 s38, s8, s30
	s_delay_alu instid0(SALU_CYCLE_1)
	s_lshl_b64 s[8:9], s[38:39], 4
	s_add_co_i32 s38, s38, s36
	s_wait_alu 0xfffe
	s_add_nc_u64 s[8:9], s[52:53], s[8:9]
	s_lshl_b64 s[54:55], s[38:39], 4
	s_add_co_i32 s38, s38, s36
	s_wait_alu 0xfffe
	s_add_nc_u64 s[54:55], s[52:53], s[54:55]
	s_lshl_b64 s[56:57], s[38:39], 4
	s_add_co_i32 s38, s38, s36
	s_wait_alu 0xfffe
	s_add_nc_u64 s[56:57], s[52:53], s[56:57]
	s_lshl_b64 s[72:73], s[38:39], 4
	s_delay_alu instid0(SALU_CYCLE_1)
	s_add_nc_u64 s[72:73], s[52:53], s[72:73]
	v_fma_f64 v[41:42], v[4:5], v[8:9], -v[1:2]
	v_fma_f64 v[43:44], v[6:7], v[8:9], v[10:11]
	v_fma_f64 v[8:9], v[4:5], v[12:13], -v[61:62]
	v_fma_f64 v[10:11], v[6:7], v[12:13], v[14:15]
	;; [unrolled: 2-line block ×4, first 2 shown]
	s_clause 0x3
	global_store_b128 v0, v[41:44], s[8:9]
	global_store_b128 v0, v[8:11], s[54:55]
	;; [unrolled: 1-line block ×4, first 2 shown]
	s_branch .LBB162_11
.LBB162_55:                             ;   in Loop: Header=BB162_12 Depth=2
	v_mov_b32_e32 v20, 0
	v_mov_b32_e32 v16, 0
	v_dual_mov_b32 v12, 0 :: v_dual_mov_b32 v43, 0
	v_dual_mov_b32 v21, 0 :: v_dual_mov_b32 v22, 0
	;; [unrolled: 1-line block ×5, first 2 shown]
	v_mov_b32_e32 v23, 0
	v_mov_b32_e32 v19, 0
	v_dual_mov_b32 v15, 0 :: v_dual_mov_b32 v42, 0
.LBB162_56:                             ;   in Loop: Header=BB162_12 Depth=2
	s_or_b32 exec_lo, exec_lo, s72
	s_delay_alu instid0(SALU_CYCLE_1)
	s_or_b32 exec_lo, exec_lo, s38
	s_and_saveexec_b32 s7, s3
	s_cbranch_execnz .LBB162_15
	s_branch .LBB162_16
.LBB162_57:                             ;   in Loop: Header=BB162_3 Depth=1
	s_mov_b32 s29, 0
.LBB162_58:                             ;   in Loop: Header=BB162_3 Depth=1
	s_delay_alu instid0(SALU_CYCLE_1)
	s_cmp_ge_i32 s29, s35
	s_cbranch_scc1 .LBB162_2
; %bb.59:                               ;   in Loop: Header=BB162_3 Depth=1
	v_cmp_gt_u32_e32 vcc_lo, 24, v51
	s_wait_alu 0xfffe
	s_add_nc_u64 s[6:7], s[52:53], s[22:23]
	s_mul_i32 s8, s33, s29
	s_mov_b32 s38, s29
	s_wait_alu 0xfffd
	v_cndmask_b32_e64 v1, 0, 8, vcc_lo
	v_cmp_gt_u32_e32 vcc_lo, 28, v51
	s_wait_dscnt 0x0
	s_delay_alu instid0(VALU_DEP_2) | instskip(SKIP_3) | instid1(VALU_DEP_2)
	v_add_lshl_u32 v22, v1, v51, 2
	s_wait_alu 0xfffd
	v_cndmask_b32_e64 v2, 0, 4, vcc_lo
	v_cmp_gt_u32_e32 vcc_lo, 30, v51
	v_add_lshl_u32 v23, v2, v51, 2
	s_wait_alu 0xfffd
	v_cndmask_b32_e64 v3, 0, 2, vcc_lo
	v_cmp_ne_u32_e32 vcc_lo, 31, v51
	s_delay_alu instid0(VALU_DEP_2)
	v_add_lshl_u32 v33, v3, v51, 2
	s_wait_alu 0xfffd
	v_add_co_ci_u32_e64 v8, null, 0, v51, vcc_lo
	v_add_co_u32 v12, vcc_lo, s48, v25
	s_wait_alu 0xfffd
	v_add_co_ci_u32_e64 v13, null, s49, v26, vcc_lo
	v_add_co_u32 v14, vcc_lo, s48, v27
	;; [unrolled: 3-line block ×5, first 2 shown]
	v_lshlrev_b32_e32 v34, 2, v8
	s_wait_alu 0xfffd
	v_add_co_ci_u32_e64 v36, null, s51, v50, vcc_lo
	s_branch .LBB162_61
.LBB162_60:                             ;   in Loop: Header=BB162_61 Depth=2
	s_wait_alu 0xfffe
	s_or_b32 exec_lo, exec_lo, s9
	s_add_co_i32 s38, s38, 1
	s_add_co_i32 s8, s8, s33
	s_cmp_lt_i32 s38, s35
	s_cbranch_scc0 .LBB162_2
.LBB162_61:                             ;   Parent Loop BB162_3 Depth=1
                                        ; =>  This Loop Header: Depth=2
                                        ;       Child Loop BB162_73 Depth 3
                                        ;       Child Loop BB162_75 Depth 3
                                        ; implicit-def: $vgpr8_vgpr9
                                        ; implicit-def: $vgpr10_vgpr11
	s_and_saveexec_b32 s9, s1
	s_wait_alu 0xfffe
	s_xor_b32 s9, exec_lo, s9
	s_cbranch_execnz .LBB162_70
; %bb.62:                               ;   in Loop: Header=BB162_61 Depth=2
	s_wait_alu 0xfffe
	s_and_not1_saveexec_b32 s29, s9
	s_cbranch_execnz .LBB162_71
.LBB162_63:                             ;   in Loop: Header=BB162_61 Depth=2
	s_or_b32 exec_lo, exec_lo, s29
	s_and_saveexec_b32 s9, s3
.LBB162_64:                             ;   in Loop: Header=BB162_61 Depth=2
	v_dual_mov_b32 v1, v0 :: v_dual_mov_b32 v2, v0
	v_mov_b32_e32 v3, v0
	ds_store_b128 v47, v[0:3]
.LBB162_65:                             ;   in Loop: Header=BB162_61 Depth=2
	s_wait_alu 0xfffe
	s_or_b32 exec_lo, exec_lo, s9
	s_wait_dscnt 0x0
	ds_bpermute_b32 v1, v52, v8
	ds_bpermute_b32 v2, v52, v9
	;; [unrolled: 1-line block ×4, first 2 shown]
	s_wait_storecnt 0x0
	s_wait_loadcnt_dscnt 0x0
	s_barrier_signal -1
	s_barrier_wait -1
	global_inv scope:SCOPE_SE
	v_add_f64_e32 v[1:2], v[8:9], v[1:2]
	v_add_f64_e32 v[8:9], v[10:11], v[20:21]
	ds_bpermute_b32 v10, v22, v1
	ds_bpermute_b32 v11, v22, v2
	ds_bpermute_b32 v20, v22, v8
	ds_bpermute_b32 v21, v22, v9
	s_wait_dscnt 0x2
	v_add_f64_e32 v[1:2], v[1:2], v[10:11]
	s_wait_dscnt 0x0
	v_add_f64_e32 v[8:9], v[8:9], v[20:21]
	ds_bpermute_b32 v10, v23, v1
	ds_bpermute_b32 v11, v23, v2
	ds_bpermute_b32 v20, v23, v8
	ds_bpermute_b32 v21, v23, v9
	s_wait_dscnt 0x2
	v_add_f64_e32 v[1:2], v[1:2], v[10:11]
	s_wait_dscnt 0x0
	;; [unrolled: 8-line block ×3, first 2 shown]
	v_add_f64_e32 v[10:11], v[8:9], v[20:21]
	ds_bpermute_b32 v8, v34, v1
	ds_bpermute_b32 v9, v34, v2
	;; [unrolled: 1-line block ×4, first 2 shown]
	s_and_saveexec_b32 s9, s4
	s_cbranch_execz .LBB162_67
; %bb.66:                               ;   in Loop: Header=BB162_61 Depth=2
	s_wait_dscnt 0x0
	v_add_f64_e32 v[10:11], v[10:11], v[20:21]
	v_add_f64_e32 v[8:9], v[1:2], v[8:9]
	ds_store_b128 v48, v[8:11]
.LBB162_67:                             ;   in Loop: Header=BB162_61 Depth=2
	s_wait_alu 0xfffe
	s_or_b32 exec_lo, exec_lo, s9
	v_mov_b32_e32 v10, 0
	s_wait_dscnt 0x2
	v_dual_mov_b32 v11, 0 :: v_dual_mov_b32 v8, 0
	v_mov_b32_e32 v9, 0
	s_wait_loadcnt_dscnt 0x0
	s_barrier_signal -1
	s_barrier_wait -1
	global_inv scope:SCOPE_SE
	s_and_saveexec_b32 s9, s5
	s_cbranch_execnz .LBB162_77
; %bb.68:                               ;   in Loop: Header=BB162_61 Depth=2
	s_wait_alu 0xfffe
	s_or_b32 exec_lo, exec_lo, s9
	s_and_saveexec_b32 s9, s3
	s_cbranch_execnz .LBB162_78
.LBB162_69:                             ;   in Loop: Header=BB162_61 Depth=2
	s_wait_alu 0xfffe
	s_or_b32 exec_lo, exec_lo, s9
	s_and_saveexec_b32 s9, s0
	s_cbranch_execz .LBB162_60
	s_branch .LBB162_79
.LBB162_70:                             ;   in Loop: Header=BB162_61 Depth=2
	s_wait_dscnt 0x0
	s_clause 0x2
	global_load_b128 v[8:11], v[14:15], off
	global_load_b128 v[37:40], v[16:17], off
	;; [unrolled: 1-line block ×3, first 2 shown]
	s_mul_i32 s50, s38, s33
	s_wait_alu 0xfffe
	s_ashr_i32 s51, s50, 31
	s_wait_alu 0xfffe
	s_lshl_b64 s[50:51], s[50:51], 4
	s_wait_alu 0xfffe
	v_add_co_u32 v1, vcc_lo, v53, s50
	s_wait_alu 0xfffd
	v_add_co_ci_u32_e64 v2, null, s51, v54, vcc_lo
	global_load_b128 v[55:58], v[12:13], off
	s_clause 0x1
	global_load_b128 v[59:62], v[1:2], off
	global_load_b128 v[63:66], v[1:2], off offset:16
	s_wait_loadcnt 0x5
	scratch_store_b128 off, v[8:11], s62
	s_wait_loadcnt 0x4
	scratch_store_b128 off, v[37:40], s63
	s_clause 0x1
	scratch_load_b128 v[8:11], off, off offset:16
	scratch_load_b128 v[37:40], off, off offset:32
	s_clause 0x1
	global_load_b128 v[67:70], v[1:2], off offset:32
	global_load_b128 v[71:74], v[1:2], off offset:48
	s_wait_loadcnt 0x7
	scratch_store_b128 off, v[41:44], s64
	scratch_load_b128 v[41:44], off, off offset:48
	s_wait_loadcnt 0x7
	scratch_store_b128 off, v[55:58], off
	s_wait_loadcnt 0x6
	v_mul_f64_e32 v[1:2], v[61:62], v[57:58]
	v_mul_f64_e32 v[20:21], v[59:60], v[57:58]
	s_delay_alu instid0(VALU_DEP_2) | instskip(NEXT) | instid1(VALU_DEP_2)
	v_fma_f64 v[1:2], v[59:60], v[55:56], -v[1:2]
	v_fma_f64 v[20:21], v[61:62], v[55:56], v[20:21]
	s_delay_alu instid0(VALU_DEP_2) | instskip(NEXT) | instid1(VALU_DEP_2)
	v_add_f64_e32 v[1:2], 0, v[1:2]
	v_add_f64_e32 v[20:21], 0, v[20:21]
	s_wait_loadcnt 0x4
	v_mul_f64_e32 v[59:60], v[65:66], v[10:11]
	v_mul_f64_e32 v[10:11], v[63:64], v[10:11]
	s_wait_loadcnt 0x2
	v_mul_f64_e32 v[61:62], v[69:70], v[39:40]
	v_mul_f64_e32 v[39:40], v[67:68], v[39:40]
	s_delay_alu instid0(VALU_DEP_4) | instskip(NEXT) | instid1(VALU_DEP_4)
	v_fma_f64 v[59:60], v[63:64], v[8:9], -v[59:60]
	v_fma_f64 v[8:9], v[65:66], v[8:9], v[10:11]
	s_wait_loadcnt 0x0
	v_mul_f64_e32 v[10:11], v[73:74], v[43:44]
	v_mul_f64_e32 v[43:44], v[71:72], v[43:44]
	v_fma_f64 v[61:62], v[67:68], v[37:38], -v[61:62]
	v_fma_f64 v[37:38], v[69:70], v[37:38], v[39:40]
	v_add_f64_e32 v[1:2], v[1:2], v[59:60]
	v_add_f64_e32 v[8:9], v[20:21], v[8:9]
	v_fma_f64 v[10:11], v[71:72], v[41:42], -v[10:11]
	v_fma_f64 v[20:21], v[73:74], v[41:42], v[43:44]
	s_delay_alu instid0(VALU_DEP_4) | instskip(NEXT) | instid1(VALU_DEP_4)
	v_add_f64_e32 v[1:2], v[1:2], v[61:62]
	v_add_f64_e32 v[37:38], v[8:9], v[37:38]
	s_delay_alu instid0(VALU_DEP_2) | instskip(NEXT) | instid1(VALU_DEP_2)
	v_add_f64_e32 v[8:9], v[1:2], v[10:11]
	v_add_f64_e32 v[10:11], v[37:38], v[20:21]
	s_and_not1_saveexec_b32 s29, s9
	s_cbranch_execz .LBB162_63
.LBB162_71:                             ;   in Loop: Header=BB162_61 Depth=2
	s_wait_dscnt 0x0
	v_mov_b32_e32 v8, 0
	v_dual_mov_b32 v9, 0 :: v_dual_mov_b32 v10, 0
	v_mov_b32_e32 v11, 0
	s_and_saveexec_b32 s50, s65
	s_cbranch_execz .LBB162_76
; %bb.72:                               ;   in Loop: Header=BB162_61 Depth=2
	v_mov_b32_e32 v1, v24
	s_mov_b32 s9, 0
	s_mov_b32 s51, s60
.LBB162_73:                             ;   Parent Loop BB162_3 Depth=1
                                        ;     Parent Loop BB162_61 Depth=2
                                        ; =>    This Inner Loop Header: Depth=3
	s_delay_alu instid0(VALU_DEP_1) | instskip(SKIP_2) | instid1(VALU_DEP_1)
	v_ashrrev_i32_e32 v2, 31, v1
	s_wait_alu 0xfffe
	s_add_co_i32 s51, s51, -1
	v_lshlrev_b64_e32 v[2:3], 4, v[1:2]
	v_add_nc_u32_e32 v1, s10, v1
	s_delay_alu instid0(VALU_DEP_2) | instskip(SKIP_1) | instid1(VALU_DEP_3)
	v_add_co_u32 v2, vcc_lo, s48, v2
	s_wait_alu 0xfffd
	v_add_co_ci_u32_e64 v3, null, s49, v3, vcc_lo
	global_load_b128 v[8:11], v[2:3], off
	s_wait_loadcnt 0x0
	scratch_store_b128 off, v[8:11], s9
	s_add_co_i32 s9, s9, 16
	s_wait_alu 0xfffe
	s_cmp_eq_u32 s51, 0
	s_cbranch_scc0 .LBB162_73
; %bb.74:                               ;   in Loop: Header=BB162_61 Depth=2
	s_ashr_i32 s9, s8, 31
	v_mov_b32_e32 v8, 0
	s_wait_alu 0xfffe
	s_lshl_b64 s[52:53], s[8:9], 4
	v_dual_mov_b32 v9, 0 :: v_dual_mov_b32 v10, 0
	s_wait_alu 0xfffe
	v_add_co_u32 v1, vcc_lo, v35, s52
	v_mov_b32_e32 v11, 0
	s_wait_alu 0xfffd
	v_add_co_ci_u32_e64 v2, null, s53, v36, vcc_lo
	s_mov_b32 s9, s31
	s_mov_b32 s51, s60
.LBB162_75:                             ;   Parent Loop BB162_3 Depth=1
                                        ;     Parent Loop BB162_61 Depth=2
                                        ; =>    This Inner Loop Header: Depth=3
	global_load_b128 v[37:40], v[1:2], off offset:-8
	scratch_load_b128 v[41:44], off, s9 offset:-8
	v_add_co_u32 v1, vcc_lo, v1, 16
	s_wait_alu 0xfffd
	v_add_co_ci_u32_e64 v2, null, 0, v2, vcc_lo
	s_wait_alu 0xfffe
	s_add_co_i32 s51, s51, -1
	s_add_co_i32 s9, s9, 16
	s_wait_alu 0xfffe
	s_cmp_lg_u32 s51, 0
	s_wait_loadcnt 0x0
	v_mul_f64_e32 v[20:21], v[39:40], v[43:44]
	v_mul_f64_e32 v[43:44], v[37:38], v[43:44]
	s_delay_alu instid0(VALU_DEP_2) | instskip(NEXT) | instid1(VALU_DEP_2)
	v_fma_f64 v[20:21], v[37:38], v[41:42], -v[20:21]
	v_fma_f64 v[37:38], v[39:40], v[41:42], v[43:44]
	s_delay_alu instid0(VALU_DEP_2) | instskip(NEXT) | instid1(VALU_DEP_2)
	v_add_f64_e32 v[8:9], v[8:9], v[20:21]
	v_add_f64_e32 v[10:11], v[10:11], v[37:38]
	s_cbranch_scc1 .LBB162_75
.LBB162_76:                             ;   in Loop: Header=BB162_61 Depth=2
	s_wait_alu 0xfffe
	s_or_b32 exec_lo, exec_lo, s50
	s_delay_alu instid0(SALU_CYCLE_1)
	s_or_b32 exec_lo, exec_lo, s29
	s_and_saveexec_b32 s9, s3
	s_cbranch_execnz .LBB162_64
	s_branch .LBB162_65
.LBB162_77:                             ;   in Loop: Header=BB162_61 Depth=2
	ds_load_b128 v[8:11], v47
	s_wait_alu 0xfffe
	s_or_b32 exec_lo, exec_lo, s9
	s_and_saveexec_b32 s9, s3
	s_cbranch_execz .LBB162_69
.LBB162_78:                             ;   in Loop: Header=BB162_61 Depth=2
	s_wait_dscnt 0x0
	ds_bpermute_b32 v1, v23, v8
	ds_bpermute_b32 v2, v23, v9
	ds_bpermute_b32 v20, v23, v10
	ds_bpermute_b32 v21, v23, v11
	s_wait_dscnt 0x2
	v_add_f64_e32 v[1:2], v[8:9], v[1:2]
	s_wait_dscnt 0x0
	v_add_f64_e32 v[8:9], v[10:11], v[20:21]
	ds_bpermute_b32 v10, v33, v1
	ds_bpermute_b32 v11, v33, v2
	ds_bpermute_b32 v20, v33, v8
	ds_bpermute_b32 v21, v33, v9
	s_wait_dscnt 0x2
	v_add_f64_e32 v[1:2], v[1:2], v[10:11]
	s_wait_dscnt 0x0
	v_add_f64_e32 v[10:11], v[8:9], v[20:21]
	;; [unrolled: 8-line block ×3, first 2 shown]
	s_wait_alu 0xfffe
	s_or_b32 exec_lo, exec_lo, s9
	s_and_saveexec_b32 s9, s0
	s_cbranch_execz .LBB162_60
.LBB162_79:                             ;   in Loop: Header=BB162_61 Depth=2
	s_wait_dscnt 0x0
	s_delay_alu instid0(VALU_DEP_1)
	v_mul_f64_e32 v[1:2], v[6:7], v[10:11]
	v_mul_f64_e32 v[10:11], v[4:5], v[10:11]
	s_mul_u64 s[50:51], s[38:39], s[36:37]
	s_wait_alu 0xfffe
	s_lshl_b64 s[50:51], s[50:51], 4
	s_wait_alu 0xfffe
	s_add_nc_u64 s[50:51], s[6:7], s[50:51]
	s_delay_alu instid0(VALU_DEP_2) | instskip(NEXT) | instid1(VALU_DEP_2)
	v_fma_f64 v[37:38], v[4:5], v[8:9], -v[1:2]
	v_fma_f64 v[39:40], v[6:7], v[8:9], v[10:11]
	global_store_b128 v0, v[37:40], s[50:51]
	s_branch .LBB162_60
.LBB162_80:
	s_nop 0
	s_sendmsg sendmsg(MSG_DEALLOC_VGPRS)
	s_endpgm
	.section	.rodata,"a",@progbits
	.p2align	6, 0x0
	.amdhsa_kernel _ZL23rocblas_gemvt_sn_kernelILb0ELi256ELi4Ei19rocblas_complex_numIdEPKS1_S1_EviiT4_lPKT3_lilS7_lilPT5_i
		.amdhsa_group_segment_fixed_size 512
		.amdhsa_private_segment_fixed_size 80
		.amdhsa_kernarg_size 360
		.amdhsa_user_sgpr_count 2
		.amdhsa_user_sgpr_dispatch_ptr 0
		.amdhsa_user_sgpr_queue_ptr 0
		.amdhsa_user_sgpr_kernarg_segment_ptr 1
		.amdhsa_user_sgpr_dispatch_id 0
		.amdhsa_user_sgpr_private_segment_size 0
		.amdhsa_wavefront_size32 1
		.amdhsa_uses_dynamic_stack 0
		.amdhsa_enable_private_segment 1
		.amdhsa_system_sgpr_workgroup_id_x 1
		.amdhsa_system_sgpr_workgroup_id_y 0
		.amdhsa_system_sgpr_workgroup_id_z 1
		.amdhsa_system_sgpr_workgroup_info 0
		.amdhsa_system_vgpr_workitem_id 0
		.amdhsa_next_free_vgpr 113
		.amdhsa_next_free_sgpr 80
		.amdhsa_reserve_vcc 1
		.amdhsa_float_round_mode_32 0
		.amdhsa_float_round_mode_16_64 0
		.amdhsa_float_denorm_mode_32 3
		.amdhsa_float_denorm_mode_16_64 3
		.amdhsa_fp16_overflow 0
		.amdhsa_workgroup_processor_mode 1
		.amdhsa_memory_ordered 1
		.amdhsa_forward_progress 1
		.amdhsa_inst_pref_size 57
		.amdhsa_round_robin_scheduling 0
		.amdhsa_exception_fp_ieee_invalid_op 0
		.amdhsa_exception_fp_denorm_src 0
		.amdhsa_exception_fp_ieee_div_zero 0
		.amdhsa_exception_fp_ieee_overflow 0
		.amdhsa_exception_fp_ieee_underflow 0
		.amdhsa_exception_fp_ieee_inexact 0
		.amdhsa_exception_int_div_zero 0
	.end_amdhsa_kernel
	.section	.text._ZL23rocblas_gemvt_sn_kernelILb0ELi256ELi4Ei19rocblas_complex_numIdEPKS1_S1_EviiT4_lPKT3_lilS7_lilPT5_i,"axG",@progbits,_ZL23rocblas_gemvt_sn_kernelILb0ELi256ELi4Ei19rocblas_complex_numIdEPKS1_S1_EviiT4_lPKT3_lilS7_lilPT5_i,comdat
.Lfunc_end162:
	.size	_ZL23rocblas_gemvt_sn_kernelILb0ELi256ELi4Ei19rocblas_complex_numIdEPKS1_S1_EviiT4_lPKT3_lilS7_lilPT5_i, .Lfunc_end162-_ZL23rocblas_gemvt_sn_kernelILb0ELi256ELi4Ei19rocblas_complex_numIdEPKS1_S1_EviiT4_lPKT3_lilS7_lilPT5_i
                                        ; -- End function
	.set _ZL23rocblas_gemvt_sn_kernelILb0ELi256ELi4Ei19rocblas_complex_numIdEPKS1_S1_EviiT4_lPKT3_lilS7_lilPT5_i.num_vgpr, 113
	.set _ZL23rocblas_gemvt_sn_kernelILb0ELi256ELi4Ei19rocblas_complex_numIdEPKS1_S1_EviiT4_lPKT3_lilS7_lilPT5_i.num_agpr, 0
	.set _ZL23rocblas_gemvt_sn_kernelILb0ELi256ELi4Ei19rocblas_complex_numIdEPKS1_S1_EviiT4_lPKT3_lilS7_lilPT5_i.numbered_sgpr, 80
	.set _ZL23rocblas_gemvt_sn_kernelILb0ELi256ELi4Ei19rocblas_complex_numIdEPKS1_S1_EviiT4_lPKT3_lilS7_lilPT5_i.num_named_barrier, 0
	.set _ZL23rocblas_gemvt_sn_kernelILb0ELi256ELi4Ei19rocblas_complex_numIdEPKS1_S1_EviiT4_lPKT3_lilS7_lilPT5_i.private_seg_size, 80
	.set _ZL23rocblas_gemvt_sn_kernelILb0ELi256ELi4Ei19rocblas_complex_numIdEPKS1_S1_EviiT4_lPKT3_lilS7_lilPT5_i.uses_vcc, 1
	.set _ZL23rocblas_gemvt_sn_kernelILb0ELi256ELi4Ei19rocblas_complex_numIdEPKS1_S1_EviiT4_lPKT3_lilS7_lilPT5_i.uses_flat_scratch, 1
	.set _ZL23rocblas_gemvt_sn_kernelILb0ELi256ELi4Ei19rocblas_complex_numIdEPKS1_S1_EviiT4_lPKT3_lilS7_lilPT5_i.has_dyn_sized_stack, 0
	.set _ZL23rocblas_gemvt_sn_kernelILb0ELi256ELi4Ei19rocblas_complex_numIdEPKS1_S1_EviiT4_lPKT3_lilS7_lilPT5_i.has_recursion, 0
	.set _ZL23rocblas_gemvt_sn_kernelILb0ELi256ELi4Ei19rocblas_complex_numIdEPKS1_S1_EviiT4_lPKT3_lilS7_lilPT5_i.has_indirect_call, 0
	.section	.AMDGPU.csdata,"",@progbits
; Kernel info:
; codeLenInByte = 7184
; TotalNumSgprs: 82
; NumVgprs: 113
; ScratchSize: 80
; MemoryBound: 0
; FloatMode: 240
; IeeeMode: 1
; LDSByteSize: 512 bytes/workgroup (compile time only)
; SGPRBlocks: 0
; VGPRBlocks: 14
; NumSGPRsForWavesPerEU: 82
; NumVGPRsForWavesPerEU: 113
; Occupancy: 12
; WaveLimiterHint : 0
; COMPUTE_PGM_RSRC2:SCRATCH_EN: 1
; COMPUTE_PGM_RSRC2:USER_SGPR: 2
; COMPUTE_PGM_RSRC2:TRAP_HANDLER: 0
; COMPUTE_PGM_RSRC2:TGID_X_EN: 1
; COMPUTE_PGM_RSRC2:TGID_Y_EN: 0
; COMPUTE_PGM_RSRC2:TGID_Z_EN: 1
; COMPUTE_PGM_RSRC2:TIDIG_COMP_CNT: 0
	.section	.text._ZL23rocblas_gemvt_sn_kernelILb0ELi256ELi4El19rocblas_complex_numIdEPKS1_S1_EviiT4_lPKT3_lilS7_lilPT5_i,"axG",@progbits,_ZL23rocblas_gemvt_sn_kernelILb0ELi256ELi4El19rocblas_complex_numIdEPKS1_S1_EviiT4_lPKT3_lilS7_lilPT5_i,comdat
	.globl	_ZL23rocblas_gemvt_sn_kernelILb0ELi256ELi4El19rocblas_complex_numIdEPKS1_S1_EviiT4_lPKT3_lilS7_lilPT5_i ; -- Begin function _ZL23rocblas_gemvt_sn_kernelILb0ELi256ELi4El19rocblas_complex_numIdEPKS1_S1_EviiT4_lPKT3_lilS7_lilPT5_i
	.p2align	8
	.type	_ZL23rocblas_gemvt_sn_kernelILb0ELi256ELi4El19rocblas_complex_numIdEPKS1_S1_EviiT4_lPKT3_lilS7_lilPT5_i,@function
_ZL23rocblas_gemvt_sn_kernelILb0ELi256ELi4El19rocblas_complex_numIdEPKS1_S1_EviiT4_lPKT3_lilS7_lilPT5_i: ; @_ZL23rocblas_gemvt_sn_kernelILb0ELi256ELi4El19rocblas_complex_numIdEPKS1_S1_EviiT4_lPKT3_lilS7_lilPT5_i
; %bb.0:
	s_load_b32 s33, s[0:1], 0x60
	s_lshr_b32 s10, ttmp7, 16
	s_wait_kmcnt 0x0
	s_cmp_ge_u32 s10, s33
	s_cbranch_scc1 .LBB163_80
; %bb.1:
	s_clause 0x6
	s_load_b32 s30, s[0:1], 0x28
	s_load_b96 s[4:6], s[0:1], 0x40
	s_load_b256 s[12:19], s[0:1], 0x8
	s_load_b64 s[34:35], s[0:1], 0x0
	s_load_b128 s[20:23], s[0:1], 0x30
	s_load_b32 s36, s[0:1], 0x68
	s_load_b128 s[24:27], s[0:1], 0x50
	v_cmp_eq_u32_e64 s0, 0, v0
	v_mbcnt_lo_u32_b32 v56, -1, 0
	s_mov_b32 s28, ttmp9
	s_mov_b32 s29, 0
	s_mov_b32 s64, 16
	;; [unrolled: 1-line block ×3, first 2 shown]
	v_lshl_or_b32 v57, v56, 2, 64
	s_mov_b32 s65, 32
	s_mov_b32 s66, 48
	s_wait_kmcnt 0x0
	s_ashr_i32 s31, s30, 31
	s_ashr_i32 s9, s6, 31
	s_lshl_b64 s[2:3], s[4:5], 4
	s_lshl_b64 s[4:5], s[18:19], 4
	s_ashr_i32 s39, s35, 31
	s_cmp_gt_i32 s35, 0
	s_add_nc_u64 s[18:19], s[22:23], s[2:3]
	s_cselect_b32 s1, -1, 0
	s_lshl_b32 s7, ttmp9, 10
	s_add_nc_u64 s[2:3], s[16:17], s[4:5]
	v_lshl_or_b32 v1, v0, 2, s7
	s_lshr_b32 s4, s39, 30
	s_ashr_i32 s5, s34, 31
	s_and_b32 s60, s0, s1
	s_add_co_i32 s1, s35, s4
	v_ashrrev_i32_e32 v2, 31, v1
	s_lshr_b32 s4, s5, 30
	s_and_b32 s61, s1, -4
	s_add_co_i32 s1, s34, s4
	v_add_nc_u32_e32 v4, 4, v1
	v_lshlrev_b64_e32 v[2:3], 4, v[1:2]
	s_and_b32 s1, s1, -4
	v_cmp_gt_u32_e64 s5, 8, v0
	s_sub_co_i32 s62, s34, s1
	v_cmp_ge_i32_e64 s1, s34, v4
	v_or_b32_e32 v6, 2, v1
	v_add_co_u32 v50, vcc_lo, s2, v2
	v_add_nc_u32_e32 v2, s62, v1
	v_add_co_ci_u32_e64 v51, null, s3, v3, vcc_lo
	v_and_b32_e32 v3, 31, v0
	v_cmp_gt_u32_e64 s3, 32, v0
	s_delay_alu instid0(VALU_DEP_4)
	v_cmp_ge_i32_e64 s2, s34, v2
	v_lshrrev_b32_e32 v2, 1, v0
	v_or_b32_e32 v0, 1, v1
	v_mad_co_i64_i32 v[6:7], null, s6, v6, 0
	s_cmp_gt_i32 s61, 0
	v_and_b32_e32 v53, 0x70, v2
	v_mad_co_i64_i32 v[4:5], null, s6, v0, 0
	v_or_b32_e32 v0, 3, v1
	s_cselect_b32 s63, -1, 0
	s_cmp_gt_i32 s62, 0
	s_mov_b32 s38, s35
	s_cselect_b32 s34, -1, 0
	v_mad_co_i64_i32 v[8:9], null, s6, v0, 0
	v_mov_b32_e32 v0, 0
	v_cmp_eq_u32_e64 s4, 0, v3
	v_lshlrev_b32_e32 v52, 4, v3
	v_mad_co_i64_i32 v[2:3], null, s6, v1, 0
	s_lshl_b64 s[22:23], s[28:29], 4
	v_lshlrev_b64_e32 v[28:29], 4, v[4:5]
	v_lshlrev_b64_e32 v[30:31], 4, v[6:7]
	;; [unrolled: 1-line block ×3, first 2 shown]
	s_mov_b32 s8, s6
	s_mul_u64 s[16:17], s[38:39], s[36:37]
	v_lshlrev_b64_e32 v[24:25], 4, v[2:3]
	s_add_nc_u64 s[6:7], s[26:27], s[22:23]
	s_or_b32 s67, 0, 8
	s_wait_alu 0xfffe
	s_and_b32 s68, s34, s2
	s_add_nc_u64 s[38:39], s[6:7], 8
	s_lshl_b64 s[40:41], s[16:17], 4
	v_add_co_u32 v26, vcc_lo, s18, v24
	s_wait_alu 0xfffd
	v_add_co_ci_u32_e64 v27, null, s19, v25, vcc_lo
	v_add_co_u32 v54, vcc_lo, v50, 8
	s_wait_alu 0xfffd
	v_add_co_ci_u32_e64 v55, null, 0, v51, vcc_lo
	s_lshl_b64 s[42:43], s[36:37], 4
	s_lshl_b64 s[44:45], s[24:25], 4
	s_lshl_b64 s[46:47], s[8:9], 4
	s_lshl_b64 s[48:49], s[20:21], 4
	s_lshl_b64 s[50:51], s[30:31], 6
	s_lshl_b64 s[52:53], s[30:31], 4
	s_branch .LBB163_3
.LBB163_2:                              ;   in Loop: Header=BB163_3 Depth=1
	s_add_co_i32 s10, s10, 0x10000
	s_wait_alu 0xfffe
	s_cmp_lt_u32 s10, s33
	s_cbranch_scc0 .LBB163_80
.LBB163_3:                              ; =>This Loop Header: Depth=1
                                        ;     Child Loop BB163_6 Depth 2
                                        ;     Child Loop BB163_12 Depth 2
                                        ;       Child Loop BB163_43 Depth 3
                                        ;       Child Loop BB163_45 Depth 3
                                        ;     Child Loop BB163_61 Depth 2
                                        ;       Child Loop BB163_73 Depth 3
                                        ;       Child Loop BB163_75 Depth 3
	s_mov_b32 s11, s29
	s_wait_alu 0xfffe
	s_mul_u64 s[6:7], s[14:15], s[10:11]
	s_wait_alu 0xfffe
	s_lshl_b64 s[6:7], s[6:7], 4
	s_wait_alu 0xfffe
	s_add_nc_u64 s[6:7], s[12:13], s[6:7]
	global_load_b128 v[4:7], v0, s[6:7]
	s_wait_loadcnt 0x0
	v_cmp_neq_f64_e32 vcc_lo, 0, v[4:5]
	v_cmp_neq_f64_e64 s6, 0, v[6:7]
	s_wait_alu 0xfffe
	s_or_b32 s6, vcc_lo, s6
	s_wait_alu 0xfffe
	s_and_b32 vcc_lo, exec_lo, s6
	s_mov_b32 s6, -1
	s_wait_alu 0xfffe
	s_cbranch_vccnz .LBB163_8
; %bb.4:                                ;   in Loop: Header=BB163_3 Depth=1
	s_and_saveexec_b32 s8, s60
	s_cbranch_execz .LBB163_7
; %bb.5:                                ;   in Loop: Header=BB163_3 Depth=1
	s_mul_u64 s[6:7], s[40:41], s[10:11]
	s_mov_b32 s9, s35
	s_wait_alu 0xfffe
	s_add_nc_u64 s[6:7], s[38:39], s[6:7]
.LBB163_6:                              ;   Parent Loop BB163_3 Depth=1
                                        ; =>  This Inner Loop Header: Depth=2
	v_dual_mov_b32 v1, v0 :: v_dual_mov_b32 v2, v0
	v_mov_b32_e32 v3, v0
	s_add_co_i32 s9, s9, -1
	s_wait_alu 0xfffe
	s_cmp_eq_u32 s9, 0
	global_store_b128 v0, v[0:3], s[6:7] offset:-8
	s_add_nc_u64 s[6:7], s[6:7], s[42:43]
	s_cbranch_scc0 .LBB163_6
.LBB163_7:                              ;   in Loop: Header=BB163_3 Depth=1
	s_wait_alu 0xfffe
	s_or_b32 exec_lo, exec_lo, s8
	s_mov_b32 s6, 0
.LBB163_8:                              ;   in Loop: Header=BB163_3 Depth=1
	s_wait_alu 0xfffe
	s_and_not1_b32 vcc_lo, exec_lo, s6
	s_wait_alu 0xfffe
	s_cbranch_vccnz .LBB163_2
; %bb.9:                                ;   in Loop: Header=BB163_3 Depth=1
	v_mad_co_u64_u32 v[34:35], null, s44, s10, v[26:27]
	s_mul_u64 s[70:71], s[20:21], s[10:11]
	s_mul_u64 s[54:55], s[24:25], s[10:11]
	s_wait_alu 0xfffe
	s_lshl_b64 s[70:71], s[70:71], 4
	s_mul_u64 s[58:59], s[16:17], s[10:11]
	s_wait_alu 0xfffe
	v_add_co_u32 v58, vcc_lo, v50, s70
	v_mov_b32_e32 v1, v35
	s_lshl_b64 s[54:55], s[54:55], 4
	s_lshl_b64 s[72:73], s[58:59], 4
	v_cmp_gt_u32_e64 s7, 24, v56
	v_cmp_gt_u32_e64 s8, 28, v56
	v_mad_co_u64_u32 v[1:2], null, s45, s10, v[1:2]
	v_cmp_gt_u32_e64 s6, 30, v56
	s_wait_alu 0xfffd
	v_add_co_ci_u32_e64 v59, null, s71, v51, vcc_lo
	v_cmp_ne_u32_e64 s9, 31, v56
	s_add_nc_u64 s[58:59], s[18:19], s[54:55]
	s_wait_alu 0xfffe
	s_add_nc_u64 s[54:55], s[26:27], s[72:73]
	v_mov_b32_e32 v35, v1
	s_mul_u64 s[56:57], s[48:49], s[10:11]
	s_and_not1_b32 vcc_lo, exec_lo, s63
	s_add_nc_u64 s[54:55], s[54:55], s[22:23]
	s_wait_alu 0xfffe
	s_cbranch_vccnz .LBB163_57
; %bb.10:                               ;   in Loop: Header=BB163_3 Depth=1
	v_add_co_u32 v36, vcc_lo, v50, s56
	s_wait_alu 0xfffd
	v_add_co_ci_u32_e64 v37, null, s57, v51, vcc_lo
	v_add_co_u32 v38, vcc_lo, s58, v24
	s_wait_alu 0xfffd
	v_add_co_ci_u32_e64 v39, null, s59, v25, vcc_lo
	v_add_co_u32 v40, vcc_lo, s58, v28
	v_cndmask_b32_e64 v1, 0, 8, s7
	v_cndmask_b32_e64 v2, 0, 4, s8
	;; [unrolled: 1-line block ×3, first 2 shown]
	s_wait_dscnt 0x0
	v_add_co_ci_u32_e64 v8, null, 0, v56, s9
	s_wait_alu 0xfffd
	v_add_co_ci_u32_e64 v41, null, s59, v29, vcc_lo
	v_add_co_u32 v42, vcc_lo, s58, v30
	s_wait_alu 0xfffd
	v_add_co_ci_u32_e64 v43, null, s59, v31, vcc_lo
	v_add_co_u32 v44, vcc_lo, s58, v32
	v_add_lshl_u32 v60, v1, v56, 2
	v_add_lshl_u32 v61, v2, v56, 2
	;; [unrolled: 1-line block ×3, first 2 shown]
	v_lshlrev_b32_e32 v63, 2, v8
	s_wait_alu 0xfffd
	v_add_co_ci_u32_e64 v45, null, s59, v33, vcc_lo
	s_mov_b32 s28, 0
	s_branch .LBB163_12
.LBB163_11:                             ;   in Loop: Header=BB163_12 Depth=2
	s_wait_alu 0xfffe
	s_or_b32 exec_lo, exec_lo, s6
	v_add_co_u32 v36, vcc_lo, v36, s50
	s_wait_alu 0xfffd
	v_add_co_ci_u32_e64 v37, null, s51, v37, vcc_lo
	s_add_co_i32 s28, s28, 4
	s_delay_alu instid0(SALU_CYCLE_1)
	s_cmp_ge_i32 s28, s61
	s_cbranch_scc1 .LBB163_58
.LBB163_12:                             ;   Parent Loop BB163_3 Depth=1
                                        ; =>  This Loop Header: Depth=2
                                        ;       Child Loop BB163_43 Depth 3
                                        ;       Child Loop BB163_45 Depth 3
                                        ; implicit-def: $vgpr20_vgpr21
                                        ; implicit-def: $vgpr22_vgpr23
                                        ; implicit-def: $vgpr16_vgpr17
                                        ; implicit-def: $vgpr18_vgpr19
                                        ; implicit-def: $vgpr12_vgpr13
                                        ; implicit-def: $vgpr14_vgpr15
                                        ; implicit-def: $vgpr48_vgpr49
                                        ; implicit-def: $vgpr46_vgpr47
	s_and_saveexec_b32 s6, s1
	s_wait_alu 0xfffe
	s_xor_b32 s7, exec_lo, s6
	s_cbranch_execnz .LBB163_39
; %bb.13:                               ;   in Loop: Header=BB163_12 Depth=2
	s_wait_alu 0xfffe
	s_and_not1_saveexec_b32 s6, s7
	s_cbranch_execnz .LBB163_40
.LBB163_14:                             ;   in Loop: Header=BB163_12 Depth=2
	s_wait_alu 0xfffe
	s_or_b32 exec_lo, exec_lo, s6
	s_and_saveexec_b32 s6, s3
.LBB163_15:                             ;   in Loop: Header=BB163_12 Depth=2
	v_dual_mov_b32 v1, v0 :: v_dual_mov_b32 v2, v0
	v_mov_b32_e32 v3, v0
	ds_store_b128 v52, v[0:3]
.LBB163_16:                             ;   in Loop: Header=BB163_12 Depth=2
	s_wait_alu 0xfffe
	s_or_b32 exec_lo, exec_lo, s6
	ds_bpermute_b32 v1, v57, v48
	ds_bpermute_b32 v2, v57, v49
	;; [unrolled: 1-line block ×4, first 2 shown]
	s_wait_storecnt_dscnt 0x0
	s_barrier_signal -1
	s_barrier_wait -1
	global_inv scope:SCOPE_SE
	v_add_f64_e32 v[1:2], v[48:49], v[1:2]
	v_add_f64_e32 v[8:9], v[46:47], v[8:9]
	ds_bpermute_b32 v10, v60, v1
	ds_bpermute_b32 v11, v60, v2
	ds_bpermute_b32 v46, v60, v8
	ds_bpermute_b32 v47, v60, v9
	s_wait_dscnt 0x2
	v_add_f64_e32 v[1:2], v[1:2], v[10:11]
	s_wait_dscnt 0x0
	v_add_f64_e32 v[8:9], v[8:9], v[46:47]
	ds_bpermute_b32 v10, v61, v1
	ds_bpermute_b32 v11, v61, v2
	ds_bpermute_b32 v46, v61, v8
	ds_bpermute_b32 v47, v61, v9
	s_wait_dscnt 0x2
	v_add_f64_e32 v[1:2], v[1:2], v[10:11]
	s_wait_dscnt 0x0
	;; [unrolled: 8-line block ×3, first 2 shown]
	v_add_f64_e32 v[10:11], v[8:9], v[46:47]
	ds_bpermute_b32 v8, v63, v1
	ds_bpermute_b32 v9, v63, v2
	;; [unrolled: 1-line block ×4, first 2 shown]
	s_and_saveexec_b32 s6, s4
	s_cbranch_execz .LBB163_18
; %bb.17:                               ;   in Loop: Header=BB163_12 Depth=2
	s_wait_dscnt 0x0
	v_add_f64_e32 v[10:11], v[10:11], v[46:47]
	v_add_f64_e32 v[8:9], v[1:2], v[8:9]
	ds_store_b128 v53, v[8:11]
.LBB163_18:                             ;   in Loop: Header=BB163_12 Depth=2
	s_wait_alu 0xfffe
	s_or_b32 exec_lo, exec_lo, s6
	v_mov_b32_e32 v10, 0
	s_wait_dscnt 0x2
	v_dual_mov_b32 v11, 0 :: v_dual_mov_b32 v8, 0
	v_mov_b32_e32 v9, 0
	s_wait_loadcnt_dscnt 0x0
	s_barrier_signal -1
	s_barrier_wait -1
	global_inv scope:SCOPE_SE
	s_and_saveexec_b32 s6, s5
	s_cbranch_execnz .LBB163_46
; %bb.19:                               ;   in Loop: Header=BB163_12 Depth=2
	s_wait_alu 0xfffe
	s_or_b32 exec_lo, exec_lo, s6
	s_and_saveexec_b32 s6, s3
	s_cbranch_execnz .LBB163_47
.LBB163_20:                             ;   in Loop: Header=BB163_12 Depth=2
	s_wait_alu 0xfffe
	s_or_b32 exec_lo, exec_lo, s6
	s_and_saveexec_b32 s6, s3
.LBB163_21:                             ;   in Loop: Header=BB163_12 Depth=2
	v_dual_mov_b32 v1, v0 :: v_dual_mov_b32 v2, v0
	v_mov_b32_e32 v3, v0
	ds_store_b128 v52, v[0:3]
.LBB163_22:                             ;   in Loop: Header=BB163_12 Depth=2
	s_wait_alu 0xfffe
	s_or_b32 exec_lo, exec_lo, s6
	ds_bpermute_b32 v1, v57, v12
	ds_bpermute_b32 v2, v57, v13
	;; [unrolled: 1-line block ×4, first 2 shown]
	s_wait_loadcnt_dscnt 0x0
	s_barrier_signal -1
	s_barrier_wait -1
	global_inv scope:SCOPE_SE
	v_add_f64_e32 v[1:2], v[12:13], v[1:2]
	v_add_f64_e32 v[12:13], v[14:15], v[46:47]
	ds_bpermute_b32 v14, v60, v1
	ds_bpermute_b32 v15, v60, v2
	ds_bpermute_b32 v46, v60, v12
	ds_bpermute_b32 v47, v60, v13
	s_wait_dscnt 0x2
	v_add_f64_e32 v[1:2], v[1:2], v[14:15]
	s_wait_dscnt 0x0
	v_add_f64_e32 v[12:13], v[12:13], v[46:47]
	ds_bpermute_b32 v14, v61, v1
	ds_bpermute_b32 v15, v61, v2
	ds_bpermute_b32 v46, v61, v12
	ds_bpermute_b32 v47, v61, v13
	s_wait_dscnt 0x2
	v_add_f64_e32 v[1:2], v[1:2], v[14:15]
	s_wait_dscnt 0x0
	;; [unrolled: 8-line block ×3, first 2 shown]
	v_add_f64_e32 v[14:15], v[12:13], v[46:47]
	ds_bpermute_b32 v12, v63, v1
	ds_bpermute_b32 v13, v63, v2
	;; [unrolled: 1-line block ×4, first 2 shown]
	s_and_saveexec_b32 s6, s4
	s_cbranch_execz .LBB163_24
; %bb.23:                               ;   in Loop: Header=BB163_12 Depth=2
	s_wait_dscnt 0x0
	v_add_f64_e32 v[14:15], v[14:15], v[46:47]
	v_add_f64_e32 v[12:13], v[1:2], v[12:13]
	ds_store_b128 v53, v[12:15]
.LBB163_24:                             ;   in Loop: Header=BB163_12 Depth=2
	s_wait_alu 0xfffe
	s_or_b32 exec_lo, exec_lo, s6
	v_mov_b32_e32 v14, 0
	s_wait_dscnt 0x2
	v_dual_mov_b32 v15, 0 :: v_dual_mov_b32 v12, 0
	v_mov_b32_e32 v13, 0
	s_wait_loadcnt_dscnt 0x0
	s_barrier_signal -1
	s_barrier_wait -1
	global_inv scope:SCOPE_SE
	s_and_saveexec_b32 s6, s5
	s_cbranch_execnz .LBB163_48
; %bb.25:                               ;   in Loop: Header=BB163_12 Depth=2
	s_wait_alu 0xfffe
	s_or_b32 exec_lo, exec_lo, s6
	s_and_saveexec_b32 s6, s3
	s_cbranch_execnz .LBB163_49
.LBB163_26:                             ;   in Loop: Header=BB163_12 Depth=2
	s_wait_alu 0xfffe
	s_or_b32 exec_lo, exec_lo, s6
	s_and_saveexec_b32 s6, s3
.LBB163_27:                             ;   in Loop: Header=BB163_12 Depth=2
	v_dual_mov_b32 v1, v0 :: v_dual_mov_b32 v2, v0
	v_mov_b32_e32 v3, v0
	ds_store_b128 v52, v[0:3]
.LBB163_28:                             ;   in Loop: Header=BB163_12 Depth=2
	s_wait_alu 0xfffe
	s_or_b32 exec_lo, exec_lo, s6
	ds_bpermute_b32 v1, v57, v16
	ds_bpermute_b32 v2, v57, v17
	;; [unrolled: 1-line block ×4, first 2 shown]
	s_wait_loadcnt_dscnt 0x0
	s_barrier_signal -1
	s_barrier_wait -1
	global_inv scope:SCOPE_SE
	v_add_f64_e32 v[1:2], v[16:17], v[1:2]
	v_add_f64_e32 v[16:17], v[18:19], v[46:47]
	ds_bpermute_b32 v18, v60, v1
	ds_bpermute_b32 v19, v60, v2
	ds_bpermute_b32 v46, v60, v16
	ds_bpermute_b32 v47, v60, v17
	s_wait_dscnt 0x2
	v_add_f64_e32 v[1:2], v[1:2], v[18:19]
	s_wait_dscnt 0x0
	v_add_f64_e32 v[16:17], v[16:17], v[46:47]
	ds_bpermute_b32 v18, v61, v1
	ds_bpermute_b32 v19, v61, v2
	ds_bpermute_b32 v46, v61, v16
	ds_bpermute_b32 v47, v61, v17
	s_wait_dscnt 0x2
	v_add_f64_e32 v[1:2], v[1:2], v[18:19]
	s_wait_dscnt 0x0
	;; [unrolled: 8-line block ×3, first 2 shown]
	v_add_f64_e32 v[18:19], v[16:17], v[46:47]
	ds_bpermute_b32 v16, v63, v1
	ds_bpermute_b32 v17, v63, v2
	;; [unrolled: 1-line block ×4, first 2 shown]
	s_and_saveexec_b32 s6, s4
	s_cbranch_execz .LBB163_30
; %bb.29:                               ;   in Loop: Header=BB163_12 Depth=2
	s_wait_dscnt 0x0
	v_add_f64_e32 v[18:19], v[18:19], v[46:47]
	v_add_f64_e32 v[16:17], v[1:2], v[16:17]
	ds_store_b128 v53, v[16:19]
.LBB163_30:                             ;   in Loop: Header=BB163_12 Depth=2
	s_wait_alu 0xfffe
	s_or_b32 exec_lo, exec_lo, s6
	v_mov_b32_e32 v18, 0
	s_wait_dscnt 0x2
	v_dual_mov_b32 v19, 0 :: v_dual_mov_b32 v16, 0
	v_mov_b32_e32 v17, 0
	s_wait_loadcnt_dscnt 0x0
	s_barrier_signal -1
	s_barrier_wait -1
	global_inv scope:SCOPE_SE
	s_and_saveexec_b32 s6, s5
	s_cbranch_execnz .LBB163_50
; %bb.31:                               ;   in Loop: Header=BB163_12 Depth=2
	s_wait_alu 0xfffe
	s_or_b32 exec_lo, exec_lo, s6
	s_and_saveexec_b32 s6, s3
	s_cbranch_execnz .LBB163_51
.LBB163_32:                             ;   in Loop: Header=BB163_12 Depth=2
	s_wait_alu 0xfffe
	s_or_b32 exec_lo, exec_lo, s6
	s_and_saveexec_b32 s6, s3
.LBB163_33:                             ;   in Loop: Header=BB163_12 Depth=2
	v_dual_mov_b32 v1, v0 :: v_dual_mov_b32 v2, v0
	v_mov_b32_e32 v3, v0
	ds_store_b128 v52, v[0:3]
.LBB163_34:                             ;   in Loop: Header=BB163_12 Depth=2
	s_wait_alu 0xfffe
	s_or_b32 exec_lo, exec_lo, s6
	ds_bpermute_b32 v1, v57, v20
	ds_bpermute_b32 v2, v57, v21
	;; [unrolled: 1-line block ×4, first 2 shown]
	s_wait_loadcnt_dscnt 0x0
	s_barrier_signal -1
	s_barrier_wait -1
	global_inv scope:SCOPE_SE
	v_add_f64_e32 v[1:2], v[20:21], v[1:2]
	v_add_f64_e32 v[20:21], v[22:23], v[46:47]
	ds_bpermute_b32 v22, v60, v1
	ds_bpermute_b32 v23, v60, v2
	ds_bpermute_b32 v46, v60, v20
	ds_bpermute_b32 v47, v60, v21
	s_wait_dscnt 0x2
	v_add_f64_e32 v[1:2], v[1:2], v[22:23]
	s_wait_dscnt 0x0
	v_add_f64_e32 v[20:21], v[20:21], v[46:47]
	ds_bpermute_b32 v22, v61, v1
	ds_bpermute_b32 v23, v61, v2
	ds_bpermute_b32 v46, v61, v20
	ds_bpermute_b32 v47, v61, v21
	s_wait_dscnt 0x2
	v_add_f64_e32 v[1:2], v[1:2], v[22:23]
	s_wait_dscnt 0x0
	;; [unrolled: 8-line block ×3, first 2 shown]
	v_add_f64_e32 v[22:23], v[20:21], v[46:47]
	ds_bpermute_b32 v20, v63, v1
	ds_bpermute_b32 v21, v63, v2
	;; [unrolled: 1-line block ×4, first 2 shown]
	s_and_saveexec_b32 s6, s4
	s_cbranch_execz .LBB163_36
; %bb.35:                               ;   in Loop: Header=BB163_12 Depth=2
	s_wait_dscnt 0x0
	v_add_f64_e32 v[22:23], v[22:23], v[46:47]
	v_add_f64_e32 v[20:21], v[1:2], v[20:21]
	ds_store_b128 v53, v[20:23]
.LBB163_36:                             ;   in Loop: Header=BB163_12 Depth=2
	s_wait_alu 0xfffe
	s_or_b32 exec_lo, exec_lo, s6
	v_mov_b32_e32 v22, 0
	s_wait_dscnt 0x2
	v_dual_mov_b32 v23, 0 :: v_dual_mov_b32 v20, 0
	v_mov_b32_e32 v21, 0
	s_wait_loadcnt_dscnt 0x0
	s_barrier_signal -1
	s_barrier_wait -1
	global_inv scope:SCOPE_SE
	s_and_saveexec_b32 s6, s5
	s_cbranch_execnz .LBB163_52
; %bb.37:                               ;   in Loop: Header=BB163_12 Depth=2
	s_wait_alu 0xfffe
	s_or_b32 exec_lo, exec_lo, s6
	s_and_saveexec_b32 s6, s3
	s_cbranch_execnz .LBB163_53
.LBB163_38:                             ;   in Loop: Header=BB163_12 Depth=2
	s_wait_alu 0xfffe
	s_or_b32 exec_lo, exec_lo, s6
	s_and_saveexec_b32 s6, s0
	s_cbranch_execz .LBB163_11
	s_branch .LBB163_54
.LBB163_39:                             ;   in Loop: Header=BB163_12 Depth=2
	s_clause 0x1
	global_load_b128 v[8:11], v[40:41], off
	global_load_b128 v[12:15], v[42:43], off
	s_mul_u64 s[8:9], s[28:29], s[30:31]
	s_or_b32 s70, s28, 1
	s_mov_b32 s71, s29
	s_or_b32 s72, s28, 2
	s_mov_b32 s73, s29
	;; [unrolled: 2-line block ×3, first 2 shown]
	s_wait_alu 0xfffe
	s_lshl_b64 s[8:9], s[8:9], 4
	s_mul_u64 s[70:71], s[70:71], s[30:31]
	s_mul_u64 s[72:73], s[72:73], s[30:31]
	;; [unrolled: 1-line block ×3, first 2 shown]
	s_wait_alu 0xfffe
	v_add_co_u32 v104, vcc_lo, v58, s8
	s_lshl_b64 s[70:71], s[70:71], 4
	s_lshl_b64 s[72:73], s[72:73], 4
	s_wait_alu 0xfffd
	v_add_co_ci_u32_e64 v105, null, s9, v59, vcc_lo
	s_wait_alu 0xfffe
	v_add_co_u32 v18, vcc_lo, v58, s70
	s_lshl_b64 s[8:9], s[74:75], 4
	s_wait_dscnt 0x0
	v_add_co_u32 v20, s6, v58, s72
	s_wait_alu 0xfffd
	v_add_co_ci_u32_e64 v19, null, s71, v59, vcc_lo
	s_wait_alu 0xfffe
	v_add_co_u32 v22, vcc_lo, v58, s8
	s_wait_alu 0xf1ff
	v_add_co_ci_u32_e64 v21, null, s73, v59, s6
	s_wait_alu 0xfffd
	v_add_co_ci_u32_e64 v23, null, s9, v59, vcc_lo
	s_clause 0x2
	global_load_b128 v[46:49], v[104:105], off offset:16
	global_load_b128 v[68:71], v[18:19], off offset:16
	;; [unrolled: 1-line block ×3, first 2 shown]
	s_wait_loadcnt 0x4
	scratch_store_b128 off, v[8:11], s64
	scratch_load_b128 v[64:67], off, off offset:16
	s_clause 0x1
	global_load_b128 v[76:79], v[22:23], off offset:16
	global_load_b128 v[80:83], v[104:105], off offset:32
	s_wait_loadcnt 0x6
	scratch_store_b128 off, v[12:15], s65
	scratch_load_b128 v[84:87], off, off offset:32
	s_clause 0x2
	global_load_b128 v[88:91], v[18:19], off offset:32
	global_load_b128 v[92:95], v[20:21], off offset:32
	;; [unrolled: 1-line block ×3, first 2 shown]
	global_load_b128 v[8:11], v[38:39], off
	global_load_b128 v[100:103], v[104:105], off
	s_wait_loadcnt 0x8
	v_mul_f64_e32 v[1:2], v[66:67], v[48:49]
	v_mul_f64_e32 v[12:13], v[64:65], v[48:49]
	;; [unrolled: 1-line block ×6, first 2 shown]
	s_wait_loadcnt 0x7
	v_mul_f64_e32 v[110:111], v[66:67], v[78:79]
	v_mul_f64_e32 v[78:79], v[64:65], v[78:79]
	s_wait_loadcnt 0x4
	v_mul_f64_e32 v[112:113], v[86:87], v[90:91]
	v_fma_f64 v[16:17], v[64:65], v[46:47], -v[1:2]
	v_fma_f64 v[14:15], v[66:67], v[46:47], v[12:13]
	global_load_b128 v[46:49], v[18:19], off
	v_fma_f64 v[12:13], v[64:65], v[68:69], -v[106:107]
	v_fma_f64 v[1:2], v[66:67], v[68:69], v[70:71]
	global_load_b128 v[68:71], v[44:45], off
	;; [unrolled: 3-line block ×4, first 2 shown]
	v_mul_f64_e32 v[76:77], v[86:87], v[82:83]
	v_mul_f64_e32 v[82:83], v[84:85], v[82:83]
	s_delay_alu instid0(VALU_DEP_2) | instskip(SKIP_1) | instid1(VALU_DEP_3)
	v_fma_f64 v[114:115], v[84:85], v[80:81], -v[76:77]
	v_mul_f64_e32 v[76:77], v[84:85], v[90:91]
	v_fma_f64 v[80:81], v[86:87], v[80:81], v[82:83]
	s_wait_loadcnt 0x7
	v_mul_f64_e32 v[82:83], v[86:87], v[94:95]
	v_fma_f64 v[90:91], v[84:85], v[88:89], -v[112:113]
	s_delay_alu instid0(VALU_DEP_4) | instskip(SKIP_1) | instid1(VALU_DEP_4)
	v_fma_f64 v[88:89], v[86:87], v[88:89], v[76:77]
	v_mul_f64_e32 v[76:77], v[84:85], v[94:95]
	v_fma_f64 v[82:83], v[84:85], v[92:93], -v[82:83]
	s_wait_loadcnt 0x6
	v_mul_f64_e32 v[94:95], v[86:87], v[98:99]
	s_delay_alu instid0(VALU_DEP_3) | instskip(SKIP_3) | instid1(VALU_DEP_4)
	v_fma_f64 v[92:93], v[86:87], v[92:93], v[76:77]
	v_mul_f64_e32 v[76:77], v[84:85], v[98:99]
	s_wait_loadcnt 0x4
	v_mul_f64_e32 v[98:99], v[10:11], v[102:103]
	v_fma_f64 v[84:85], v[84:85], v[96:97], -v[94:95]
	s_delay_alu instid0(VALU_DEP_3) | instskip(SKIP_1) | instid1(VALU_DEP_4)
	v_fma_f64 v[86:87], v[86:87], v[96:97], v[76:77]
	v_mul_f64_e32 v[76:77], v[8:9], v[102:103]
	v_fma_f64 v[98:99], v[8:9], v[100:101], -v[98:99]
	s_delay_alu instid0(VALU_DEP_2)
	v_fma_f64 v[100:101], v[10:11], v[100:101], v[76:77]
	s_wait_loadcnt 0x3
	v_mul_f64_e32 v[94:95], v[10:11], v[48:49]
	v_mul_f64_e32 v[48:49], v[8:9], v[48:49]
	s_wait_loadcnt 0x2
	scratch_store_b128 off, v[68:71], s66
	s_wait_loadcnt 0x1
	v_mul_f64_e32 v[70:71], v[10:11], v[74:75]
	v_mul_f64_e32 v[74:75], v[8:9], v[74:75]
	s_wait_loadcnt 0x0
	v_mul_f64_e32 v[96:97], v[10:11], v[66:67]
	v_mul_f64_e32 v[76:77], v[8:9], v[66:67]
	global_load_b128 v[66:69], v[104:105], off offset:48
	v_fma_f64 v[94:95], v[8:9], v[46:47], -v[94:95]
	v_fma_f64 v[102:103], v[10:11], v[46:47], v[48:49]
	scratch_load_b128 v[46:49], off, off offset:48
	v_fma_f64 v[104:105], v[8:9], v[72:73], -v[70:71]
	v_fma_f64 v[112:113], v[10:11], v[72:73], v[74:75]
	s_clause 0x1
	global_load_b128 v[70:73], v[18:19], off offset:48
	global_load_b128 v[18:21], v[20:21], off offset:48
	v_fma_f64 v[96:97], v[8:9], v[64:65], -v[96:97]
	v_fma_f64 v[64:65], v[10:11], v[64:65], v[76:77]
	global_load_b128 v[74:77], v[22:23], off offset:48
	v_add_f64_e32 v[22:23], 0, v[98:99]
	v_add_f64_e32 v[98:99], 0, v[100:101]
	scratch_store_b128 off, v[8:11], off
	v_add_f64_e32 v[94:95], 0, v[94:95]
	v_add_f64_e32 v[100:101], 0, v[102:103]
	;; [unrolled: 1-line block ×20, first 2 shown]
	s_wait_loadcnt 0x3
	v_mul_f64_e32 v[112:113], v[48:49], v[68:69]
	v_mul_f64_e32 v[22:23], v[46:47], v[68:69]
	s_wait_loadcnt 0x2
	v_mul_f64_e32 v[68:69], v[48:49], v[72:73]
	v_mul_f64_e32 v[72:73], v[46:47], v[72:73]
	;; [unrolled: 3-line block ×4, first 2 shown]
	v_fma_f64 v[78:79], v[46:47], v[66:67], -v[112:113]
	v_fma_f64 v[22:23], v[48:49], v[66:67], v[22:23]
	v_fma_f64 v[66:67], v[46:47], v[70:71], -v[68:69]
	v_fma_f64 v[68:69], v[48:49], v[70:71], v[72:73]
	;; [unrolled: 2-line block ×4, first 2 shown]
	v_add_f64_e32 v[74:75], v[98:99], v[82:83]
	v_add_f64_e32 v[76:77], v[100:101], v[92:93]
	;; [unrolled: 1-line block ×10, first 2 shown]
	s_and_not1_saveexec_b32 s6, s7
	s_cbranch_execz .LBB163_14
.LBB163_40:                             ;   in Loop: Header=BB163_12 Depth=2
	s_wait_dscnt 0x0
	v_mov_b32_e32 v20, 0
	v_mov_b32_e32 v16, 0
	v_mov_b32_e32 v12, 0
	v_dual_mov_b32 v48, 0 :: v_dual_mov_b32 v21, 0
	v_dual_mov_b32 v22, 0 :: v_dual_mov_b32 v17, 0
	;; [unrolled: 1-line block ×5, first 2 shown]
	v_mov_b32_e32 v19, 0
	v_mov_b32_e32 v15, 0
	;; [unrolled: 1-line block ×3, first 2 shown]
	s_and_saveexec_b32 s7, s2
	s_cbranch_execz .LBB163_56
; %bb.41:                               ;   in Loop: Header=BB163_12 Depth=2
	s_and_not1_b32 vcc_lo, exec_lo, s34
	s_wait_alu 0xfffe
	s_cbranch_vccnz .LBB163_55
; %bb.42:                               ;   in Loop: Header=BB163_12 Depth=2
	v_dual_mov_b32 v1, v34 :: v_dual_mov_b32 v2, v35
	s_mov_b32 s8, 0
	s_mov_b32 s9, s62
.LBB163_43:                             ;   Parent Loop BB163_3 Depth=1
                                        ;     Parent Loop BB163_12 Depth=2
                                        ; =>    This Inner Loop Header: Depth=3
	global_load_b128 v[8:11], v[1:2], off
	v_add_co_u32 v1, vcc_lo, v1, s46
	s_wait_alu 0xfffd
	v_add_co_ci_u32_e64 v2, null, s47, v2, vcc_lo
	s_wait_alu 0xfffe
	s_add_co_i32 s9, s9, -1
	s_wait_loadcnt 0x0
	scratch_store_b128 off, v[8:11], s8
	s_add_co_i32 s8, s8, 16
	s_wait_alu 0xfffe
	s_cmp_eq_u32 s9, 0
	s_cbranch_scc0 .LBB163_43
; %bb.44:                               ;   in Loop: Header=BB163_12 Depth=2
	v_mov_b32_e32 v46, 0
	v_mov_b32_e32 v14, 0
	;; [unrolled: 1-line block ×3, first 2 shown]
	v_dual_mov_b32 v22, 0 :: v_dual_mov_b32 v47, 0
	v_dual_mov_b32 v48, 0 :: v_dual_mov_b32 v15, 0
	;; [unrolled: 1-line block ×5, first 2 shown]
	v_mov_b32_e32 v13, 0
	v_mov_b32_e32 v17, 0
	;; [unrolled: 1-line block ×3, first 2 shown]
	v_dual_mov_b32 v1, v36 :: v_dual_mov_b32 v2, v37
	s_mov_b32 s8, s67
	s_mov_b32 s9, s62
.LBB163_45:                             ;   Parent Loop BB163_3 Depth=1
                                        ;     Parent Loop BB163_12 Depth=2
                                        ; =>    This Inner Loop Header: Depth=3
	s_delay_alu instid0(VALU_DEP_1)
	v_add_co_u32 v68, vcc_lo, v1, s52
	s_wait_alu 0xfffd
	v_add_co_ci_u32_e64 v69, null, s53, v2, vcc_lo
	scratch_load_b128 v[8:11], off, s8 offset:-8
	v_add_co_u32 v72, vcc_lo, v68, s52
	s_wait_alu 0xfffd
	v_add_co_ci_u32_e64 v73, null, s53, v69, vcc_lo
	global_load_b128 v[64:67], v[1:2], off
	v_add_co_u32 v76, vcc_lo, v72, s52
	s_wait_alu 0xfffd
	v_add_co_ci_u32_e64 v77, null, s53, v73, vcc_lo
	v_add_co_u32 v1, vcc_lo, v1, 16
	s_clause 0x2
	global_load_b128 v[68:71], v[68:69], off
	global_load_b128 v[72:75], v[72:73], off
	;; [unrolled: 1-line block ×3, first 2 shown]
	s_wait_alu 0xfffd
	v_add_co_ci_u32_e64 v2, null, 0, v2, vcc_lo
	s_wait_alu 0xfffe
	s_add_co_i32 s9, s9, -1
	s_add_co_i32 s8, s8, 16
	s_wait_alu 0xfffe
	s_cmp_lg_u32 s9, 0
	s_wait_loadcnt 0x3
	v_mul_f64_e32 v[80:81], v[10:11], v[66:67]
	v_mul_f64_e32 v[66:67], v[8:9], v[66:67]
	s_wait_loadcnt 0x2
	v_mul_f64_e32 v[82:83], v[10:11], v[70:71]
	v_mul_f64_e32 v[70:71], v[8:9], v[70:71]
	s_wait_loadcnt 0x1
	v_mul_f64_e32 v[84:85], v[10:11], v[74:75]
	v_mul_f64_e32 v[74:75], v[8:9], v[74:75]
	s_wait_loadcnt 0x0
	v_mul_f64_e32 v[86:87], v[10:11], v[78:79]
	v_mul_f64_e32 v[78:79], v[8:9], v[78:79]
	v_fma_f64 v[80:81], v[8:9], v[64:65], -v[80:81]
	v_fma_f64 v[64:65], v[10:11], v[64:65], v[66:67]
	v_fma_f64 v[66:67], v[8:9], v[68:69], -v[82:83]
	v_fma_f64 v[68:69], v[10:11], v[68:69], v[70:71]
	;; [unrolled: 2-line block ×4, first 2 shown]
	v_add_f64_e32 v[48:49], v[48:49], v[80:81]
	v_add_f64_e32 v[46:47], v[46:47], v[64:65]
	;; [unrolled: 1-line block ×8, first 2 shown]
	s_cbranch_scc1 .LBB163_45
	s_branch .LBB163_56
.LBB163_46:                             ;   in Loop: Header=BB163_12 Depth=2
	ds_load_b128 v[8:11], v52
	s_wait_alu 0xfffe
	s_or_b32 exec_lo, exec_lo, s6
	s_and_saveexec_b32 s6, s3
	s_cbranch_execz .LBB163_20
.LBB163_47:                             ;   in Loop: Header=BB163_12 Depth=2
	s_wait_dscnt 0x0
	ds_bpermute_b32 v1, v61, v8
	ds_bpermute_b32 v2, v61, v9
	ds_bpermute_b32 v46, v61, v10
	ds_bpermute_b32 v47, v61, v11
	s_wait_dscnt 0x2
	v_add_f64_e32 v[1:2], v[8:9], v[1:2]
	s_wait_dscnt 0x0
	v_add_f64_e32 v[8:9], v[10:11], v[46:47]
	ds_bpermute_b32 v10, v62, v1
	ds_bpermute_b32 v11, v62, v2
	ds_bpermute_b32 v46, v62, v8
	ds_bpermute_b32 v47, v62, v9
	s_wait_dscnt 0x2
	v_add_f64_e32 v[1:2], v[1:2], v[10:11]
	s_wait_dscnt 0x0
	v_add_f64_e32 v[10:11], v[8:9], v[46:47]
	;; [unrolled: 8-line block ×3, first 2 shown]
	s_wait_alu 0xfffe
	s_or_b32 exec_lo, exec_lo, s6
	s_and_saveexec_b32 s6, s3
	s_cbranch_execnz .LBB163_21
	s_branch .LBB163_22
.LBB163_48:                             ;   in Loop: Header=BB163_12 Depth=2
	ds_load_b128 v[12:15], v52
	s_wait_alu 0xfffe
	s_or_b32 exec_lo, exec_lo, s6
	s_and_saveexec_b32 s6, s3
	s_cbranch_execz .LBB163_26
.LBB163_49:                             ;   in Loop: Header=BB163_12 Depth=2
	s_wait_dscnt 0x0
	ds_bpermute_b32 v1, v61, v12
	ds_bpermute_b32 v2, v61, v13
	ds_bpermute_b32 v46, v61, v14
	ds_bpermute_b32 v47, v61, v15
	s_wait_dscnt 0x2
	v_add_f64_e32 v[1:2], v[12:13], v[1:2]
	s_wait_dscnt 0x0
	v_add_f64_e32 v[12:13], v[14:15], v[46:47]
	ds_bpermute_b32 v14, v62, v1
	ds_bpermute_b32 v15, v62, v2
	ds_bpermute_b32 v46, v62, v12
	ds_bpermute_b32 v47, v62, v13
	s_wait_dscnt 0x2
	v_add_f64_e32 v[1:2], v[1:2], v[14:15]
	s_wait_dscnt 0x0
	v_add_f64_e32 v[14:15], v[12:13], v[46:47]
	;; [unrolled: 8-line block ×3, first 2 shown]
	s_wait_alu 0xfffe
	s_or_b32 exec_lo, exec_lo, s6
	s_and_saveexec_b32 s6, s3
	s_cbranch_execnz .LBB163_27
	s_branch .LBB163_28
.LBB163_50:                             ;   in Loop: Header=BB163_12 Depth=2
	ds_load_b128 v[16:19], v52
	s_wait_alu 0xfffe
	s_or_b32 exec_lo, exec_lo, s6
	s_and_saveexec_b32 s6, s3
	s_cbranch_execz .LBB163_32
.LBB163_51:                             ;   in Loop: Header=BB163_12 Depth=2
	s_wait_dscnt 0x0
	ds_bpermute_b32 v1, v61, v16
	ds_bpermute_b32 v2, v61, v17
	ds_bpermute_b32 v46, v61, v18
	ds_bpermute_b32 v47, v61, v19
	s_wait_dscnt 0x2
	v_add_f64_e32 v[1:2], v[16:17], v[1:2]
	s_wait_dscnt 0x0
	v_add_f64_e32 v[16:17], v[18:19], v[46:47]
	ds_bpermute_b32 v18, v62, v1
	ds_bpermute_b32 v19, v62, v2
	ds_bpermute_b32 v46, v62, v16
	ds_bpermute_b32 v47, v62, v17
	s_wait_dscnt 0x2
	v_add_f64_e32 v[1:2], v[1:2], v[18:19]
	s_wait_dscnt 0x0
	v_add_f64_e32 v[18:19], v[16:17], v[46:47]
	;; [unrolled: 8-line block ×3, first 2 shown]
	s_wait_alu 0xfffe
	s_or_b32 exec_lo, exec_lo, s6
	s_and_saveexec_b32 s6, s3
	s_cbranch_execnz .LBB163_33
	s_branch .LBB163_34
.LBB163_52:                             ;   in Loop: Header=BB163_12 Depth=2
	ds_load_b128 v[20:23], v52
	s_wait_alu 0xfffe
	s_or_b32 exec_lo, exec_lo, s6
	s_and_saveexec_b32 s6, s3
	s_cbranch_execz .LBB163_38
.LBB163_53:                             ;   in Loop: Header=BB163_12 Depth=2
	s_wait_dscnt 0x0
	ds_bpermute_b32 v1, v61, v20
	ds_bpermute_b32 v2, v61, v21
	ds_bpermute_b32 v46, v61, v22
	ds_bpermute_b32 v47, v61, v23
	s_wait_dscnt 0x2
	v_add_f64_e32 v[1:2], v[20:21], v[1:2]
	s_wait_dscnt 0x0
	v_add_f64_e32 v[20:21], v[22:23], v[46:47]
	ds_bpermute_b32 v22, v62, v1
	ds_bpermute_b32 v23, v62, v2
	ds_bpermute_b32 v46, v62, v20
	ds_bpermute_b32 v47, v62, v21
	s_wait_dscnt 0x2
	v_add_f64_e32 v[1:2], v[1:2], v[22:23]
	s_wait_dscnt 0x0
	v_add_f64_e32 v[22:23], v[20:21], v[46:47]
	;; [unrolled: 8-line block ×3, first 2 shown]
	s_wait_alu 0xfffe
	s_or_b32 exec_lo, exec_lo, s6
	s_and_saveexec_b32 s6, s0
	s_cbranch_execz .LBB163_11
.LBB163_54:                             ;   in Loop: Header=BB163_12 Depth=2
	v_mul_f64_e32 v[1:2], v[6:7], v[10:11]
	v_mul_f64_e32 v[10:11], v[4:5], v[10:11]
	;; [unrolled: 1-line block ×6, first 2 shown]
	s_wait_dscnt 0x0
	v_mul_f64_e32 v[68:69], v[6:7], v[22:23]
	v_mul_f64_e32 v[22:23], v[4:5], v[22:23]
	s_or_b32 s70, s28, 1
	s_mov_b32 s71, s29
	s_mul_u64 s[8:9], s[28:29], s[36:37]
	s_or_b32 s72, s28, 2
	s_mov_b32 s73, s29
	s_or_b32 s74, s28, 3
	s_mov_b32 s75, s29
	s_wait_alu 0xfffe
	s_mul_u64 s[70:71], s[70:71], s[36:37]
	s_mul_u64 s[72:73], s[72:73], s[36:37]
	;; [unrolled: 1-line block ×3, first 2 shown]
	s_lshl_b64 s[8:9], s[8:9], 4
	s_wait_alu 0xfffe
	s_lshl_b64 s[70:71], s[70:71], 4
	s_add_nc_u64 s[8:9], s[54:55], s[8:9]
	s_lshl_b64 s[72:73], s[72:73], 4
	s_lshl_b64 s[74:75], s[74:75], 4
	s_wait_alu 0xfffe
	s_add_nc_u64 s[70:71], s[54:55], s[70:71]
	s_add_nc_u64 s[72:73], s[54:55], s[72:73]
	;; [unrolled: 1-line block ×3, first 2 shown]
	v_fma_f64 v[46:47], v[4:5], v[8:9], -v[1:2]
	v_fma_f64 v[48:49], v[6:7], v[8:9], v[10:11]
	v_fma_f64 v[8:9], v[4:5], v[12:13], -v[64:65]
	v_fma_f64 v[10:11], v[6:7], v[12:13], v[14:15]
	;; [unrolled: 2-line block ×4, first 2 shown]
	s_clause 0x3
	global_store_b128 v0, v[46:49], s[8:9]
	global_store_b128 v0, v[8:11], s[70:71]
	;; [unrolled: 1-line block ×4, first 2 shown]
	s_branch .LBB163_11
.LBB163_55:                             ;   in Loop: Header=BB163_12 Depth=2
	v_mov_b32_e32 v20, 0
	v_mov_b32_e32 v16, 0
	;; [unrolled: 1-line block ×3, first 2 shown]
	v_dual_mov_b32 v48, 0 :: v_dual_mov_b32 v21, 0
	v_dual_mov_b32 v22, 0 :: v_dual_mov_b32 v17, 0
	;; [unrolled: 1-line block ×5, first 2 shown]
	v_mov_b32_e32 v19, 0
	v_mov_b32_e32 v15, 0
	;; [unrolled: 1-line block ×3, first 2 shown]
.LBB163_56:                             ;   in Loop: Header=BB163_12 Depth=2
	s_wait_alu 0xfffe
	s_or_b32 exec_lo, exec_lo, s7
	s_delay_alu instid0(SALU_CYCLE_1)
	s_or_b32 exec_lo, exec_lo, s6
	s_and_saveexec_b32 s6, s3
	s_cbranch_execnz .LBB163_15
	s_branch .LBB163_16
.LBB163_57:                             ;   in Loop: Header=BB163_3 Depth=1
	s_mov_b32 s28, 0
.LBB163_58:                             ;   in Loop: Header=BB163_3 Depth=1
	s_delay_alu instid0(SALU_CYCLE_1)
	s_cmp_ge_i32 s28, s35
	s_cbranch_scc1 .LBB163_2
; %bb.59:                               ;   in Loop: Header=BB163_3 Depth=1
	v_cmp_gt_u32_e32 vcc_lo, 24, v56
	s_mul_u64 s[6:7], s[52:53], s[28:29]
	s_wait_alu 0xfffe
	s_add_nc_u64 s[6:7], s[6:7], s[56:57]
	s_wait_alu 0xfffd
	v_cndmask_b32_e64 v1, 0, 8, vcc_lo
	v_cmp_gt_u32_e32 vcc_lo, 28, v56
	s_delay_alu instid0(VALU_DEP_2) | instskip(SKIP_3) | instid1(VALU_DEP_2)
	v_add_lshl_u32 v36, v1, v56, 2
	s_wait_alu 0xfffd
	v_cndmask_b32_e64 v2, 0, 4, vcc_lo
	v_cmp_gt_u32_e32 vcc_lo, 30, v56
	v_add_lshl_u32 v37, v2, v56, 2
	s_wait_alu 0xfffd
	v_cndmask_b32_e64 v3, 0, 2, vcc_lo
	v_cmp_ne_u32_e32 vcc_lo, 31, v56
	s_delay_alu instid0(VALU_DEP_2)
	v_add_lshl_u32 v38, v3, v56, 2
	s_wait_dscnt 0x0
	s_wait_alu 0xfffd
	v_add_co_ci_u32_e64 v8, null, 0, v56, vcc_lo
	v_add_co_u32 v12, vcc_lo, s58, v24
	s_wait_alu 0xfffd
	v_add_co_ci_u32_e64 v13, null, s59, v25, vcc_lo
	v_add_co_u32 v14, vcc_lo, s58, v28
	;; [unrolled: 3-line block ×4, first 2 shown]
	s_wait_alu 0xfffd
	v_add_co_ci_u32_e64 v19, null, s59, v33, vcc_lo
	s_wait_dscnt 0x0
	s_wait_alu 0xfffe
	v_add_co_u32 v20, vcc_lo, v54, s6
	v_lshlrev_b32_e32 v39, 2, v8
	s_wait_alu 0xfffd
	v_add_co_ci_u32_e64 v21, null, s7, v55, vcc_lo
	s_branch .LBB163_61
.LBB163_60:                             ;   in Loop: Header=BB163_61 Depth=2
	s_wait_alu 0xfffe
	s_or_b32 exec_lo, exec_lo, s6
	v_add_co_u32 v20, vcc_lo, v20, s52
	s_wait_alu 0xfffd
	v_add_co_ci_u32_e64 v21, null, s53, v21, vcc_lo
	s_add_co_i32 s28, s28, 1
	s_delay_alu instid0(SALU_CYCLE_1)
	s_cmp_lt_i32 s28, s35
	s_cbranch_scc0 .LBB163_2
.LBB163_61:                             ;   Parent Loop BB163_3 Depth=1
                                        ; =>  This Loop Header: Depth=2
                                        ;       Child Loop BB163_73 Depth 3
                                        ;       Child Loop BB163_75 Depth 3
                                        ; implicit-def: $vgpr8_vgpr9
                                        ; implicit-def: $vgpr10_vgpr11
	s_and_saveexec_b32 s6, s1
	s_wait_alu 0xfffe
	s_xor_b32 s6, exec_lo, s6
	s_cbranch_execnz .LBB163_70
; %bb.62:                               ;   in Loop: Header=BB163_61 Depth=2
	s_wait_alu 0xfffe
	s_and_not1_saveexec_b32 s6, s6
	s_cbranch_execnz .LBB163_71
.LBB163_63:                             ;   in Loop: Header=BB163_61 Depth=2
	s_wait_alu 0xfffe
	s_or_b32 exec_lo, exec_lo, s6
	s_and_saveexec_b32 s6, s3
.LBB163_64:                             ;   in Loop: Header=BB163_61 Depth=2
	v_dual_mov_b32 v1, v0 :: v_dual_mov_b32 v2, v0
	v_mov_b32_e32 v3, v0
	ds_store_b128 v52, v[0:3]
.LBB163_65:                             ;   in Loop: Header=BB163_61 Depth=2
	s_wait_alu 0xfffe
	s_or_b32 exec_lo, exec_lo, s6
	s_wait_dscnt 0x0
	ds_bpermute_b32 v1, v57, v8
	ds_bpermute_b32 v2, v57, v9
	;; [unrolled: 1-line block ×4, first 2 shown]
	s_wait_storecnt 0x0
	s_wait_loadcnt_dscnt 0x0
	s_barrier_signal -1
	s_barrier_wait -1
	global_inv scope:SCOPE_SE
	v_add_f64_e32 v[1:2], v[8:9], v[1:2]
	v_add_f64_e32 v[8:9], v[10:11], v[22:23]
	ds_bpermute_b32 v10, v36, v1
	ds_bpermute_b32 v11, v36, v2
	ds_bpermute_b32 v22, v36, v8
	ds_bpermute_b32 v23, v36, v9
	s_wait_dscnt 0x2
	v_add_f64_e32 v[1:2], v[1:2], v[10:11]
	s_wait_dscnt 0x0
	v_add_f64_e32 v[8:9], v[8:9], v[22:23]
	ds_bpermute_b32 v10, v37, v1
	ds_bpermute_b32 v11, v37, v2
	ds_bpermute_b32 v22, v37, v8
	ds_bpermute_b32 v23, v37, v9
	s_wait_dscnt 0x2
	v_add_f64_e32 v[1:2], v[1:2], v[10:11]
	s_wait_dscnt 0x0
	;; [unrolled: 8-line block ×3, first 2 shown]
	v_add_f64_e32 v[10:11], v[8:9], v[22:23]
	ds_bpermute_b32 v8, v39, v1
	ds_bpermute_b32 v9, v39, v2
	;; [unrolled: 1-line block ×4, first 2 shown]
	s_and_saveexec_b32 s6, s4
	s_cbranch_execz .LBB163_67
; %bb.66:                               ;   in Loop: Header=BB163_61 Depth=2
	s_wait_dscnt 0x0
	v_add_f64_e32 v[10:11], v[10:11], v[22:23]
	v_add_f64_e32 v[8:9], v[1:2], v[8:9]
	ds_store_b128 v53, v[8:11]
.LBB163_67:                             ;   in Loop: Header=BB163_61 Depth=2
	s_wait_alu 0xfffe
	s_or_b32 exec_lo, exec_lo, s6
	v_mov_b32_e32 v10, 0
	s_wait_dscnt 0x2
	v_dual_mov_b32 v11, 0 :: v_dual_mov_b32 v8, 0
	v_mov_b32_e32 v9, 0
	s_wait_loadcnt_dscnt 0x0
	s_barrier_signal -1
	s_barrier_wait -1
	global_inv scope:SCOPE_SE
	s_and_saveexec_b32 s6, s5
	s_cbranch_execnz .LBB163_77
; %bb.68:                               ;   in Loop: Header=BB163_61 Depth=2
	s_wait_alu 0xfffe
	s_or_b32 exec_lo, exec_lo, s6
	s_and_saveexec_b32 s6, s3
	s_cbranch_execnz .LBB163_78
.LBB163_69:                             ;   in Loop: Header=BB163_61 Depth=2
	s_wait_alu 0xfffe
	s_or_b32 exec_lo, exec_lo, s6
	s_and_saveexec_b32 s6, s0
	s_cbranch_execz .LBB163_60
	s_branch .LBB163_79
.LBB163_70:                             ;   in Loop: Header=BB163_61 Depth=2
	s_wait_dscnt 0x0
	s_clause 0x2
	global_load_b128 v[8:11], v[14:15], off
	global_load_b128 v[40:43], v[16:17], off
	;; [unrolled: 1-line block ×3, first 2 shown]
	s_mul_u64 s[8:9], s[28:29], s[30:31]
	s_wait_alu 0xfffe
	s_lshl_b64 s[8:9], s[8:9], 4
	s_wait_alu 0xfffe
	v_add_co_u32 v1, vcc_lo, v58, s8
	s_wait_alu 0xfffd
	v_add_co_ci_u32_e64 v2, null, s9, v59, vcc_lo
	global_load_b128 v[60:63], v[12:13], off
	s_clause 0x1
	global_load_b128 v[64:67], v[1:2], off
	global_load_b128 v[68:71], v[1:2], off offset:16
	s_wait_loadcnt 0x5
	scratch_store_b128 off, v[8:11], s64
	s_wait_loadcnt 0x4
	scratch_store_b128 off, v[40:43], s65
	s_clause 0x1
	scratch_load_b128 v[8:11], off, off offset:16
	scratch_load_b128 v[40:43], off, off offset:32
	s_clause 0x1
	global_load_b128 v[72:75], v[1:2], off offset:32
	global_load_b128 v[76:79], v[1:2], off offset:48
	s_wait_loadcnt 0x7
	scratch_store_b128 off, v[44:47], s66
	scratch_load_b128 v[44:47], off, off offset:48
	s_wait_loadcnt 0x7
	scratch_store_b128 off, v[60:63], off
	s_wait_loadcnt 0x6
	v_mul_f64_e32 v[1:2], v[66:67], v[62:63]
	v_mul_f64_e32 v[22:23], v[64:65], v[62:63]
	s_delay_alu instid0(VALU_DEP_2) | instskip(NEXT) | instid1(VALU_DEP_2)
	v_fma_f64 v[1:2], v[64:65], v[60:61], -v[1:2]
	v_fma_f64 v[22:23], v[66:67], v[60:61], v[22:23]
	s_delay_alu instid0(VALU_DEP_2) | instskip(NEXT) | instid1(VALU_DEP_2)
	v_add_f64_e32 v[1:2], 0, v[1:2]
	v_add_f64_e32 v[22:23], 0, v[22:23]
	s_wait_loadcnt 0x4
	v_mul_f64_e32 v[48:49], v[70:71], v[10:11]
	v_mul_f64_e32 v[10:11], v[68:69], v[10:11]
	s_wait_loadcnt 0x2
	v_mul_f64_e32 v[64:65], v[74:75], v[42:43]
	v_mul_f64_e32 v[42:43], v[72:73], v[42:43]
	s_delay_alu instid0(VALU_DEP_4) | instskip(NEXT) | instid1(VALU_DEP_4)
	v_fma_f64 v[48:49], v[68:69], v[8:9], -v[48:49]
	v_fma_f64 v[8:9], v[70:71], v[8:9], v[10:11]
	s_wait_loadcnt 0x0
	v_mul_f64_e32 v[10:11], v[78:79], v[46:47]
	v_mul_f64_e32 v[46:47], v[76:77], v[46:47]
	v_fma_f64 v[64:65], v[72:73], v[40:41], -v[64:65]
	v_fma_f64 v[40:41], v[74:75], v[40:41], v[42:43]
	v_add_f64_e32 v[1:2], v[1:2], v[48:49]
	v_add_f64_e32 v[8:9], v[22:23], v[8:9]
	v_fma_f64 v[10:11], v[76:77], v[44:45], -v[10:11]
	v_fma_f64 v[22:23], v[78:79], v[44:45], v[46:47]
	s_delay_alu instid0(VALU_DEP_4) | instskip(NEXT) | instid1(VALU_DEP_4)
	v_add_f64_e32 v[1:2], v[1:2], v[64:65]
	v_add_f64_e32 v[40:41], v[8:9], v[40:41]
	s_delay_alu instid0(VALU_DEP_2) | instskip(NEXT) | instid1(VALU_DEP_2)
	v_add_f64_e32 v[8:9], v[1:2], v[10:11]
	v_add_f64_e32 v[10:11], v[40:41], v[22:23]
	s_and_not1_saveexec_b32 s6, s6
	s_cbranch_execz .LBB163_63
.LBB163_71:                             ;   in Loop: Header=BB163_61 Depth=2
	s_wait_dscnt 0x0
	v_mov_b32_e32 v8, 0
	v_dual_mov_b32 v9, 0 :: v_dual_mov_b32 v10, 0
	v_mov_b32_e32 v11, 0
	s_and_saveexec_b32 s7, s68
	s_cbranch_execz .LBB163_76
; %bb.72:                               ;   in Loop: Header=BB163_61 Depth=2
	v_dual_mov_b32 v1, v34 :: v_dual_mov_b32 v2, v35
	s_mov_b32 s8, 0
	s_mov_b32 s9, s62
.LBB163_73:                             ;   Parent Loop BB163_3 Depth=1
                                        ;     Parent Loop BB163_61 Depth=2
                                        ; =>    This Inner Loop Header: Depth=3
	global_load_b128 v[8:11], v[1:2], off
	v_add_co_u32 v1, vcc_lo, v1, s46
	s_wait_alu 0xfffd
	v_add_co_ci_u32_e64 v2, null, s47, v2, vcc_lo
	s_wait_alu 0xfffe
	s_add_co_i32 s9, s9, -1
	s_wait_loadcnt 0x0
	scratch_store_b128 off, v[8:11], s8
	s_add_co_i32 s8, s8, 16
	s_wait_alu 0xfffe
	s_cmp_eq_u32 s9, 0
	s_cbranch_scc0 .LBB163_73
; %bb.74:                               ;   in Loop: Header=BB163_61 Depth=2
	v_mov_b32_e32 v8, 0
	v_dual_mov_b32 v9, 0 :: v_dual_mov_b32 v10, 0
	v_mov_b32_e32 v11, 0
	v_dual_mov_b32 v1, v20 :: v_dual_mov_b32 v2, v21
	s_mov_b32 s8, s67
	s_mov_b32 s9, s62
.LBB163_75:                             ;   Parent Loop BB163_3 Depth=1
                                        ;     Parent Loop BB163_61 Depth=2
                                        ; =>    This Inner Loop Header: Depth=3
	global_load_b128 v[40:43], v[1:2], off offset:-8
	scratch_load_b128 v[44:47], off, s8 offset:-8
	v_add_co_u32 v1, vcc_lo, v1, 16
	s_wait_alu 0xfffd
	v_add_co_ci_u32_e64 v2, null, 0, v2, vcc_lo
	s_wait_alu 0xfffe
	s_add_co_i32 s9, s9, -1
	s_add_co_i32 s8, s8, 16
	s_wait_alu 0xfffe
	s_cmp_lg_u32 s9, 0
	s_wait_loadcnt 0x0
	v_mul_f64_e32 v[22:23], v[42:43], v[46:47]
	v_mul_f64_e32 v[46:47], v[40:41], v[46:47]
	s_delay_alu instid0(VALU_DEP_2) | instskip(NEXT) | instid1(VALU_DEP_2)
	v_fma_f64 v[22:23], v[40:41], v[44:45], -v[22:23]
	v_fma_f64 v[40:41], v[42:43], v[44:45], v[46:47]
	s_delay_alu instid0(VALU_DEP_2) | instskip(NEXT) | instid1(VALU_DEP_2)
	v_add_f64_e32 v[8:9], v[8:9], v[22:23]
	v_add_f64_e32 v[10:11], v[10:11], v[40:41]
	s_cbranch_scc1 .LBB163_75
.LBB163_76:                             ;   in Loop: Header=BB163_61 Depth=2
	s_wait_alu 0xfffe
	s_or_b32 exec_lo, exec_lo, s7
	s_delay_alu instid0(SALU_CYCLE_1)
	s_or_b32 exec_lo, exec_lo, s6
	s_and_saveexec_b32 s6, s3
	s_cbranch_execnz .LBB163_64
	s_branch .LBB163_65
.LBB163_77:                             ;   in Loop: Header=BB163_61 Depth=2
	ds_load_b128 v[8:11], v52
	s_wait_alu 0xfffe
	s_or_b32 exec_lo, exec_lo, s6
	s_and_saveexec_b32 s6, s3
	s_cbranch_execz .LBB163_69
.LBB163_78:                             ;   in Loop: Header=BB163_61 Depth=2
	s_wait_dscnt 0x0
	ds_bpermute_b32 v1, v37, v8
	ds_bpermute_b32 v2, v37, v9
	ds_bpermute_b32 v22, v37, v10
	ds_bpermute_b32 v23, v37, v11
	s_wait_dscnt 0x2
	v_add_f64_e32 v[1:2], v[8:9], v[1:2]
	s_wait_dscnt 0x0
	v_add_f64_e32 v[8:9], v[10:11], v[22:23]
	ds_bpermute_b32 v10, v38, v1
	ds_bpermute_b32 v11, v38, v2
	ds_bpermute_b32 v22, v38, v8
	ds_bpermute_b32 v23, v38, v9
	s_wait_dscnt 0x2
	v_add_f64_e32 v[1:2], v[1:2], v[10:11]
	s_wait_dscnt 0x0
	v_add_f64_e32 v[10:11], v[8:9], v[22:23]
	;; [unrolled: 8-line block ×3, first 2 shown]
	s_wait_alu 0xfffe
	s_or_b32 exec_lo, exec_lo, s6
	s_and_saveexec_b32 s6, s0
	s_cbranch_execz .LBB163_60
.LBB163_79:                             ;   in Loop: Header=BB163_61 Depth=2
	s_wait_dscnt 0x0
	s_delay_alu instid0(VALU_DEP_1)
	v_mul_f64_e32 v[1:2], v[6:7], v[10:11]
	v_mul_f64_e32 v[10:11], v[4:5], v[10:11]
	s_mul_u64 s[8:9], s[28:29], s[36:37]
	s_wait_alu 0xfffe
	s_lshl_b64 s[8:9], s[8:9], 4
	s_wait_alu 0xfffe
	s_add_nc_u64 s[8:9], s[54:55], s[8:9]
	s_delay_alu instid0(VALU_DEP_2) | instskip(NEXT) | instid1(VALU_DEP_2)
	v_fma_f64 v[40:41], v[4:5], v[8:9], -v[1:2]
	v_fma_f64 v[42:43], v[6:7], v[8:9], v[10:11]
	global_store_b128 v0, v[40:43], s[8:9]
	s_branch .LBB163_60
.LBB163_80:
	s_nop 0
	s_sendmsg sendmsg(MSG_DEALLOC_VGPRS)
	s_endpgm
	.section	.rodata,"a",@progbits
	.p2align	6, 0x0
	.amdhsa_kernel _ZL23rocblas_gemvt_sn_kernelILb0ELi256ELi4El19rocblas_complex_numIdEPKS1_S1_EviiT4_lPKT3_lilS7_lilPT5_i
		.amdhsa_group_segment_fixed_size 512
		.amdhsa_private_segment_fixed_size 80
		.amdhsa_kernarg_size 360
		.amdhsa_user_sgpr_count 2
		.amdhsa_user_sgpr_dispatch_ptr 0
		.amdhsa_user_sgpr_queue_ptr 0
		.amdhsa_user_sgpr_kernarg_segment_ptr 1
		.amdhsa_user_sgpr_dispatch_id 0
		.amdhsa_user_sgpr_private_segment_size 0
		.amdhsa_wavefront_size32 1
		.amdhsa_uses_dynamic_stack 0
		.amdhsa_enable_private_segment 1
		.amdhsa_system_sgpr_workgroup_id_x 1
		.amdhsa_system_sgpr_workgroup_id_y 0
		.amdhsa_system_sgpr_workgroup_id_z 1
		.amdhsa_system_sgpr_workgroup_info 0
		.amdhsa_system_vgpr_workitem_id 0
		.amdhsa_next_free_vgpr 116
		.amdhsa_next_free_sgpr 76
		.amdhsa_reserve_vcc 1
		.amdhsa_float_round_mode_32 0
		.amdhsa_float_round_mode_16_64 0
		.amdhsa_float_denorm_mode_32 3
		.amdhsa_float_denorm_mode_16_64 3
		.amdhsa_fp16_overflow 0
		.amdhsa_workgroup_processor_mode 1
		.amdhsa_memory_ordered 1
		.amdhsa_forward_progress 1
		.amdhsa_inst_pref_size 56
		.amdhsa_round_robin_scheduling 0
		.amdhsa_exception_fp_ieee_invalid_op 0
		.amdhsa_exception_fp_denorm_src 0
		.amdhsa_exception_fp_ieee_div_zero 0
		.amdhsa_exception_fp_ieee_overflow 0
		.amdhsa_exception_fp_ieee_underflow 0
		.amdhsa_exception_fp_ieee_inexact 0
		.amdhsa_exception_int_div_zero 0
	.end_amdhsa_kernel
	.section	.text._ZL23rocblas_gemvt_sn_kernelILb0ELi256ELi4El19rocblas_complex_numIdEPKS1_S1_EviiT4_lPKT3_lilS7_lilPT5_i,"axG",@progbits,_ZL23rocblas_gemvt_sn_kernelILb0ELi256ELi4El19rocblas_complex_numIdEPKS1_S1_EviiT4_lPKT3_lilS7_lilPT5_i,comdat
.Lfunc_end163:
	.size	_ZL23rocblas_gemvt_sn_kernelILb0ELi256ELi4El19rocblas_complex_numIdEPKS1_S1_EviiT4_lPKT3_lilS7_lilPT5_i, .Lfunc_end163-_ZL23rocblas_gemvt_sn_kernelILb0ELi256ELi4El19rocblas_complex_numIdEPKS1_S1_EviiT4_lPKT3_lilS7_lilPT5_i
                                        ; -- End function
	.set _ZL23rocblas_gemvt_sn_kernelILb0ELi256ELi4El19rocblas_complex_numIdEPKS1_S1_EviiT4_lPKT3_lilS7_lilPT5_i.num_vgpr, 116
	.set _ZL23rocblas_gemvt_sn_kernelILb0ELi256ELi4El19rocblas_complex_numIdEPKS1_S1_EviiT4_lPKT3_lilS7_lilPT5_i.num_agpr, 0
	.set _ZL23rocblas_gemvt_sn_kernelILb0ELi256ELi4El19rocblas_complex_numIdEPKS1_S1_EviiT4_lPKT3_lilS7_lilPT5_i.numbered_sgpr, 76
	.set _ZL23rocblas_gemvt_sn_kernelILb0ELi256ELi4El19rocblas_complex_numIdEPKS1_S1_EviiT4_lPKT3_lilS7_lilPT5_i.num_named_barrier, 0
	.set _ZL23rocblas_gemvt_sn_kernelILb0ELi256ELi4El19rocblas_complex_numIdEPKS1_S1_EviiT4_lPKT3_lilS7_lilPT5_i.private_seg_size, 80
	.set _ZL23rocblas_gemvt_sn_kernelILb0ELi256ELi4El19rocblas_complex_numIdEPKS1_S1_EviiT4_lPKT3_lilS7_lilPT5_i.uses_vcc, 1
	.set _ZL23rocblas_gemvt_sn_kernelILb0ELi256ELi4El19rocblas_complex_numIdEPKS1_S1_EviiT4_lPKT3_lilS7_lilPT5_i.uses_flat_scratch, 1
	.set _ZL23rocblas_gemvt_sn_kernelILb0ELi256ELi4El19rocblas_complex_numIdEPKS1_S1_EviiT4_lPKT3_lilS7_lilPT5_i.has_dyn_sized_stack, 0
	.set _ZL23rocblas_gemvt_sn_kernelILb0ELi256ELi4El19rocblas_complex_numIdEPKS1_S1_EviiT4_lPKT3_lilS7_lilPT5_i.has_recursion, 0
	.set _ZL23rocblas_gemvt_sn_kernelILb0ELi256ELi4El19rocblas_complex_numIdEPKS1_S1_EviiT4_lPKT3_lilS7_lilPT5_i.has_indirect_call, 0
	.section	.AMDGPU.csdata,"",@progbits
; Kernel info:
; codeLenInByte = 7132
; TotalNumSgprs: 78
; NumVgprs: 116
; ScratchSize: 80
; MemoryBound: 0
; FloatMode: 240
; IeeeMode: 1
; LDSByteSize: 512 bytes/workgroup (compile time only)
; SGPRBlocks: 0
; VGPRBlocks: 14
; NumSGPRsForWavesPerEU: 78
; NumVGPRsForWavesPerEU: 116
; Occupancy: 12
; WaveLimiterHint : 0
; COMPUTE_PGM_RSRC2:SCRATCH_EN: 1
; COMPUTE_PGM_RSRC2:USER_SGPR: 2
; COMPUTE_PGM_RSRC2:TRAP_HANDLER: 0
; COMPUTE_PGM_RSRC2:TGID_X_EN: 1
; COMPUTE_PGM_RSRC2:TGID_Y_EN: 0
; COMPUTE_PGM_RSRC2:TGID_Z_EN: 1
; COMPUTE_PGM_RSRC2:TIDIG_COMP_CNT: 0
	.section	.text._ZL23rocblas_gemvt_sn_reduceILi256ELi8E19rocblas_complex_numIdEPKS1_S1_EviT2_lPT3_lilPT1_i,"axG",@progbits,_ZL23rocblas_gemvt_sn_reduceILi256ELi8E19rocblas_complex_numIdEPKS1_S1_EviT2_lPT3_lilPT1_i,comdat
	.globl	_ZL23rocblas_gemvt_sn_reduceILi256ELi8E19rocblas_complex_numIdEPKS1_S1_EviT2_lPT3_lilPT1_i ; -- Begin function _ZL23rocblas_gemvt_sn_reduceILi256ELi8E19rocblas_complex_numIdEPKS1_S1_EviT2_lPT3_lilPT1_i
	.p2align	8
	.type	_ZL23rocblas_gemvt_sn_reduceILi256ELi8E19rocblas_complex_numIdEPKS1_S1_EviT2_lPT3_lilPT1_i,@function
_ZL23rocblas_gemvt_sn_reduceILi256ELi8E19rocblas_complex_numIdEPKS1_S1_EviT2_lPT3_lilPT1_i: ; @_ZL23rocblas_gemvt_sn_reduceILi256ELi8E19rocblas_complex_numIdEPKS1_S1_EviT2_lPT3_lilPT1_i
; %bb.0:
	s_load_b32 s28, s[0:1], 0x40
	s_lshr_b32 s20, ttmp7, 16
	s_wait_kmcnt 0x0
	s_cmp_ge_u32 s20, s28
	s_cbranch_scc1 .LBB164_21
; %bb.1:
	s_clause 0x5
	s_load_b32 s22, s[0:1], 0x0
	s_load_b32 s29, s[0:1], 0x4c
	s_load_b32 s4, s[0:1], 0x54
	s_load_b32 s6, s[0:1], 0x28
	s_load_b256 s[8:15], s[0:1], 0x8
	s_load_b128 s[16:19], s[0:1], 0x30
	v_mbcnt_lo_u32_b32 v5, -1, 0
	v_dual_mov_b32 v1, 0 :: v_dual_and_b32 v4, 31, v0
	v_lshlrev_b32_e32 v19, 3, v0
	v_cmp_gt_u32_e64 s0, 32, v0
	s_delay_alu instid0(VALU_DEP_4) | instskip(NEXT) | instid1(VALU_DEP_4)
	v_cmp_gt_u32_e32 vcc_lo, 24, v5
	v_dual_mov_b32 v3, v1 :: v_dual_lshlrev_b32 v20, 4, v4
	v_cmp_eq_u32_e64 s5, 0, v0
	s_mov_b32 s21, 0
	v_cndmask_b32_e64 v6, 0, 8, vcc_lo
	v_cmp_gt_u32_e32 vcc_lo, 28, v5
	s_and_b32 s24, ttmp7, 0xffff
	s_mov_b32 s25, s21
	s_wait_kmcnt 0x0
	s_ashr_i32 s23, s22, 31
	v_xad_u32 v2, v0, -1, s22
	s_lshr_b32 s1, s23, 29
	s_wait_alu 0xfffd
	v_cndmask_b32_e64 v7, 0, 4, vcc_lo
	v_cmp_gt_u32_e32 vcc_lo, 30, v5
	s_lshl_b64 s[2:3], s[14:15], 4
	s_add_co_i32 s1, s22, s1
	s_add_nc_u64 s[12:13], s[12:13], s[2:3]
	v_cmp_eq_u32_e64 s3, 0, v4
	v_lshlrev_b32_e32 v4, 7, v0
	s_and_b32 s30, s1, -8
	s_wait_alu 0xfffd
	v_cndmask_b32_e64 v8, 0, 2, vcc_lo
	v_cmp_ne_u32_e32 vcc_lo, 31, v5
	s_sub_co_i32 s2, s22, s30
	s_and_b32 s26, s4, 0xffff
	v_cmp_gt_u32_e64 s2, s2, v0
	v_add_lshl_u32 v22, v6, v5, 2
	v_lshrrev_b32_e32 v6, 1, v0
	v_cmp_gt_u32_e64 s4, 8, v0
	v_add_co_u32 v0, s14, s18, v4
	s_wait_alu 0xfffd
	v_add_co_ci_u32_e64 v9, null, 0, v5, vcc_lo
	v_add_co_ci_u32_e64 v4, null, s19, 0, s14
	s_delay_alu instid0(VALU_DEP_3)
	v_add_co_u32 v13, vcc_lo, 0x78, v0
	s_ashr_i32 s7, s6, 31
	v_lshlrev_b64_e32 v[15:16], 4, v[2:3]
	v_lshl_or_b32 v21, v5, 2, 64
	v_cmp_gt_i32_e64 s1, s30, v19
	v_add_lshl_u32 v23, v7, v5, 2
	v_add_lshl_u32 v24, v8, v5, 2
	v_lshlrev_b32_e32 v25, 2, v9
	v_and_b32_e32 v26, 0x70, v6
	s_wait_alu 0xfffd
	v_add_co_ci_u32_e64 v14, null, 0, v4, vcc_lo
	s_mul_u64 s[6:7], s[6:7], s[24:25]
	s_mul_i32 s25, s20, s29
	s_lshl_b32 s31, s26, 3
	s_lshl_b64 s[14:15], s[22:23], 4
	s_add_co_i32 s25, s24, s25
	s_lshl_b32 s33, s29, 16
	s_lshl_b32 s34, s26, 7
	s_lshl_b64 s[26:27], s[6:7], 4
	s_branch .LBB164_4
.LBB164_2:                              ;   in Loop: Header=BB164_4 Depth=1
	s_wait_dscnt 0x0
	global_store_b128 v1, v[9:12], s[6:7]
.LBB164_3:                              ;   in Loop: Header=BB164_4 Depth=1
	s_wait_alu 0xfffe
	s_or_b32 exec_lo, exec_lo, s35
	s_add_co_i32 s20, s20, 0x10000
	s_add_co_i32 s25, s25, s33
	s_cmp_lt_u32 s20, s28
	s_cbranch_scc0 .LBB164_21
.LBB164_4:                              ; =>This Loop Header: Depth=1
                                        ;     Child Loop BB164_14 Depth 2
	s_mul_u64 s[6:7], s[10:11], s[20:21]
	s_wait_dscnt 0x0
	v_mov_b32_e32 v9, 0
	s_wait_alu 0xfffe
	s_lshl_b64 s[6:7], s[6:7], 4
	v_dual_mov_b32 v10, 0 :: v_dual_mov_b32 v11, 0
	s_wait_alu 0xfffe
	s_add_nc_u64 s[6:7], s[8:9], s[6:7]
	v_mov_b32_e32 v12, 0
	global_load_b128 v[5:8], v1, s[6:7]
	s_and_saveexec_b32 s7, s1
	s_cbranch_execnz .LBB164_13
; %bb.5:                                ;   in Loop: Header=BB164_4 Depth=1
	s_wait_alu 0xfffe
	s_or_b32 exec_lo, exec_lo, s7
	s_and_saveexec_b32 s6, s2
	s_cbranch_execnz .LBB164_16
.LBB164_6:                              ;   in Loop: Header=BB164_4 Depth=1
	s_wait_alu 0xfffe
	s_or_b32 exec_lo, exec_lo, s6
	s_and_saveexec_b32 s6, s0
.LBB164_7:                              ;   in Loop: Header=BB164_4 Depth=1
	v_dual_mov_b32 v2, v1 :: v_dual_mov_b32 v3, v1
	v_mov_b32_e32 v4, v1
	ds_store_b128 v20, v[1:4]
.LBB164_8:                              ;   in Loop: Header=BB164_4 Depth=1
	s_wait_alu 0xfffe
	s_or_b32 exec_lo, exec_lo, s6
	ds_bpermute_b32 v2, v21, v11
	ds_bpermute_b32 v3, v21, v12
	;; [unrolled: 1-line block ×4, first 2 shown]
	s_wait_loadcnt_dscnt 0x0
	s_barrier_signal -1
	s_barrier_wait -1
	global_inv scope:SCOPE_SE
	v_add_f64_e32 v[2:3], v[11:12], v[2:3]
	v_add_f64_e32 v[9:10], v[9:10], v[17:18]
	ds_bpermute_b32 v11, v22, v2
	ds_bpermute_b32 v12, v22, v3
	ds_bpermute_b32 v17, v22, v9
	ds_bpermute_b32 v18, v22, v10
	s_wait_dscnt 0x2
	v_add_f64_e32 v[2:3], v[2:3], v[11:12]
	s_wait_dscnt 0x0
	v_add_f64_e32 v[9:10], v[9:10], v[17:18]
	ds_bpermute_b32 v11, v23, v2
	ds_bpermute_b32 v12, v23, v3
	ds_bpermute_b32 v17, v23, v9
	ds_bpermute_b32 v18, v23, v10
	s_wait_dscnt 0x2
	v_add_f64_e32 v[2:3], v[2:3], v[11:12]
	s_wait_dscnt 0x0
	;; [unrolled: 8-line block ×3, first 2 shown]
	v_add_f64_e32 v[11:12], v[9:10], v[17:18]
	ds_bpermute_b32 v9, v25, v2
	ds_bpermute_b32 v10, v25, v3
	;; [unrolled: 1-line block ×4, first 2 shown]
	s_and_saveexec_b32 s6, s3
	s_cbranch_execz .LBB164_10
; %bb.9:                                ;   in Loop: Header=BB164_4 Depth=1
	s_wait_dscnt 0x0
	v_add_f64_e32 v[11:12], v[11:12], v[17:18]
	v_add_f64_e32 v[9:10], v[2:3], v[9:10]
	ds_store_b128 v26, v[9:12]
.LBB164_10:                             ;   in Loop: Header=BB164_4 Depth=1
	s_wait_alu 0xfffe
	s_or_b32 exec_lo, exec_lo, s6
	v_mov_b32_e32 v11, 0
	s_wait_dscnt 0x2
	v_dual_mov_b32 v12, 0 :: v_dual_mov_b32 v9, 0
	v_mov_b32_e32 v10, 0
	s_wait_loadcnt_dscnt 0x0
	s_barrier_signal -1
	s_barrier_wait -1
	global_inv scope:SCOPE_SE
	s_and_saveexec_b32 s6, s4
	s_cbranch_execnz .LBB164_17
; %bb.11:                               ;   in Loop: Header=BB164_4 Depth=1
	s_wait_alu 0xfffe
	s_or_b32 exec_lo, exec_lo, s6
	s_and_saveexec_b32 s6, s0
	s_cbranch_execnz .LBB164_18
.LBB164_12:                             ;   in Loop: Header=BB164_4 Depth=1
	s_wait_alu 0xfffe
	s_or_b32 exec_lo, exec_lo, s6
	s_and_saveexec_b32 s35, s5
	s_cbranch_execz .LBB164_3
	s_branch .LBB164_19
.LBB164_13:                             ;   in Loop: Header=BB164_4 Depth=1
	v_mad_co_u64_u32 v[2:3], null, s14, s25, v[13:14]
	s_mov_b32 s35, 0
	v_mov_b32_e32 v9, 0
	v_dual_mov_b32 v10, 0 :: v_dual_mov_b32 v11, 0
	v_mov_b32_e32 v12, 0
	v_mov_b32_e32 v0, v3
	s_delay_alu instid0(VALU_DEP_1)
	v_mad_co_u64_u32 v[3:4], null, s15, s25, v[0:1]
	v_mov_b32_e32 v0, v19
.LBB164_14:                             ;   Parent Loop BB164_4 Depth=1
                                        ; =>  This Inner Loop Header: Depth=2
	s_clause 0x7
	global_load_b128 v[27:30], v[2:3], off offset:-120
	global_load_b128 v[31:34], v[2:3], off offset:-104
	;; [unrolled: 1-line block ×8, first 2 shown]
	v_add_nc_u32_e32 v0, s31, v0
	v_add_co_u32 v2, s6, v2, s34
	s_wait_alu 0xf1fe
	v_add_co_ci_u32_e64 v3, null, 0, v3, s6
	s_delay_alu instid0(VALU_DEP_3)
	v_cmp_le_i32_e32 vcc_lo, s30, v0
	s_or_b32 s35, vcc_lo, s35
	s_wait_loadcnt 0x7
	v_add_f64_e32 v[11:12], v[11:12], v[27:28]
	v_add_f64_e32 v[9:10], v[9:10], v[29:30]
	s_wait_loadcnt 0x6
	s_delay_alu instid0(VALU_DEP_2) | instskip(NEXT) | instid1(VALU_DEP_2)
	v_add_f64_e32 v[11:12], v[11:12], v[31:32]
	v_add_f64_e32 v[9:10], v[9:10], v[33:34]
	s_wait_loadcnt 0x5
	s_delay_alu instid0(VALU_DEP_2) | instskip(NEXT) | instid1(VALU_DEP_2)
	v_add_f64_e32 v[11:12], v[11:12], v[35:36]
	v_add_f64_e32 v[9:10], v[9:10], v[37:38]
	s_wait_loadcnt 0x4
	s_delay_alu instid0(VALU_DEP_2) | instskip(NEXT) | instid1(VALU_DEP_2)
	v_add_f64_e32 v[11:12], v[11:12], v[39:40]
	v_add_f64_e32 v[9:10], v[9:10], v[41:42]
	s_wait_loadcnt 0x3
	s_delay_alu instid0(VALU_DEP_2) | instskip(NEXT) | instid1(VALU_DEP_2)
	v_add_f64_e32 v[11:12], v[11:12], v[43:44]
	v_add_f64_e32 v[9:10], v[9:10], v[45:46]
	s_wait_loadcnt 0x2
	s_delay_alu instid0(VALU_DEP_2) | instskip(NEXT) | instid1(VALU_DEP_2)
	v_add_f64_e32 v[11:12], v[11:12], v[47:48]
	v_add_f64_e32 v[9:10], v[9:10], v[49:50]
	s_wait_loadcnt 0x1
	s_delay_alu instid0(VALU_DEP_2) | instskip(NEXT) | instid1(VALU_DEP_2)
	v_add_f64_e32 v[11:12], v[11:12], v[51:52]
	v_add_f64_e32 v[9:10], v[9:10], v[53:54]
	s_wait_loadcnt 0x0
	s_delay_alu instid0(VALU_DEP_2) | instskip(NEXT) | instid1(VALU_DEP_2)
	v_add_f64_e32 v[11:12], v[11:12], v[55:56]
	v_add_f64_e32 v[9:10], v[9:10], v[57:58]
	s_wait_alu 0xfffe
	s_and_not1_b32 exec_lo, exec_lo, s35
	s_cbranch_execnz .LBB164_14
; %bb.15:                               ;   in Loop: Header=BB164_4 Depth=1
	s_or_b32 exec_lo, exec_lo, s35
	s_delay_alu instid0(SALU_CYCLE_1)
	s_or_b32 exec_lo, exec_lo, s7
	s_and_saveexec_b32 s6, s2
	s_cbranch_execz .LBB164_6
.LBB164_16:                             ;   in Loop: Header=BB164_4 Depth=1
	s_mul_i32 s7, s29, s20
	s_mov_b32 s37, s21
	s_wait_alu 0xfffe
	s_add_co_i32 s36, s7, s24
	s_wait_alu 0xfffe
	s_mul_u64 s[36:37], s[36:37], s[22:23]
	s_wait_alu 0xfffe
	s_lshl_b64 s[36:37], s[36:37], 4
	s_wait_alu 0xfffe
	s_add_nc_u64 s[36:37], s[18:19], s[36:37]
	s_wait_alu 0xfffe
	v_add_co_u32 v2, vcc_lo, s36, v15
	s_wait_alu 0xfffd
	v_add_co_ci_u32_e64 v3, null, s37, v16, vcc_lo
	global_load_b128 v[27:30], v[2:3], off
	s_wait_loadcnt 0x0
	v_add_f64_e32 v[11:12], v[11:12], v[27:28]
	v_add_f64_e32 v[9:10], v[9:10], v[29:30]
	s_or_b32 exec_lo, exec_lo, s6
	s_and_saveexec_b32 s6, s0
	s_cbranch_execnz .LBB164_7
	s_branch .LBB164_8
.LBB164_17:                             ;   in Loop: Header=BB164_4 Depth=1
	ds_load_b128 v[9:12], v20
	s_wait_alu 0xfffe
	s_or_b32 exec_lo, exec_lo, s6
	s_and_saveexec_b32 s6, s0
	s_cbranch_execz .LBB164_12
.LBB164_18:                             ;   in Loop: Header=BB164_4 Depth=1
	s_wait_dscnt 0x0
	ds_bpermute_b32 v2, v23, v9
	ds_bpermute_b32 v3, v23, v10
	ds_bpermute_b32 v17, v23, v11
	ds_bpermute_b32 v18, v23, v12
	s_wait_dscnt 0x2
	v_add_f64_e32 v[2:3], v[9:10], v[2:3]
	s_wait_dscnt 0x0
	v_add_f64_e32 v[9:10], v[11:12], v[17:18]
	ds_bpermute_b32 v11, v24, v2
	ds_bpermute_b32 v12, v24, v3
	ds_bpermute_b32 v17, v24, v9
	ds_bpermute_b32 v18, v24, v10
	s_wait_dscnt 0x2
	v_add_f64_e32 v[2:3], v[2:3], v[11:12]
	s_wait_dscnt 0x0
	v_add_f64_e32 v[11:12], v[9:10], v[17:18]
	;; [unrolled: 8-line block ×3, first 2 shown]
	s_wait_alu 0xfffe
	s_or_b32 exec_lo, exec_lo, s6
	s_and_saveexec_b32 s35, s5
	s_cbranch_execz .LBB164_3
.LBB164_19:                             ;   in Loop: Header=BB164_4 Depth=1
	v_cmp_neq_f64_e32 vcc_lo, 0, v[5:6]
	v_cmp_neq_f64_e64 s6, 0, v[7:8]
	s_or_b32 s36, vcc_lo, s6
	s_mul_u64 s[6:7], s[16:17], s[20:21]
	s_wait_alu 0xfffe
	s_and_not1_b32 vcc_lo, exec_lo, s36
	s_lshl_b64 s[6:7], s[6:7], 4
	s_wait_alu 0xfffe
	s_add_nc_u64 s[6:7], s[12:13], s[6:7]
	s_wait_alu 0xfffe
	s_add_nc_u64 s[6:7], s[6:7], s[26:27]
	s_cbranch_vccnz .LBB164_2
; %bb.20:                               ;   in Loop: Header=BB164_4 Depth=1
	global_load_b128 v[27:30], v1, s[6:7]
	s_wait_loadcnt 0x0
	v_mul_f64_e32 v[2:3], v[7:8], v[29:30]
	v_mul_f64_e32 v[17:18], v[5:6], v[29:30]
	s_delay_alu instid0(VALU_DEP_2) | instskip(NEXT) | instid1(VALU_DEP_2)
	v_fma_f64 v[2:3], v[5:6], v[27:28], -v[2:3]
	v_fma_f64 v[4:5], v[7:8], v[27:28], v[17:18]
	s_wait_dscnt 0x0
	s_delay_alu instid0(VALU_DEP_2) | instskip(NEXT) | instid1(VALU_DEP_2)
	v_add_f64_e32 v[9:10], v[9:10], v[2:3]
	v_add_f64_e32 v[11:12], v[11:12], v[4:5]
	s_branch .LBB164_2
.LBB164_21:
	s_endpgm
	.section	.rodata,"a",@progbits
	.p2align	6, 0x0
	.amdhsa_kernel _ZL23rocblas_gemvt_sn_reduceILi256ELi8E19rocblas_complex_numIdEPKS1_S1_EviT2_lPT3_lilPT1_i
		.amdhsa_group_segment_fixed_size 512
		.amdhsa_private_segment_fixed_size 0
		.amdhsa_kernarg_size 328
		.amdhsa_user_sgpr_count 2
		.amdhsa_user_sgpr_dispatch_ptr 0
		.amdhsa_user_sgpr_queue_ptr 0
		.amdhsa_user_sgpr_kernarg_segment_ptr 1
		.amdhsa_user_sgpr_dispatch_id 0
		.amdhsa_user_sgpr_private_segment_size 0
		.amdhsa_wavefront_size32 1
		.amdhsa_uses_dynamic_stack 0
		.amdhsa_enable_private_segment 0
		.amdhsa_system_sgpr_workgroup_id_x 1
		.amdhsa_system_sgpr_workgroup_id_y 1
		.amdhsa_system_sgpr_workgroup_id_z 1
		.amdhsa_system_sgpr_workgroup_info 0
		.amdhsa_system_vgpr_workitem_id 0
		.amdhsa_next_free_vgpr 59
		.amdhsa_next_free_sgpr 38
		.amdhsa_reserve_vcc 1
		.amdhsa_float_round_mode_32 0
		.amdhsa_float_round_mode_16_64 0
		.amdhsa_float_denorm_mode_32 3
		.amdhsa_float_denorm_mode_16_64 3
		.amdhsa_fp16_overflow 0
		.amdhsa_workgroup_processor_mode 1
		.amdhsa_memory_ordered 1
		.amdhsa_forward_progress 1
		.amdhsa_inst_pref_size 14
		.amdhsa_round_robin_scheduling 0
		.amdhsa_exception_fp_ieee_invalid_op 0
		.amdhsa_exception_fp_denorm_src 0
		.amdhsa_exception_fp_ieee_div_zero 0
		.amdhsa_exception_fp_ieee_overflow 0
		.amdhsa_exception_fp_ieee_underflow 0
		.amdhsa_exception_fp_ieee_inexact 0
		.amdhsa_exception_int_div_zero 0
	.end_amdhsa_kernel
	.section	.text._ZL23rocblas_gemvt_sn_reduceILi256ELi8E19rocblas_complex_numIdEPKS1_S1_EviT2_lPT3_lilPT1_i,"axG",@progbits,_ZL23rocblas_gemvt_sn_reduceILi256ELi8E19rocblas_complex_numIdEPKS1_S1_EviT2_lPT3_lilPT1_i,comdat
.Lfunc_end164:
	.size	_ZL23rocblas_gemvt_sn_reduceILi256ELi8E19rocblas_complex_numIdEPKS1_S1_EviT2_lPT3_lilPT1_i, .Lfunc_end164-_ZL23rocblas_gemvt_sn_reduceILi256ELi8E19rocblas_complex_numIdEPKS1_S1_EviT2_lPT3_lilPT1_i
                                        ; -- End function
	.set _ZL23rocblas_gemvt_sn_reduceILi256ELi8E19rocblas_complex_numIdEPKS1_S1_EviT2_lPT3_lilPT1_i.num_vgpr, 59
	.set _ZL23rocblas_gemvt_sn_reduceILi256ELi8E19rocblas_complex_numIdEPKS1_S1_EviT2_lPT3_lilPT1_i.num_agpr, 0
	.set _ZL23rocblas_gemvt_sn_reduceILi256ELi8E19rocblas_complex_numIdEPKS1_S1_EviT2_lPT3_lilPT1_i.numbered_sgpr, 38
	.set _ZL23rocblas_gemvt_sn_reduceILi256ELi8E19rocblas_complex_numIdEPKS1_S1_EviT2_lPT3_lilPT1_i.num_named_barrier, 0
	.set _ZL23rocblas_gemvt_sn_reduceILi256ELi8E19rocblas_complex_numIdEPKS1_S1_EviT2_lPT3_lilPT1_i.private_seg_size, 0
	.set _ZL23rocblas_gemvt_sn_reduceILi256ELi8E19rocblas_complex_numIdEPKS1_S1_EviT2_lPT3_lilPT1_i.uses_vcc, 1
	.set _ZL23rocblas_gemvt_sn_reduceILi256ELi8E19rocblas_complex_numIdEPKS1_S1_EviT2_lPT3_lilPT1_i.uses_flat_scratch, 0
	.set _ZL23rocblas_gemvt_sn_reduceILi256ELi8E19rocblas_complex_numIdEPKS1_S1_EviT2_lPT3_lilPT1_i.has_dyn_sized_stack, 0
	.set _ZL23rocblas_gemvt_sn_reduceILi256ELi8E19rocblas_complex_numIdEPKS1_S1_EviT2_lPT3_lilPT1_i.has_recursion, 0
	.set _ZL23rocblas_gemvt_sn_reduceILi256ELi8E19rocblas_complex_numIdEPKS1_S1_EviT2_lPT3_lilPT1_i.has_indirect_call, 0
	.section	.AMDGPU.csdata,"",@progbits
; Kernel info:
; codeLenInByte = 1696
; TotalNumSgprs: 40
; NumVgprs: 59
; ScratchSize: 0
; MemoryBound: 1
; FloatMode: 240
; IeeeMode: 1
; LDSByteSize: 512 bytes/workgroup (compile time only)
; SGPRBlocks: 0
; VGPRBlocks: 7
; NumSGPRsForWavesPerEU: 40
; NumVGPRsForWavesPerEU: 59
; Occupancy: 16
; WaveLimiterHint : 0
; COMPUTE_PGM_RSRC2:SCRATCH_EN: 0
; COMPUTE_PGM_RSRC2:USER_SGPR: 2
; COMPUTE_PGM_RSRC2:TRAP_HANDLER: 0
; COMPUTE_PGM_RSRC2:TGID_X_EN: 1
; COMPUTE_PGM_RSRC2:TGID_Y_EN: 1
; COMPUTE_PGM_RSRC2:TGID_Z_EN: 1
; COMPUTE_PGM_RSRC2:TIDIG_COMP_CNT: 0
	.section	.text._ZL23rocblas_gemvt_sn_kernelILb0ELi256ELi4Ei19rocblas_complex_numIdES1_S1_EviiT4_lPKT3_lilS5_lilPT5_i,"axG",@progbits,_ZL23rocblas_gemvt_sn_kernelILb0ELi256ELi4Ei19rocblas_complex_numIdES1_S1_EviiT4_lPKT3_lilS5_lilPT5_i,comdat
	.globl	_ZL23rocblas_gemvt_sn_kernelILb0ELi256ELi4Ei19rocblas_complex_numIdES1_S1_EviiT4_lPKT3_lilS5_lilPT5_i ; -- Begin function _ZL23rocblas_gemvt_sn_kernelILb0ELi256ELi4Ei19rocblas_complex_numIdES1_S1_EviiT4_lPKT3_lilS5_lilPT5_i
	.p2align	8
	.type	_ZL23rocblas_gemvt_sn_kernelILb0ELi256ELi4Ei19rocblas_complex_numIdES1_S1_EviiT4_lPKT3_lilS5_lilPT5_i,@function
_ZL23rocblas_gemvt_sn_kernelILb0ELi256ELi4Ei19rocblas_complex_numIdES1_S1_EviiT4_lPKT3_lilS5_lilPT5_i: ; @_ZL23rocblas_gemvt_sn_kernelILb0ELi256ELi4Ei19rocblas_complex_numIdES1_S1_EviiT4_lPKT3_lilS5_lilPT5_i
; %bb.0:
	s_load_b32 s11, s[0:1], 0x68
	s_lshr_b32 s24, ttmp7, 16
	s_wait_kmcnt 0x0
	s_cmp_ge_u32 s24, s11
	s_cbranch_scc1 .LBB165_80
; %bb.1:
	s_clause 0x7
	s_load_b128 s[12:15], s[0:1], 0x8
	s_load_b96 s[8:10], s[0:1], 0x48
	s_load_b128 s[4:7], s[0:1], 0x20
	s_load_b64 s[28:29], s[0:1], 0x0
	s_load_b128 s[16:19], s[0:1], 0x38
	s_load_b128 s[20:23], s[0:1], 0x58
	s_load_b32 s30, s[0:1], 0x70
	s_load_b32 s33, s[0:1], 0x30
	v_dual_mov_b32 v1, 0 :: v_dual_and_b32 v2, 31, v0
	v_cmp_eq_u32_e64 s0, 0, v0
	v_lshrrev_b32_e32 v3, 1, v0
	v_cmp_gt_u32_e64 s1, 32, v0
	s_delay_alu instid0(VALU_DEP_4)
	v_cmp_eq_u32_e64 s3, 0, v2
	v_lshlrev_b32_e32 v40, 4, v2
	v_cmp_gt_u32_e64 s2, 8, v0
	v_and_b32_e32 v41, 0x70, v3
	s_mov_b32 s35, 0
	v_mbcnt_lo_u32_b32 v45, -1, 0
	s_mov_b32 s26, ttmp9
	s_mov_b32 s31, s35
	s_wait_kmcnt 0x0
	s_lshl_b64 s[8:9], s[8:9], 4
	s_lshl_b64 s[6:7], s[6:7], 4
	s_ashr_i32 s39, s29, 31
	s_add_nc_u64 s[6:7], s[4:5], s[6:7]
	s_add_nc_u64 s[18:19], s[18:19], s[8:9]
	v_cmp_eq_f64_e64 s25, s[12:13], 0
	v_cmp_eq_f64_e64 s34, s[14:15], 0
	s_mov_b32 s27, s35
	s_mov_b32 s38, s29
	v_lshl_or_b32 v46, v45, 2, 64
	s_mul_u64 s[36:37], s[38:39], s[30:31]
	s_mov_b32 s64, 16
	s_mov_b32 s65, 32
	;; [unrolled: 1-line block ×3, first 2 shown]
	s_mul_i32 s69, s33, 3
	s_and_b32 s58, s25, s34
	s_cmp_gt_i32 s29, 0
	s_cselect_b32 s4, -1, 0
	s_lshl_b32 s5, ttmp9, 10
	s_ashr_i32 s9, s28, 31
	v_lshl_or_b32 v2, v0, 2, s5
	s_and_b32 s59, s0, s4
	s_lshr_b32 s4, s9, 30
	s_lshr_b32 s8, s39, 30
	s_wait_alu 0xfffe
	s_add_co_i32 s4, s28, s4
	v_mul_lo_u32 v21, s10, v2
	v_ashrrev_i32_e32 v3, 31, v2
	s_wait_alu 0xfffe
	s_and_b32 s4, s4, -4
	v_add_nc_u32_e32 v0, 4, v2
	s_wait_alu 0xfffe
	s_sub_co_i32 s61, s28, s4
	s_add_co_i32 s5, s29, s8
	v_add_nc_u32_e32 v5, s61, v2
	v_lshlrev_b64_e32 v[2:3], 4, v[2:3]
	v_add_nc_u32_e32 v4, s10, v21
	v_cmp_ge_i32_e64 s4, s28, v0
	s_wait_alu 0xfffe
	s_and_b32 s60, s5, -4
	v_cmp_ge_i32_e64 s5, s28, v5
	v_ashrrev_i32_e32 v22, 31, v21
	v_add_nc_u32_e32 v6, s10, v4
	v_add_co_u32 v0, vcc_lo, s6, v2
	s_delay_alu instid0(VALU_DEP_1) | instskip(NEXT) | instid1(VALU_DEP_3)
	v_add_co_ci_u32_e64 v42, null, s7, v3, vcc_lo
	v_add_nc_u32_e32 v2, s10, v6
	v_ashrrev_i32_e32 v5, 31, v4
	v_ashrrev_i32_e32 v7, 31, v6
	s_wait_alu 0xfffe
	s_cmp_gt_i32 s60, 0
	v_add_co_u32 v43, vcc_lo, v0, 8
	v_ashrrev_i32_e32 v3, 31, v2
	s_cselect_b32 s62, -1, 0
	s_cmp_gt_i32 s61, 0
	v_lshlrev_b64_e32 v[22:23], 4, v[21:22]
	s_cselect_b32 s63, -1, 0
	s_lshl_b64 s[38:39], s[26:27], 4
	v_lshlrev_b64_e32 v[24:25], 4, v[4:5]
	v_lshlrev_b64_e32 v[26:27], 4, v[6:7]
	;; [unrolled: 1-line block ×3, first 2 shown]
	s_wait_alu 0xfffd
	v_add_co_ci_u32_e64 v44, null, 0, v42, vcc_lo
	s_add_nc_u64 s[8:9], s[22:23], s[38:39]
	s_or_b32 s67, 0, 8
	s_lshl_b64 s[40:41], s[36:37], 4
	s_lshl_b64 s[42:43], s[30:31], 4
	s_lshl_b32 s27, s33, 2
	s_add_nc_u64 s[44:45], s[8:9], 8
	s_and_b32 s28, s63, s5
	s_lshl_b32 s68, s33, 1
	s_lshl_b64 s[46:47], s[16:17], 4
	s_branch .LBB165_3
.LBB165_2:                              ;   in Loop: Header=BB165_3 Depth=1
	s_add_co_i32 s24, s24, 0x10000
	s_delay_alu instid0(SALU_CYCLE_1)
	s_cmp_lt_u32 s24, s11
	s_cbranch_scc0 .LBB165_80
.LBB165_3:                              ; =>This Loop Header: Depth=1
                                        ;     Child Loop BB165_6 Depth 2
                                        ;     Child Loop BB165_12 Depth 2
                                        ;       Child Loop BB165_43 Depth 3
                                        ;       Child Loop BB165_45 Depth 3
                                        ;     Child Loop BB165_61 Depth 2
                                        ;       Child Loop BB165_73 Depth 3
                                        ;       Child Loop BB165_75 Depth 3
	s_mov_b32 s25, s35
	s_and_not1_b32 vcc_lo, exec_lo, s58
	s_mov_b32 s6, -1
	s_wait_alu 0xfffe
	s_cbranch_vccnz .LBB165_8
; %bb.4:                                ;   in Loop: Header=BB165_3 Depth=1
	s_and_saveexec_b32 s8, s59
	s_cbranch_execz .LBB165_7
; %bb.5:                                ;   in Loop: Header=BB165_3 Depth=1
	s_mul_u64 s[6:7], s[40:41], s[24:25]
	s_mov_b32 s9, s29
	s_wait_alu 0xfffe
	s_add_nc_u64 s[6:7], s[44:45], s[6:7]
.LBB165_6:                              ;   Parent Loop BB165_3 Depth=1
                                        ; =>  This Inner Loop Header: Depth=2
	s_wait_dscnt 0x0
	v_dual_mov_b32 v2, v1 :: v_dual_mov_b32 v3, v1
	v_mov_b32_e32 v4, v1
	s_add_co_i32 s9, s9, -1
	s_wait_alu 0xfffe
	s_cmp_eq_u32 s9, 0
	global_store_b128 v1, v[1:4], s[6:7] offset:-8
	s_add_nc_u64 s[6:7], s[6:7], s[42:43]
	s_cbranch_scc0 .LBB165_6
.LBB165_7:                              ;   in Loop: Header=BB165_3 Depth=1
	s_wait_alu 0xfffe
	s_or_b32 exec_lo, exec_lo, s8
	s_mov_b32 s6, 0
.LBB165_8:                              ;   in Loop: Header=BB165_3 Depth=1
	s_wait_alu 0xfffe
	s_and_not1_b32 vcc_lo, exec_lo, s6
	s_wait_alu 0xfffe
	s_cbranch_vccnz .LBB165_2
; %bb.9:                                ;   in Loop: Header=BB165_3 Depth=1
	s_mul_u64 s[6:7], s[20:21], s[24:25]
	s_mul_u64 s[8:9], s[16:17], s[24:25]
	s_wait_alu 0xfffe
	s_lshl_b64 s[6:7], s[6:7], 4
	s_mul_u64 s[52:53], s[36:37], s[24:25]
	s_wait_alu 0xfffe
	s_add_nc_u64 s[48:49], s[18:19], s[6:7]
	s_lshl_b64 s[6:7], s[8:9], 4
	v_cmp_gt_u32_e64 s9, 24, v45
	s_wait_alu 0xfffe
	v_add_co_u32 v47, vcc_lo, v0, s6
	s_wait_alu 0xfffd
	v_add_co_ci_u32_e64 v48, null, s7, v42, vcc_lo
	v_cmp_gt_u32_e64 s8, 28, v45
	v_cmp_gt_u32_e64 s7, 30, v45
	v_cmp_ne_u32_e64 s6, 31, v45
	s_lshl_b64 s[52:53], s[52:53], 4
	s_mul_u64 s[50:51], s[46:47], s[24:25]
	s_and_not1_b32 vcc_lo, exec_lo, s62
	s_wait_alu 0xfffe
	s_add_nc_u64 s[52:53], s[22:23], s[52:53]
	s_cbranch_vccnz .LBB165_57
; %bb.10:                               ;   in Loop: Header=BB165_3 Depth=1
	v_add_co_u32 v30, vcc_lo, s48, v22
	s_wait_alu 0xfffd
	v_add_co_ci_u32_e64 v31, null, s49, v23, vcc_lo
	v_add_co_u32 v32, vcc_lo, s48, v24
	s_wait_alu 0xfffd
	v_add_co_ci_u32_e64 v33, null, s49, v25, vcc_lo
	v_add_co_u32 v34, vcc_lo, s48, v26
	s_wait_dscnt 0x0
	v_cndmask_b32_e64 v2, 0, 8, s9
	v_cndmask_b32_e64 v3, 0, 4, s8
	;; [unrolled: 1-line block ×3, first 2 shown]
	v_add_co_ci_u32_e64 v5, null, 0, v45, s6
	s_wait_alu 0xfffd
	v_add_co_ci_u32_e64 v35, null, s49, v27, vcc_lo
	v_add_co_u32 v36, vcc_lo, s48, v28
	s_wait_alu 0xfffd
	v_add_co_ci_u32_e64 v37, null, s49, v29, vcc_lo
	v_add_co_u32 v53, vcc_lo, v43, s50
	v_add_lshl_u32 v49, v2, v45, 2
	v_add_lshl_u32 v50, v3, v45, 2
	;; [unrolled: 1-line block ×3, first 2 shown]
	v_lshlrev_b32_e32 v52, 2, v5
	s_wait_alu 0xfffd
	v_add_co_ci_u32_e64 v54, null, s51, v44, vcc_lo
	s_mov_b32 s6, 0
	s_mov_b32 s70, s69
	;; [unrolled: 1-line block ×5, first 2 shown]
	s_branch .LBB165_12
.LBB165_11:                             ;   in Loop: Header=BB165_12 Depth=2
	s_wait_alu 0xfffe
	s_or_b32 exec_lo, exec_lo, s7
	s_add_co_i32 s25, s25, 4
	s_add_co_i32 s72, s72, s27
	;; [unrolled: 1-line block ×5, first 2 shown]
	s_cmp_ge_i32 s25, s60
	s_cbranch_scc1 .LBB165_58
.LBB165_12:                             ;   Parent Loop BB165_3 Depth=1
                                        ; =>  This Loop Header: Depth=2
                                        ;       Child Loop BB165_43 Depth 3
                                        ;       Child Loop BB165_45 Depth 3
                                        ; implicit-def: $vgpr17_vgpr18
                                        ; implicit-def: $vgpr19_vgpr20
                                        ; implicit-def: $vgpr13_vgpr14
                                        ; implicit-def: $vgpr15_vgpr16
                                        ; implicit-def: $vgpr9_vgpr10
                                        ; implicit-def: $vgpr11_vgpr12
                                        ; implicit-def: $vgpr7_vgpr8
                                        ; implicit-def: $vgpr5_vgpr6
	s_and_saveexec_b32 s7, s4
	s_wait_alu 0xfffe
	s_xor_b32 s7, exec_lo, s7
	s_cbranch_execnz .LBB165_39
; %bb.13:                               ;   in Loop: Header=BB165_12 Depth=2
	s_wait_alu 0xfffe
	s_and_not1_saveexec_b32 s34, s7
	s_cbranch_execnz .LBB165_40
.LBB165_14:                             ;   in Loop: Header=BB165_12 Depth=2
	s_or_b32 exec_lo, exec_lo, s34
	s_and_saveexec_b32 s7, s1
.LBB165_15:                             ;   in Loop: Header=BB165_12 Depth=2
	v_dual_mov_b32 v2, v1 :: v_dual_mov_b32 v3, v1
	v_mov_b32_e32 v4, v1
	ds_store_b128 v40, v[1:4]
.LBB165_16:                             ;   in Loop: Header=BB165_12 Depth=2
	s_wait_alu 0xfffe
	s_or_b32 exec_lo, exec_lo, s7
	ds_bpermute_b32 v2, v46, v7
	ds_bpermute_b32 v3, v46, v8
	;; [unrolled: 1-line block ×4, first 2 shown]
	s_wait_storecnt_dscnt 0x0
	s_barrier_signal -1
	s_barrier_wait -1
	global_inv scope:SCOPE_SE
	v_add_f64_e32 v[2:3], v[7:8], v[2:3]
	v_add_f64_e32 v[4:5], v[5:6], v[38:39]
	ds_bpermute_b32 v6, v49, v2
	ds_bpermute_b32 v7, v49, v3
	ds_bpermute_b32 v38, v49, v4
	ds_bpermute_b32 v39, v49, v5
	s_wait_dscnt 0x2
	v_add_f64_e32 v[2:3], v[2:3], v[6:7]
	s_wait_dscnt 0x0
	v_add_f64_e32 v[4:5], v[4:5], v[38:39]
	ds_bpermute_b32 v6, v50, v2
	ds_bpermute_b32 v7, v50, v3
	ds_bpermute_b32 v38, v50, v4
	ds_bpermute_b32 v39, v50, v5
	s_wait_dscnt 0x2
	v_add_f64_e32 v[2:3], v[2:3], v[6:7]
	s_wait_dscnt 0x0
	;; [unrolled: 8-line block ×3, first 2 shown]
	v_add_f64_e32 v[6:7], v[4:5], v[38:39]
	ds_bpermute_b32 v4, v52, v2
	ds_bpermute_b32 v5, v52, v3
	;; [unrolled: 1-line block ×4, first 2 shown]
	s_and_saveexec_b32 s7, s3
	s_cbranch_execz .LBB165_18
; %bb.17:                               ;   in Loop: Header=BB165_12 Depth=2
	s_wait_dscnt 0x0
	v_add_f64_e32 v[6:7], v[6:7], v[38:39]
	v_add_f64_e32 v[4:5], v[2:3], v[4:5]
	ds_store_b128 v41, v[4:7]
.LBB165_18:                             ;   in Loop: Header=BB165_12 Depth=2
	s_wait_alu 0xfffe
	s_or_b32 exec_lo, exec_lo, s7
	v_mov_b32_e32 v7, 0
	s_wait_dscnt 0x2
	v_dual_mov_b32 v8, 0 :: v_dual_mov_b32 v5, 0
	v_mov_b32_e32 v6, 0
	s_wait_loadcnt_dscnt 0x0
	s_barrier_signal -1
	s_barrier_wait -1
	global_inv scope:SCOPE_SE
	s_and_saveexec_b32 s7, s2
	s_cbranch_execnz .LBB165_46
; %bb.19:                               ;   in Loop: Header=BB165_12 Depth=2
	s_wait_alu 0xfffe
	s_or_b32 exec_lo, exec_lo, s7
	s_and_saveexec_b32 s7, s1
	s_cbranch_execnz .LBB165_47
.LBB165_20:                             ;   in Loop: Header=BB165_12 Depth=2
	s_wait_alu 0xfffe
	s_or_b32 exec_lo, exec_lo, s7
	s_and_saveexec_b32 s7, s1
.LBB165_21:                             ;   in Loop: Header=BB165_12 Depth=2
	v_dual_mov_b32 v2, v1 :: v_dual_mov_b32 v3, v1
	v_mov_b32_e32 v4, v1
	ds_store_b128 v40, v[1:4]
.LBB165_22:                             ;   in Loop: Header=BB165_12 Depth=2
	s_wait_alu 0xfffe
	s_or_b32 exec_lo, exec_lo, s7
	ds_bpermute_b32 v2, v46, v9
	ds_bpermute_b32 v3, v46, v10
	;; [unrolled: 1-line block ×4, first 2 shown]
	s_wait_loadcnt_dscnt 0x0
	s_barrier_signal -1
	s_barrier_wait -1
	global_inv scope:SCOPE_SE
	v_add_f64_e32 v[2:3], v[9:10], v[2:3]
	v_add_f64_e32 v[9:10], v[11:12], v[38:39]
	ds_bpermute_b32 v11, v49, v2
	ds_bpermute_b32 v12, v49, v3
	ds_bpermute_b32 v38, v49, v9
	ds_bpermute_b32 v39, v49, v10
	s_wait_dscnt 0x2
	v_add_f64_e32 v[2:3], v[2:3], v[11:12]
	s_wait_dscnt 0x0
	v_add_f64_e32 v[9:10], v[9:10], v[38:39]
	ds_bpermute_b32 v11, v50, v2
	ds_bpermute_b32 v12, v50, v3
	ds_bpermute_b32 v38, v50, v9
	ds_bpermute_b32 v39, v50, v10
	s_wait_dscnt 0x2
	v_add_f64_e32 v[2:3], v[2:3], v[11:12]
	s_wait_dscnt 0x0
	;; [unrolled: 8-line block ×3, first 2 shown]
	v_add_f64_e32 v[11:12], v[9:10], v[38:39]
	ds_bpermute_b32 v9, v52, v2
	ds_bpermute_b32 v10, v52, v3
	;; [unrolled: 1-line block ×4, first 2 shown]
	s_and_saveexec_b32 s7, s3
	s_cbranch_execz .LBB165_24
; %bb.23:                               ;   in Loop: Header=BB165_12 Depth=2
	s_wait_dscnt 0x0
	v_add_f64_e32 v[11:12], v[11:12], v[38:39]
	v_add_f64_e32 v[9:10], v[2:3], v[9:10]
	ds_store_b128 v41, v[9:12]
.LBB165_24:                             ;   in Loop: Header=BB165_12 Depth=2
	s_wait_alu 0xfffe
	s_or_b32 exec_lo, exec_lo, s7
	v_mov_b32_e32 v11, 0
	s_wait_dscnt 0x2
	v_dual_mov_b32 v12, 0 :: v_dual_mov_b32 v9, 0
	v_mov_b32_e32 v10, 0
	s_wait_loadcnt_dscnt 0x0
	s_barrier_signal -1
	s_barrier_wait -1
	global_inv scope:SCOPE_SE
	s_and_saveexec_b32 s7, s2
	s_cbranch_execnz .LBB165_48
; %bb.25:                               ;   in Loop: Header=BB165_12 Depth=2
	s_wait_alu 0xfffe
	s_or_b32 exec_lo, exec_lo, s7
	s_and_saveexec_b32 s7, s1
	s_cbranch_execnz .LBB165_49
.LBB165_26:                             ;   in Loop: Header=BB165_12 Depth=2
	s_wait_alu 0xfffe
	s_or_b32 exec_lo, exec_lo, s7
	s_and_saveexec_b32 s7, s1
.LBB165_27:                             ;   in Loop: Header=BB165_12 Depth=2
	v_dual_mov_b32 v2, v1 :: v_dual_mov_b32 v3, v1
	v_mov_b32_e32 v4, v1
	ds_store_b128 v40, v[1:4]
.LBB165_28:                             ;   in Loop: Header=BB165_12 Depth=2
	s_wait_alu 0xfffe
	s_or_b32 exec_lo, exec_lo, s7
	ds_bpermute_b32 v2, v46, v13
	ds_bpermute_b32 v3, v46, v14
	;; [unrolled: 1-line block ×4, first 2 shown]
	s_wait_loadcnt_dscnt 0x0
	s_barrier_signal -1
	s_barrier_wait -1
	global_inv scope:SCOPE_SE
	v_add_f64_e32 v[2:3], v[13:14], v[2:3]
	v_add_f64_e32 v[13:14], v[15:16], v[38:39]
	ds_bpermute_b32 v15, v49, v2
	ds_bpermute_b32 v16, v49, v3
	ds_bpermute_b32 v38, v49, v13
	ds_bpermute_b32 v39, v49, v14
	s_wait_dscnt 0x2
	v_add_f64_e32 v[2:3], v[2:3], v[15:16]
	s_wait_dscnt 0x0
	v_add_f64_e32 v[13:14], v[13:14], v[38:39]
	ds_bpermute_b32 v15, v50, v2
	ds_bpermute_b32 v16, v50, v3
	ds_bpermute_b32 v38, v50, v13
	ds_bpermute_b32 v39, v50, v14
	s_wait_dscnt 0x2
	v_add_f64_e32 v[2:3], v[2:3], v[15:16]
	s_wait_dscnt 0x0
	;; [unrolled: 8-line block ×3, first 2 shown]
	v_add_f64_e32 v[15:16], v[13:14], v[38:39]
	ds_bpermute_b32 v13, v52, v2
	ds_bpermute_b32 v14, v52, v3
	;; [unrolled: 1-line block ×4, first 2 shown]
	s_and_saveexec_b32 s7, s3
	s_cbranch_execz .LBB165_30
; %bb.29:                               ;   in Loop: Header=BB165_12 Depth=2
	s_wait_dscnt 0x0
	v_add_f64_e32 v[15:16], v[15:16], v[38:39]
	v_add_f64_e32 v[13:14], v[2:3], v[13:14]
	ds_store_b128 v41, v[13:16]
.LBB165_30:                             ;   in Loop: Header=BB165_12 Depth=2
	s_wait_alu 0xfffe
	s_or_b32 exec_lo, exec_lo, s7
	v_mov_b32_e32 v15, 0
	s_wait_dscnt 0x2
	v_dual_mov_b32 v16, 0 :: v_dual_mov_b32 v13, 0
	v_mov_b32_e32 v14, 0
	s_wait_loadcnt_dscnt 0x0
	s_barrier_signal -1
	s_barrier_wait -1
	global_inv scope:SCOPE_SE
	s_and_saveexec_b32 s7, s2
	s_cbranch_execnz .LBB165_50
; %bb.31:                               ;   in Loop: Header=BB165_12 Depth=2
	s_wait_alu 0xfffe
	s_or_b32 exec_lo, exec_lo, s7
	s_and_saveexec_b32 s7, s1
	s_cbranch_execnz .LBB165_51
.LBB165_32:                             ;   in Loop: Header=BB165_12 Depth=2
	s_wait_alu 0xfffe
	s_or_b32 exec_lo, exec_lo, s7
	s_and_saveexec_b32 s7, s1
.LBB165_33:                             ;   in Loop: Header=BB165_12 Depth=2
	v_dual_mov_b32 v2, v1 :: v_dual_mov_b32 v3, v1
	v_mov_b32_e32 v4, v1
	ds_store_b128 v40, v[1:4]
.LBB165_34:                             ;   in Loop: Header=BB165_12 Depth=2
	s_wait_alu 0xfffe
	s_or_b32 exec_lo, exec_lo, s7
	ds_bpermute_b32 v2, v46, v17
	ds_bpermute_b32 v3, v46, v18
	;; [unrolled: 1-line block ×4, first 2 shown]
	s_wait_loadcnt_dscnt 0x0
	s_barrier_signal -1
	s_barrier_wait -1
	global_inv scope:SCOPE_SE
	v_add_f64_e32 v[2:3], v[17:18], v[2:3]
	v_add_f64_e32 v[17:18], v[19:20], v[38:39]
	ds_bpermute_b32 v19, v49, v2
	ds_bpermute_b32 v20, v49, v3
	ds_bpermute_b32 v38, v49, v17
	ds_bpermute_b32 v39, v49, v18
	s_wait_dscnt 0x2
	v_add_f64_e32 v[2:3], v[2:3], v[19:20]
	s_wait_dscnt 0x0
	v_add_f64_e32 v[17:18], v[17:18], v[38:39]
	ds_bpermute_b32 v19, v50, v2
	ds_bpermute_b32 v20, v50, v3
	ds_bpermute_b32 v38, v50, v17
	ds_bpermute_b32 v39, v50, v18
	s_wait_dscnt 0x2
	v_add_f64_e32 v[2:3], v[2:3], v[19:20]
	s_wait_dscnt 0x0
	;; [unrolled: 8-line block ×3, first 2 shown]
	v_add_f64_e32 v[19:20], v[17:18], v[38:39]
	ds_bpermute_b32 v17, v52, v2
	ds_bpermute_b32 v18, v52, v3
	;; [unrolled: 1-line block ×4, first 2 shown]
	s_and_saveexec_b32 s7, s3
	s_cbranch_execz .LBB165_36
; %bb.35:                               ;   in Loop: Header=BB165_12 Depth=2
	s_wait_dscnt 0x0
	v_add_f64_e32 v[19:20], v[19:20], v[38:39]
	v_add_f64_e32 v[17:18], v[2:3], v[17:18]
	ds_store_b128 v41, v[17:20]
.LBB165_36:                             ;   in Loop: Header=BB165_12 Depth=2
	s_wait_alu 0xfffe
	s_or_b32 exec_lo, exec_lo, s7
	v_mov_b32_e32 v19, 0
	s_wait_dscnt 0x2
	v_dual_mov_b32 v20, 0 :: v_dual_mov_b32 v17, 0
	v_mov_b32_e32 v18, 0
	s_wait_loadcnt_dscnt 0x0
	s_barrier_signal -1
	s_barrier_wait -1
	global_inv scope:SCOPE_SE
	s_and_saveexec_b32 s7, s2
	s_cbranch_execnz .LBB165_52
; %bb.37:                               ;   in Loop: Header=BB165_12 Depth=2
	s_wait_alu 0xfffe
	s_or_b32 exec_lo, exec_lo, s7
	s_and_saveexec_b32 s7, s1
	s_cbranch_execnz .LBB165_53
.LBB165_38:                             ;   in Loop: Header=BB165_12 Depth=2
	s_wait_alu 0xfffe
	s_or_b32 exec_lo, exec_lo, s7
	s_and_saveexec_b32 s7, s0
	s_cbranch_execz .LBB165_11
	s_branch .LBB165_54
.LBB165_39:                             ;   in Loop: Header=BB165_12 Depth=2
	s_clause 0x2
	global_load_b128 v[2:5], v[32:33], off
	global_load_b128 v[6:9], v[34:35], off
	;; [unrolled: 1-line block ×3, first 2 shown]
	s_mul_i32 s8, s25, s33
	global_load_b128 v[55:58], v[30:31], off
	s_wait_alu 0xfffe
	s_ashr_i32 s9, s8, 31
	s_add_co_i32 s54, s8, s33
	s_wait_alu 0xfffe
	s_lshl_b64 s[8:9], s[8:9], 4
	s_ashr_i32 s55, s54, 31
	s_add_co_i32 s56, s54, s33
	s_wait_alu 0xfffe
	s_lshl_b64 s[54:55], s[54:55], 4
	s_wait_dscnt 0x0
	v_add_co_u32 v18, vcc_lo, v47, s8
	s_wait_alu 0xfffd
	v_add_co_ci_u32_e64 v19, null, s9, v48, vcc_lo
	s_wait_alu 0xfffe
	v_add_co_u32 v38, vcc_lo, v47, s54
	s_ashr_i32 s57, s56, 31
	s_add_co_i32 s8, s56, s33
	s_wait_alu 0xfffd
	v_add_co_ci_u32_e64 v39, null, s55, v48, vcc_lo
	s_lshl_b64 s[54:55], s[56:57], 4
	s_wait_alu 0xfffe
	s_ashr_i32 s9, s8, 31
	v_add_co_u32 v111, vcc_lo, v47, s54
	s_wait_alu 0xfffe
	s_lshl_b64 s[8:9], s[8:9], 4
	s_wait_alu 0xfffd
	v_add_co_ci_u32_e64 v112, null, s55, v48, vcc_lo
	s_wait_alu 0xfffe
	v_add_co_u32 v115, vcc_lo, v47, s8
	s_wait_alu 0xfffd
	v_add_co_ci_u32_e64 v116, null, s9, v48, vcc_lo
	s_clause 0x4
	global_load_b128 v[14:17], v[18:19], off
	global_load_b128 v[59:62], v[38:39], off
	global_load_b128 v[63:66], v[111:112], off
	global_load_b128 v[67:70], v[115:116], off
	global_load_b128 v[71:74], v[18:19], off offset:16
	s_wait_loadcnt 0x8
	scratch_store_b128 off, v[2:5], s64
	scratch_load_b128 v[2:5], off, off offset:16
	s_clause 0x3
	global_load_b128 v[75:78], v[38:39], off offset:16
	global_load_b128 v[79:82], v[111:112], off offset:16
	global_load_b128 v[83:86], v[115:116], off offset:16
	global_load_b128 v[87:90], v[18:19], off offset:32
	s_wait_loadcnt 0xc
	scratch_store_b128 off, v[6:9], s65
	scratch_load_b128 v[6:9], off, off offset:32
	s_clause 0x3
	global_load_b128 v[91:94], v[38:39], off offset:32
	global_load_b128 v[95:98], v[111:112], off offset:32
	global_load_b128 v[99:102], v[115:116], off offset:32
	;; [unrolled: 8-line block ×3, first 2 shown]
	s_wait_loadcnt 0x13
	scratch_store_b128 off, v[55:58], off
	s_wait_loadcnt 0x12
	v_mul_f64_e32 v[18:19], v[57:58], v[16:17]
	v_mul_f64_e32 v[16:17], v[55:56], v[16:17]
	s_wait_loadcnt 0x11
	v_mul_f64_e32 v[38:39], v[57:58], v[61:62]
	v_mul_f64_e32 v[61:62], v[55:56], v[61:62]
	;; [unrolled: 3-line block ×4, first 2 shown]
	v_fma_f64 v[18:19], v[55:56], v[14:15], -v[18:19]
	v_fma_f64 v[14:15], v[57:58], v[14:15], v[16:17]
	v_fma_f64 v[16:17], v[55:56], v[59:60], -v[38:39]
	v_fma_f64 v[38:39], v[57:58], v[59:60], v[61:62]
	;; [unrolled: 2-line block ×4, first 2 shown]
	v_add_f64_e32 v[18:19], 0, v[18:19]
	v_add_f64_e32 v[14:15], 0, v[14:15]
	;; [unrolled: 1-line block ×7, first 2 shown]
	s_wait_loadcnt 0xd
	v_mul_f64_e32 v[59:60], v[4:5], v[73:74]
	v_mul_f64_e32 v[61:62], v[2:3], v[73:74]
	s_wait_loadcnt 0xc
	v_mul_f64_e32 v[73:74], v[4:5], v[77:78]
	v_mul_f64_e32 v[77:78], v[2:3], v[77:78]
	;; [unrolled: 3-line block ×6, first 2 shown]
	s_wait_loadcnt 0x6
	v_mul_f64_e32 v[127:128], v[8:9], v[97:98]
	v_fma_f64 v[59:60], v[2:3], v[71:72], -v[59:60]
	v_fma_f64 v[61:62], v[4:5], v[71:72], v[61:62]
	v_mul_f64_e32 v[71:72], v[6:7], v[97:98]
	s_wait_loadcnt 0x5
	v_mul_f64_e32 v[97:98], v[8:9], v[101:102]
	v_fma_f64 v[73:74], v[2:3], v[75:76], -v[73:74]
	v_fma_f64 v[75:76], v[4:5], v[75:76], v[77:78]
	v_mul_f64_e32 v[77:78], v[6:7], v[101:102]
	v_add_f64_e32 v[101:102], 0, v[119:120]
	v_fma_f64 v[69:70], v[2:3], v[79:80], -v[69:70]
	v_fma_f64 v[79:80], v[4:5], v[79:80], v[81:82]
	v_fma_f64 v[2:3], v[2:3], v[83:84], -v[121:122]
	v_fma_f64 v[4:5], v[4:5], v[83:84], v[85:86]
	s_wait_loadcnt 0x3
	v_mul_f64_e32 v[81:82], v[12:13], v[105:106]
	v_mul_f64_e32 v[83:84], v[10:11], v[105:106]
	s_wait_loadcnt 0x2
	v_mul_f64_e32 v[85:86], v[12:13], v[109:110]
	v_mul_f64_e32 v[105:106], v[10:11], v[109:110]
	;; [unrolled: 3-line block ×3, first 2 shown]
	s_wait_loadcnt 0x0
	v_mul_f64_e32 v[119:120], v[12:13], v[117:118]
	v_fma_f64 v[121:122], v[6:7], v[87:88], -v[123:124]
	v_fma_f64 v[87:88], v[8:9], v[87:88], v[89:90]
	v_mul_f64_e32 v[89:90], v[10:11], v[117:118]
	v_fma_f64 v[117:118], v[6:7], v[91:92], -v[125:126]
	v_fma_f64 v[91:92], v[8:9], v[91:92], v[93:94]
	v_fma_f64 v[93:94], v[6:7], v[95:96], -v[127:128]
	v_add_f64_e32 v[18:19], v[18:19], v[59:60]
	v_add_f64_e32 v[14:15], v[14:15], v[61:62]
	v_fma_f64 v[71:72], v[8:9], v[95:96], v[71:72]
	v_fma_f64 v[6:7], v[6:7], v[99:100], -v[97:98]
	v_add_f64_e32 v[16:17], v[16:17], v[73:74]
	v_add_f64_e32 v[38:39], v[38:39], v[75:76]
	v_fma_f64 v[8:9], v[8:9], v[99:100], v[77:78]
	v_add_f64_e32 v[59:60], v[101:102], v[69:70]
	v_add_f64_e32 v[61:62], v[63:64], v[79:80]
	;; [unrolled: 1-line block ×4, first 2 shown]
	v_fma_f64 v[63:64], v[10:11], v[103:104], -v[81:82]
	v_fma_f64 v[65:66], v[12:13], v[103:104], v[83:84]
	v_fma_f64 v[67:68], v[10:11], v[107:108], -v[85:86]
	v_fma_f64 v[69:70], v[12:13], v[107:108], v[105:106]
	;; [unrolled: 2-line block ×4, first 2 shown]
	v_add_f64_e32 v[10:11], v[18:19], v[121:122]
	v_add_f64_e32 v[12:13], v[14:15], v[87:88]
	;; [unrolled: 1-line block ×16, first 2 shown]
	s_and_not1_saveexec_b32 s34, s7
	s_cbranch_execz .LBB165_14
.LBB165_40:                             ;   in Loop: Header=BB165_12 Depth=2
	s_wait_dscnt 0x0
	v_mov_b32_e32 v17, 0
	v_mov_b32_e32 v13, 0
	;; [unrolled: 1-line block ×3, first 2 shown]
	v_dual_mov_b32 v7, 0 :: v_dual_mov_b32 v18, 0
	v_dual_mov_b32 v19, 0 :: v_dual_mov_b32 v14, 0
	;; [unrolled: 1-line block ×5, first 2 shown]
	v_mov_b32_e32 v16, 0
	v_mov_b32_e32 v12, 0
	;; [unrolled: 1-line block ×3, first 2 shown]
	s_and_saveexec_b32 s73, s5
	s_cbranch_execz .LBB165_56
; %bb.41:                               ;   in Loop: Header=BB165_12 Depth=2
	s_and_not1_b32 vcc_lo, exec_lo, s63
	s_wait_alu 0xfffe
	s_cbranch_vccnz .LBB165_55
; %bb.42:                               ;   in Loop: Header=BB165_12 Depth=2
	v_mov_b32_e32 v2, v21
	s_mov_b32 s7, 0
	s_mov_b32 s8, s61
.LBB165_43:                             ;   Parent Loop BB165_3 Depth=1
                                        ;     Parent Loop BB165_12 Depth=2
                                        ; =>    This Inner Loop Header: Depth=3
	s_delay_alu instid0(VALU_DEP_1) | instskip(SKIP_2) | instid1(VALU_DEP_1)
	v_ashrrev_i32_e32 v3, 31, v2
	s_wait_alu 0xfffe
	s_add_co_i32 s8, s8, -1
	v_lshlrev_b64_e32 v[3:4], 4, v[2:3]
	v_add_nc_u32_e32 v2, s10, v2
	s_delay_alu instid0(VALU_DEP_2) | instskip(SKIP_1) | instid1(VALU_DEP_3)
	v_add_co_u32 v3, vcc_lo, s48, v3
	s_wait_alu 0xfffd
	v_add_co_ci_u32_e64 v4, null, s49, v4, vcc_lo
	global_load_b128 v[3:6], v[3:4], off
	s_wait_loadcnt 0x0
	scratch_store_b128 off, v[3:6], s7
	s_add_co_i32 s7, s7, 16
	s_wait_alu 0xfffe
	s_cmp_eq_u32 s8, 0
	s_cbranch_scc0 .LBB165_43
; %bb.44:                               ;   in Loop: Header=BB165_12 Depth=2
	s_ashr_i32 s7, s6, 31
	v_mov_b32_e32 v5, 0
	s_wait_alu 0xfffe
	s_lshl_b64 s[8:9], s[6:7], 4
	v_mov_b32_e32 v11, 0
	s_wait_alu 0xfffe
	v_add_co_u32 v2, vcc_lo, v53, s8
	v_mov_b32_e32 v15, 0
	v_dual_mov_b32 v19, 0 :: v_dual_mov_b32 v6, 0
	v_dual_mov_b32 v7, 0 :: v_dual_mov_b32 v12, 0
	;; [unrolled: 1-line block ×4, first 2 shown]
	v_mov_b32_e32 v17, 0
	s_wait_alu 0xfffd
	v_add_co_ci_u32_e64 v3, null, s9, v54, vcc_lo
	v_mov_b32_e32 v8, 0
	v_mov_b32_e32 v10, 0
	;; [unrolled: 1-line block ×4, first 2 shown]
	s_mov_b32 s7, s67
	s_mov_b32 s8, s70
	;; [unrolled: 1-line block ×5, first 2 shown]
.LBB165_45:                             ;   Parent Loop BB165_3 Depth=1
                                        ;     Parent Loop BB165_12 Depth=2
                                        ; =>    This Inner Loop Header: Depth=3
	s_ashr_i32 s57, s56, 31
	s_wait_alu 0xfffe
	s_ashr_i32 s55, s54, 31
	s_lshl_b64 s[76:77], s[56:57], 4
	s_ashr_i32 s9, s8, 31
	s_wait_alu 0xfffe
	s_lshl_b64 s[78:79], s[54:55], 4
	v_add_co_u32 v38, vcc_lo, v47, s76
	s_lshl_b64 s[80:81], s[8:9], 4
	s_wait_alu 0xfffd
	v_add_co_ci_u32_e64 v39, null, s77, v48, vcc_lo
	s_wait_alu 0xfffe
	v_add_co_u32 v67, vcc_lo, v47, s78
	s_wait_alu 0xfffd
	v_add_co_ci_u32_e64 v68, null, s79, v48, vcc_lo
	v_add_co_u32 v71, vcc_lo, v47, s80
	s_wait_alu 0xfffd
	v_add_co_ci_u32_e64 v72, null, s81, v48, vcc_lo
	scratch_load_b128 v[55:58], off, s7 offset:-8
	global_load_b128 v[59:62], v[2:3], off offset:-8
	s_clause 0x2
	global_load_b128 v[63:66], v[38:39], off
	global_load_b128 v[67:70], v[67:68], off
	;; [unrolled: 1-line block ×3, first 2 shown]
	v_add_co_u32 v2, vcc_lo, v2, 16
	s_wait_alu 0xfffd
	v_add_co_ci_u32_e64 v3, null, 0, v3, vcc_lo
	s_add_co_i32 s74, s74, -1
	s_add_co_i32 s7, s7, 16
	s_add_co_i32 s56, s56, 1
	;; [unrolled: 1-line block ×4, first 2 shown]
	s_cmp_lg_u32 s74, 0
	s_wait_loadcnt 0x2
	v_mul_f64_e32 v[75:76], v[57:58], v[65:66]
	v_mul_f64_e32 v[38:39], v[57:58], v[61:62]
	;; [unrolled: 1-line block ×4, first 2 shown]
	s_wait_loadcnt 0x1
	v_mul_f64_e32 v[77:78], v[57:58], v[69:70]
	v_mul_f64_e32 v[69:70], v[55:56], v[69:70]
	s_wait_loadcnt 0x0
	v_mul_f64_e32 v[79:80], v[57:58], v[73:74]
	v_mul_f64_e32 v[73:74], v[55:56], v[73:74]
	v_fma_f64 v[38:39], v[55:56], v[59:60], -v[38:39]
	v_fma_f64 v[59:60], v[57:58], v[59:60], v[61:62]
	v_fma_f64 v[61:62], v[55:56], v[63:64], -v[75:76]
	v_fma_f64 v[63:64], v[57:58], v[63:64], v[65:66]
	;; [unrolled: 2-line block ×4, first 2 shown]
	v_add_f64_e32 v[7:8], v[7:8], v[38:39]
	v_add_f64_e32 v[5:6], v[5:6], v[59:60]
	;; [unrolled: 1-line block ×8, first 2 shown]
	s_cbranch_scc1 .LBB165_45
	s_branch .LBB165_56
.LBB165_46:                             ;   in Loop: Header=BB165_12 Depth=2
	ds_load_b128 v[5:8], v40
	s_wait_alu 0xfffe
	s_or_b32 exec_lo, exec_lo, s7
	s_and_saveexec_b32 s7, s1
	s_cbranch_execz .LBB165_20
.LBB165_47:                             ;   in Loop: Header=BB165_12 Depth=2
	s_wait_dscnt 0x0
	ds_bpermute_b32 v2, v50, v5
	ds_bpermute_b32 v3, v50, v6
	ds_bpermute_b32 v38, v50, v7
	ds_bpermute_b32 v39, v50, v8
	s_wait_dscnt 0x2
	v_add_f64_e32 v[2:3], v[5:6], v[2:3]
	s_wait_dscnt 0x0
	v_add_f64_e32 v[4:5], v[7:8], v[38:39]
	ds_bpermute_b32 v6, v51, v2
	ds_bpermute_b32 v7, v51, v3
	ds_bpermute_b32 v38, v51, v4
	ds_bpermute_b32 v39, v51, v5
	s_wait_dscnt 0x2
	v_add_f64_e32 v[2:3], v[2:3], v[6:7]
	s_wait_dscnt 0x0
	v_add_f64_e32 v[7:8], v[4:5], v[38:39]
	;; [unrolled: 8-line block ×3, first 2 shown]
	s_wait_alu 0xfffe
	s_or_b32 exec_lo, exec_lo, s7
	s_and_saveexec_b32 s7, s1
	s_cbranch_execnz .LBB165_21
	s_branch .LBB165_22
.LBB165_48:                             ;   in Loop: Header=BB165_12 Depth=2
	ds_load_b128 v[9:12], v40
	s_wait_alu 0xfffe
	s_or_b32 exec_lo, exec_lo, s7
	s_and_saveexec_b32 s7, s1
	s_cbranch_execz .LBB165_26
.LBB165_49:                             ;   in Loop: Header=BB165_12 Depth=2
	s_wait_dscnt 0x0
	ds_bpermute_b32 v2, v50, v9
	ds_bpermute_b32 v3, v50, v10
	ds_bpermute_b32 v38, v50, v11
	ds_bpermute_b32 v39, v50, v12
	s_wait_dscnt 0x2
	v_add_f64_e32 v[2:3], v[9:10], v[2:3]
	s_wait_dscnt 0x0
	v_add_f64_e32 v[9:10], v[11:12], v[38:39]
	ds_bpermute_b32 v11, v51, v2
	ds_bpermute_b32 v12, v51, v3
	ds_bpermute_b32 v38, v51, v9
	ds_bpermute_b32 v39, v51, v10
	s_wait_dscnt 0x2
	v_add_f64_e32 v[2:3], v[2:3], v[11:12]
	s_wait_dscnt 0x0
	v_add_f64_e32 v[11:12], v[9:10], v[38:39]
	;; [unrolled: 8-line block ×3, first 2 shown]
	s_wait_alu 0xfffe
	s_or_b32 exec_lo, exec_lo, s7
	s_and_saveexec_b32 s7, s1
	s_cbranch_execnz .LBB165_27
	s_branch .LBB165_28
.LBB165_50:                             ;   in Loop: Header=BB165_12 Depth=2
	ds_load_b128 v[13:16], v40
	s_wait_alu 0xfffe
	s_or_b32 exec_lo, exec_lo, s7
	s_and_saveexec_b32 s7, s1
	s_cbranch_execz .LBB165_32
.LBB165_51:                             ;   in Loop: Header=BB165_12 Depth=2
	s_wait_dscnt 0x0
	ds_bpermute_b32 v2, v50, v13
	ds_bpermute_b32 v3, v50, v14
	ds_bpermute_b32 v38, v50, v15
	ds_bpermute_b32 v39, v50, v16
	s_wait_dscnt 0x2
	v_add_f64_e32 v[2:3], v[13:14], v[2:3]
	s_wait_dscnt 0x0
	v_add_f64_e32 v[13:14], v[15:16], v[38:39]
	ds_bpermute_b32 v15, v51, v2
	ds_bpermute_b32 v16, v51, v3
	ds_bpermute_b32 v38, v51, v13
	ds_bpermute_b32 v39, v51, v14
	s_wait_dscnt 0x2
	v_add_f64_e32 v[2:3], v[2:3], v[15:16]
	s_wait_dscnt 0x0
	v_add_f64_e32 v[15:16], v[13:14], v[38:39]
	;; [unrolled: 8-line block ×3, first 2 shown]
	s_wait_alu 0xfffe
	s_or_b32 exec_lo, exec_lo, s7
	s_and_saveexec_b32 s7, s1
	s_cbranch_execnz .LBB165_33
	s_branch .LBB165_34
.LBB165_52:                             ;   in Loop: Header=BB165_12 Depth=2
	ds_load_b128 v[17:20], v40
	s_wait_alu 0xfffe
	s_or_b32 exec_lo, exec_lo, s7
	s_and_saveexec_b32 s7, s1
	s_cbranch_execz .LBB165_38
.LBB165_53:                             ;   in Loop: Header=BB165_12 Depth=2
	s_wait_dscnt 0x0
	ds_bpermute_b32 v2, v50, v17
	ds_bpermute_b32 v3, v50, v18
	ds_bpermute_b32 v38, v50, v19
	ds_bpermute_b32 v39, v50, v20
	s_wait_dscnt 0x2
	v_add_f64_e32 v[2:3], v[17:18], v[2:3]
	s_wait_dscnt 0x0
	v_add_f64_e32 v[17:18], v[19:20], v[38:39]
	ds_bpermute_b32 v19, v51, v2
	ds_bpermute_b32 v20, v51, v3
	ds_bpermute_b32 v38, v51, v17
	ds_bpermute_b32 v39, v51, v18
	s_wait_dscnt 0x2
	v_add_f64_e32 v[2:3], v[2:3], v[19:20]
	s_wait_dscnt 0x0
	v_add_f64_e32 v[19:20], v[17:18], v[38:39]
	;; [unrolled: 8-line block ×3, first 2 shown]
	s_wait_alu 0xfffe
	s_or_b32 exec_lo, exec_lo, s7
	s_and_saveexec_b32 s7, s0
	s_cbranch_execz .LBB165_11
.LBB165_54:                             ;   in Loop: Header=BB165_12 Depth=2
	v_mul_f64_e32 v[2:3], s[14:15], v[7:8]
	v_mul_f64_e32 v[7:8], s[12:13], v[7:8]
	;; [unrolled: 1-line block ×6, first 2 shown]
	s_wait_dscnt 0x0
	v_mul_f64_e32 v[57:58], s[14:15], v[19:20]
	v_mul_f64_e32 v[19:20], s[12:13], v[19:20]
	s_mul_i32 s8, s25, s30
	s_wait_alu 0xfffe
	s_add_co_i32 s34, s8, s26
	s_delay_alu instid0(SALU_CYCLE_1)
	s_lshl_b64 s[8:9], s[34:35], 4
	s_add_co_i32 s34, s34, s30
	s_wait_alu 0xfffe
	s_add_nc_u64 s[8:9], s[52:53], s[8:9]
	s_lshl_b64 s[54:55], s[34:35], 4
	s_add_co_i32 s34, s34, s30
	s_wait_alu 0xfffe
	s_add_nc_u64 s[54:55], s[52:53], s[54:55]
	s_lshl_b64 s[56:57], s[34:35], 4
	s_add_co_i32 s34, s34, s30
	s_add_nc_u64 s[56:57], s[52:53], s[56:57]
	s_lshl_b64 s[74:75], s[34:35], 4
	s_delay_alu instid0(SALU_CYCLE_1)
	s_add_nc_u64 s[74:75], s[52:53], s[74:75]
	v_fma_f64 v[2:3], s[12:13], v[5:6], -v[2:3]
	v_fma_f64 v[4:5], s[14:15], v[5:6], v[7:8]
	v_fma_f64 v[6:7], s[12:13], v[9:10], -v[38:39]
	v_fma_f64 v[8:9], s[14:15], v[9:10], v[11:12]
	;; [unrolled: 2-line block ×4, first 2 shown]
	s_clause 0x3
	global_store_b128 v1, v[2:5], s[8:9]
	global_store_b128 v1, v[6:9], s[54:55]
	global_store_b128 v1, v[10:13], s[56:57]
	global_store_b128 v1, v[14:17], s[74:75]
	s_branch .LBB165_11
.LBB165_55:                             ;   in Loop: Header=BB165_12 Depth=2
	v_mov_b32_e32 v17, 0
	v_mov_b32_e32 v13, 0
	;; [unrolled: 1-line block ×3, first 2 shown]
	v_dual_mov_b32 v7, 0 :: v_dual_mov_b32 v18, 0
	v_dual_mov_b32 v19, 0 :: v_dual_mov_b32 v14, 0
	;; [unrolled: 1-line block ×5, first 2 shown]
	v_mov_b32_e32 v16, 0
	v_mov_b32_e32 v12, 0
	;; [unrolled: 1-line block ×3, first 2 shown]
.LBB165_56:                             ;   in Loop: Header=BB165_12 Depth=2
	s_or_b32 exec_lo, exec_lo, s73
	s_delay_alu instid0(SALU_CYCLE_1)
	s_or_b32 exec_lo, exec_lo, s34
	s_and_saveexec_b32 s7, s1
	s_cbranch_execnz .LBB165_15
	s_branch .LBB165_16
.LBB165_57:                             ;   in Loop: Header=BB165_3 Depth=1
	s_mov_b32 s25, 0
.LBB165_58:                             ;   in Loop: Header=BB165_3 Depth=1
	s_delay_alu instid0(SALU_CYCLE_1)
	s_cmp_ge_i32 s25, s29
	s_cbranch_scc1 .LBB165_2
; %bb.59:                               ;   in Loop: Header=BB165_3 Depth=1
	v_cmp_gt_u32_e32 vcc_lo, 24, v45
	s_wait_alu 0xfffe
	s_add_nc_u64 s[6:7], s[52:53], s[38:39]
	s_mul_i32 s8, s33, s25
	s_mov_b32 s34, s25
	s_wait_dscnt 0x0
	s_wait_alu 0xfffd
	v_cndmask_b32_e64 v2, 0, 8, vcc_lo
	v_cmp_gt_u32_e32 vcc_lo, 28, v45
	s_wait_dscnt 0x0
	s_delay_alu instid0(VALU_DEP_2) | instskip(SKIP_3) | instid1(VALU_DEP_2)
	v_add_lshl_u32 v18, v2, v45, 2
	s_wait_alu 0xfffd
	v_cndmask_b32_e64 v3, 0, 4, vcc_lo
	v_cmp_gt_u32_e32 vcc_lo, 30, v45
	v_add_lshl_u32 v19, v3, v45, 2
	s_wait_alu 0xfffd
	v_cndmask_b32_e64 v4, 0, 2, vcc_lo
	v_cmp_ne_u32_e32 vcc_lo, 31, v45
	s_delay_alu instid0(VALU_DEP_2)
	v_add_lshl_u32 v20, v4, v45, 2
	s_wait_alu 0xfffd
	v_add_co_ci_u32_e64 v5, null, 0, v45, vcc_lo
	v_add_co_u32 v6, vcc_lo, s48, v22
	s_wait_alu 0xfffd
	v_add_co_ci_u32_e64 v7, null, s49, v23, vcc_lo
	v_add_co_u32 v8, vcc_lo, s48, v24
	;; [unrolled: 3-line block ×5, first 2 shown]
	v_lshlrev_b32_e32 v30, 2, v5
	s_wait_alu 0xfffd
	v_add_co_ci_u32_e64 v32, null, s51, v44, vcc_lo
	s_branch .LBB165_61
.LBB165_60:                             ;   in Loop: Header=BB165_61 Depth=2
	s_wait_alu 0xfffe
	s_or_b32 exec_lo, exec_lo, s9
	s_add_co_i32 s34, s34, 1
	s_add_co_i32 s8, s8, s33
	s_cmp_lt_i32 s34, s29
	s_cbranch_scc0 .LBB165_2
.LBB165_61:                             ;   Parent Loop BB165_3 Depth=1
                                        ; =>  This Loop Header: Depth=2
                                        ;       Child Loop BB165_73 Depth 3
                                        ;       Child Loop BB165_75 Depth 3
                                        ; implicit-def: $vgpr14_vgpr15
                                        ; implicit-def: $vgpr16_vgpr17
	s_and_saveexec_b32 s9, s4
	s_wait_alu 0xfffe
	s_xor_b32 s9, exec_lo, s9
	s_cbranch_execnz .LBB165_70
; %bb.62:                               ;   in Loop: Header=BB165_61 Depth=2
	s_wait_alu 0xfffe
	s_and_not1_saveexec_b32 s25, s9
	s_cbranch_execnz .LBB165_71
.LBB165_63:                             ;   in Loop: Header=BB165_61 Depth=2
	s_or_b32 exec_lo, exec_lo, s25
	s_and_saveexec_b32 s9, s1
	s_cbranch_execz .LBB165_65
.LBB165_64:                             ;   in Loop: Header=BB165_61 Depth=2
	s_wait_dscnt 0x0
	v_dual_mov_b32 v2, v1 :: v_dual_mov_b32 v3, v1
	v_mov_b32_e32 v4, v1
	ds_store_b128 v40, v[1:4]
.LBB165_65:                             ;   in Loop: Header=BB165_61 Depth=2
	s_wait_alu 0xfffe
	s_or_b32 exec_lo, exec_lo, s9
	s_wait_dscnt 0x0
	ds_bpermute_b32 v2, v46, v14
	ds_bpermute_b32 v3, v46, v15
	;; [unrolled: 1-line block ×4, first 2 shown]
	s_wait_storecnt 0x0
	s_wait_loadcnt_dscnt 0x0
	s_barrier_signal -1
	s_barrier_wait -1
	global_inv scope:SCOPE_SE
	v_add_f64_e32 v[2:3], v[14:15], v[2:3]
	v_add_f64_e32 v[4:5], v[16:17], v[4:5]
	ds_bpermute_b32 v14, v18, v2
	ds_bpermute_b32 v15, v18, v3
	ds_bpermute_b32 v16, v18, v4
	ds_bpermute_b32 v17, v18, v5
	s_wait_dscnt 0x2
	v_add_f64_e32 v[2:3], v[2:3], v[14:15]
	s_wait_dscnt 0x0
	v_add_f64_e32 v[4:5], v[4:5], v[16:17]
	ds_bpermute_b32 v14, v19, v2
	ds_bpermute_b32 v15, v19, v3
	ds_bpermute_b32 v16, v19, v4
	ds_bpermute_b32 v17, v19, v5
	s_wait_dscnt 0x2
	v_add_f64_e32 v[2:3], v[2:3], v[14:15]
	s_wait_dscnt 0x0
	v_add_f64_e32 v[4:5], v[4:5], v[16:17]
	ds_bpermute_b32 v14, v20, v2
	ds_bpermute_b32 v15, v20, v3
	ds_bpermute_b32 v16, v20, v4
	ds_bpermute_b32 v17, v20, v5
	s_wait_dscnt 0x2
	v_add_f64_e32 v[2:3], v[2:3], v[14:15]
	s_wait_dscnt 0x0
	v_add_f64_e32 v[14:15], v[4:5], v[16:17]
	ds_bpermute_b32 v4, v30, v2
	ds_bpermute_b32 v5, v30, v3
	;; [unrolled: 1-line block ×4, first 2 shown]
	s_and_saveexec_b32 s9, s3
	s_cbranch_execz .LBB165_67
; %bb.66:                               ;   in Loop: Header=BB165_61 Depth=2
	s_wait_dscnt 0x0
	v_add_f64_e32 v[16:17], v[14:15], v[16:17]
	v_add_f64_e32 v[14:15], v[2:3], v[4:5]
	ds_store_b128 v41, v[14:17]
.LBB165_67:                             ;   in Loop: Header=BB165_61 Depth=2
	s_wait_alu 0xfffe
	s_or_b32 exec_lo, exec_lo, s9
	s_wait_dscnt 0x2
	v_mov_b32_e32 v4, 0
	v_dual_mov_b32 v5, 0 :: v_dual_mov_b32 v2, 0
	v_mov_b32_e32 v3, 0
	s_wait_loadcnt_dscnt 0x0
	s_barrier_signal -1
	s_barrier_wait -1
	global_inv scope:SCOPE_SE
	s_and_saveexec_b32 s9, s2
	s_cbranch_execnz .LBB165_77
; %bb.68:                               ;   in Loop: Header=BB165_61 Depth=2
	s_wait_alu 0xfffe
	s_or_b32 exec_lo, exec_lo, s9
	s_and_saveexec_b32 s9, s1
	s_cbranch_execnz .LBB165_78
.LBB165_69:                             ;   in Loop: Header=BB165_61 Depth=2
	s_wait_alu 0xfffe
	s_or_b32 exec_lo, exec_lo, s9
	s_and_saveexec_b32 s9, s0
	s_cbranch_execz .LBB165_60
	s_branch .LBB165_79
.LBB165_70:                             ;   in Loop: Header=BB165_61 Depth=2
	s_wait_dscnt 0x0
	s_clause 0x2
	global_load_b128 v[2:5], v[8:9], off
	global_load_b128 v[14:17], v[10:11], off
	;; [unrolled: 1-line block ×3, first 2 shown]
	s_mul_i32 s50, s34, s33
	s_wait_alu 0xfffe
	s_ashr_i32 s51, s50, 31
	s_wait_alu 0xfffe
	s_lshl_b64 s[50:51], s[50:51], 4
	s_wait_alu 0xfffe
	v_add_co_u32 v37, vcc_lo, v47, s50
	s_wait_alu 0xfffd
	v_add_co_ci_u32_e64 v38, null, s51, v48, vcc_lo
	global_load_b128 v[49:52], v[6:7], off
	s_clause 0x1
	global_load_b128 v[53:56], v[37:38], off
	global_load_b128 v[57:60], v[37:38], off offset:16
	s_wait_loadcnt 0x5
	scratch_store_b128 off, v[2:5], s64
	s_wait_loadcnt 0x4
	scratch_store_b128 off, v[14:17], s65
	s_clause 0x1
	scratch_load_b128 v[2:5], off, off offset:16
	scratch_load_b128 v[14:17], off, off offset:32
	s_clause 0x1
	global_load_b128 v[61:64], v[37:38], off offset:32
	global_load_b128 v[65:68], v[37:38], off offset:48
	s_wait_loadcnt 0x7
	scratch_store_b128 off, v[33:36], s66
	scratch_load_b128 v[33:36], off, off offset:48
	s_wait_loadcnt 0x7
	scratch_store_b128 off, v[49:52], off
	s_wait_loadcnt 0x6
	v_mul_f64_e32 v[37:38], v[55:56], v[51:52]
	v_mul_f64_e32 v[69:70], v[53:54], v[51:52]
	s_delay_alu instid0(VALU_DEP_2) | instskip(NEXT) | instid1(VALU_DEP_2)
	v_fma_f64 v[37:38], v[53:54], v[49:50], -v[37:38]
	v_fma_f64 v[53:54], v[55:56], v[49:50], v[69:70]
	s_delay_alu instid0(VALU_DEP_2) | instskip(NEXT) | instid1(VALU_DEP_2)
	v_add_f64_e32 v[37:38], 0, v[37:38]
	v_add_f64_e32 v[53:54], 0, v[53:54]
	s_wait_loadcnt 0x4
	v_mul_f64_e32 v[55:56], v[59:60], v[4:5]
	v_mul_f64_e32 v[4:5], v[57:58], v[4:5]
	s_wait_loadcnt 0x2
	v_mul_f64_e32 v[69:70], v[63:64], v[16:17]
	v_mul_f64_e32 v[16:17], v[61:62], v[16:17]
	s_delay_alu instid0(VALU_DEP_4) | instskip(NEXT) | instid1(VALU_DEP_4)
	v_fma_f64 v[55:56], v[57:58], v[2:3], -v[55:56]
	v_fma_f64 v[2:3], v[59:60], v[2:3], v[4:5]
	s_wait_loadcnt 0x0
	v_mul_f64_e32 v[4:5], v[67:68], v[35:36]
	v_mul_f64_e32 v[35:36], v[65:66], v[35:36]
	v_fma_f64 v[57:58], v[61:62], v[14:15], -v[69:70]
	v_fma_f64 v[14:15], v[63:64], v[14:15], v[16:17]
	v_add_f64_e32 v[16:17], v[37:38], v[55:56]
	v_add_f64_e32 v[2:3], v[53:54], v[2:3]
	v_fma_f64 v[4:5], v[65:66], v[33:34], -v[4:5]
	v_fma_f64 v[33:34], v[67:68], v[33:34], v[35:36]
	s_delay_alu instid0(VALU_DEP_4) | instskip(NEXT) | instid1(VALU_DEP_4)
	v_add_f64_e32 v[16:17], v[16:17], v[57:58]
	v_add_f64_e32 v[2:3], v[2:3], v[14:15]
	s_delay_alu instid0(VALU_DEP_2) | instskip(NEXT) | instid1(VALU_DEP_2)
	v_add_f64_e32 v[14:15], v[16:17], v[4:5]
	v_add_f64_e32 v[16:17], v[2:3], v[33:34]
	s_and_not1_saveexec_b32 s25, s9
	s_cbranch_execz .LBB165_63
.LBB165_71:                             ;   in Loop: Header=BB165_61 Depth=2
	v_mov_b32_e32 v14, 0
	v_dual_mov_b32 v15, 0 :: v_dual_mov_b32 v16, 0
	v_mov_b32_e32 v17, 0
	s_and_saveexec_b32 s50, s28
	s_cbranch_execz .LBB165_76
; %bb.72:                               ;   in Loop: Header=BB165_61 Depth=2
	s_wait_dscnt 0x0
	v_mov_b32_e32 v2, v21
	s_mov_b32 s9, 0
	s_mov_b32 s51, s61
.LBB165_73:                             ;   Parent Loop BB165_3 Depth=1
                                        ;     Parent Loop BB165_61 Depth=2
                                        ; =>    This Inner Loop Header: Depth=3
	s_delay_alu instid0(VALU_DEP_1) | instskip(SKIP_2) | instid1(VALU_DEP_1)
	v_ashrrev_i32_e32 v3, 31, v2
	s_wait_alu 0xfffe
	s_add_co_i32 s51, s51, -1
	v_lshlrev_b64_e32 v[3:4], 4, v[2:3]
	v_add_nc_u32_e32 v2, s10, v2
	s_delay_alu instid0(VALU_DEP_2) | instskip(SKIP_1) | instid1(VALU_DEP_3)
	v_add_co_u32 v3, vcc_lo, s48, v3
	s_wait_alu 0xfffd
	v_add_co_ci_u32_e64 v4, null, s49, v4, vcc_lo
	global_load_b128 v[14:17], v[3:4], off
	s_wait_loadcnt 0x0
	scratch_store_b128 off, v[14:17], s9
	s_add_co_i32 s9, s9, 16
	s_wait_alu 0xfffe
	s_cmp_eq_u32 s51, 0
	s_cbranch_scc0 .LBB165_73
; %bb.74:                               ;   in Loop: Header=BB165_61 Depth=2
	s_ashr_i32 s9, s8, 31
	v_mov_b32_e32 v14, 0
	s_wait_alu 0xfffe
	s_lshl_b64 s[52:53], s[8:9], 4
	v_dual_mov_b32 v15, 0 :: v_dual_mov_b32 v16, 0
	s_wait_alu 0xfffe
	v_add_co_u32 v2, vcc_lo, v31, s52
	v_mov_b32_e32 v17, 0
	s_wait_alu 0xfffd
	v_add_co_ci_u32_e64 v3, null, s53, v32, vcc_lo
	s_mov_b32 s9, s67
	s_mov_b32 s51, s61
.LBB165_75:                             ;   Parent Loop BB165_3 Depth=1
                                        ;     Parent Loop BB165_61 Depth=2
                                        ; =>    This Inner Loop Header: Depth=3
	global_load_b128 v[33:36], v[2:3], off offset:-8
	scratch_load_b128 v[49:52], off, s9 offset:-8
	v_add_co_u32 v2, vcc_lo, v2, 16
	s_wait_alu 0xfffd
	v_add_co_ci_u32_e64 v3, null, 0, v3, vcc_lo
	s_wait_alu 0xfffe
	s_add_co_i32 s51, s51, -1
	s_add_co_i32 s9, s9, 16
	s_wait_alu 0xfffe
	s_cmp_lg_u32 s51, 0
	s_wait_loadcnt 0x0
	v_mul_f64_e32 v[4:5], v[35:36], v[51:52]
	v_mul_f64_e32 v[37:38], v[33:34], v[51:52]
	s_delay_alu instid0(VALU_DEP_2) | instskip(NEXT) | instid1(VALU_DEP_2)
	v_fma_f64 v[4:5], v[33:34], v[49:50], -v[4:5]
	v_fma_f64 v[33:34], v[35:36], v[49:50], v[37:38]
	s_delay_alu instid0(VALU_DEP_2) | instskip(NEXT) | instid1(VALU_DEP_2)
	v_add_f64_e32 v[14:15], v[14:15], v[4:5]
	v_add_f64_e32 v[16:17], v[16:17], v[33:34]
	s_cbranch_scc1 .LBB165_75
.LBB165_76:                             ;   in Loop: Header=BB165_61 Depth=2
	s_wait_alu 0xfffe
	s_or_b32 exec_lo, exec_lo, s50
	s_delay_alu instid0(SALU_CYCLE_1)
	s_or_b32 exec_lo, exec_lo, s25
	s_and_saveexec_b32 s9, s1
	s_cbranch_execnz .LBB165_64
	s_branch .LBB165_65
.LBB165_77:                             ;   in Loop: Header=BB165_61 Depth=2
	ds_load_b128 v[2:5], v40
	s_wait_alu 0xfffe
	s_or_b32 exec_lo, exec_lo, s9
	s_and_saveexec_b32 s9, s1
	s_cbranch_execz .LBB165_69
.LBB165_78:                             ;   in Loop: Header=BB165_61 Depth=2
	s_wait_dscnt 0x0
	ds_bpermute_b32 v14, v19, v2
	ds_bpermute_b32 v15, v19, v3
	ds_bpermute_b32 v16, v19, v4
	ds_bpermute_b32 v17, v19, v5
	s_wait_dscnt 0x2
	v_add_f64_e32 v[2:3], v[2:3], v[14:15]
	s_wait_dscnt 0x0
	v_add_f64_e32 v[4:5], v[4:5], v[16:17]
	ds_bpermute_b32 v14, v20, v2
	ds_bpermute_b32 v15, v20, v3
	ds_bpermute_b32 v16, v20, v4
	ds_bpermute_b32 v17, v20, v5
	s_wait_dscnt 0x2
	v_add_f64_e32 v[2:3], v[2:3], v[14:15]
	s_wait_dscnt 0x0
	v_add_f64_e32 v[4:5], v[4:5], v[16:17]
	ds_bpermute_b32 v14, v30, v2
	ds_bpermute_b32 v15, v30, v3
	ds_bpermute_b32 v16, v30, v4
	ds_bpermute_b32 v17, v30, v5
	s_wait_dscnt 0x2
	v_add_f64_e32 v[2:3], v[2:3], v[14:15]
	s_wait_dscnt 0x0
	v_add_f64_e32 v[4:5], v[4:5], v[16:17]
	s_wait_alu 0xfffe
	s_or_b32 exec_lo, exec_lo, s9
	s_and_saveexec_b32 s9, s0
	s_cbranch_execz .LBB165_60
.LBB165_79:                             ;   in Loop: Header=BB165_61 Depth=2
	s_wait_dscnt 0x0
	s_delay_alu instid0(VALU_DEP_1)
	v_mul_f64_e32 v[14:15], s[14:15], v[4:5]
	v_mul_f64_e32 v[4:5], s[12:13], v[4:5]
	s_mul_u64 s[50:51], s[34:35], s[30:31]
	s_wait_alu 0xfffe
	s_lshl_b64 s[50:51], s[50:51], 4
	s_wait_alu 0xfffe
	s_add_nc_u64 s[50:51], s[6:7], s[50:51]
	s_delay_alu instid0(VALU_DEP_2) | instskip(NEXT) | instid1(VALU_DEP_2)
	v_fma_f64 v[14:15], s[12:13], v[2:3], -v[14:15]
	v_fma_f64 v[16:17], s[14:15], v[2:3], v[4:5]
	global_store_b128 v1, v[14:17], s[50:51]
	s_branch .LBB165_60
.LBB165_80:
	s_nop 0
	s_sendmsg sendmsg(MSG_DEALLOC_VGPRS)
	s_endpgm
	.section	.rodata,"a",@progbits
	.p2align	6, 0x0
	.amdhsa_kernel _ZL23rocblas_gemvt_sn_kernelILb0ELi256ELi4Ei19rocblas_complex_numIdES1_S1_EviiT4_lPKT3_lilS5_lilPT5_i
		.amdhsa_group_segment_fixed_size 512
		.amdhsa_private_segment_fixed_size 80
		.amdhsa_kernarg_size 368
		.amdhsa_user_sgpr_count 2
		.amdhsa_user_sgpr_dispatch_ptr 0
		.amdhsa_user_sgpr_queue_ptr 0
		.amdhsa_user_sgpr_kernarg_segment_ptr 1
		.amdhsa_user_sgpr_dispatch_id 0
		.amdhsa_user_sgpr_private_segment_size 0
		.amdhsa_wavefront_size32 1
		.amdhsa_uses_dynamic_stack 0
		.amdhsa_enable_private_segment 1
		.amdhsa_system_sgpr_workgroup_id_x 1
		.amdhsa_system_sgpr_workgroup_id_y 0
		.amdhsa_system_sgpr_workgroup_id_z 1
		.amdhsa_system_sgpr_workgroup_info 0
		.amdhsa_system_vgpr_workitem_id 0
		.amdhsa_next_free_vgpr 129
		.amdhsa_next_free_sgpr 82
		.amdhsa_reserve_vcc 1
		.amdhsa_float_round_mode_32 0
		.amdhsa_float_round_mode_16_64 0
		.amdhsa_float_denorm_mode_32 3
		.amdhsa_float_denorm_mode_16_64 3
		.amdhsa_fp16_overflow 0
		.amdhsa_workgroup_processor_mode 1
		.amdhsa_memory_ordered 1
		.amdhsa_forward_progress 1
		.amdhsa_inst_pref_size 56
		.amdhsa_round_robin_scheduling 0
		.amdhsa_exception_fp_ieee_invalid_op 0
		.amdhsa_exception_fp_denorm_src 0
		.amdhsa_exception_fp_ieee_div_zero 0
		.amdhsa_exception_fp_ieee_overflow 0
		.amdhsa_exception_fp_ieee_underflow 0
		.amdhsa_exception_fp_ieee_inexact 0
		.amdhsa_exception_int_div_zero 0
	.end_amdhsa_kernel
	.section	.text._ZL23rocblas_gemvt_sn_kernelILb0ELi256ELi4Ei19rocblas_complex_numIdES1_S1_EviiT4_lPKT3_lilS5_lilPT5_i,"axG",@progbits,_ZL23rocblas_gemvt_sn_kernelILb0ELi256ELi4Ei19rocblas_complex_numIdES1_S1_EviiT4_lPKT3_lilS5_lilPT5_i,comdat
.Lfunc_end165:
	.size	_ZL23rocblas_gemvt_sn_kernelILb0ELi256ELi4Ei19rocblas_complex_numIdES1_S1_EviiT4_lPKT3_lilS5_lilPT5_i, .Lfunc_end165-_ZL23rocblas_gemvt_sn_kernelILb0ELi256ELi4Ei19rocblas_complex_numIdES1_S1_EviiT4_lPKT3_lilS5_lilPT5_i
                                        ; -- End function
	.set _ZL23rocblas_gemvt_sn_kernelILb0ELi256ELi4Ei19rocblas_complex_numIdES1_S1_EviiT4_lPKT3_lilS5_lilPT5_i.num_vgpr, 129
	.set _ZL23rocblas_gemvt_sn_kernelILb0ELi256ELi4Ei19rocblas_complex_numIdES1_S1_EviiT4_lPKT3_lilS5_lilPT5_i.num_agpr, 0
	.set _ZL23rocblas_gemvt_sn_kernelILb0ELi256ELi4Ei19rocblas_complex_numIdES1_S1_EviiT4_lPKT3_lilS5_lilPT5_i.numbered_sgpr, 82
	.set _ZL23rocblas_gemvt_sn_kernelILb0ELi256ELi4Ei19rocblas_complex_numIdES1_S1_EviiT4_lPKT3_lilS5_lilPT5_i.num_named_barrier, 0
	.set _ZL23rocblas_gemvt_sn_kernelILb0ELi256ELi4Ei19rocblas_complex_numIdES1_S1_EviiT4_lPKT3_lilS5_lilPT5_i.private_seg_size, 80
	.set _ZL23rocblas_gemvt_sn_kernelILb0ELi256ELi4Ei19rocblas_complex_numIdES1_S1_EviiT4_lPKT3_lilS5_lilPT5_i.uses_vcc, 1
	.set _ZL23rocblas_gemvt_sn_kernelILb0ELi256ELi4Ei19rocblas_complex_numIdES1_S1_EviiT4_lPKT3_lilS5_lilPT5_i.uses_flat_scratch, 1
	.set _ZL23rocblas_gemvt_sn_kernelILb0ELi256ELi4Ei19rocblas_complex_numIdES1_S1_EviiT4_lPKT3_lilS5_lilPT5_i.has_dyn_sized_stack, 0
	.set _ZL23rocblas_gemvt_sn_kernelILb0ELi256ELi4Ei19rocblas_complex_numIdES1_S1_EviiT4_lPKT3_lilS5_lilPT5_i.has_recursion, 0
	.set _ZL23rocblas_gemvt_sn_kernelILb0ELi256ELi4Ei19rocblas_complex_numIdES1_S1_EviiT4_lPKT3_lilS5_lilPT5_i.has_indirect_call, 0
	.section	.AMDGPU.csdata,"",@progbits
; Kernel info:
; codeLenInByte = 7164
; TotalNumSgprs: 84
; NumVgprs: 129
; ScratchSize: 80
; MemoryBound: 0
; FloatMode: 240
; IeeeMode: 1
; LDSByteSize: 512 bytes/workgroup (compile time only)
; SGPRBlocks: 0
; VGPRBlocks: 16
; NumSGPRsForWavesPerEU: 84
; NumVGPRsForWavesPerEU: 129
; Occupancy: 10
; WaveLimiterHint : 1
; COMPUTE_PGM_RSRC2:SCRATCH_EN: 1
; COMPUTE_PGM_RSRC2:USER_SGPR: 2
; COMPUTE_PGM_RSRC2:TRAP_HANDLER: 0
; COMPUTE_PGM_RSRC2:TGID_X_EN: 1
; COMPUTE_PGM_RSRC2:TGID_Y_EN: 0
; COMPUTE_PGM_RSRC2:TGID_Z_EN: 1
; COMPUTE_PGM_RSRC2:TIDIG_COMP_CNT: 0
	.section	.text._ZL23rocblas_gemvt_sn_kernelILb0ELi256ELi4El19rocblas_complex_numIdES1_S1_EviiT4_lPKT3_lilS5_lilPT5_i,"axG",@progbits,_ZL23rocblas_gemvt_sn_kernelILb0ELi256ELi4El19rocblas_complex_numIdES1_S1_EviiT4_lPKT3_lilS5_lilPT5_i,comdat
	.globl	_ZL23rocblas_gemvt_sn_kernelILb0ELi256ELi4El19rocblas_complex_numIdES1_S1_EviiT4_lPKT3_lilS5_lilPT5_i ; -- Begin function _ZL23rocblas_gemvt_sn_kernelILb0ELi256ELi4El19rocblas_complex_numIdES1_S1_EviiT4_lPKT3_lilS5_lilPT5_i
	.p2align	8
	.type	_ZL23rocblas_gemvt_sn_kernelILb0ELi256ELi4El19rocblas_complex_numIdES1_S1_EviiT4_lPKT3_lilS5_lilPT5_i,@function
_ZL23rocblas_gemvt_sn_kernelILb0ELi256ELi4El19rocblas_complex_numIdES1_S1_EviiT4_lPKT3_lilS5_lilPT5_i: ; @_ZL23rocblas_gemvt_sn_kernelILb0ELi256ELi4El19rocblas_complex_numIdES1_S1_EviiT4_lPKT3_lilS5_lilPT5_i
; %bb.0:
	s_load_b32 s33, s[0:1], 0x68
	s_lshr_b32 s24, ttmp7, 16
	s_wait_kmcnt 0x0
	s_cmp_ge_u32 s24, s33
	s_cbranch_scc1 .LBB166_80
; %bb.1:
	s_clause 0x7
	s_load_b128 s[12:15], s[0:1], 0x8
	s_load_b32 s28, s[0:1], 0x30
	s_load_b96 s[8:10], s[0:1], 0x48
	s_load_b128 s[4:7], s[0:1], 0x20
	s_load_b64 s[30:31], s[0:1], 0x0
	s_load_b128 s[16:19], s[0:1], 0x38
	s_load_b128 s[20:23], s[0:1], 0x58
	s_load_b32 s34, s[0:1], 0x70
	v_cmp_eq_u32_e64 s0, 0, v0
	v_and_b32_e32 v1, 31, v0
	v_cmp_gt_u32_e64 s1, 32, v0
	v_lshrrev_b32_e32 v2, 1, v0
	v_cmp_gt_u32_e64 s2, 8, v0
	v_mbcnt_lo_u32_b32 v50, -1, 0
	v_cmp_eq_u32_e64 s3, 0, v1
	v_lshlrev_b32_e32 v44, 4, v1
	v_and_b32_e32 v45, 0x70, v2
	s_mov_b32 s26, ttmp9
	s_mov_b32 s27, 0
	v_lshl_or_b32 v51, v50, 2, 64
	s_mov_b32 s35, s27
	s_wait_kmcnt 0x0
	s_ashr_i32 s29, s28, 31
	s_ashr_i32 s47, s10, 31
	s_lshl_b64 s[8:9], s[8:9], 4
	s_lshl_b64 s[6:7], s[6:7], 4
	s_ashr_i32 s39, s31, 31
	v_cmp_eq_f64_e64 s11, s[12:13], 0
	v_cmp_eq_f64_e64 s25, s[14:15], 0
	s_add_nc_u64 s[6:7], s[4:5], s[6:7]
	s_add_nc_u64 s[18:19], s[18:19], s[8:9]
	s_mov_b32 s46, s10
	s_mov_b32 s38, s31
	;; [unrolled: 1-line block ×3, first 2 shown]
	s_mul_u64 s[36:37], s[38:39], s[34:35]
	s_mov_b32 s67, 32
	s_mov_b32 s68, 48
	s_and_b32 s60, s11, s25
	s_cmp_gt_i32 s31, 0
	s_cselect_b32 s4, -1, 0
	s_lshl_b32 s5, ttmp9, 10
	s_ashr_i32 s9, s30, 31
	v_lshl_or_b32 v0, v0, 2, s5
	s_and_b32 s61, s0, s4
	s_lshr_b32 s4, s9, 30
	s_lshr_b32 s8, s39, 30
	s_wait_alu 0xfffe
	s_add_co_i32 s4, s30, s4
	v_ashrrev_i32_e32 v1, 31, v0
	v_mad_co_i64_i32 v[2:3], null, s10, v0, 0
	s_wait_alu 0xfffe
	s_and_b32 s4, s4, -4
	v_add_nc_u32_e32 v4, 4, v0
	s_wait_alu 0xfffe
	s_sub_co_i32 s63, s30, s4
	v_or_b32_e32 v5, 1, v0
	v_or_b32_e32 v6, 2, v0
	;; [unrolled: 1-line block ×3, first 2 shown]
	v_add_nc_u32_e32 v10, s63, v0
	v_lshlrev_b64_e32 v[0:1], 4, v[0:1]
	v_lshlrev_b64_e32 v[20:21], 4, v[2:3]
	s_add_co_i32 s5, s31, s8
	v_cmp_ge_i32_e64 s4, s30, v4
	v_mad_co_i64_i32 v[4:5], null, s10, v5, 0
	v_mad_co_i64_i32 v[6:7], null, s10, v6, 0
	;; [unrolled: 1-line block ×3, first 2 shown]
	s_wait_alu 0xfffe
	s_and_b32 s62, s5, -4
	v_add_co_u32 v46, vcc_lo, s6, v0
	s_wait_alu 0xfffe
	s_cmp_gt_i32 s62, 0
	v_add_co_ci_u32_e64 v47, null, s7, v1, vcc_lo
	v_add_co_u32 v22, vcc_lo, s18, v20
	s_cselect_b32 s64, -1, 0
	s_cmp_gt_i32 s63, 0
	v_cmp_ge_i32_e64 s5, s30, v10
	s_wait_alu 0xfffd
	v_add_co_ci_u32_e64 v23, null, s19, v21, vcc_lo
	v_add_co_u32 v48, vcc_lo, v46, 8
	s_cselect_b32 s65, -1, 0
	s_lshl_b64 s[10:11], s[26:27], 4
	v_lshlrev_b64_e32 v[24:25], 4, v[4:5]
	v_lshlrev_b64_e32 v[26:27], 4, v[6:7]
	;; [unrolled: 1-line block ×3, first 2 shown]
	s_wait_alu 0xfffd
	v_add_co_ci_u32_e64 v49, null, 0, v47, vcc_lo
	v_mov_b32_e32 v0, 0
	s_wait_alu 0xfffe
	s_add_nc_u64 s[8:9], s[22:23], s[10:11]
	s_or_b32 s69, 0, 8
	s_lshl_b64 s[38:39], s[36:37], 4
	s_lshl_b64 s[40:41], s[34:35], 4
	s_add_nc_u64 s[42:43], s[8:9], 8
	s_and_b32 s30, s65, s5
	s_lshl_b64 s[44:45], s[20:21], 4
	s_lshl_b64 s[46:47], s[46:47], 4
	;; [unrolled: 1-line block ×5, first 2 shown]
	s_branch .LBB166_3
.LBB166_2:                              ;   in Loop: Header=BB166_3 Depth=1
	s_add_co_i32 s24, s24, 0x10000
	s_wait_alu 0xfffe
	s_cmp_lt_u32 s24, s33
	s_cbranch_scc0 .LBB166_80
.LBB166_3:                              ; =>This Loop Header: Depth=1
                                        ;     Child Loop BB166_6 Depth 2
                                        ;     Child Loop BB166_12 Depth 2
                                        ;       Child Loop BB166_43 Depth 3
                                        ;       Child Loop BB166_45 Depth 3
                                        ;     Child Loop BB166_61 Depth 2
                                        ;       Child Loop BB166_73 Depth 3
                                        ;       Child Loop BB166_75 Depth 3
	s_mov_b32 s25, s27
	s_and_not1_b32 vcc_lo, exec_lo, s60
	s_mov_b32 s6, -1
	s_wait_alu 0xfffe
	s_cbranch_vccnz .LBB166_8
; %bb.4:                                ;   in Loop: Header=BB166_3 Depth=1
	s_and_saveexec_b32 s8, s61
	s_cbranch_execz .LBB166_7
; %bb.5:                                ;   in Loop: Header=BB166_3 Depth=1
	s_mul_u64 s[6:7], s[38:39], s[24:25]
	s_mov_b32 s9, s31
	s_wait_alu 0xfffe
	s_add_nc_u64 s[6:7], s[42:43], s[6:7]
.LBB166_6:                              ;   Parent Loop BB166_3 Depth=1
                                        ; =>  This Inner Loop Header: Depth=2
	s_wait_dscnt 0x0
	v_dual_mov_b32 v1, v0 :: v_dual_mov_b32 v2, v0
	v_mov_b32_e32 v3, v0
	s_add_co_i32 s9, s9, -1
	s_wait_alu 0xfffe
	s_cmp_eq_u32 s9, 0
	global_store_b128 v0, v[0:3], s[6:7] offset:-8
	s_add_nc_u64 s[6:7], s[6:7], s[40:41]
	s_cbranch_scc0 .LBB166_6
.LBB166_7:                              ;   in Loop: Header=BB166_3 Depth=1
	s_wait_alu 0xfffe
	s_or_b32 exec_lo, exec_lo, s8
	s_mov_b32 s6, 0
.LBB166_8:                              ;   in Loop: Header=BB166_3 Depth=1
	s_wait_alu 0xfffe
	s_and_not1_b32 vcc_lo, exec_lo, s6
	s_wait_alu 0xfffe
	s_cbranch_vccnz .LBB166_2
; %bb.9:                                ;   in Loop: Header=BB166_3 Depth=1
	v_mad_co_u64_u32 v[30:31], null, s44, s24, v[22:23]
	s_mul_u64 s[70:71], s[16:17], s[24:25]
	s_mul_u64 s[54:55], s[20:21], s[24:25]
	s_wait_alu 0xfffe
	s_lshl_b64 s[70:71], s[70:71], 4
	s_mul_u64 s[58:59], s[36:37], s[24:25]
	s_wait_alu 0xfffe
	v_add_co_u32 v52, vcc_lo, v46, s70
	s_wait_dscnt 0x0
	v_mov_b32_e32 v1, v31
	s_lshl_b64 s[54:55], s[54:55], 4
	s_lshl_b64 s[72:73], s[58:59], 4
	v_cmp_gt_u32_e64 s7, 24, v50
	v_cmp_gt_u32_e64 s8, 28, v50
	v_mad_co_u64_u32 v[1:2], null, s45, s24, v[1:2]
	v_cmp_gt_u32_e64 s6, 30, v50
	s_wait_alu 0xfffd
	v_add_co_ci_u32_e64 v53, null, s71, v47, vcc_lo
	v_cmp_ne_u32_e64 s9, 31, v50
	s_add_nc_u64 s[58:59], s[18:19], s[54:55]
	s_wait_alu 0xfffe
	s_add_nc_u64 s[54:55], s[22:23], s[72:73]
	v_mov_b32_e32 v31, v1
	s_mul_u64 s[56:57], s[48:49], s[24:25]
	s_and_not1_b32 vcc_lo, exec_lo, s64
	s_add_nc_u64 s[54:55], s[54:55], s[10:11]
	s_wait_alu 0xfffe
	s_cbranch_vccnz .LBB166_57
; %bb.10:                               ;   in Loop: Header=BB166_3 Depth=1
	v_add_co_u32 v32, vcc_lo, v46, s56
	s_wait_alu 0xfffd
	v_add_co_ci_u32_e64 v33, null, s57, v47, vcc_lo
	v_add_co_u32 v34, vcc_lo, s58, v20
	s_wait_alu 0xfffd
	v_add_co_ci_u32_e64 v35, null, s59, v21, vcc_lo
	v_add_co_u32 v36, vcc_lo, s58, v24
	v_cndmask_b32_e64 v1, 0, 8, s7
	v_cndmask_b32_e64 v2, 0, 4, s8
	;; [unrolled: 1-line block ×3, first 2 shown]
	v_add_co_ci_u32_e64 v4, null, 0, v50, s9
	s_wait_alu 0xfffd
	v_add_co_ci_u32_e64 v37, null, s59, v25, vcc_lo
	v_add_co_u32 v38, vcc_lo, s58, v26
	s_wait_alu 0xfffd
	v_add_co_ci_u32_e64 v39, null, s59, v27, vcc_lo
	v_add_co_u32 v40, vcc_lo, s58, v28
	v_add_lshl_u32 v54, v1, v50, 2
	v_add_lshl_u32 v55, v2, v50, 2
	;; [unrolled: 1-line block ×3, first 2 shown]
	v_lshlrev_b32_e32 v57, 2, v4
	s_wait_alu 0xfffd
	v_add_co_ci_u32_e64 v41, null, s59, v29, vcc_lo
	s_mov_b32 s26, 0
	s_branch .LBB166_12
.LBB166_11:                             ;   in Loop: Header=BB166_12 Depth=2
	s_wait_alu 0xfffe
	s_or_b32 exec_lo, exec_lo, s6
	v_add_co_u32 v32, vcc_lo, v32, s50
	s_wait_alu 0xfffd
	v_add_co_ci_u32_e64 v33, null, s51, v33, vcc_lo
	s_add_co_i32 s26, s26, 4
	s_delay_alu instid0(SALU_CYCLE_1)
	s_cmp_ge_i32 s26, s62
	s_cbranch_scc1 .LBB166_58
.LBB166_12:                             ;   Parent Loop BB166_3 Depth=1
                                        ; =>  This Loop Header: Depth=2
                                        ;       Child Loop BB166_43 Depth 3
                                        ;       Child Loop BB166_45 Depth 3
                                        ; implicit-def: $vgpr16_vgpr17
                                        ; implicit-def: $vgpr18_vgpr19
                                        ; implicit-def: $vgpr12_vgpr13
                                        ; implicit-def: $vgpr14_vgpr15
                                        ; implicit-def: $vgpr8_vgpr9
                                        ; implicit-def: $vgpr10_vgpr11
                                        ; implicit-def: $vgpr6_vgpr7
                                        ; implicit-def: $vgpr4_vgpr5
	s_and_saveexec_b32 s6, s4
	s_wait_alu 0xfffe
	s_xor_b32 s8, exec_lo, s6
	s_cbranch_execnz .LBB166_39
; %bb.13:                               ;   in Loop: Header=BB166_12 Depth=2
	s_wait_alu 0xfffe
	s_and_not1_saveexec_b32 s6, s8
	s_cbranch_execnz .LBB166_40
.LBB166_14:                             ;   in Loop: Header=BB166_12 Depth=2
	s_wait_alu 0xfffe
	s_or_b32 exec_lo, exec_lo, s6
	s_and_saveexec_b32 s6, s1
.LBB166_15:                             ;   in Loop: Header=BB166_12 Depth=2
	v_dual_mov_b32 v1, v0 :: v_dual_mov_b32 v2, v0
	v_mov_b32_e32 v3, v0
	ds_store_b128 v44, v[0:3]
.LBB166_16:                             ;   in Loop: Header=BB166_12 Depth=2
	s_wait_alu 0xfffe
	s_or_b32 exec_lo, exec_lo, s6
	ds_bpermute_b32 v1, v51, v6
	ds_bpermute_b32 v2, v51, v7
	;; [unrolled: 1-line block ×4, first 2 shown]
	s_wait_storecnt_dscnt 0x0
	s_barrier_signal -1
	s_barrier_wait -1
	global_inv scope:SCOPE_SE
	v_add_f64_e32 v[1:2], v[6:7], v[1:2]
	v_add_f64_e32 v[3:4], v[4:5], v[42:43]
	ds_bpermute_b32 v5, v54, v1
	ds_bpermute_b32 v6, v54, v2
	ds_bpermute_b32 v42, v54, v3
	ds_bpermute_b32 v43, v54, v4
	s_wait_dscnt 0x2
	v_add_f64_e32 v[1:2], v[1:2], v[5:6]
	s_wait_dscnt 0x0
	v_add_f64_e32 v[3:4], v[3:4], v[42:43]
	ds_bpermute_b32 v5, v55, v1
	ds_bpermute_b32 v6, v55, v2
	ds_bpermute_b32 v42, v55, v3
	ds_bpermute_b32 v43, v55, v4
	s_wait_dscnt 0x2
	v_add_f64_e32 v[1:2], v[1:2], v[5:6]
	s_wait_dscnt 0x0
	;; [unrolled: 8-line block ×3, first 2 shown]
	v_add_f64_e32 v[5:6], v[3:4], v[42:43]
	ds_bpermute_b32 v3, v57, v1
	ds_bpermute_b32 v4, v57, v2
	;; [unrolled: 1-line block ×4, first 2 shown]
	s_and_saveexec_b32 s6, s3
	s_cbranch_execz .LBB166_18
; %bb.17:                               ;   in Loop: Header=BB166_12 Depth=2
	s_wait_dscnt 0x0
	v_add_f64_e32 v[5:6], v[5:6], v[42:43]
	v_add_f64_e32 v[3:4], v[1:2], v[3:4]
	ds_store_b128 v45, v[3:6]
.LBB166_18:                             ;   in Loop: Header=BB166_12 Depth=2
	s_wait_alu 0xfffe
	s_or_b32 exec_lo, exec_lo, s6
	v_mov_b32_e32 v6, 0
	s_wait_dscnt 0x2
	v_dual_mov_b32 v7, 0 :: v_dual_mov_b32 v4, 0
	v_mov_b32_e32 v5, 0
	s_wait_loadcnt_dscnt 0x0
	s_barrier_signal -1
	s_barrier_wait -1
	global_inv scope:SCOPE_SE
	s_and_saveexec_b32 s6, s2
	s_cbranch_execnz .LBB166_46
; %bb.19:                               ;   in Loop: Header=BB166_12 Depth=2
	s_wait_alu 0xfffe
	s_or_b32 exec_lo, exec_lo, s6
	s_and_saveexec_b32 s6, s1
	s_cbranch_execnz .LBB166_47
.LBB166_20:                             ;   in Loop: Header=BB166_12 Depth=2
	s_wait_alu 0xfffe
	s_or_b32 exec_lo, exec_lo, s6
	s_and_saveexec_b32 s6, s1
.LBB166_21:                             ;   in Loop: Header=BB166_12 Depth=2
	v_dual_mov_b32 v1, v0 :: v_dual_mov_b32 v2, v0
	v_mov_b32_e32 v3, v0
	ds_store_b128 v44, v[0:3]
.LBB166_22:                             ;   in Loop: Header=BB166_12 Depth=2
	s_wait_alu 0xfffe
	s_or_b32 exec_lo, exec_lo, s6
	ds_bpermute_b32 v1, v51, v8
	ds_bpermute_b32 v2, v51, v9
	;; [unrolled: 1-line block ×4, first 2 shown]
	s_wait_loadcnt_dscnt 0x0
	s_barrier_signal -1
	s_barrier_wait -1
	global_inv scope:SCOPE_SE
	v_add_f64_e32 v[1:2], v[8:9], v[1:2]
	v_add_f64_e32 v[8:9], v[10:11], v[42:43]
	ds_bpermute_b32 v10, v54, v1
	ds_bpermute_b32 v11, v54, v2
	ds_bpermute_b32 v42, v54, v8
	ds_bpermute_b32 v43, v54, v9
	s_wait_dscnt 0x2
	v_add_f64_e32 v[1:2], v[1:2], v[10:11]
	s_wait_dscnt 0x0
	v_add_f64_e32 v[8:9], v[8:9], v[42:43]
	ds_bpermute_b32 v10, v55, v1
	ds_bpermute_b32 v11, v55, v2
	ds_bpermute_b32 v42, v55, v8
	ds_bpermute_b32 v43, v55, v9
	s_wait_dscnt 0x2
	v_add_f64_e32 v[1:2], v[1:2], v[10:11]
	s_wait_dscnt 0x0
	;; [unrolled: 8-line block ×3, first 2 shown]
	v_add_f64_e32 v[10:11], v[8:9], v[42:43]
	ds_bpermute_b32 v8, v57, v1
	ds_bpermute_b32 v9, v57, v2
	;; [unrolled: 1-line block ×4, first 2 shown]
	s_and_saveexec_b32 s6, s3
	s_cbranch_execz .LBB166_24
; %bb.23:                               ;   in Loop: Header=BB166_12 Depth=2
	s_wait_dscnt 0x0
	v_add_f64_e32 v[10:11], v[10:11], v[42:43]
	v_add_f64_e32 v[8:9], v[1:2], v[8:9]
	ds_store_b128 v45, v[8:11]
.LBB166_24:                             ;   in Loop: Header=BB166_12 Depth=2
	s_wait_alu 0xfffe
	s_or_b32 exec_lo, exec_lo, s6
	v_mov_b32_e32 v10, 0
	s_wait_dscnt 0x2
	v_dual_mov_b32 v11, 0 :: v_dual_mov_b32 v8, 0
	v_mov_b32_e32 v9, 0
	s_wait_loadcnt_dscnt 0x0
	s_barrier_signal -1
	s_barrier_wait -1
	global_inv scope:SCOPE_SE
	s_and_saveexec_b32 s6, s2
	s_cbranch_execnz .LBB166_48
; %bb.25:                               ;   in Loop: Header=BB166_12 Depth=2
	s_wait_alu 0xfffe
	s_or_b32 exec_lo, exec_lo, s6
	s_and_saveexec_b32 s6, s1
	s_cbranch_execnz .LBB166_49
.LBB166_26:                             ;   in Loop: Header=BB166_12 Depth=2
	s_wait_alu 0xfffe
	s_or_b32 exec_lo, exec_lo, s6
	s_and_saveexec_b32 s6, s1
.LBB166_27:                             ;   in Loop: Header=BB166_12 Depth=2
	v_dual_mov_b32 v1, v0 :: v_dual_mov_b32 v2, v0
	v_mov_b32_e32 v3, v0
	ds_store_b128 v44, v[0:3]
.LBB166_28:                             ;   in Loop: Header=BB166_12 Depth=2
	s_wait_alu 0xfffe
	s_or_b32 exec_lo, exec_lo, s6
	ds_bpermute_b32 v1, v51, v12
	ds_bpermute_b32 v2, v51, v13
	;; [unrolled: 1-line block ×4, first 2 shown]
	s_wait_loadcnt_dscnt 0x0
	s_barrier_signal -1
	s_barrier_wait -1
	global_inv scope:SCOPE_SE
	v_add_f64_e32 v[1:2], v[12:13], v[1:2]
	v_add_f64_e32 v[12:13], v[14:15], v[42:43]
	ds_bpermute_b32 v14, v54, v1
	ds_bpermute_b32 v15, v54, v2
	ds_bpermute_b32 v42, v54, v12
	ds_bpermute_b32 v43, v54, v13
	s_wait_dscnt 0x2
	v_add_f64_e32 v[1:2], v[1:2], v[14:15]
	s_wait_dscnt 0x0
	v_add_f64_e32 v[12:13], v[12:13], v[42:43]
	ds_bpermute_b32 v14, v55, v1
	ds_bpermute_b32 v15, v55, v2
	ds_bpermute_b32 v42, v55, v12
	ds_bpermute_b32 v43, v55, v13
	s_wait_dscnt 0x2
	v_add_f64_e32 v[1:2], v[1:2], v[14:15]
	s_wait_dscnt 0x0
	;; [unrolled: 8-line block ×3, first 2 shown]
	v_add_f64_e32 v[14:15], v[12:13], v[42:43]
	ds_bpermute_b32 v12, v57, v1
	ds_bpermute_b32 v13, v57, v2
	;; [unrolled: 1-line block ×4, first 2 shown]
	s_and_saveexec_b32 s6, s3
	s_cbranch_execz .LBB166_30
; %bb.29:                               ;   in Loop: Header=BB166_12 Depth=2
	s_wait_dscnt 0x0
	v_add_f64_e32 v[14:15], v[14:15], v[42:43]
	v_add_f64_e32 v[12:13], v[1:2], v[12:13]
	ds_store_b128 v45, v[12:15]
.LBB166_30:                             ;   in Loop: Header=BB166_12 Depth=2
	s_wait_alu 0xfffe
	s_or_b32 exec_lo, exec_lo, s6
	v_mov_b32_e32 v14, 0
	s_wait_dscnt 0x2
	v_dual_mov_b32 v15, 0 :: v_dual_mov_b32 v12, 0
	v_mov_b32_e32 v13, 0
	s_wait_loadcnt_dscnt 0x0
	s_barrier_signal -1
	s_barrier_wait -1
	global_inv scope:SCOPE_SE
	s_and_saveexec_b32 s6, s2
	s_cbranch_execnz .LBB166_50
; %bb.31:                               ;   in Loop: Header=BB166_12 Depth=2
	s_wait_alu 0xfffe
	s_or_b32 exec_lo, exec_lo, s6
	s_and_saveexec_b32 s6, s1
	s_cbranch_execnz .LBB166_51
.LBB166_32:                             ;   in Loop: Header=BB166_12 Depth=2
	s_wait_alu 0xfffe
	s_or_b32 exec_lo, exec_lo, s6
	s_and_saveexec_b32 s6, s1
.LBB166_33:                             ;   in Loop: Header=BB166_12 Depth=2
	v_dual_mov_b32 v1, v0 :: v_dual_mov_b32 v2, v0
	v_mov_b32_e32 v3, v0
	ds_store_b128 v44, v[0:3]
.LBB166_34:                             ;   in Loop: Header=BB166_12 Depth=2
	s_wait_alu 0xfffe
	s_or_b32 exec_lo, exec_lo, s6
	ds_bpermute_b32 v1, v51, v16
	ds_bpermute_b32 v2, v51, v17
	ds_bpermute_b32 v42, v51, v18
	ds_bpermute_b32 v43, v51, v19
	s_wait_loadcnt_dscnt 0x0
	s_barrier_signal -1
	s_barrier_wait -1
	global_inv scope:SCOPE_SE
	v_add_f64_e32 v[1:2], v[16:17], v[1:2]
	v_add_f64_e32 v[16:17], v[18:19], v[42:43]
	ds_bpermute_b32 v18, v54, v1
	ds_bpermute_b32 v19, v54, v2
	ds_bpermute_b32 v42, v54, v16
	ds_bpermute_b32 v43, v54, v17
	s_wait_dscnt 0x2
	v_add_f64_e32 v[1:2], v[1:2], v[18:19]
	s_wait_dscnt 0x0
	v_add_f64_e32 v[16:17], v[16:17], v[42:43]
	ds_bpermute_b32 v18, v55, v1
	ds_bpermute_b32 v19, v55, v2
	ds_bpermute_b32 v42, v55, v16
	ds_bpermute_b32 v43, v55, v17
	s_wait_dscnt 0x2
	v_add_f64_e32 v[1:2], v[1:2], v[18:19]
	s_wait_dscnt 0x0
	;; [unrolled: 8-line block ×3, first 2 shown]
	v_add_f64_e32 v[18:19], v[16:17], v[42:43]
	ds_bpermute_b32 v16, v57, v1
	ds_bpermute_b32 v17, v57, v2
	;; [unrolled: 1-line block ×4, first 2 shown]
	s_and_saveexec_b32 s6, s3
	s_cbranch_execz .LBB166_36
; %bb.35:                               ;   in Loop: Header=BB166_12 Depth=2
	s_wait_dscnt 0x0
	v_add_f64_e32 v[18:19], v[18:19], v[42:43]
	v_add_f64_e32 v[16:17], v[1:2], v[16:17]
	ds_store_b128 v45, v[16:19]
.LBB166_36:                             ;   in Loop: Header=BB166_12 Depth=2
	s_wait_alu 0xfffe
	s_or_b32 exec_lo, exec_lo, s6
	v_mov_b32_e32 v18, 0
	s_wait_dscnt 0x2
	v_dual_mov_b32 v19, 0 :: v_dual_mov_b32 v16, 0
	v_mov_b32_e32 v17, 0
	s_wait_loadcnt_dscnt 0x0
	s_barrier_signal -1
	s_barrier_wait -1
	global_inv scope:SCOPE_SE
	s_and_saveexec_b32 s6, s2
	s_cbranch_execnz .LBB166_52
; %bb.37:                               ;   in Loop: Header=BB166_12 Depth=2
	s_wait_alu 0xfffe
	s_or_b32 exec_lo, exec_lo, s6
	s_and_saveexec_b32 s6, s1
	s_cbranch_execnz .LBB166_53
.LBB166_38:                             ;   in Loop: Header=BB166_12 Depth=2
	s_wait_alu 0xfffe
	s_or_b32 exec_lo, exec_lo, s6
	s_and_saveexec_b32 s6, s0
	s_cbranch_execz .LBB166_11
	s_branch .LBB166_54
.LBB166_39:                             ;   in Loop: Header=BB166_12 Depth=2
	s_clause 0x2
	global_load_b128 v[1:4], v[36:37], off
	global_load_b128 v[5:8], v[38:39], off
	;; [unrolled: 1-line block ×3, first 2 shown]
	s_mul_u64 s[6:7], s[26:27], s[28:29]
	s_or_b32 s70, s26, 1
	s_mov_b32 s71, s27
	s_or_b32 s72, s26, 2
	s_mov_b32 s73, s27
	s_wait_alu 0xfffe
	s_lshl_b64 s[6:7], s[6:7], 4
	s_mul_u64 s[70:71], s[70:71], s[28:29]
	s_or_b32 s74, s26, 3
	s_mov_b32 s75, s27
	s_mul_u64 s[72:73], s[72:73], s[28:29]
	s_wait_alu 0xfffe
	s_lshl_b64 s[70:71], s[70:71], 4
	s_wait_dscnt 0x0
	v_add_co_u32 v17, vcc_lo, v52, s6
	s_mul_u64 s[74:75], s[74:75], s[28:29]
	s_lshl_b64 s[72:73], s[72:73], 4
	s_wait_alu 0xfffd
	v_add_co_ci_u32_e64 v18, null, s7, v53, vcc_lo
	s_wait_alu 0xfffe
	v_add_co_u32 v42, vcc_lo, v52, s70
	s_lshl_b64 s[74:75], s[74:75], 4
	s_wait_alu 0xfffd
	v_add_co_ci_u32_e64 v43, null, s71, v53, vcc_lo
	v_add_co_u32 v114, vcc_lo, v52, s72
	s_wait_alu 0xfffd
	v_add_co_ci_u32_e64 v115, null, s73, v53, vcc_lo
	s_wait_alu 0xfffe
	v_add_co_u32 v118, vcc_lo, v52, s74
	s_wait_alu 0xfffd
	v_add_co_ci_u32_e64 v119, null, s75, v53, vcc_lo
	global_load_b128 v[58:61], v[34:35], off
	s_clause 0x4
	global_load_b128 v[13:16], v[17:18], off
	global_load_b128 v[62:65], v[42:43], off
	;; [unrolled: 1-line block ×4, first 2 shown]
	global_load_b128 v[74:77], v[17:18], off offset:16
	s_wait_loadcnt 0x8
	scratch_store_b128 off, v[1:4], s66
	scratch_load_b128 v[1:4], off, off offset:16
	s_clause 0x3
	global_load_b128 v[78:81], v[42:43], off offset:16
	global_load_b128 v[82:85], v[114:115], off offset:16
	global_load_b128 v[86:89], v[118:119], off offset:16
	global_load_b128 v[90:93], v[17:18], off offset:32
	s_wait_loadcnt 0xc
	scratch_store_b128 off, v[5:8], s67
	scratch_load_b128 v[5:8], off, off offset:32
	s_clause 0x3
	global_load_b128 v[94:97], v[42:43], off offset:32
	global_load_b128 v[98:101], v[114:115], off offset:32
	global_load_b128 v[102:105], v[118:119], off offset:32
	;; [unrolled: 8-line block ×3, first 2 shown]
	s_wait_loadcnt 0x13
	scratch_store_b128 off, v[58:61], off
	s_wait_loadcnt 0x12
	v_mul_f64_e32 v[17:18], v[60:61], v[15:16]
	v_mul_f64_e32 v[15:16], v[58:59], v[15:16]
	s_wait_loadcnt 0x11
	v_mul_f64_e32 v[42:43], v[60:61], v[64:65]
	v_mul_f64_e32 v[64:65], v[58:59], v[64:65]
	;; [unrolled: 3-line block ×4, first 2 shown]
	v_fma_f64 v[17:18], v[58:59], v[13:14], -v[17:18]
	v_fma_f64 v[13:14], v[60:61], v[13:14], v[15:16]
	v_fma_f64 v[15:16], v[58:59], v[62:63], -v[42:43]
	v_fma_f64 v[42:43], v[60:61], v[62:63], v[64:65]
	;; [unrolled: 2-line block ×4, first 2 shown]
	v_add_f64_e32 v[17:18], 0, v[17:18]
	v_add_f64_e32 v[13:14], 0, v[13:14]
	;; [unrolled: 1-line block ×8, first 2 shown]
	s_wait_loadcnt 0xd
	v_mul_f64_e32 v[70:71], v[3:4], v[76:77]
	v_mul_f64_e32 v[72:73], v[1:2], v[76:77]
	s_wait_loadcnt 0xc
	v_mul_f64_e32 v[76:77], v[3:4], v[80:81]
	v_mul_f64_e32 v[80:81], v[1:2], v[80:81]
	s_wait_loadcnt 0xb
	v_mul_f64_e32 v[122:123], v[3:4], v[84:85]
	v_mul_f64_e32 v[84:85], v[1:2], v[84:85]
	s_wait_loadcnt 0xa
	v_mul_f64_e32 v[124:125], v[3:4], v[88:89]
	v_mul_f64_e32 v[88:89], v[1:2], v[88:89]
	s_wait_loadcnt 0x8
	v_mul_f64_e32 v[126:127], v[7:8], v[92:93]
	v_mul_f64_e32 v[92:93], v[5:6], v[92:93]
	s_wait_loadcnt 0x7
	v_mul_f64_e32 v[128:129], v[7:8], v[96:97]
	v_mul_f64_e32 v[96:97], v[5:6], v[96:97]
	s_wait_loadcnt 0x6
	v_mul_f64_e32 v[130:131], v[7:8], v[100:101]
	v_mul_f64_e32 v[100:101], v[5:6], v[100:101]
	s_wait_loadcnt 0x5
	v_mul_f64_e32 v[132:133], v[7:8], v[104:105]
	v_mul_f64_e32 v[104:105], v[5:6], v[104:105]
	v_fma_f64 v[70:71], v[1:2], v[74:75], -v[70:71]
	v_fma_f64 v[72:73], v[3:4], v[74:75], v[72:73]
	v_fma_f64 v[74:75], v[1:2], v[78:79], -v[76:77]
	v_fma_f64 v[76:77], v[3:4], v[78:79], v[80:81]
	;; [unrolled: 2-line block ×4, first 2 shown]
	s_wait_loadcnt 0x3
	v_mul_f64_e32 v[82:83], v[11:12], v[108:109]
	v_mul_f64_e32 v[84:85], v[9:10], v[108:109]
	s_wait_loadcnt 0x2
	v_mul_f64_e32 v[86:87], v[11:12], v[112:113]
	v_mul_f64_e32 v[88:89], v[9:10], v[112:113]
	;; [unrolled: 3-line block ×4, first 2 shown]
	v_fma_f64 v[122:123], v[5:6], v[90:91], -v[126:127]
	v_fma_f64 v[90:91], v[7:8], v[90:91], v[92:93]
	v_fma_f64 v[92:93], v[5:6], v[94:95], -v[128:129]
	v_fma_f64 v[94:95], v[7:8], v[94:95], v[96:97]
	;; [unrolled: 2-line block ×4, first 2 shown]
	v_add_f64_e32 v[17:18], v[17:18], v[70:71]
	v_add_f64_e32 v[13:14], v[13:14], v[72:73]
	;; [unrolled: 1-line block ×8, first 2 shown]
	v_fma_f64 v[66:67], v[9:10], v[106:107], -v[82:83]
	v_fma_f64 v[68:69], v[11:12], v[106:107], v[84:85]
	v_fma_f64 v[70:71], v[9:10], v[110:111], -v[86:87]
	v_fma_f64 v[72:73], v[11:12], v[110:111], v[88:89]
	;; [unrolled: 2-line block ×4, first 2 shown]
	v_add_f64_e32 v[9:10], v[17:18], v[122:123]
	v_add_f64_e32 v[11:12], v[13:14], v[90:91]
	;; [unrolled: 1-line block ×16, first 2 shown]
	s_and_not1_saveexec_b32 s6, s8
	s_cbranch_execz .LBB166_14
.LBB166_40:                             ;   in Loop: Header=BB166_12 Depth=2
	s_wait_dscnt 0x0
	v_mov_b32_e32 v16, 0
	v_mov_b32_e32 v12, 0
	;; [unrolled: 1-line block ×3, first 2 shown]
	v_dual_mov_b32 v6, 0 :: v_dual_mov_b32 v17, 0
	v_dual_mov_b32 v18, 0 :: v_dual_mov_b32 v13, 0
	;; [unrolled: 1-line block ×5, first 2 shown]
	v_mov_b32_e32 v15, 0
	v_mov_b32_e32 v11, 0
	;; [unrolled: 1-line block ×3, first 2 shown]
	s_and_saveexec_b32 s7, s5
	s_cbranch_execz .LBB166_56
; %bb.41:                               ;   in Loop: Header=BB166_12 Depth=2
	s_and_not1_b32 vcc_lo, exec_lo, s65
	s_wait_alu 0xfffe
	s_cbranch_vccnz .LBB166_55
; %bb.42:                               ;   in Loop: Header=BB166_12 Depth=2
	v_dual_mov_b32 v1, v30 :: v_dual_mov_b32 v2, v31
	s_mov_b32 s8, 0
	s_mov_b32 s9, s63
.LBB166_43:                             ;   Parent Loop BB166_3 Depth=1
                                        ;     Parent Loop BB166_12 Depth=2
                                        ; =>    This Inner Loop Header: Depth=3
	global_load_b128 v[3:6], v[1:2], off
	v_add_co_u32 v1, vcc_lo, v1, s46
	s_wait_alu 0xfffd
	v_add_co_ci_u32_e64 v2, null, s47, v2, vcc_lo
	s_wait_alu 0xfffe
	s_add_co_i32 s9, s9, -1
	s_wait_loadcnt 0x0
	scratch_store_b128 off, v[3:6], s8
	s_add_co_i32 s8, s8, 16
	s_wait_alu 0xfffe
	s_cmp_eq_u32 s9, 0
	s_cbranch_scc0 .LBB166_43
; %bb.44:                               ;   in Loop: Header=BB166_12 Depth=2
	v_mov_b32_e32 v4, 0
	v_mov_b32_e32 v10, 0
	;; [unrolled: 1-line block ×3, first 2 shown]
	v_dual_mov_b32 v18, 0 :: v_dual_mov_b32 v5, 0
	v_dual_mov_b32 v6, 0 :: v_dual_mov_b32 v11, 0
	;; [unrolled: 1-line block ×5, first 2 shown]
	v_mov_b32_e32 v9, 0
	v_mov_b32_e32 v13, 0
	;; [unrolled: 1-line block ×3, first 2 shown]
	v_dual_mov_b32 v1, v32 :: v_dual_mov_b32 v2, v33
	s_mov_b32 s8, s69
	s_mov_b32 s9, s63
.LBB166_45:                             ;   Parent Loop BB166_3 Depth=1
                                        ;     Parent Loop BB166_12 Depth=2
                                        ; =>    This Inner Loop Header: Depth=3
	s_delay_alu instid0(VALU_DEP_1)
	v_add_co_u32 v42, vcc_lo, v1, s52
	s_wait_alu 0xfffd
	v_add_co_ci_u32_e64 v43, null, s53, v2, vcc_lo
	scratch_load_b128 v[58:61], off, s8 offset:-8
	v_add_co_u32 v70, vcc_lo, v42, s52
	s_wait_alu 0xfffd
	v_add_co_ci_u32_e64 v71, null, s53, v43, vcc_lo
	global_load_b128 v[62:65], v[1:2], off
	v_add_co_u32 v74, vcc_lo, v70, s52
	s_wait_alu 0xfffd
	v_add_co_ci_u32_e64 v75, null, s53, v71, vcc_lo
	v_add_co_u32 v1, vcc_lo, v1, 16
	s_clause 0x2
	global_load_b128 v[66:69], v[42:43], off
	global_load_b128 v[70:73], v[70:71], off
	;; [unrolled: 1-line block ×3, first 2 shown]
	s_wait_alu 0xfffd
	v_add_co_ci_u32_e64 v2, null, 0, v2, vcc_lo
	s_wait_alu 0xfffe
	s_add_co_i32 s9, s9, -1
	s_add_co_i32 s8, s8, 16
	s_wait_alu 0xfffe
	s_cmp_lg_u32 s9, 0
	s_wait_loadcnt 0x3
	v_mul_f64_e32 v[42:43], v[60:61], v[64:65]
	v_mul_f64_e32 v[64:65], v[58:59], v[64:65]
	s_wait_loadcnt 0x2
	v_mul_f64_e32 v[78:79], v[60:61], v[68:69]
	v_mul_f64_e32 v[68:69], v[58:59], v[68:69]
	;; [unrolled: 3-line block ×4, first 2 shown]
	v_fma_f64 v[42:43], v[58:59], v[62:63], -v[42:43]
	v_fma_f64 v[62:63], v[60:61], v[62:63], v[64:65]
	v_fma_f64 v[64:65], v[58:59], v[66:67], -v[78:79]
	v_fma_f64 v[66:67], v[60:61], v[66:67], v[68:69]
	;; [unrolled: 2-line block ×4, first 2 shown]
	v_add_f64_e32 v[6:7], v[6:7], v[42:43]
	v_add_f64_e32 v[4:5], v[4:5], v[62:63]
	;; [unrolled: 1-line block ×8, first 2 shown]
	s_cbranch_scc1 .LBB166_45
	s_branch .LBB166_56
.LBB166_46:                             ;   in Loop: Header=BB166_12 Depth=2
	ds_load_b128 v[4:7], v44
	s_wait_alu 0xfffe
	s_or_b32 exec_lo, exec_lo, s6
	s_and_saveexec_b32 s6, s1
	s_cbranch_execz .LBB166_20
.LBB166_47:                             ;   in Loop: Header=BB166_12 Depth=2
	s_wait_dscnt 0x0
	ds_bpermute_b32 v1, v55, v4
	ds_bpermute_b32 v2, v55, v5
	ds_bpermute_b32 v42, v55, v6
	ds_bpermute_b32 v43, v55, v7
	s_wait_dscnt 0x2
	v_add_f64_e32 v[1:2], v[4:5], v[1:2]
	s_wait_dscnt 0x0
	v_add_f64_e32 v[3:4], v[6:7], v[42:43]
	ds_bpermute_b32 v5, v56, v1
	ds_bpermute_b32 v6, v56, v2
	ds_bpermute_b32 v42, v56, v3
	ds_bpermute_b32 v43, v56, v4
	s_wait_dscnt 0x2
	v_add_f64_e32 v[1:2], v[1:2], v[5:6]
	s_wait_dscnt 0x0
	v_add_f64_e32 v[6:7], v[3:4], v[42:43]
	ds_bpermute_b32 v3, v57, v1
	ds_bpermute_b32 v4, v57, v2
	ds_bpermute_b32 v42, v57, v6
	ds_bpermute_b32 v43, v57, v7
	s_wait_dscnt 0x2
	v_add_f64_e32 v[4:5], v[1:2], v[3:4]
	s_wait_dscnt 0x0
	v_add_f64_e32 v[6:7], v[6:7], v[42:43]
	s_wait_alu 0xfffe
	s_or_b32 exec_lo, exec_lo, s6
	s_and_saveexec_b32 s6, s1
	s_cbranch_execnz .LBB166_21
	s_branch .LBB166_22
.LBB166_48:                             ;   in Loop: Header=BB166_12 Depth=2
	ds_load_b128 v[8:11], v44
	s_wait_alu 0xfffe
	s_or_b32 exec_lo, exec_lo, s6
	s_and_saveexec_b32 s6, s1
	s_cbranch_execz .LBB166_26
.LBB166_49:                             ;   in Loop: Header=BB166_12 Depth=2
	s_wait_dscnt 0x0
	ds_bpermute_b32 v1, v55, v8
	ds_bpermute_b32 v2, v55, v9
	ds_bpermute_b32 v42, v55, v10
	ds_bpermute_b32 v43, v55, v11
	s_wait_dscnt 0x2
	v_add_f64_e32 v[1:2], v[8:9], v[1:2]
	s_wait_dscnt 0x0
	v_add_f64_e32 v[8:9], v[10:11], v[42:43]
	ds_bpermute_b32 v10, v56, v1
	ds_bpermute_b32 v11, v56, v2
	ds_bpermute_b32 v42, v56, v8
	ds_bpermute_b32 v43, v56, v9
	s_wait_dscnt 0x2
	v_add_f64_e32 v[1:2], v[1:2], v[10:11]
	s_wait_dscnt 0x0
	v_add_f64_e32 v[10:11], v[8:9], v[42:43]
	;; [unrolled: 8-line block ×3, first 2 shown]
	s_wait_alu 0xfffe
	s_or_b32 exec_lo, exec_lo, s6
	s_and_saveexec_b32 s6, s1
	s_cbranch_execnz .LBB166_27
	s_branch .LBB166_28
.LBB166_50:                             ;   in Loop: Header=BB166_12 Depth=2
	ds_load_b128 v[12:15], v44
	s_wait_alu 0xfffe
	s_or_b32 exec_lo, exec_lo, s6
	s_and_saveexec_b32 s6, s1
	s_cbranch_execz .LBB166_32
.LBB166_51:                             ;   in Loop: Header=BB166_12 Depth=2
	s_wait_dscnt 0x0
	ds_bpermute_b32 v1, v55, v12
	ds_bpermute_b32 v2, v55, v13
	ds_bpermute_b32 v42, v55, v14
	ds_bpermute_b32 v43, v55, v15
	s_wait_dscnt 0x2
	v_add_f64_e32 v[1:2], v[12:13], v[1:2]
	s_wait_dscnt 0x0
	v_add_f64_e32 v[12:13], v[14:15], v[42:43]
	ds_bpermute_b32 v14, v56, v1
	ds_bpermute_b32 v15, v56, v2
	ds_bpermute_b32 v42, v56, v12
	ds_bpermute_b32 v43, v56, v13
	s_wait_dscnt 0x2
	v_add_f64_e32 v[1:2], v[1:2], v[14:15]
	s_wait_dscnt 0x0
	v_add_f64_e32 v[14:15], v[12:13], v[42:43]
	;; [unrolled: 8-line block ×3, first 2 shown]
	s_wait_alu 0xfffe
	s_or_b32 exec_lo, exec_lo, s6
	s_and_saveexec_b32 s6, s1
	s_cbranch_execnz .LBB166_33
	s_branch .LBB166_34
.LBB166_52:                             ;   in Loop: Header=BB166_12 Depth=2
	ds_load_b128 v[16:19], v44
	s_wait_alu 0xfffe
	s_or_b32 exec_lo, exec_lo, s6
	s_and_saveexec_b32 s6, s1
	s_cbranch_execz .LBB166_38
.LBB166_53:                             ;   in Loop: Header=BB166_12 Depth=2
	s_wait_dscnt 0x0
	ds_bpermute_b32 v1, v55, v16
	ds_bpermute_b32 v2, v55, v17
	ds_bpermute_b32 v42, v55, v18
	ds_bpermute_b32 v43, v55, v19
	s_wait_dscnt 0x2
	v_add_f64_e32 v[1:2], v[16:17], v[1:2]
	s_wait_dscnt 0x0
	v_add_f64_e32 v[16:17], v[18:19], v[42:43]
	ds_bpermute_b32 v18, v56, v1
	ds_bpermute_b32 v19, v56, v2
	ds_bpermute_b32 v42, v56, v16
	ds_bpermute_b32 v43, v56, v17
	s_wait_dscnt 0x2
	v_add_f64_e32 v[1:2], v[1:2], v[18:19]
	s_wait_dscnt 0x0
	v_add_f64_e32 v[18:19], v[16:17], v[42:43]
	;; [unrolled: 8-line block ×3, first 2 shown]
	s_wait_alu 0xfffe
	s_or_b32 exec_lo, exec_lo, s6
	s_and_saveexec_b32 s6, s0
	s_cbranch_execz .LBB166_11
.LBB166_54:                             ;   in Loop: Header=BB166_12 Depth=2
	v_mul_f64_e32 v[1:2], s[14:15], v[6:7]
	v_mul_f64_e32 v[6:7], s[12:13], v[6:7]
	;; [unrolled: 1-line block ×6, first 2 shown]
	s_wait_dscnt 0x0
	v_mul_f64_e32 v[60:61], s[14:15], v[18:19]
	v_mul_f64_e32 v[18:19], s[12:13], v[18:19]
	s_or_b32 s70, s26, 1
	s_mov_b32 s71, s27
	s_mul_u64 s[8:9], s[26:27], s[34:35]
	s_or_b32 s72, s26, 2
	s_mov_b32 s73, s27
	s_or_b32 s74, s26, 3
	s_mov_b32 s75, s27
	s_wait_alu 0xfffe
	s_mul_u64 s[70:71], s[70:71], s[34:35]
	s_mul_u64 s[72:73], s[72:73], s[34:35]
	;; [unrolled: 1-line block ×3, first 2 shown]
	s_lshl_b64 s[8:9], s[8:9], 4
	s_wait_alu 0xfffe
	s_lshl_b64 s[70:71], s[70:71], 4
	s_add_nc_u64 s[8:9], s[54:55], s[8:9]
	s_lshl_b64 s[72:73], s[72:73], 4
	s_lshl_b64 s[74:75], s[74:75], 4
	s_wait_alu 0xfffe
	s_add_nc_u64 s[70:71], s[54:55], s[70:71]
	s_add_nc_u64 s[72:73], s[54:55], s[72:73]
	;; [unrolled: 1-line block ×3, first 2 shown]
	v_fma_f64 v[1:2], s[12:13], v[4:5], -v[1:2]
	v_fma_f64 v[3:4], s[14:15], v[4:5], v[6:7]
	v_fma_f64 v[5:6], s[12:13], v[8:9], -v[42:43]
	v_fma_f64 v[7:8], s[14:15], v[8:9], v[10:11]
	;; [unrolled: 2-line block ×4, first 2 shown]
	s_clause 0x3
	global_store_b128 v0, v[1:4], s[8:9]
	global_store_b128 v0, v[5:8], s[70:71]
	;; [unrolled: 1-line block ×4, first 2 shown]
	s_branch .LBB166_11
.LBB166_55:                             ;   in Loop: Header=BB166_12 Depth=2
	v_mov_b32_e32 v16, 0
	v_mov_b32_e32 v12, 0
	v_mov_b32_e32 v8, 0
	v_dual_mov_b32 v6, 0 :: v_dual_mov_b32 v17, 0
	v_dual_mov_b32 v18, 0 :: v_dual_mov_b32 v13, 0
	;; [unrolled: 1-line block ×5, first 2 shown]
	v_mov_b32_e32 v15, 0
	v_mov_b32_e32 v11, 0
	;; [unrolled: 1-line block ×3, first 2 shown]
.LBB166_56:                             ;   in Loop: Header=BB166_12 Depth=2
	s_wait_alu 0xfffe
	s_or_b32 exec_lo, exec_lo, s7
	s_delay_alu instid0(SALU_CYCLE_1)
	s_or_b32 exec_lo, exec_lo, s6
	s_and_saveexec_b32 s6, s1
	s_cbranch_execnz .LBB166_15
	s_branch .LBB166_16
.LBB166_57:                             ;   in Loop: Header=BB166_3 Depth=1
	s_mov_b32 s26, 0
.LBB166_58:                             ;   in Loop: Header=BB166_3 Depth=1
	s_delay_alu instid0(SALU_CYCLE_1)
	s_cmp_ge_i32 s26, s31
	s_cbranch_scc1 .LBB166_2
; %bb.59:                               ;   in Loop: Header=BB166_3 Depth=1
	v_cmp_gt_u32_e32 vcc_lo, 24, v50
	s_mul_u64 s[6:7], s[52:53], s[26:27]
	s_wait_alu 0xfffe
	s_add_nc_u64 s[6:7], s[6:7], s[56:57]
	s_wait_alu 0xfffd
	v_cndmask_b32_e64 v1, 0, 8, vcc_lo
	v_cmp_gt_u32_e32 vcc_lo, 28, v50
	s_wait_dscnt 0x0
	s_delay_alu instid0(VALU_DEP_2) | instskip(SKIP_3) | instid1(VALU_DEP_2)
	v_add_lshl_u32 v19, v1, v50, 2
	s_wait_alu 0xfffd
	v_cndmask_b32_e64 v2, 0, 4, vcc_lo
	v_cmp_gt_u32_e32 vcc_lo, 30, v50
	v_add_lshl_u32 v32, v2, v50, 2
	s_wait_alu 0xfffd
	v_cndmask_b32_e64 v3, 0, 2, vcc_lo
	v_cmp_ne_u32_e32 vcc_lo, 31, v50
	s_delay_alu instid0(VALU_DEP_2)
	v_add_lshl_u32 v33, v3, v50, 2
	s_wait_alu 0xfffd
	v_add_co_ci_u32_e64 v4, null, 0, v50, vcc_lo
	v_add_co_u32 v5, vcc_lo, s58, v20
	s_wait_alu 0xfffd
	v_add_co_ci_u32_e64 v6, null, s59, v21, vcc_lo
	v_add_co_u32 v7, vcc_lo, s58, v24
	;; [unrolled: 3-line block ×4, first 2 shown]
	s_wait_alu 0xfffd
	v_add_co_ci_u32_e64 v12, null, s59, v29, vcc_lo
	s_wait_alu 0xfffe
	v_add_co_u32 v13, vcc_lo, v48, s6
	v_lshlrev_b32_e32 v34, 2, v4
	s_wait_alu 0xfffd
	v_add_co_ci_u32_e64 v14, null, s7, v49, vcc_lo
	s_branch .LBB166_61
.LBB166_60:                             ;   in Loop: Header=BB166_61 Depth=2
	s_wait_alu 0xfffe
	s_or_b32 exec_lo, exec_lo, s6
	v_add_co_u32 v13, vcc_lo, v13, s52
	s_wait_alu 0xfffd
	v_add_co_ci_u32_e64 v14, null, s53, v14, vcc_lo
	s_add_co_i32 s26, s26, 1
	s_delay_alu instid0(SALU_CYCLE_1)
	s_cmp_lt_i32 s26, s31
	s_cbranch_scc0 .LBB166_2
.LBB166_61:                             ;   Parent Loop BB166_3 Depth=1
                                        ; =>  This Loop Header: Depth=2
                                        ;       Child Loop BB166_73 Depth 3
                                        ;       Child Loop BB166_75 Depth 3
                                        ; implicit-def: $vgpr15_vgpr16
                                        ; implicit-def: $vgpr17_vgpr18
	s_and_saveexec_b32 s6, s4
	s_wait_alu 0xfffe
	s_xor_b32 s6, exec_lo, s6
	s_cbranch_execnz .LBB166_70
; %bb.62:                               ;   in Loop: Header=BB166_61 Depth=2
	s_wait_alu 0xfffe
	s_and_not1_saveexec_b32 s6, s6
	s_cbranch_execnz .LBB166_71
.LBB166_63:                             ;   in Loop: Header=BB166_61 Depth=2
	s_wait_alu 0xfffe
	s_or_b32 exec_lo, exec_lo, s6
	s_and_saveexec_b32 s6, s1
	s_cbranch_execz .LBB166_65
.LBB166_64:                             ;   in Loop: Header=BB166_61 Depth=2
	s_wait_dscnt 0x0
	v_dual_mov_b32 v1, v0 :: v_dual_mov_b32 v2, v0
	v_mov_b32_e32 v3, v0
	ds_store_b128 v44, v[0:3]
.LBB166_65:                             ;   in Loop: Header=BB166_61 Depth=2
	s_wait_alu 0xfffe
	s_or_b32 exec_lo, exec_lo, s6
	s_wait_dscnt 0x0
	ds_bpermute_b32 v1, v51, v15
	ds_bpermute_b32 v2, v51, v16
	;; [unrolled: 1-line block ×4, first 2 shown]
	s_wait_storecnt 0x0
	s_wait_loadcnt_dscnt 0x0
	s_barrier_signal -1
	s_barrier_wait -1
	global_inv scope:SCOPE_SE
	v_add_f64_e32 v[1:2], v[15:16], v[1:2]
	v_add_f64_e32 v[3:4], v[17:18], v[3:4]
	ds_bpermute_b32 v15, v19, v1
	ds_bpermute_b32 v16, v19, v2
	ds_bpermute_b32 v17, v19, v3
	ds_bpermute_b32 v18, v19, v4
	s_wait_dscnt 0x2
	v_add_f64_e32 v[1:2], v[1:2], v[15:16]
	s_wait_dscnt 0x0
	v_add_f64_e32 v[3:4], v[3:4], v[17:18]
	ds_bpermute_b32 v15, v32, v1
	ds_bpermute_b32 v16, v32, v2
	ds_bpermute_b32 v17, v32, v3
	ds_bpermute_b32 v18, v32, v4
	s_wait_dscnt 0x2
	v_add_f64_e32 v[1:2], v[1:2], v[15:16]
	s_wait_dscnt 0x0
	;; [unrolled: 8-line block ×3, first 2 shown]
	v_add_f64_e32 v[15:16], v[3:4], v[17:18]
	ds_bpermute_b32 v3, v34, v1
	ds_bpermute_b32 v4, v34, v2
	;; [unrolled: 1-line block ×4, first 2 shown]
	s_and_saveexec_b32 s6, s3
	s_cbranch_execz .LBB166_67
; %bb.66:                               ;   in Loop: Header=BB166_61 Depth=2
	s_wait_dscnt 0x0
	v_add_f64_e32 v[17:18], v[15:16], v[17:18]
	v_add_f64_e32 v[15:16], v[1:2], v[3:4]
	ds_store_b128 v45, v[15:18]
.LBB166_67:                             ;   in Loop: Header=BB166_61 Depth=2
	s_wait_alu 0xfffe
	s_or_b32 exec_lo, exec_lo, s6
	s_wait_dscnt 0x2
	v_mov_b32_e32 v3, 0
	v_dual_mov_b32 v4, 0 :: v_dual_mov_b32 v1, 0
	v_mov_b32_e32 v2, 0
	s_wait_loadcnt_dscnt 0x0
	s_barrier_signal -1
	s_barrier_wait -1
	global_inv scope:SCOPE_SE
	s_and_saveexec_b32 s6, s2
	s_cbranch_execnz .LBB166_77
; %bb.68:                               ;   in Loop: Header=BB166_61 Depth=2
	s_wait_alu 0xfffe
	s_or_b32 exec_lo, exec_lo, s6
	s_and_saveexec_b32 s6, s1
	s_cbranch_execnz .LBB166_78
.LBB166_69:                             ;   in Loop: Header=BB166_61 Depth=2
	s_wait_alu 0xfffe
	s_or_b32 exec_lo, exec_lo, s6
	s_and_saveexec_b32 s6, s0
	s_cbranch_execz .LBB166_60
	s_branch .LBB166_79
.LBB166_70:                             ;   in Loop: Header=BB166_61 Depth=2
	s_wait_dscnt 0x0
	s_clause 0x2
	global_load_b128 v[1:4], v[7:8], off
	global_load_b128 v[15:18], v[9:10], off
	;; [unrolled: 1-line block ×3, first 2 shown]
	s_mul_u64 s[8:9], s[26:27], s[28:29]
	s_wait_alu 0xfffe
	s_lshl_b64 s[8:9], s[8:9], 4
	s_wait_alu 0xfffe
	v_add_co_u32 v66, vcc_lo, v52, s8
	s_wait_alu 0xfffd
	v_add_co_ci_u32_e64 v67, null, s9, v53, vcc_lo
	global_load_b128 v[39:42], v[5:6], off
	s_clause 0x1
	global_load_b128 v[54:57], v[66:67], off
	global_load_b128 v[58:61], v[66:67], off offset:16
	s_wait_loadcnt 0x5
	scratch_store_b128 off, v[1:4], s66
	s_wait_loadcnt 0x4
	scratch_store_b128 off, v[15:18], s67
	s_clause 0x1
	scratch_load_b128 v[1:4], off, off offset:16
	scratch_load_b128 v[15:18], off, off offset:32
	s_clause 0x1
	global_load_b128 v[62:65], v[66:67], off offset:32
	global_load_b128 v[66:69], v[66:67], off offset:48
	s_wait_loadcnt 0x7
	scratch_store_b128 off, v[35:38], s68
	scratch_load_b128 v[35:38], off, off offset:48
	s_wait_loadcnt 0x7
	scratch_store_b128 off, v[39:42], off
	s_wait_loadcnt 0x6
	v_mul_f64_e32 v[70:71], v[56:57], v[41:42]
	v_mul_f64_e32 v[72:73], v[54:55], v[41:42]
	s_delay_alu instid0(VALU_DEP_2) | instskip(NEXT) | instid1(VALU_DEP_2)
	v_fma_f64 v[54:55], v[54:55], v[39:40], -v[70:71]
	v_fma_f64 v[56:57], v[56:57], v[39:40], v[72:73]
	s_delay_alu instid0(VALU_DEP_2) | instskip(NEXT) | instid1(VALU_DEP_2)
	v_add_f64_e32 v[54:55], 0, v[54:55]
	v_add_f64_e32 v[56:57], 0, v[56:57]
	s_wait_loadcnt 0x4
	v_mul_f64_e32 v[70:71], v[60:61], v[3:4]
	v_mul_f64_e32 v[3:4], v[58:59], v[3:4]
	s_wait_loadcnt 0x2
	v_mul_f64_e32 v[72:73], v[64:65], v[17:18]
	v_mul_f64_e32 v[17:18], v[62:63], v[17:18]
	s_delay_alu instid0(VALU_DEP_4) | instskip(NEXT) | instid1(VALU_DEP_4)
	v_fma_f64 v[58:59], v[58:59], v[1:2], -v[70:71]
	v_fma_f64 v[1:2], v[60:61], v[1:2], v[3:4]
	s_wait_loadcnt 0x0
	v_mul_f64_e32 v[3:4], v[68:69], v[37:38]
	v_mul_f64_e32 v[37:38], v[66:67], v[37:38]
	v_fma_f64 v[60:61], v[62:63], v[15:16], -v[72:73]
	v_fma_f64 v[15:16], v[64:65], v[15:16], v[17:18]
	v_add_f64_e32 v[17:18], v[54:55], v[58:59]
	v_add_f64_e32 v[1:2], v[56:57], v[1:2]
	v_fma_f64 v[3:4], v[66:67], v[35:36], -v[3:4]
	v_fma_f64 v[35:36], v[68:69], v[35:36], v[37:38]
	s_delay_alu instid0(VALU_DEP_4) | instskip(NEXT) | instid1(VALU_DEP_4)
	v_add_f64_e32 v[17:18], v[17:18], v[60:61]
	v_add_f64_e32 v[1:2], v[1:2], v[15:16]
	s_delay_alu instid0(VALU_DEP_2) | instskip(NEXT) | instid1(VALU_DEP_2)
	v_add_f64_e32 v[15:16], v[17:18], v[3:4]
	v_add_f64_e32 v[17:18], v[1:2], v[35:36]
	s_and_not1_saveexec_b32 s6, s6
	s_cbranch_execz .LBB166_63
.LBB166_71:                             ;   in Loop: Header=BB166_61 Depth=2
	v_mov_b32_e32 v15, 0
	v_dual_mov_b32 v16, 0 :: v_dual_mov_b32 v17, 0
	v_mov_b32_e32 v18, 0
	s_and_saveexec_b32 s7, s30
	s_cbranch_execz .LBB166_76
; %bb.72:                               ;   in Loop: Header=BB166_61 Depth=2
	s_wait_dscnt 0x0
	v_dual_mov_b32 v1, v30 :: v_dual_mov_b32 v2, v31
	s_mov_b32 s8, 0
	s_mov_b32 s9, s63
.LBB166_73:                             ;   Parent Loop BB166_3 Depth=1
                                        ;     Parent Loop BB166_61 Depth=2
                                        ; =>    This Inner Loop Header: Depth=3
	global_load_b128 v[15:18], v[1:2], off
	v_add_co_u32 v1, vcc_lo, v1, s46
	s_wait_alu 0xfffd
	v_add_co_ci_u32_e64 v2, null, s47, v2, vcc_lo
	s_wait_alu 0xfffe
	s_add_co_i32 s9, s9, -1
	s_wait_loadcnt 0x0
	scratch_store_b128 off, v[15:18], s8
	s_add_co_i32 s8, s8, 16
	s_wait_alu 0xfffe
	s_cmp_eq_u32 s9, 0
	s_cbranch_scc0 .LBB166_73
; %bb.74:                               ;   in Loop: Header=BB166_61 Depth=2
	v_mov_b32_e32 v15, 0
	v_dual_mov_b32 v16, 0 :: v_dual_mov_b32 v17, 0
	v_dual_mov_b32 v18, 0 :: v_dual_mov_b32 v1, v13
	v_mov_b32_e32 v2, v14
	s_mov_b32 s8, s69
	s_mov_b32 s9, s63
.LBB166_75:                             ;   Parent Loop BB166_3 Depth=1
                                        ;     Parent Loop BB166_61 Depth=2
                                        ; =>    This Inner Loop Header: Depth=3
	global_load_b128 v[35:38], v[1:2], off offset:-8
	scratch_load_b128 v[39:42], off, s8 offset:-8
	v_add_co_u32 v1, vcc_lo, v1, 16
	s_wait_alu 0xfffd
	v_add_co_ci_u32_e64 v2, null, 0, v2, vcc_lo
	s_wait_alu 0xfffe
	s_add_co_i32 s9, s9, -1
	s_add_co_i32 s8, s8, 16
	s_wait_alu 0xfffe
	s_cmp_lg_u32 s9, 0
	s_wait_loadcnt 0x0
	v_mul_f64_e32 v[3:4], v[37:38], v[41:42]
	v_mul_f64_e32 v[41:42], v[35:36], v[41:42]
	s_delay_alu instid0(VALU_DEP_2) | instskip(NEXT) | instid1(VALU_DEP_2)
	v_fma_f64 v[3:4], v[35:36], v[39:40], -v[3:4]
	v_fma_f64 v[35:36], v[37:38], v[39:40], v[41:42]
	s_delay_alu instid0(VALU_DEP_2) | instskip(NEXT) | instid1(VALU_DEP_2)
	v_add_f64_e32 v[15:16], v[15:16], v[3:4]
	v_add_f64_e32 v[17:18], v[17:18], v[35:36]
	s_cbranch_scc1 .LBB166_75
.LBB166_76:                             ;   in Loop: Header=BB166_61 Depth=2
	s_wait_alu 0xfffe
	s_or_b32 exec_lo, exec_lo, s7
	s_delay_alu instid0(SALU_CYCLE_1)
	s_or_b32 exec_lo, exec_lo, s6
	s_and_saveexec_b32 s6, s1
	s_cbranch_execnz .LBB166_64
	s_branch .LBB166_65
.LBB166_77:                             ;   in Loop: Header=BB166_61 Depth=2
	ds_load_b128 v[1:4], v44
	s_wait_alu 0xfffe
	s_or_b32 exec_lo, exec_lo, s6
	s_and_saveexec_b32 s6, s1
	s_cbranch_execz .LBB166_69
.LBB166_78:                             ;   in Loop: Header=BB166_61 Depth=2
	s_wait_dscnt 0x0
	ds_bpermute_b32 v15, v32, v1
	ds_bpermute_b32 v16, v32, v2
	ds_bpermute_b32 v17, v32, v3
	ds_bpermute_b32 v18, v32, v4
	s_wait_dscnt 0x2
	v_add_f64_e32 v[1:2], v[1:2], v[15:16]
	s_wait_dscnt 0x0
	v_add_f64_e32 v[3:4], v[3:4], v[17:18]
	ds_bpermute_b32 v15, v33, v1
	ds_bpermute_b32 v16, v33, v2
	ds_bpermute_b32 v17, v33, v3
	ds_bpermute_b32 v18, v33, v4
	s_wait_dscnt 0x2
	v_add_f64_e32 v[1:2], v[1:2], v[15:16]
	s_wait_dscnt 0x0
	v_add_f64_e32 v[3:4], v[3:4], v[17:18]
	ds_bpermute_b32 v15, v34, v1
	ds_bpermute_b32 v16, v34, v2
	ds_bpermute_b32 v17, v34, v3
	ds_bpermute_b32 v18, v34, v4
	s_wait_dscnt 0x2
	v_add_f64_e32 v[1:2], v[1:2], v[15:16]
	s_wait_dscnt 0x0
	v_add_f64_e32 v[3:4], v[3:4], v[17:18]
	s_wait_alu 0xfffe
	s_or_b32 exec_lo, exec_lo, s6
	s_and_saveexec_b32 s6, s0
	s_cbranch_execz .LBB166_60
.LBB166_79:                             ;   in Loop: Header=BB166_61 Depth=2
	s_wait_dscnt 0x0
	s_delay_alu instid0(VALU_DEP_1)
	v_mul_f64_e32 v[15:16], s[14:15], v[3:4]
	v_mul_f64_e32 v[3:4], s[12:13], v[3:4]
	s_mul_u64 s[8:9], s[26:27], s[34:35]
	s_wait_alu 0xfffe
	s_lshl_b64 s[8:9], s[8:9], 4
	s_wait_alu 0xfffe
	s_add_nc_u64 s[8:9], s[54:55], s[8:9]
	s_delay_alu instid0(VALU_DEP_2) | instskip(NEXT) | instid1(VALU_DEP_2)
	v_fma_f64 v[15:16], s[12:13], v[1:2], -v[15:16]
	v_fma_f64 v[17:18], s[14:15], v[1:2], v[3:4]
	global_store_b128 v0, v[15:18], s[8:9]
	s_branch .LBB166_60
.LBB166_80:
	s_nop 0
	s_sendmsg sendmsg(MSG_DEALLOC_VGPRS)
	s_endpgm
	.section	.rodata,"a",@progbits
	.p2align	6, 0x0
	.amdhsa_kernel _ZL23rocblas_gemvt_sn_kernelILb0ELi256ELi4El19rocblas_complex_numIdES1_S1_EviiT4_lPKT3_lilS5_lilPT5_i
		.amdhsa_group_segment_fixed_size 512
		.amdhsa_private_segment_fixed_size 80
		.amdhsa_kernarg_size 368
		.amdhsa_user_sgpr_count 2
		.amdhsa_user_sgpr_dispatch_ptr 0
		.amdhsa_user_sgpr_queue_ptr 0
		.amdhsa_user_sgpr_kernarg_segment_ptr 1
		.amdhsa_user_sgpr_dispatch_id 0
		.amdhsa_user_sgpr_private_segment_size 0
		.amdhsa_wavefront_size32 1
		.amdhsa_uses_dynamic_stack 0
		.amdhsa_enable_private_segment 1
		.amdhsa_system_sgpr_workgroup_id_x 1
		.amdhsa_system_sgpr_workgroup_id_y 0
		.amdhsa_system_sgpr_workgroup_id_z 1
		.amdhsa_system_sgpr_workgroup_info 0
		.amdhsa_system_vgpr_workitem_id 0
		.amdhsa_next_free_vgpr 134
		.amdhsa_next_free_sgpr 76
		.amdhsa_reserve_vcc 1
		.amdhsa_float_round_mode_32 0
		.amdhsa_float_round_mode_16_64 0
		.amdhsa_float_denorm_mode_32 3
		.amdhsa_float_denorm_mode_16_64 3
		.amdhsa_fp16_overflow 0
		.amdhsa_workgroup_processor_mode 1
		.amdhsa_memory_ordered 1
		.amdhsa_forward_progress 1
		.amdhsa_inst_pref_size 56
		.amdhsa_round_robin_scheduling 0
		.amdhsa_exception_fp_ieee_invalid_op 0
		.amdhsa_exception_fp_denorm_src 0
		.amdhsa_exception_fp_ieee_div_zero 0
		.amdhsa_exception_fp_ieee_overflow 0
		.amdhsa_exception_fp_ieee_underflow 0
		.amdhsa_exception_fp_ieee_inexact 0
		.amdhsa_exception_int_div_zero 0
	.end_amdhsa_kernel
	.section	.text._ZL23rocblas_gemvt_sn_kernelILb0ELi256ELi4El19rocblas_complex_numIdES1_S1_EviiT4_lPKT3_lilS5_lilPT5_i,"axG",@progbits,_ZL23rocblas_gemvt_sn_kernelILb0ELi256ELi4El19rocblas_complex_numIdES1_S1_EviiT4_lPKT3_lilS5_lilPT5_i,comdat
.Lfunc_end166:
	.size	_ZL23rocblas_gemvt_sn_kernelILb0ELi256ELi4El19rocblas_complex_numIdES1_S1_EviiT4_lPKT3_lilS5_lilPT5_i, .Lfunc_end166-_ZL23rocblas_gemvt_sn_kernelILb0ELi256ELi4El19rocblas_complex_numIdES1_S1_EviiT4_lPKT3_lilS5_lilPT5_i
                                        ; -- End function
	.set _ZL23rocblas_gemvt_sn_kernelILb0ELi256ELi4El19rocblas_complex_numIdES1_S1_EviiT4_lPKT3_lilS5_lilPT5_i.num_vgpr, 134
	.set _ZL23rocblas_gemvt_sn_kernelILb0ELi256ELi4El19rocblas_complex_numIdES1_S1_EviiT4_lPKT3_lilS5_lilPT5_i.num_agpr, 0
	.set _ZL23rocblas_gemvt_sn_kernelILb0ELi256ELi4El19rocblas_complex_numIdES1_S1_EviiT4_lPKT3_lilS5_lilPT5_i.numbered_sgpr, 76
	.set _ZL23rocblas_gemvt_sn_kernelILb0ELi256ELi4El19rocblas_complex_numIdES1_S1_EviiT4_lPKT3_lilS5_lilPT5_i.num_named_barrier, 0
	.set _ZL23rocblas_gemvt_sn_kernelILb0ELi256ELi4El19rocblas_complex_numIdES1_S1_EviiT4_lPKT3_lilS5_lilPT5_i.private_seg_size, 80
	.set _ZL23rocblas_gemvt_sn_kernelILb0ELi256ELi4El19rocblas_complex_numIdES1_S1_EviiT4_lPKT3_lilS5_lilPT5_i.uses_vcc, 1
	.set _ZL23rocblas_gemvt_sn_kernelILb0ELi256ELi4El19rocblas_complex_numIdES1_S1_EviiT4_lPKT3_lilS5_lilPT5_i.uses_flat_scratch, 1
	.set _ZL23rocblas_gemvt_sn_kernelILb0ELi256ELi4El19rocblas_complex_numIdES1_S1_EviiT4_lPKT3_lilS5_lilPT5_i.has_dyn_sized_stack, 0
	.set _ZL23rocblas_gemvt_sn_kernelILb0ELi256ELi4El19rocblas_complex_numIdES1_S1_EviiT4_lPKT3_lilS5_lilPT5_i.has_recursion, 0
	.set _ZL23rocblas_gemvt_sn_kernelILb0ELi256ELi4El19rocblas_complex_numIdES1_S1_EviiT4_lPKT3_lilS5_lilPT5_i.has_indirect_call, 0
	.section	.AMDGPU.csdata,"",@progbits
; Kernel info:
; codeLenInByte = 7116
; TotalNumSgprs: 78
; NumVgprs: 134
; ScratchSize: 80
; MemoryBound: 0
; FloatMode: 240
; IeeeMode: 1
; LDSByteSize: 512 bytes/workgroup (compile time only)
; SGPRBlocks: 0
; VGPRBlocks: 16
; NumSGPRsForWavesPerEU: 78
; NumVGPRsForWavesPerEU: 134
; Occupancy: 10
; WaveLimiterHint : 1
; COMPUTE_PGM_RSRC2:SCRATCH_EN: 1
; COMPUTE_PGM_RSRC2:USER_SGPR: 2
; COMPUTE_PGM_RSRC2:TRAP_HANDLER: 0
; COMPUTE_PGM_RSRC2:TGID_X_EN: 1
; COMPUTE_PGM_RSRC2:TGID_Y_EN: 0
; COMPUTE_PGM_RSRC2:TGID_Z_EN: 1
; COMPUTE_PGM_RSRC2:TIDIG_COMP_CNT: 0
	.section	.text._ZL23rocblas_gemvt_sn_reduceILi256ELi8E19rocblas_complex_numIdES1_S1_EviT2_lPT3_lilPT1_i,"axG",@progbits,_ZL23rocblas_gemvt_sn_reduceILi256ELi8E19rocblas_complex_numIdES1_S1_EviT2_lPT3_lilPT1_i,comdat
	.globl	_ZL23rocblas_gemvt_sn_reduceILi256ELi8E19rocblas_complex_numIdES1_S1_EviT2_lPT3_lilPT1_i ; -- Begin function _ZL23rocblas_gemvt_sn_reduceILi256ELi8E19rocblas_complex_numIdES1_S1_EviT2_lPT3_lilPT1_i
	.p2align	8
	.type	_ZL23rocblas_gemvt_sn_reduceILi256ELi8E19rocblas_complex_numIdES1_S1_EviT2_lPT3_lilPT1_i,@function
_ZL23rocblas_gemvt_sn_reduceILi256ELi8E19rocblas_complex_numIdES1_S1_EviT2_lPT3_lilPT1_i: ; @_ZL23rocblas_gemvt_sn_reduceILi256ELi8E19rocblas_complex_numIdES1_S1_EviT2_lPT3_lilPT1_i
; %bb.0:
	s_load_b32 s28, s[0:1], 0x48
	s_lshr_b32 s16, ttmp7, 16
	s_wait_kmcnt 0x0
	s_cmp_ge_u32 s16, s28
	s_cbranch_scc1 .LBB167_21
; %bb.1:
	s_clause 0x6
	s_load_b128 s[8:11], s[0:1], 0x8
	s_load_b32 s18, s[0:1], 0x0
	s_load_b128 s[4:7], s[0:1], 0x20
	s_load_b32 s24, s[0:1], 0x30
	;; [unrolled: 2-line block ×3, first 2 shown]
	s_load_b32 s22, s[0:1], 0x5c
	v_mbcnt_lo_u32_b32 v4, -1, 0
	v_lshlrev_b32_e32 v6, 7, v0
	v_dual_mov_b32 v1, 0 :: v_dual_lshlrev_b32 v14, 3, v0
	v_and_b32_e32 v2, 31, v0
	s_delay_alu instid0(VALU_DEP_4)
	v_cmp_gt_u32_e32 vcc_lo, 24, v4
	v_lshrrev_b32_e32 v5, 1, v0
	v_lshl_or_b32 v16, v4, 2, 64
	v_mov_b32_e32 v3, v1
	v_lshlrev_b32_e32 v15, 4, v2
	v_cndmask_b32_e64 v7, 0, 8, vcc_lo
	v_cmp_gt_u32_e32 vcc_lo, 28, v4
	v_cmp_eq_u32_e64 s3, 0, v2
	s_wait_kmcnt 0x0
	v_cmp_neq_f64_e64 s26, s[8:9], 0
	v_cmp_neq_f64_e64 s27, s[10:11], 0
	s_ashr_i32 s19, s18, 31
	s_wait_alu 0xfffd
	v_cndmask_b32_e64 v8, 0, 4, vcc_lo
	v_cmp_gt_u32_e32 vcc_lo, 30, v4
	v_add_lshl_u32 v18, v7, v4, 2
	s_lshl_b64 s[6:7], s[6:7], 4
	s_and_b32 s35, s22, 0xffff
	v_add_lshl_u32 v19, v8, v4, 2
	s_wait_alu 0xfffd
	v_cndmask_b32_e64 v9, 0, 2, vcc_lo
	v_cmp_ne_u32_e32 vcc_lo, 31, v4
	s_lshr_b32 s30, s19, 29
	v_and_b32_e32 v17, 0x70, v5
	v_xad_u32 v2, v0, -1, s18
	v_add_lshl_u32 v20, v9, v4, 2
	s_wait_alu 0xfffd
	v_add_co_ci_u32_e64 v10, null, 0, v4, vcc_lo
	v_add_co_u32 v4, s22, s14, v6
	s_delay_alu instid0(VALU_DEP_1)
	v_add_co_ci_u32_e64 v5, null, s15, 0, s22
	s_add_nc_u64 s[22:23], s[4:5], s[6:7]
	s_add_co_i32 s4, s18, s30
	s_mov_b32 s17, 0
	s_and_b32 s31, s4, -8
	v_add_co_u32 v6, vcc_lo, 0x78, v4
	s_sub_co_i32 s5, s18, s31
	s_and_b32 s20, ttmp7, 0xffff
	s_mov_b32 s21, s17
	s_ashr_i32 s25, s24, 31
	v_lshlrev_b64_e32 v[8:9], 4, v[2:3]
	v_cmp_gt_u32_e64 s0, 32, v0
	v_cmp_gt_u32_e64 s1, 8, v0
	v_cmp_eq_u32_e64 s2, 0, v0
	v_lshlrev_b32_e32 v21, 2, v10
	v_cmp_gt_i32_e64 s4, s31, v14
	v_cmp_gt_u32_e64 s5, s5, v0
	s_wait_alu 0xfffd
	v_add_co_ci_u32_e64 v7, null, 0, v5, vcc_lo
	s_mul_u64 s[6:7], s[24:25], s[20:21]
	s_or_b32 s21, s26, s27
	s_mul_i32 s26, s16, s29
	s_lshl_b32 s30, s35, 3
	s_lshl_b64 s[24:25], s[18:19], 4
	s_add_co_i32 s33, s20, s26
	s_lshl_b32 s34, s29, 16
	s_lshl_b32 s35, s35, 7
	s_lshl_b64 s[26:27], s[6:7], 4
	s_branch .LBB167_4
.LBB167_2:                              ;   in Loop: Header=BB167_4 Depth=1
	s_wait_dscnt 0x0
	global_store_b128 v1, v[2:5], s[6:7]
.LBB167_3:                              ;   in Loop: Header=BB167_4 Depth=1
	s_wait_alu 0xfffe
	s_or_b32 exec_lo, exec_lo, s36
	s_add_co_i32 s16, s16, 0x10000
	s_add_co_i32 s33, s33, s34
	s_cmp_lt_u32 s16, s28
	s_cbranch_scc0 .LBB167_21
.LBB167_4:                              ; =>This Loop Header: Depth=1
                                        ;     Child Loop BB167_14 Depth 2
	v_mov_b32_e32 v10, 0
	v_dual_mov_b32 v11, 0 :: v_dual_mov_b32 v12, 0
	v_mov_b32_e32 v13, 0
	s_and_saveexec_b32 s7, s4
	s_cbranch_execnz .LBB167_13
; %bb.5:                                ;   in Loop: Header=BB167_4 Depth=1
	s_wait_alu 0xfffe
	s_or_b32 exec_lo, exec_lo, s7
	s_and_saveexec_b32 s6, s5
	s_cbranch_execnz .LBB167_16
.LBB167_6:                              ;   in Loop: Header=BB167_4 Depth=1
	s_wait_alu 0xfffe
	s_or_b32 exec_lo, exec_lo, s6
	s_and_saveexec_b32 s6, s0
	s_cbranch_execz .LBB167_8
.LBB167_7:                              ;   in Loop: Header=BB167_4 Depth=1
	s_wait_dscnt 0x0
	v_dual_mov_b32 v2, v1 :: v_dual_mov_b32 v3, v1
	v_mov_b32_e32 v4, v1
	ds_store_b128 v15, v[1:4]
.LBB167_8:                              ;   in Loop: Header=BB167_4 Depth=1
	s_wait_alu 0xfffe
	s_or_b32 exec_lo, exec_lo, s6
	s_wait_dscnt 0x0
	ds_bpermute_b32 v2, v16, v12
	ds_bpermute_b32 v3, v16, v13
	;; [unrolled: 1-line block ×4, first 2 shown]
	s_wait_dscnt 0x0
	s_barrier_signal -1
	s_barrier_wait -1
	global_inv scope:SCOPE_SE
	v_add_f64_e32 v[2:3], v[12:13], v[2:3]
	v_add_f64_e32 v[4:5], v[10:11], v[4:5]
	ds_bpermute_b32 v10, v18, v2
	ds_bpermute_b32 v11, v18, v3
	ds_bpermute_b32 v12, v18, v4
	ds_bpermute_b32 v13, v18, v5
	s_wait_dscnt 0x2
	v_add_f64_e32 v[2:3], v[2:3], v[10:11]
	s_wait_dscnt 0x0
	v_add_f64_e32 v[4:5], v[4:5], v[12:13]
	ds_bpermute_b32 v10, v19, v2
	ds_bpermute_b32 v11, v19, v3
	ds_bpermute_b32 v12, v19, v4
	ds_bpermute_b32 v13, v19, v5
	s_wait_dscnt 0x2
	v_add_f64_e32 v[2:3], v[2:3], v[10:11]
	s_wait_dscnt 0x0
	;; [unrolled: 8-line block ×3, first 2 shown]
	v_add_f64_e32 v[10:11], v[4:5], v[12:13]
	ds_bpermute_b32 v4, v21, v2
	ds_bpermute_b32 v5, v21, v3
	;; [unrolled: 1-line block ×4, first 2 shown]
	s_and_saveexec_b32 s6, s3
	s_cbranch_execz .LBB167_10
; %bb.9:                                ;   in Loop: Header=BB167_4 Depth=1
	s_wait_dscnt 0x0
	v_add_f64_e32 v[12:13], v[10:11], v[12:13]
	v_add_f64_e32 v[10:11], v[2:3], v[4:5]
	ds_store_b128 v17, v[10:13]
.LBB167_10:                             ;   in Loop: Header=BB167_4 Depth=1
	s_wait_alu 0xfffe
	s_or_b32 exec_lo, exec_lo, s6
	s_wait_dscnt 0x2
	v_mov_b32_e32 v4, 0
	v_dual_mov_b32 v5, 0 :: v_dual_mov_b32 v2, 0
	v_mov_b32_e32 v3, 0
	s_wait_loadcnt_dscnt 0x0
	s_barrier_signal -1
	s_barrier_wait -1
	global_inv scope:SCOPE_SE
	s_and_saveexec_b32 s6, s1
	s_cbranch_execnz .LBB167_17
; %bb.11:                               ;   in Loop: Header=BB167_4 Depth=1
	s_wait_alu 0xfffe
	s_or_b32 exec_lo, exec_lo, s6
	s_and_saveexec_b32 s6, s0
	s_cbranch_execnz .LBB167_18
.LBB167_12:                             ;   in Loop: Header=BB167_4 Depth=1
	s_wait_alu 0xfffe
	s_or_b32 exec_lo, exec_lo, s6
	s_and_saveexec_b32 s36, s2
	s_cbranch_execz .LBB167_3
	s_branch .LBB167_19
.LBB167_13:                             ;   in Loop: Header=BB167_4 Depth=1
	s_wait_dscnt 0x0
	s_wait_alu 0xfffe
	v_mad_co_u64_u32 v[2:3], null, s24, s33, v[6:7]
	v_mov_b32_e32 v10, 0
	v_mov_b32_e32 v12, 0
	;; [unrolled: 1-line block ×3, first 2 shown]
	s_mov_b32 s36, 0
	s_delay_alu instid0(VALU_DEP_4) | instskip(NEXT) | instid1(VALU_DEP_1)
	v_dual_mov_b32 v11, 0 :: v_dual_mov_b32 v0, v3
	v_mad_co_u64_u32 v[3:4], null, s25, s33, v[0:1]
	v_mov_b32_e32 v0, v14
.LBB167_14:                             ;   Parent Loop BB167_4 Depth=1
                                        ; =>  This Inner Loop Header: Depth=2
	s_clause 0x7
	global_load_b128 v[22:25], v[2:3], off offset:-120
	global_load_b128 v[26:29], v[2:3], off offset:-104
	;; [unrolled: 1-line block ×8, first 2 shown]
	s_wait_alu 0xfffe
	v_add_nc_u32_e32 v0, s30, v0
	v_add_co_u32 v2, s6, v2, s35
	s_wait_alu 0xf1ff
	v_add_co_ci_u32_e64 v3, null, 0, v3, s6
	s_delay_alu instid0(VALU_DEP_3)
	v_cmp_le_i32_e32 vcc_lo, s31, v0
	s_or_b32 s36, vcc_lo, s36
	s_wait_loadcnt 0x7
	v_add_f64_e32 v[4:5], v[12:13], v[22:23]
	v_add_f64_e32 v[10:11], v[10:11], v[24:25]
	s_wait_loadcnt 0x6
	s_delay_alu instid0(VALU_DEP_2) | instskip(NEXT) | instid1(VALU_DEP_2)
	v_add_f64_e32 v[4:5], v[4:5], v[26:27]
	v_add_f64_e32 v[10:11], v[10:11], v[28:29]
	s_wait_loadcnt 0x5
	s_delay_alu instid0(VALU_DEP_2) | instskip(NEXT) | instid1(VALU_DEP_2)
	;; [unrolled: 4-line block ×7, first 2 shown]
	v_add_f64_e32 v[12:13], v[4:5], v[50:51]
	v_add_f64_e32 v[10:11], v[10:11], v[52:53]
	s_wait_alu 0xfffe
	s_and_not1_b32 exec_lo, exec_lo, s36
	s_cbranch_execnz .LBB167_14
; %bb.15:                               ;   in Loop: Header=BB167_4 Depth=1
	s_or_b32 exec_lo, exec_lo, s36
	s_delay_alu instid0(SALU_CYCLE_1)
	s_or_b32 exec_lo, exec_lo, s7
	s_and_saveexec_b32 s6, s5
	s_cbranch_execz .LBB167_6
.LBB167_16:                             ;   in Loop: Header=BB167_4 Depth=1
	s_mul_i32 s7, s29, s16
	s_mov_b32 s37, s17
	s_wait_alu 0xfffe
	s_add_co_i32 s36, s7, s20
	s_wait_alu 0xfffe
	s_mul_u64 s[36:37], s[36:37], s[18:19]
	s_wait_alu 0xfffe
	s_lshl_b64 s[36:37], s[36:37], 4
	s_wait_alu 0xfffe
	s_add_nc_u64 s[36:37], s[14:15], s[36:37]
	s_wait_dscnt 0x0
	s_wait_alu 0xfffe
	v_add_co_u32 v2, vcc_lo, s36, v8
	s_wait_alu 0xfffd
	v_add_co_ci_u32_e64 v3, null, s37, v9, vcc_lo
	global_load_b128 v[2:5], v[2:3], off
	s_wait_loadcnt 0x0
	v_add_f64_e32 v[12:13], v[12:13], v[2:3]
	v_add_f64_e32 v[10:11], v[10:11], v[4:5]
	s_or_b32 exec_lo, exec_lo, s6
	s_and_saveexec_b32 s6, s0
	s_cbranch_execnz .LBB167_7
	s_branch .LBB167_8
.LBB167_17:                             ;   in Loop: Header=BB167_4 Depth=1
	ds_load_b128 v[2:5], v15
	s_wait_alu 0xfffe
	s_or_b32 exec_lo, exec_lo, s6
	s_and_saveexec_b32 s6, s0
	s_cbranch_execz .LBB167_12
.LBB167_18:                             ;   in Loop: Header=BB167_4 Depth=1
	s_wait_dscnt 0x0
	ds_bpermute_b32 v10, v19, v2
	ds_bpermute_b32 v11, v19, v3
	ds_bpermute_b32 v12, v19, v4
	ds_bpermute_b32 v13, v19, v5
	s_wait_dscnt 0x2
	v_add_f64_e32 v[2:3], v[2:3], v[10:11]
	s_wait_dscnt 0x0
	v_add_f64_e32 v[4:5], v[4:5], v[12:13]
	ds_bpermute_b32 v10, v20, v2
	ds_bpermute_b32 v11, v20, v3
	ds_bpermute_b32 v12, v20, v4
	ds_bpermute_b32 v13, v20, v5
	s_wait_dscnt 0x2
	v_add_f64_e32 v[2:3], v[2:3], v[10:11]
	s_wait_dscnt 0x0
	v_add_f64_e32 v[4:5], v[4:5], v[12:13]
	;; [unrolled: 8-line block ×3, first 2 shown]
	s_wait_alu 0xfffe
	s_or_b32 exec_lo, exec_lo, s6
	s_and_saveexec_b32 s36, s2
	s_cbranch_execz .LBB167_3
.LBB167_19:                             ;   in Loop: Header=BB167_4 Depth=1
	s_mul_u64 s[6:7], s[12:13], s[16:17]
	s_and_not1_b32 vcc_lo, exec_lo, s21
	s_wait_alu 0xfffe
	s_lshl_b64 s[6:7], s[6:7], 4
	s_wait_alu 0xfffe
	s_add_nc_u64 s[6:7], s[22:23], s[6:7]
	s_wait_alu 0xfffe
	s_add_nc_u64 s[6:7], s[6:7], s[26:27]
	s_cbranch_vccnz .LBB167_2
; %bb.20:                               ;   in Loop: Header=BB167_4 Depth=1
	global_load_b128 v[10:13], v1, s[6:7]
	s_wait_loadcnt 0x0
	v_mul_f64_e32 v[22:23], s[10:11], v[12:13]
	v_mul_f64_e32 v[12:13], s[8:9], v[12:13]
	s_delay_alu instid0(VALU_DEP_2) | instskip(NEXT) | instid1(VALU_DEP_2)
	v_fma_f64 v[22:23], s[8:9], v[10:11], -v[22:23]
	v_fma_f64 v[10:11], s[10:11], v[10:11], v[12:13]
	s_wait_dscnt 0x0
	s_delay_alu instid0(VALU_DEP_2) | instskip(NEXT) | instid1(VALU_DEP_2)
	v_add_f64_e32 v[2:3], v[2:3], v[22:23]
	v_add_f64_e32 v[4:5], v[4:5], v[10:11]
	s_branch .LBB167_2
.LBB167_21:
	s_endpgm
	.section	.rodata,"a",@progbits
	.p2align	6, 0x0
	.amdhsa_kernel _ZL23rocblas_gemvt_sn_reduceILi256ELi8E19rocblas_complex_numIdES1_S1_EviT2_lPT3_lilPT1_i
		.amdhsa_group_segment_fixed_size 512
		.amdhsa_private_segment_fixed_size 0
		.amdhsa_kernarg_size 336
		.amdhsa_user_sgpr_count 2
		.amdhsa_user_sgpr_dispatch_ptr 0
		.amdhsa_user_sgpr_queue_ptr 0
		.amdhsa_user_sgpr_kernarg_segment_ptr 1
		.amdhsa_user_sgpr_dispatch_id 0
		.amdhsa_user_sgpr_private_segment_size 0
		.amdhsa_wavefront_size32 1
		.amdhsa_uses_dynamic_stack 0
		.amdhsa_enable_private_segment 0
		.amdhsa_system_sgpr_workgroup_id_x 1
		.amdhsa_system_sgpr_workgroup_id_y 1
		.amdhsa_system_sgpr_workgroup_id_z 1
		.amdhsa_system_sgpr_workgroup_info 0
		.amdhsa_system_vgpr_workitem_id 0
		.amdhsa_next_free_vgpr 54
		.amdhsa_next_free_sgpr 38
		.amdhsa_reserve_vcc 1
		.amdhsa_float_round_mode_32 0
		.amdhsa_float_round_mode_16_64 0
		.amdhsa_float_denorm_mode_32 3
		.amdhsa_float_denorm_mode_16_64 3
		.amdhsa_fp16_overflow 0
		.amdhsa_workgroup_processor_mode 1
		.amdhsa_memory_ordered 1
		.amdhsa_forward_progress 1
		.amdhsa_inst_pref_size 14
		.amdhsa_round_robin_scheduling 0
		.amdhsa_exception_fp_ieee_invalid_op 0
		.amdhsa_exception_fp_denorm_src 0
		.amdhsa_exception_fp_ieee_div_zero 0
		.amdhsa_exception_fp_ieee_overflow 0
		.amdhsa_exception_fp_ieee_underflow 0
		.amdhsa_exception_fp_ieee_inexact 0
		.amdhsa_exception_int_div_zero 0
	.end_amdhsa_kernel
	.section	.text._ZL23rocblas_gemvt_sn_reduceILi256ELi8E19rocblas_complex_numIdES1_S1_EviT2_lPT3_lilPT1_i,"axG",@progbits,_ZL23rocblas_gemvt_sn_reduceILi256ELi8E19rocblas_complex_numIdES1_S1_EviT2_lPT3_lilPT1_i,comdat
.Lfunc_end167:
	.size	_ZL23rocblas_gemvt_sn_reduceILi256ELi8E19rocblas_complex_numIdES1_S1_EviT2_lPT3_lilPT1_i, .Lfunc_end167-_ZL23rocblas_gemvt_sn_reduceILi256ELi8E19rocblas_complex_numIdES1_S1_EviT2_lPT3_lilPT1_i
                                        ; -- End function
	.set _ZL23rocblas_gemvt_sn_reduceILi256ELi8E19rocblas_complex_numIdES1_S1_EviT2_lPT3_lilPT1_i.num_vgpr, 54
	.set _ZL23rocblas_gemvt_sn_reduceILi256ELi8E19rocblas_complex_numIdES1_S1_EviT2_lPT3_lilPT1_i.num_agpr, 0
	.set _ZL23rocblas_gemvt_sn_reduceILi256ELi8E19rocblas_complex_numIdES1_S1_EviT2_lPT3_lilPT1_i.numbered_sgpr, 38
	.set _ZL23rocblas_gemvt_sn_reduceILi256ELi8E19rocblas_complex_numIdES1_S1_EviT2_lPT3_lilPT1_i.num_named_barrier, 0
	.set _ZL23rocblas_gemvt_sn_reduceILi256ELi8E19rocblas_complex_numIdES1_S1_EviT2_lPT3_lilPT1_i.private_seg_size, 0
	.set _ZL23rocblas_gemvt_sn_reduceILi256ELi8E19rocblas_complex_numIdES1_S1_EviT2_lPT3_lilPT1_i.uses_vcc, 1
	.set _ZL23rocblas_gemvt_sn_reduceILi256ELi8E19rocblas_complex_numIdES1_S1_EviT2_lPT3_lilPT1_i.uses_flat_scratch, 0
	.set _ZL23rocblas_gemvt_sn_reduceILi256ELi8E19rocblas_complex_numIdES1_S1_EviT2_lPT3_lilPT1_i.has_dyn_sized_stack, 0
	.set _ZL23rocblas_gemvt_sn_reduceILi256ELi8E19rocblas_complex_numIdES1_S1_EviT2_lPT3_lilPT1_i.has_recursion, 0
	.set _ZL23rocblas_gemvt_sn_reduceILi256ELi8E19rocblas_complex_numIdES1_S1_EviT2_lPT3_lilPT1_i.has_indirect_call, 0
	.section	.AMDGPU.csdata,"",@progbits
; Kernel info:
; codeLenInByte = 1700
; TotalNumSgprs: 40
; NumVgprs: 54
; ScratchSize: 0
; MemoryBound: 1
; FloatMode: 240
; IeeeMode: 1
; LDSByteSize: 512 bytes/workgroup (compile time only)
; SGPRBlocks: 0
; VGPRBlocks: 6
; NumSGPRsForWavesPerEU: 40
; NumVGPRsForWavesPerEU: 54
; Occupancy: 16
; WaveLimiterHint : 0
; COMPUTE_PGM_RSRC2:SCRATCH_EN: 0
; COMPUTE_PGM_RSRC2:USER_SGPR: 2
; COMPUTE_PGM_RSRC2:TRAP_HANDLER: 0
; COMPUTE_PGM_RSRC2:TGID_X_EN: 1
; COMPUTE_PGM_RSRC2:TGID_Y_EN: 1
; COMPUTE_PGM_RSRC2:TGID_Z_EN: 1
; COMPUTE_PGM_RSRC2:TIDIG_COMP_CNT: 0
	.section	.text._ZL32rocblas_gemvt_warp_reduce_kernelILb0ELi256Ei19rocblas_complex_numIdEPKS1_S1_EviiT3_lPKT2_lT1_lS7_lS8_lS4_lPT4_lS8_li,"axG",@progbits,_ZL32rocblas_gemvt_warp_reduce_kernelILb0ELi256Ei19rocblas_complex_numIdEPKS1_S1_EviiT3_lPKT2_lT1_lS7_lS8_lS4_lPT4_lS8_li,comdat
	.globl	_ZL32rocblas_gemvt_warp_reduce_kernelILb0ELi256Ei19rocblas_complex_numIdEPKS1_S1_EviiT3_lPKT2_lT1_lS7_lS8_lS4_lPT4_lS8_li ; -- Begin function _ZL32rocblas_gemvt_warp_reduce_kernelILb0ELi256Ei19rocblas_complex_numIdEPKS1_S1_EviiT3_lPKT2_lT1_lS7_lS8_lS4_lPT4_lS8_li
	.p2align	8
	.type	_ZL32rocblas_gemvt_warp_reduce_kernelILb0ELi256Ei19rocblas_complex_numIdEPKS1_S1_EviiT3_lPKT2_lT1_lS7_lS8_lS4_lPT4_lS8_li,@function
_ZL32rocblas_gemvt_warp_reduce_kernelILb0ELi256Ei19rocblas_complex_numIdEPKS1_S1_EviiT3_lPKT2_lT1_lS7_lS8_lS4_lPT4_lS8_li: ; @_ZL32rocblas_gemvt_warp_reduce_kernelILb0ELi256Ei19rocblas_complex_numIdEPKS1_S1_EviiT3_lPKT2_lT1_lS7_lS8_lS4_lPT4_lS8_li
; %bb.0:
	s_load_b32 s7, s[0:1], 0x88
	s_lshr_b32 s28, ttmp7, 16
	s_wait_kmcnt 0x0
	s_cmp_ge_u32 s28, s7
	s_cbranch_scc1 .LBB168_36
; %bb.1:
	s_clause 0x7
	s_load_b96 s[4:6], s[0:1], 0x40
	s_load_b96 s[36:38], s[0:1], 0x70
	s_load_b256 s[8:15], s[0:1], 0x8
	s_load_b32 s33, s[0:1], 0x0
	s_load_b32 s39, s[0:1], 0x28
	s_load_b128 s[24:27], s[0:1], 0x30
	s_load_b256 s[16:23], s[0:1], 0x50
	s_load_b64 s[30:31], s[0:1], 0x80
	v_cmp_eq_u32_e64 s0, 0, v0
	v_mbcnt_lo_u32_b32 v30, -1, 0
	s_mov_b32 s29, 0
	s_wait_kmcnt 0x0
	s_lshl_b64 s[2:3], s[4:5], 4
	s_lshl_b64 s[4:5], s[36:37], 4
	s_lshl_b64 s[34:35], s[14:15], 4
	v_cmp_gt_i32_e32 vcc_lo, s33, v0
	s_ashr_i32 s1, s33, 31
	v_mov_b32_e32 v1, 0
	s_lshr_b32 s1, s1, 24
	s_add_nc_u64 s[14:15], s[26:27], s[2:3]
	v_cndmask_b32_e32 v2, 0, v0, vcc_lo
	s_add_co_i32 s1, s33, s1
	s_mul_i32 s36, s38, ttmp9
	s_and_b32 s26, s1, 0xffffff00
	s_mul_i32 s38, s39, ttmp9
	v_lshlrev_b32_e32 v4, 4, v2
	v_or_b32_e32 v3, s26, v0
	s_add_nc_u64 s[2:3], s[12:13], s[34:35]
	s_ashr_i32 s39, s38, 31
	s_add_nc_u64 s[22:23], s[22:23], s[4:5]
	v_add_co_u32 v5, s1, s2, v4
	v_mul_lo_u32 v2, s6, v3
	s_lshl_b64 s[38:39], s[38:39], 4
	v_add_co_ci_u32_e64 v6, null, s3, 0, s1
	s_add_nc_u64 s[34:35], s[34:35], s[38:39]
	v_add_co_u32 v25, vcc_lo, v5, s38
	v_and_b32_e32 v5, 31, v0
	s_add_nc_u64 s[12:13], s[12:13], s[34:35]
	v_cmp_gt_i32_e64 s2, s33, v3
	v_add_co_u32 v4, s5, s12, v4
	v_ashrrev_i32_e32 v3, 31, v2
	s_wait_alu 0xfffd
	v_add_co_ci_u32_e64 v26, null, s39, v6, vcc_lo
	v_lshrrev_b32_e32 v6, 1, v0
	v_lshlrev_b32_e32 v27, 4, v5
	v_cmp_eq_u32_e64 s4, 0, v5
	v_add_co_ci_u32_e64 v5, null, s13, 0, s5
	v_mul_lo_u32 v29, v0, s6
	v_add_co_u32 v21, vcc_lo, v4, 8
	v_lshlrev_b64_e32 v[23:24], 4, v[2:3]
	v_cmp_gt_i32_e64 s1, s26, v0
	v_cmp_gt_u32_e64 s3, 32, v0
	v_and_b32_e32 v28, 0x70, v6
	v_cmp_gt_u32_e64 s5, 8, v0
	s_wait_alu 0xfffd
	v_add_co_ci_u32_e64 v22, null, 0, v5, vcc_lo
	s_ashr_i32 s37, s36, 31
	s_ashr_i32 s27, s26, 31
	s_lshl_b64 s[12:13], s[24:25], 4
	s_lshl_b32 s33, s6, 8
	s_lshl_b64 s[34:35], s[36:37], 4
	s_wait_alu 0xfffe
	s_lshl_b64 s[36:37], s[26:27], 4
	s_branch .LBB168_4
.LBB168_2:                              ;   in Loop: Header=BB168_4 Depth=1
	s_wait_alu 0xfffe
	s_or_b32 exec_lo, exec_lo, s6
.LBB168_3:                              ;   in Loop: Header=BB168_4 Depth=1
	s_add_co_i32 s28, s28, 0x10000
	s_wait_alu 0xfffe
	s_cmp_lt_u32 s28, s7
	s_cbranch_scc0 .LBB168_36
.LBB168_4:                              ; =>This Loop Header: Depth=1
                                        ;     Child Loop BB168_25 Depth 2
	s_mul_u64 s[38:39], s[10:11], s[28:29]
	s_wait_alu 0xfffe
	s_lshl_b64 s[38:39], s[38:39], 4
	s_wait_alu 0xfffe
	s_add_nc_u64 s[38:39], s[8:9], s[38:39]
	global_load_b128 v[9:12], v1, s[38:39]
	s_mul_u64 s[38:39], s[20:21], s[28:29]
	s_wait_alu 0xfffe
	s_lshl_b64 s[38:39], s[38:39], 4
	s_wait_alu 0xfffe
	s_add_nc_u64 s[38:39], s[18:19], s[38:39]
	s_wait_loadcnt 0x1
	global_load_b128 v[5:8], v1, s[38:39]
	s_wait_loadcnt 0x1
	v_cmp_neq_f64_e32 vcc_lo, 0, v[9:10]
	v_cmp_neq_f64_e64 s6, 0, v[11:12]
	s_or_b32 s27, vcc_lo, s6
	s_mov_b32 s6, -1
	s_wait_alu 0xfffe
	s_and_b32 vcc_lo, exec_lo, s27
	s_wait_alu 0xfffe
	s_cbranch_vccz .LBB168_6
; %bb.5:                                ;   in Loop: Header=BB168_4 Depth=1
	s_and_not1_b32 vcc_lo, exec_lo, s6
	s_wait_alu 0xfffe
	s_cbranch_vccnz .LBB168_3
	s_branch .LBB168_7
.LBB168_6:                              ;   in Loop: Header=BB168_4 Depth=1
	s_wait_loadcnt 0x0
	v_cmp_neq_f64_e32 vcc_lo, 1.0, v[5:6]
	v_cmp_neq_f64_e64 s6, 0, v[7:8]
	s_or_b32 s6, vcc_lo, s6
	s_wait_alu 0xfffe
	s_and_not1_b32 vcc_lo, exec_lo, s6
	s_wait_alu 0xfffe
	s_cbranch_vccnz .LBB168_3
.LBB168_7:                              ;   in Loop: Header=BB168_4 Depth=1
	s_mul_u64 s[38:39], s[30:31], s[28:29]
	s_xor_b32 s6, s27, -1
	s_wait_alu 0xfffe
	s_lshl_b64 s[38:39], s[38:39], 4
	s_and_not1_b32 vcc_lo, exec_lo, s6
	s_wait_alu 0xfffe
	s_add_nc_u64 s[38:39], s[22:23], s[38:39]
	s_cbranch_vccnz .LBB168_11
; %bb.8:                                ;   in Loop: Header=BB168_4 Depth=1
	s_mov_b32 s40, 0
	s_mov_b32 s27, 0
                                        ; implicit-def: $vgpr15_vgpr16
	s_and_saveexec_b32 s41, s0
	s_cbranch_execz .LBB168_12
; %bb.9:                                ;   in Loop: Header=BB168_4 Depth=1
	s_wait_loadcnt 0x0
	v_cmp_neq_f64_e32 vcc_lo, 0, v[5:6]
	v_cmp_neq_f64_e64 s6, 0, v[7:8]
	s_or_b32 s6, vcc_lo, s6
	s_wait_alu 0xfffe
	s_and_not1_b32 vcc_lo, exec_lo, s6
	s_wait_alu 0xfffe
	s_cbranch_vccnz .LBB168_13
; %bb.10:                               ;   in Loop: Header=BB168_4 Depth=1
	s_add_nc_u64 s[42:43], s[38:39], s[34:35]
	s_wait_dscnt 0x0
	global_load_b128 v[15:18], v1, s[42:43]
	s_wait_loadcnt 0x0
	v_mul_f64_e32 v[2:3], v[7:8], v[17:18]
	v_mul_f64_e32 v[17:18], v[5:6], v[17:18]
	s_delay_alu instid0(VALU_DEP_2) | instskip(NEXT) | instid1(VALU_DEP_2)
	v_fma_f64 v[13:14], v[5:6], v[15:16], -v[2:3]
	v_fma_f64 v[15:16], v[7:8], v[15:16], v[17:18]
	s_branch .LBB168_14
.LBB168_11:                             ;   in Loop: Header=BB168_4 Depth=1
	s_mov_b32 s27, 0
                                        ; implicit-def: $vgpr15_vgpr16
	s_cbranch_execnz .LBB168_15
	s_branch .LBB168_34
.LBB168_12:                             ;   in Loop: Header=BB168_4 Depth=1
	s_wait_alu 0xfffe
	s_or_b32 exec_lo, exec_lo, s41
	s_delay_alu instid0(SALU_CYCLE_1)
	s_and_b32 vcc_lo, exec_lo, s40
	s_wait_alu 0xfffe
	s_cbranch_vccnz .LBB168_15
	s_branch .LBB168_34
.LBB168_13:                             ;   in Loop: Header=BB168_4 Depth=1
	v_mov_b32_e32 v15, 0
	v_dual_mov_b32 v16, 0 :: v_dual_mov_b32 v13, 0
	v_mov_b32_e32 v14, 0
.LBB168_14:                             ;   in Loop: Header=BB168_4 Depth=1
	s_mov_b32 s27, exec_lo
	s_or_b32 exec_lo, exec_lo, s41
	s_delay_alu instid0(SALU_CYCLE_1)
	s_and_b32 vcc_lo, exec_lo, s40
	s_wait_alu 0xfffe
	s_cbranch_vccz .LBB168_34
.LBB168_15:                             ;   in Loop: Header=BB168_4 Depth=1
	v_mov_b32_e32 v13, 0
	s_mul_u64 s[40:41], s[16:17], s[28:29]
	v_dual_mov_b32 v14, 0 :: v_dual_mov_b32 v15, 0
	v_mov_b32_e32 v16, 0
	s_wait_alu 0xfffe
	s_lshl_b64 s[40:41], s[40:41], 4
	s_wait_alu 0xfffe
	s_add_nc_u64 s[40:41], s[14:15], s[40:41]
	s_and_saveexec_b32 s42, s1
	s_cbranch_execnz .LBB168_24
; %bb.16:                               ;   in Loop: Header=BB168_4 Depth=1
	s_wait_alu 0xfffe
	s_or_b32 exec_lo, exec_lo, s42
	s_and_saveexec_b32 s6, s2
	s_cbranch_execnz .LBB168_27
.LBB168_17:                             ;   in Loop: Header=BB168_4 Depth=1
	s_wait_alu 0xfffe
	s_or_b32 exec_lo, exec_lo, s6
	s_and_saveexec_b32 s6, s3
.LBB168_18:                             ;   in Loop: Header=BB168_4 Depth=1
	v_dual_mov_b32 v2, v1 :: v_dual_mov_b32 v3, v1
	v_mov_b32_e32 v4, v1
	ds_store_b128 v27, v[1:4]
.LBB168_19:                             ;   in Loop: Header=BB168_4 Depth=1
	s_wait_alu 0xfffe
	s_or_b32 exec_lo, exec_lo, s6
	v_lshl_or_b32 v4, v30, 2, 64
	v_cmp_gt_u32_e32 vcc_lo, 24, v30
	s_wait_loadcnt_dscnt 0x0
	s_barrier_signal -1
	s_barrier_wait -1
	ds_bpermute_b32 v2, v4, v15
	ds_bpermute_b32 v3, v4, v16
	;; [unrolled: 1-line block ×4, first 2 shown]
	s_wait_alu 0xfffd
	v_cndmask_b32_e64 v4, 0, 8, vcc_lo
	v_cmp_gt_u32_e32 vcc_lo, 28, v30
	s_wait_dscnt 0x0
	global_inv scope:SCOPE_SE
	v_add_lshl_u32 v4, v4, v30, 2
	v_add_f64_e32 v[2:3], v[15:16], v[2:3]
	v_add_f64_e32 v[13:14], v[13:14], v[17:18]
	ds_bpermute_b32 v15, v4, v2
	ds_bpermute_b32 v16, v4, v3
	;; [unrolled: 1-line block ×4, first 2 shown]
	s_wait_alu 0xfffd
	v_cndmask_b32_e64 v4, 0, 4, vcc_lo
	v_cmp_gt_u32_e32 vcc_lo, 30, v30
	s_delay_alu instid0(VALU_DEP_2)
	v_add_lshl_u32 v4, v4, v30, 2
	s_wait_dscnt 0x2
	v_add_f64_e32 v[2:3], v[2:3], v[15:16]
	s_wait_dscnt 0x0
	v_add_f64_e32 v[13:14], v[13:14], v[17:18]
	ds_bpermute_b32 v15, v4, v2
	ds_bpermute_b32 v16, v4, v3
	ds_bpermute_b32 v17, v4, v13
	ds_bpermute_b32 v18, v4, v14
	s_wait_dscnt 0x2
	v_add_f64_e32 v[2:3], v[2:3], v[15:16]
	s_wait_alu 0xfffd
	v_cndmask_b32_e64 v15, 0, 2, vcc_lo
	s_wait_dscnt 0x0
	v_add_f64_e32 v[13:14], v[13:14], v[17:18]
	v_cmp_ne_u32_e32 vcc_lo, 31, v30
	s_delay_alu instid0(VALU_DEP_3)
	v_add_lshl_u32 v31, v15, v30, 2
	ds_bpermute_b32 v15, v31, v2
	ds_bpermute_b32 v16, v31, v3
	;; [unrolled: 1-line block ×4, first 2 shown]
	s_wait_dscnt 0x2
	v_add_f64_e32 v[2:3], v[2:3], v[15:16]
	s_wait_alu 0xfffd
	v_add_co_ci_u32_e64 v15, null, 0, v30, vcc_lo
	s_wait_dscnt 0x0
	v_add_f64_e32 v[13:14], v[13:14], v[17:18]
	s_delay_alu instid0(VALU_DEP_2)
	v_lshlrev_b32_e32 v32, 2, v15
	ds_bpermute_b32 v15, v32, v2
	ds_bpermute_b32 v16, v32, v3
	;; [unrolled: 1-line block ×4, first 2 shown]
	s_and_saveexec_b32 s6, s4
	s_cbranch_execz .LBB168_21
; %bb.20:                               ;   in Loop: Header=BB168_4 Depth=1
	s_wait_dscnt 0x0
	v_add_f64_e32 v[17:18], v[13:14], v[17:18]
	v_add_f64_e32 v[15:16], v[2:3], v[15:16]
	ds_store_b128 v28, v[15:18]
.LBB168_21:                             ;   in Loop: Header=BB168_4 Depth=1
	s_wait_alu 0xfffe
	s_or_b32 exec_lo, exec_lo, s6
	v_mov_b32_e32 v19, 0
	s_wait_dscnt 0x0
	v_dual_mov_b32 v20, 0 :: v_dual_mov_b32 v17, 0
	v_mov_b32_e32 v18, 0
	s_wait_loadcnt 0x0
	s_barrier_signal -1
	s_barrier_wait -1
	global_inv scope:SCOPE_SE
	s_and_saveexec_b32 s6, s5
	s_cbranch_execnz .LBB168_28
; %bb.22:                               ;   in Loop: Header=BB168_4 Depth=1
	s_wait_alu 0xfffe
	s_or_b32 exec_lo, exec_lo, s6
	s_and_saveexec_b32 s6, s3
	s_cbranch_execnz .LBB168_29
.LBB168_23:                             ;   in Loop: Header=BB168_4 Depth=1
	s_wait_alu 0xfffe
	s_or_b32 exec_lo, exec_lo, s6
                                        ; implicit-def: $vgpr15_vgpr16
	s_and_saveexec_b32 s40, s0
	s_cbranch_execnz .LBB168_30
	s_branch .LBB168_33
.LBB168_24:                             ;   in Loop: Header=BB168_4 Depth=1
	v_mad_co_u64_u32 v[2:3], null, s12, s28, v[21:22]
	v_mov_b32_e32 v13, 0
	v_dual_mov_b32 v15, 0 :: v_dual_mov_b32 v14, 0
	s_wait_dscnt 0x0
	v_dual_mov_b32 v17, v29 :: v_dual_mov_b32 v16, 0
	s_mov_b32 s43, 0
	s_delay_alu instid0(VALU_DEP_4)
	v_mad_co_u64_u32 v[3:4], null, s13, s28, v[3:4]
	v_mov_b32_e32 v4, v0
.LBB168_25:                             ;   Parent Loop BB168_4 Depth=1
                                        ; =>  This Inner Loop Header: Depth=2
	s_delay_alu instid0(VALU_DEP_3) | instskip(NEXT) | instid1(VALU_DEP_2)
	v_ashrrev_i32_e32 v18, 31, v17
	v_add_nc_u32_e32 v4, 0x100, v4
	s_delay_alu instid0(VALU_DEP_2) | instskip(NEXT) | instid1(VALU_DEP_2)
	v_lshlrev_b64_e32 v[18:19], 4, v[17:18]
	v_cmp_le_i32_e64 s6, s26, v4
	v_add_nc_u32_e32 v17, s33, v17
	s_wait_alu 0xfffe
	s_or_b32 s43, s6, s43
	v_add_co_u32 v18, vcc_lo, s40, v18
	s_wait_alu 0xfffd
	v_add_co_ci_u32_e64 v19, null, s41, v19, vcc_lo
	global_load_b128 v[31:34], v[2:3], off offset:-8
	global_load_b128 v[35:38], v[18:19], off
	v_add_co_u32 v2, vcc_lo, 0x1000, v2
	s_wait_alu 0xfffd
	v_add_co_ci_u32_e64 v3, null, 0, v3, vcc_lo
	s_wait_loadcnt 0x0
	v_mul_f64_e32 v[18:19], v[33:34], v[37:38]
	v_mul_f64_e32 v[37:38], v[31:32], v[37:38]
	s_delay_alu instid0(VALU_DEP_2) | instskip(NEXT) | instid1(VALU_DEP_2)
	v_fma_f64 v[18:19], v[31:32], v[35:36], -v[18:19]
	v_fma_f64 v[31:32], v[33:34], v[35:36], v[37:38]
	s_delay_alu instid0(VALU_DEP_2) | instskip(NEXT) | instid1(VALU_DEP_2)
	v_add_f64_e32 v[15:16], v[15:16], v[18:19]
	v_add_f64_e32 v[13:14], v[13:14], v[31:32]
	s_wait_alu 0xfffe
	s_and_not1_b32 exec_lo, exec_lo, s43
	s_cbranch_execnz .LBB168_25
; %bb.26:                               ;   in Loop: Header=BB168_4 Depth=1
	s_or_b32 exec_lo, exec_lo, s43
	s_delay_alu instid0(SALU_CYCLE_1)
	s_or_b32 exec_lo, exec_lo, s42
	s_and_saveexec_b32 s6, s2
	s_cbranch_execz .LBB168_17
.LBB168_27:                             ;   in Loop: Header=BB168_4 Depth=1
	s_mul_u64 s[42:43], s[24:25], s[28:29]
	s_wait_alu 0xfffe
	s_lshl_b64 s[42:43], s[42:43], 4
	s_wait_alu 0xfffe
	v_add_co_u32 v4, vcc_lo, v25, s42
	s_wait_dscnt 0x0
	s_wait_alu 0xfffd
	v_add_co_ci_u32_e64 v17, null, s43, v26, vcc_lo
	v_add_co_u32 v2, vcc_lo, s40, v23
	s_wait_alu 0xfffd
	v_add_co_ci_u32_e64 v3, null, s41, v24, vcc_lo
	v_add_co_u32 v31, vcc_lo, v4, s36
	s_wait_alu 0xfffd
	v_add_co_ci_u32_e64 v32, null, s37, v17, vcc_lo
	global_load_b128 v[17:20], v[2:3], off
	global_load_b128 v[31:34], v[31:32], off
	s_wait_loadcnt 0x0
	v_mul_f64_e32 v[2:3], v[33:34], v[19:20]
	v_mul_f64_e32 v[19:20], v[31:32], v[19:20]
	s_delay_alu instid0(VALU_DEP_2) | instskip(NEXT) | instid1(VALU_DEP_2)
	v_fma_f64 v[2:3], v[31:32], v[17:18], -v[2:3]
	v_fma_f64 v[17:18], v[33:34], v[17:18], v[19:20]
	s_delay_alu instid0(VALU_DEP_2) | instskip(NEXT) | instid1(VALU_DEP_2)
	v_add_f64_e32 v[15:16], v[15:16], v[2:3]
	v_add_f64_e32 v[13:14], v[13:14], v[17:18]
	s_or_b32 exec_lo, exec_lo, s6
	s_and_saveexec_b32 s6, s3
	s_cbranch_execnz .LBB168_18
	s_branch .LBB168_19
.LBB168_28:                             ;   in Loop: Header=BB168_4 Depth=1
	ds_load_b128 v[17:20], v27
	s_wait_alu 0xfffe
	s_or_b32 exec_lo, exec_lo, s6
	s_and_saveexec_b32 s6, s3
	s_cbranch_execz .LBB168_23
.LBB168_29:                             ;   in Loop: Header=BB168_4 Depth=1
	s_wait_dscnt 0x0
	ds_bpermute_b32 v2, v4, v17
	ds_bpermute_b32 v3, v4, v18
	ds_bpermute_b32 v13, v4, v19
	ds_bpermute_b32 v14, v4, v20
	s_wait_dscnt 0x2
	v_add_f64_e32 v[2:3], v[17:18], v[2:3]
	s_wait_dscnt 0x0
	v_add_f64_e32 v[13:14], v[19:20], v[13:14]
	ds_bpermute_b32 v15, v31, v2
	ds_bpermute_b32 v16, v31, v3
	ds_bpermute_b32 v17, v31, v13
	ds_bpermute_b32 v18, v31, v14
	s_wait_dscnt 0x2
	v_add_f64_e32 v[2:3], v[2:3], v[15:16]
	s_wait_dscnt 0x0
	v_add_f64_e32 v[13:14], v[13:14], v[17:18]
	;; [unrolled: 8-line block ×3, first 2 shown]
	s_wait_alu 0xfffe
	s_or_b32 exec_lo, exec_lo, s6
                                        ; implicit-def: $vgpr15_vgpr16
	s_and_saveexec_b32 s40, s0
	s_cbranch_execz .LBB168_33
.LBB168_30:                             ;   in Loop: Header=BB168_4 Depth=1
	s_wait_dscnt 0x0
	s_delay_alu instid0(VALU_DEP_1) | instskip(SKIP_3) | instid1(VALU_DEP_4)
	v_mul_f64_e32 v[2:3], v[11:12], v[19:20]
	v_mul_f64_e32 v[15:16], v[9:10], v[19:20]
	v_cmp_neq_f64_e32 vcc_lo, 0, v[5:6]
	v_cmp_neq_f64_e64 s6, 0, v[7:8]
	v_fma_f64 v[13:14], v[9:10], v[17:18], -v[2:3]
	s_delay_alu instid0(VALU_DEP_4)
	v_fma_f64 v[15:16], v[11:12], v[17:18], v[15:16]
	s_or_b32 s6, vcc_lo, s6
	s_wait_alu 0xfffe
	s_and_not1_b32 vcc_lo, exec_lo, s6
	s_wait_alu 0xfffe
	s_cbranch_vccnz .LBB168_32
; %bb.31:                               ;   in Loop: Header=BB168_4 Depth=1
	s_add_nc_u64 s[42:43], s[38:39], s[34:35]
	global_load_b128 v[9:12], v1, s[42:43]
	s_wait_loadcnt 0x0
	v_mul_f64_e32 v[2:3], v[7:8], v[11:12]
	v_mul_f64_e32 v[11:12], v[5:6], v[11:12]
	s_delay_alu instid0(VALU_DEP_2) | instskip(NEXT) | instid1(VALU_DEP_2)
	v_fma_f64 v[2:3], v[5:6], v[9:10], -v[2:3]
	v_fma_f64 v[4:5], v[7:8], v[9:10], v[11:12]
	s_delay_alu instid0(VALU_DEP_2) | instskip(NEXT) | instid1(VALU_DEP_2)
	v_add_f64_e32 v[13:14], v[13:14], v[2:3]
	v_add_f64_e32 v[15:16], v[15:16], v[4:5]
.LBB168_32:                             ;   in Loop: Header=BB168_4 Depth=1
	s_or_b32 s27, s27, exec_lo
.LBB168_33:                             ;   in Loop: Header=BB168_4 Depth=1
	s_wait_alu 0xfffe
	s_or_b32 exec_lo, exec_lo, s40
.LBB168_34:                             ;   in Loop: Header=BB168_4 Depth=1
	s_wait_alu 0xfffe
	s_and_saveexec_b32 s6, s27
	s_cbranch_execz .LBB168_2
; %bb.35:                               ;   in Loop: Header=BB168_4 Depth=1
	s_add_nc_u64 s[38:39], s[38:39], s[34:35]
	global_store_b128 v1, v[13:16], s[38:39]
	s_branch .LBB168_2
.LBB168_36:
	s_endpgm
	.section	.rodata,"a",@progbits
	.p2align	6, 0x0
	.amdhsa_kernel _ZL32rocblas_gemvt_warp_reduce_kernelILb0ELi256Ei19rocblas_complex_numIdEPKS1_S1_EviiT3_lPKT2_lT1_lS7_lS8_lS4_lPT4_lS8_li
		.amdhsa_group_segment_fixed_size 512
		.amdhsa_private_segment_fixed_size 0
		.amdhsa_kernarg_size 140
		.amdhsa_user_sgpr_count 2
		.amdhsa_user_sgpr_dispatch_ptr 0
		.amdhsa_user_sgpr_queue_ptr 0
		.amdhsa_user_sgpr_kernarg_segment_ptr 1
		.amdhsa_user_sgpr_dispatch_id 0
		.amdhsa_user_sgpr_private_segment_size 0
		.amdhsa_wavefront_size32 1
		.amdhsa_uses_dynamic_stack 0
		.amdhsa_enable_private_segment 0
		.amdhsa_system_sgpr_workgroup_id_x 1
		.amdhsa_system_sgpr_workgroup_id_y 0
		.amdhsa_system_sgpr_workgroup_id_z 1
		.amdhsa_system_sgpr_workgroup_info 0
		.amdhsa_system_vgpr_workitem_id 0
		.amdhsa_next_free_vgpr 39
		.amdhsa_next_free_sgpr 44
		.amdhsa_reserve_vcc 1
		.amdhsa_float_round_mode_32 0
		.amdhsa_float_round_mode_16_64 0
		.amdhsa_float_denorm_mode_32 3
		.amdhsa_float_denorm_mode_16_64 3
		.amdhsa_fp16_overflow 0
		.amdhsa_workgroup_processor_mode 1
		.amdhsa_memory_ordered 1
		.amdhsa_forward_progress 1
		.amdhsa_inst_pref_size 17
		.amdhsa_round_robin_scheduling 0
		.amdhsa_exception_fp_ieee_invalid_op 0
		.amdhsa_exception_fp_denorm_src 0
		.amdhsa_exception_fp_ieee_div_zero 0
		.amdhsa_exception_fp_ieee_overflow 0
		.amdhsa_exception_fp_ieee_underflow 0
		.amdhsa_exception_fp_ieee_inexact 0
		.amdhsa_exception_int_div_zero 0
	.end_amdhsa_kernel
	.section	.text._ZL32rocblas_gemvt_warp_reduce_kernelILb0ELi256Ei19rocblas_complex_numIdEPKS1_S1_EviiT3_lPKT2_lT1_lS7_lS8_lS4_lPT4_lS8_li,"axG",@progbits,_ZL32rocblas_gemvt_warp_reduce_kernelILb0ELi256Ei19rocblas_complex_numIdEPKS1_S1_EviiT3_lPKT2_lT1_lS7_lS8_lS4_lPT4_lS8_li,comdat
.Lfunc_end168:
	.size	_ZL32rocblas_gemvt_warp_reduce_kernelILb0ELi256Ei19rocblas_complex_numIdEPKS1_S1_EviiT3_lPKT2_lT1_lS7_lS8_lS4_lPT4_lS8_li, .Lfunc_end168-_ZL32rocblas_gemvt_warp_reduce_kernelILb0ELi256Ei19rocblas_complex_numIdEPKS1_S1_EviiT3_lPKT2_lT1_lS7_lS8_lS4_lPT4_lS8_li
                                        ; -- End function
	.set _ZL32rocblas_gemvt_warp_reduce_kernelILb0ELi256Ei19rocblas_complex_numIdEPKS1_S1_EviiT3_lPKT2_lT1_lS7_lS8_lS4_lPT4_lS8_li.num_vgpr, 39
	.set _ZL32rocblas_gemvt_warp_reduce_kernelILb0ELi256Ei19rocblas_complex_numIdEPKS1_S1_EviiT3_lPKT2_lT1_lS7_lS8_lS4_lPT4_lS8_li.num_agpr, 0
	.set _ZL32rocblas_gemvt_warp_reduce_kernelILb0ELi256Ei19rocblas_complex_numIdEPKS1_S1_EviiT3_lPKT2_lT1_lS7_lS8_lS4_lPT4_lS8_li.numbered_sgpr, 44
	.set _ZL32rocblas_gemvt_warp_reduce_kernelILb0ELi256Ei19rocblas_complex_numIdEPKS1_S1_EviiT3_lPKT2_lT1_lS7_lS8_lS4_lPT4_lS8_li.num_named_barrier, 0
	.set _ZL32rocblas_gemvt_warp_reduce_kernelILb0ELi256Ei19rocblas_complex_numIdEPKS1_S1_EviiT3_lPKT2_lT1_lS7_lS8_lS4_lPT4_lS8_li.private_seg_size, 0
	.set _ZL32rocblas_gemvt_warp_reduce_kernelILb0ELi256Ei19rocblas_complex_numIdEPKS1_S1_EviiT3_lPKT2_lT1_lS7_lS8_lS4_lPT4_lS8_li.uses_vcc, 1
	.set _ZL32rocblas_gemvt_warp_reduce_kernelILb0ELi256Ei19rocblas_complex_numIdEPKS1_S1_EviiT3_lPKT2_lT1_lS7_lS8_lS4_lPT4_lS8_li.uses_flat_scratch, 0
	.set _ZL32rocblas_gemvt_warp_reduce_kernelILb0ELi256Ei19rocblas_complex_numIdEPKS1_S1_EviiT3_lPKT2_lT1_lS7_lS8_lS4_lPT4_lS8_li.has_dyn_sized_stack, 0
	.set _ZL32rocblas_gemvt_warp_reduce_kernelILb0ELi256Ei19rocblas_complex_numIdEPKS1_S1_EviiT3_lPKT2_lT1_lS7_lS8_lS4_lPT4_lS8_li.has_recursion, 0
	.set _ZL32rocblas_gemvt_warp_reduce_kernelILb0ELi256Ei19rocblas_complex_numIdEPKS1_S1_EviiT3_lPKT2_lT1_lS7_lS8_lS4_lPT4_lS8_li.has_indirect_call, 0
	.section	.AMDGPU.csdata,"",@progbits
; Kernel info:
; codeLenInByte = 2148
; TotalNumSgprs: 46
; NumVgprs: 39
; ScratchSize: 0
; MemoryBound: 0
; FloatMode: 240
; IeeeMode: 1
; LDSByteSize: 512 bytes/workgroup (compile time only)
; SGPRBlocks: 0
; VGPRBlocks: 4
; NumSGPRsForWavesPerEU: 46
; NumVGPRsForWavesPerEU: 39
; Occupancy: 16
; WaveLimiterHint : 0
; COMPUTE_PGM_RSRC2:SCRATCH_EN: 0
; COMPUTE_PGM_RSRC2:USER_SGPR: 2
; COMPUTE_PGM_RSRC2:TRAP_HANDLER: 0
; COMPUTE_PGM_RSRC2:TGID_X_EN: 1
; COMPUTE_PGM_RSRC2:TGID_Y_EN: 0
; COMPUTE_PGM_RSRC2:TGID_Z_EN: 1
; COMPUTE_PGM_RSRC2:TIDIG_COMP_CNT: 0
	.section	.text._ZL32rocblas_gemvt_warp_reduce_kernelILb0ELi256El19rocblas_complex_numIdEPKS1_S1_EviiT3_lPKT2_lT1_lS7_lS8_lS4_lPT4_lS8_li,"axG",@progbits,_ZL32rocblas_gemvt_warp_reduce_kernelILb0ELi256El19rocblas_complex_numIdEPKS1_S1_EviiT3_lPKT2_lT1_lS7_lS8_lS4_lPT4_lS8_li,comdat
	.globl	_ZL32rocblas_gemvt_warp_reduce_kernelILb0ELi256El19rocblas_complex_numIdEPKS1_S1_EviiT3_lPKT2_lT1_lS7_lS8_lS4_lPT4_lS8_li ; -- Begin function _ZL32rocblas_gemvt_warp_reduce_kernelILb0ELi256El19rocblas_complex_numIdEPKS1_S1_EviiT3_lPKT2_lT1_lS7_lS8_lS4_lPT4_lS8_li
	.p2align	8
	.type	_ZL32rocblas_gemvt_warp_reduce_kernelILb0ELi256El19rocblas_complex_numIdEPKS1_S1_EviiT3_lPKT2_lT1_lS7_lS8_lS4_lPT4_lS8_li,@function
_ZL32rocblas_gemvt_warp_reduce_kernelILb0ELi256El19rocblas_complex_numIdEPKS1_S1_EviiT3_lPKT2_lT1_lS7_lS8_lS4_lPT4_lS8_li: ; @_ZL32rocblas_gemvt_warp_reduce_kernelILb0ELi256El19rocblas_complex_numIdEPKS1_S1_EviiT3_lPKT2_lT1_lS7_lS8_lS4_lPT4_lS8_li
; %bb.0:
	s_load_b32 s7, s[0:1], 0x88
	s_lshr_b32 s24, ttmp7, 16
	s_wait_kmcnt 0x0
	s_cmp_ge_u32 s24, s7
	s_cbranch_scc1 .LBB169_36
; %bb.1:
	s_clause 0x2
	s_load_b512 s[8:23], s[0:1], 0x8
	s_load_b512 s[36:51], s[0:1], 0x48
	s_load_b32 s6, s[0:1], 0x0
	s_mov_b32 s2, ttmp9
	s_ashr_i32 s3, ttmp9, 31
	v_cmp_eq_u32_e64 s0, 0, v0
	v_mbcnt_lo_u32_b32 v31, -1, 0
	s_mov_b32 s25, 0
	s_wait_kmcnt 0x0
	s_lshl_b64 s[4:5], s[22:23], 4
	s_lshl_b64 s[26:27], s[14:15], 4
	s_ashr_i32 s1, s6, 31
	v_cmp_gt_i32_e32 vcc_lo, s6, v0
	s_lshr_b32 s1, s1, 24
	s_add_nc_u64 s[14:15], s[20:21], s[4:5]
	s_add_co_i32 s1, s6, s1
	v_dual_mov_b32 v1, 0 :: v_dual_cndmask_b32 v4, 0, v0
	s_and_b32 s20, s1, 0xffffff00
	v_mad_co_u64_u32 v[2:3], null, s36, v0, 0
	v_or_b32_e32 v9, s20, v0
	s_delay_alu instid0(VALU_DEP_3)
	v_lshlrev_b32_e32 v8, 4, v4
	s_add_nc_u64 s[4:5], s[12:13], s[26:27]
	s_lshl_b64 s[22:23], s[46:47], 4
	s_mul_u64 s[28:29], s[48:49], s[2:3]
	v_mad_co_u64_u32 v[4:5], null, s36, v9, 0
	s_mul_u64 s[2:3], s[16:17], s[2:3]
	s_add_nc_u64 s[16:17], s[44:45], s[22:23]
	s_lshl_b64 s[22:23], s[2:3], 4
	v_mul_lo_u32 v12, s37, v9
	s_ashr_i32 s21, s20, 31
	v_cmp_gt_i32_e64 s2, s6, v9
	v_mad_co_u64_u32 v[6:7], null, s37, v0, v[3:4]
	s_wait_alu 0xfffe
	s_mul_i32 s3, s36, s21
	v_lshrrev_b32_e32 v7, 1, v0
	s_lshl_b64 s[28:29], s[28:29], 4
	v_add3_u32 v5, v5, s3, v12
	v_cmp_gt_u32_e64 s3, 32, v0
	s_delay_alu instid0(VALU_DEP_4) | instskip(SKIP_1) | instid1(VALU_DEP_1)
	v_mov_b32_e32 v3, v6
	v_add_co_u32 v10, s1, s4, v8
	v_add_co_ci_u32_e64 v11, null, s5, 0, s1
	s_delay_alu instid0(VALU_DEP_3) | instskip(NEXT) | instid1(VALU_DEP_3)
	v_lshlrev_b64_e32 v[2:3], 4, v[2:3]
	v_add_co_u32 v27, vcc_lo, v10, s22
	s_wait_alu 0xfffd
	s_delay_alu instid0(VALU_DEP_3)
	v_add_co_ci_u32_e64 v28, null, s23, v11, vcc_lo
	s_add_nc_u64 s[22:23], s[22:23], s[26:27]
	v_add_co_u32 v2, vcc_lo, s14, v2
	s_wait_alu 0xfffd
	v_add_co_ci_u32_e64 v3, null, s15, v3, vcc_lo
	s_wait_alu 0xfffe
	s_add_nc_u64 s[12:13], s[12:13], s[22:23]
	v_add_co_u32 v21, vcc_lo, v2, 8
	v_add_co_u32 v2, s6, s12, v8
	v_and_b32_e32 v6, 31, v0
	s_wait_alu 0xfffd
	v_add_co_ci_u32_e64 v22, null, 0, v3, vcc_lo
	s_wait_alu 0xf1ff
	v_add_co_ci_u32_e64 v3, null, s13, 0, s6
	v_add_co_u32 v23, vcc_lo, v2, 8
	v_lshlrev_b64_e32 v[25:26], 4, v[4:5]
	v_cmp_gt_i32_e64 s1, s20, v0
	v_lshlrev_b32_e32 v29, 4, v6
	v_cmp_eq_u32_e64 s4, 0, v6
	v_and_b32_e32 v30, 0x70, v7
	v_cmp_gt_u32_e64 s5, 8, v0
	s_wait_alu 0xfffd
	v_add_co_ci_u32_e64 v24, null, 0, v3, vcc_lo
	s_lshl_b64 s[12:13], s[38:39], 4
	s_lshl_b64 s[22:23], s[36:37], 12
	;; [unrolled: 1-line block ×3, first 2 shown]
	s_branch .LBB169_4
.LBB169_2:                              ;   in Loop: Header=BB169_4 Depth=1
	s_wait_alu 0xfffe
	s_or_b32 exec_lo, exec_lo, s6
.LBB169_3:                              ;   in Loop: Header=BB169_4 Depth=1
	s_add_co_i32 s24, s24, 0x10000
	s_wait_alu 0xfffe
	s_cmp_lt_u32 s24, s7
	s_cbranch_scc0 .LBB169_36
.LBB169_4:                              ; =>This Loop Header: Depth=1
                                        ;     Child Loop BB169_25 Depth 2
	s_mul_u64 s[30:31], s[10:11], s[24:25]
	s_delay_alu instid0(SALU_CYCLE_1) | instskip(NEXT) | instid1(SALU_CYCLE_1)
	s_lshl_b64 s[30:31], s[30:31], 4
	s_add_nc_u64 s[30:31], s[8:9], s[30:31]
	global_load_b128 v[9:12], v1, s[30:31]
	s_mul_u64 s[30:31], s[42:43], s[24:25]
	s_delay_alu instid0(SALU_CYCLE_1) | instskip(NEXT) | instid1(SALU_CYCLE_1)
	s_lshl_b64 s[30:31], s[30:31], 4
	s_add_nc_u64 s[30:31], s[40:41], s[30:31]
	s_wait_loadcnt 0x1
	global_load_b128 v[5:8], v1, s[30:31]
	s_wait_loadcnt 0x1
	v_cmp_neq_f64_e32 vcc_lo, 0, v[9:10]
	v_cmp_neq_f64_e64 s6, 0, v[11:12]
	s_or_b32 s30, vcc_lo, s6
	s_mov_b32 s6, -1
	s_and_b32 vcc_lo, exec_lo, s30
	s_wait_alu 0xfffe
	s_cbranch_vccz .LBB169_6
; %bb.5:                                ;   in Loop: Header=BB169_4 Depth=1
	s_and_not1_b32 vcc_lo, exec_lo, s6
	s_wait_alu 0xfffe
	s_cbranch_vccnz .LBB169_3
	s_branch .LBB169_7
.LBB169_6:                              ;   in Loop: Header=BB169_4 Depth=1
	s_wait_loadcnt 0x0
	v_cmp_neq_f64_e32 vcc_lo, 1.0, v[5:6]
	v_cmp_neq_f64_e64 s6, 0, v[7:8]
	s_or_b32 s6, vcc_lo, s6
	s_wait_alu 0xfffe
	s_and_not1_b32 vcc_lo, exec_lo, s6
	s_wait_alu 0xfffe
	s_cbranch_vccnz .LBB169_3
.LBB169_7:                              ;   in Loop: Header=BB169_4 Depth=1
	s_xor_b32 s6, s30, -1
	s_mul_u64 s[30:31], s[50:51], s[24:25]
	s_wait_alu 0xfffe
	s_and_not1_b32 vcc_lo, exec_lo, s6
	s_lshl_b64 s[30:31], s[30:31], 4
	s_delay_alu instid0(SALU_CYCLE_1)
	s_add_nc_u64 s[30:31], s[16:17], s[30:31]
	s_wait_alu 0xfffe
	s_cbranch_vccnz .LBB169_11
; %bb.8:                                ;   in Loop: Header=BB169_4 Depth=1
	s_mov_b32 s34, 0
	s_mov_b32 s33, 0
                                        ; implicit-def: $vgpr15_vgpr16
	s_and_saveexec_b32 s35, s0
	s_cbranch_execz .LBB169_12
; %bb.9:                                ;   in Loop: Header=BB169_4 Depth=1
	s_wait_loadcnt 0x0
	v_cmp_neq_f64_e32 vcc_lo, 0, v[5:6]
	v_cmp_neq_f64_e64 s6, 0, v[7:8]
	s_or_b32 s6, vcc_lo, s6
	s_wait_alu 0xfffe
	s_and_not1_b32 vcc_lo, exec_lo, s6
	s_wait_alu 0xfffe
	s_cbranch_vccnz .LBB169_13
; %bb.10:                               ;   in Loop: Header=BB169_4 Depth=1
	s_add_nc_u64 s[36:37], s[30:31], s[28:29]
	s_wait_dscnt 0x0
	global_load_b128 v[15:18], v1, s[36:37]
	s_wait_loadcnt 0x0
	v_mul_f64_e32 v[2:3], v[7:8], v[17:18]
	v_mul_f64_e32 v[17:18], v[5:6], v[17:18]
	s_delay_alu instid0(VALU_DEP_2) | instskip(NEXT) | instid1(VALU_DEP_2)
	v_fma_f64 v[13:14], v[5:6], v[15:16], -v[2:3]
	v_fma_f64 v[15:16], v[7:8], v[15:16], v[17:18]
	s_branch .LBB169_14
.LBB169_11:                             ;   in Loop: Header=BB169_4 Depth=1
	s_mov_b32 s33, 0
                                        ; implicit-def: $vgpr15_vgpr16
	s_cbranch_execnz .LBB169_15
	s_branch .LBB169_34
.LBB169_12:                             ;   in Loop: Header=BB169_4 Depth=1
	s_wait_alu 0xfffe
	s_or_b32 exec_lo, exec_lo, s35
	s_delay_alu instid0(SALU_CYCLE_1)
	s_and_b32 vcc_lo, exec_lo, s34
	s_wait_alu 0xfffe
	s_cbranch_vccnz .LBB169_15
	s_branch .LBB169_34
.LBB169_13:                             ;   in Loop: Header=BB169_4 Depth=1
	v_mov_b32_e32 v15, 0
	v_dual_mov_b32 v16, 0 :: v_dual_mov_b32 v13, 0
	v_mov_b32_e32 v14, 0
.LBB169_14:                             ;   in Loop: Header=BB169_4 Depth=1
	s_mov_b32 s33, exec_lo
	s_or_b32 exec_lo, exec_lo, s35
	s_delay_alu instid0(SALU_CYCLE_1)
	s_and_b32 vcc_lo, exec_lo, s34
	s_wait_alu 0xfffe
	s_cbranch_vccz .LBB169_34
.LBB169_15:                             ;   in Loop: Header=BB169_4 Depth=1
	v_mov_b32_e32 v13, 0
	v_dual_mov_b32 v14, 0 :: v_dual_mov_b32 v15, 0
	v_mov_b32_e32 v16, 0
	s_and_saveexec_b32 s34, s1
	s_cbranch_execnz .LBB169_24
; %bb.16:                               ;   in Loop: Header=BB169_4 Depth=1
	s_wait_alu 0xfffe
	s_or_b32 exec_lo, exec_lo, s34
	s_and_saveexec_b32 s6, s2
	s_cbranch_execnz .LBB169_27
.LBB169_17:                             ;   in Loop: Header=BB169_4 Depth=1
	s_wait_alu 0xfffe
	s_or_b32 exec_lo, exec_lo, s6
	s_and_saveexec_b32 s6, s3
.LBB169_18:                             ;   in Loop: Header=BB169_4 Depth=1
	v_dual_mov_b32 v2, v1 :: v_dual_mov_b32 v3, v1
	v_mov_b32_e32 v4, v1
	ds_store_b128 v29, v[1:4]
.LBB169_19:                             ;   in Loop: Header=BB169_4 Depth=1
	s_wait_alu 0xfffe
	s_or_b32 exec_lo, exec_lo, s6
	v_lshl_or_b32 v4, v31, 2, 64
	v_cmp_gt_u32_e32 vcc_lo, 24, v31
	s_wait_loadcnt_dscnt 0x0
	s_barrier_signal -1
	s_barrier_wait -1
	ds_bpermute_b32 v2, v4, v15
	ds_bpermute_b32 v3, v4, v16
	;; [unrolled: 1-line block ×4, first 2 shown]
	s_wait_alu 0xfffd
	v_cndmask_b32_e64 v4, 0, 8, vcc_lo
	v_cmp_gt_u32_e32 vcc_lo, 28, v31
	s_wait_dscnt 0x0
	global_inv scope:SCOPE_SE
	v_add_lshl_u32 v4, v4, v31, 2
	v_add_f64_e32 v[2:3], v[15:16], v[2:3]
	v_add_f64_e32 v[13:14], v[13:14], v[17:18]
	ds_bpermute_b32 v15, v4, v2
	ds_bpermute_b32 v16, v4, v3
	ds_bpermute_b32 v17, v4, v13
	ds_bpermute_b32 v18, v4, v14
	s_wait_alu 0xfffd
	v_cndmask_b32_e64 v4, 0, 4, vcc_lo
	v_cmp_gt_u32_e32 vcc_lo, 30, v31
	s_delay_alu instid0(VALU_DEP_2)
	v_add_lshl_u32 v4, v4, v31, 2
	s_wait_dscnt 0x2
	v_add_f64_e32 v[2:3], v[2:3], v[15:16]
	s_wait_dscnt 0x0
	v_add_f64_e32 v[13:14], v[13:14], v[17:18]
	ds_bpermute_b32 v15, v4, v2
	ds_bpermute_b32 v16, v4, v3
	;; [unrolled: 1-line block ×4, first 2 shown]
	s_wait_dscnt 0x2
	v_add_f64_e32 v[2:3], v[2:3], v[15:16]
	s_wait_alu 0xfffd
	v_cndmask_b32_e64 v15, 0, 2, vcc_lo
	s_wait_dscnt 0x0
	v_add_f64_e32 v[13:14], v[13:14], v[17:18]
	v_cmp_ne_u32_e32 vcc_lo, 31, v31
	s_delay_alu instid0(VALU_DEP_3)
	v_add_lshl_u32 v32, v15, v31, 2
	ds_bpermute_b32 v15, v32, v2
	ds_bpermute_b32 v16, v32, v3
	;; [unrolled: 1-line block ×4, first 2 shown]
	s_wait_dscnt 0x2
	v_add_f64_e32 v[2:3], v[2:3], v[15:16]
	s_wait_alu 0xfffd
	v_add_co_ci_u32_e64 v15, null, 0, v31, vcc_lo
	s_wait_dscnt 0x0
	v_add_f64_e32 v[13:14], v[13:14], v[17:18]
	s_delay_alu instid0(VALU_DEP_2)
	v_lshlrev_b32_e32 v33, 2, v15
	ds_bpermute_b32 v15, v33, v2
	ds_bpermute_b32 v16, v33, v3
	;; [unrolled: 1-line block ×4, first 2 shown]
	s_and_saveexec_b32 s6, s4
	s_cbranch_execz .LBB169_21
; %bb.20:                               ;   in Loop: Header=BB169_4 Depth=1
	s_wait_dscnt 0x0
	v_add_f64_e32 v[17:18], v[13:14], v[17:18]
	v_add_f64_e32 v[15:16], v[2:3], v[15:16]
	ds_store_b128 v30, v[15:18]
.LBB169_21:                             ;   in Loop: Header=BB169_4 Depth=1
	s_wait_alu 0xfffe
	s_or_b32 exec_lo, exec_lo, s6
	v_mov_b32_e32 v19, 0
	s_wait_dscnt 0x0
	v_dual_mov_b32 v20, 0 :: v_dual_mov_b32 v17, 0
	v_mov_b32_e32 v18, 0
	s_wait_loadcnt 0x0
	s_barrier_signal -1
	s_barrier_wait -1
	global_inv scope:SCOPE_SE
	s_and_saveexec_b32 s6, s5
	s_cbranch_execnz .LBB169_28
; %bb.22:                               ;   in Loop: Header=BB169_4 Depth=1
	s_wait_alu 0xfffe
	s_or_b32 exec_lo, exec_lo, s6
	s_and_saveexec_b32 s6, s3
	s_cbranch_execnz .LBB169_29
.LBB169_23:                             ;   in Loop: Header=BB169_4 Depth=1
	s_wait_alu 0xfffe
	s_or_b32 exec_lo, exec_lo, s6
                                        ; implicit-def: $vgpr15_vgpr16
	s_and_saveexec_b32 s34, s0
	s_cbranch_execnz .LBB169_30
	s_branch .LBB169_33
.LBB169_24:                             ;   in Loop: Header=BB169_4 Depth=1
	s_wait_dscnt 0x0
	v_mad_co_u64_u32 v[17:18], null, s26, s24, v[23:24]
	v_mad_co_u64_u32 v[2:3], null, s12, s24, v[21:22]
	s_mov_b32 s35, 0
	v_mov_b32_e32 v13, 0
	v_dual_mov_b32 v14, 0 :: v_dual_mov_b32 v15, 0
	v_mov_b32_e32 v4, v18
	s_delay_alu instid0(VALU_DEP_1) | instskip(SKIP_3) | instid1(VALU_DEP_3)
	v_mad_co_u64_u32 v[18:19], null, s13, s24, v[3:4]
	s_wait_loadcnt 0x0
	v_mad_co_u64_u32 v[19:20], null, s27, s24, v[4:5]
	v_mov_b32_e32 v16, 0
	v_dual_mov_b32 v4, v0 :: v_dual_mov_b32 v3, v18
	s_delay_alu instid0(VALU_DEP_3)
	v_mov_b32_e32 v18, v19
.LBB169_25:                             ;   Parent Loop BB169_4 Depth=1
                                        ; =>  This Inner Loop Header: Depth=2
	global_load_b128 v[32:35], v[17:18], off offset:-8
	global_load_b128 v[36:39], v[2:3], off offset:-8
	v_add_nc_u32_e32 v4, 0x100, v4
	v_add_co_u32 v2, vcc_lo, v2, s22
	s_wait_alu 0xfffd
	v_add_co_ci_u32_e64 v3, null, s23, v3, vcc_lo
	s_delay_alu instid0(VALU_DEP_3)
	v_cmp_le_i32_e32 vcc_lo, s20, v4
	v_add_co_u32 v17, s6, 0x1000, v17
	s_wait_alu 0xf1ff
	v_add_co_ci_u32_e64 v18, null, 0, v18, s6
	s_wait_alu 0xfffe
	s_or_b32 s35, vcc_lo, s35
	s_wait_loadcnt 0x0
	v_mul_f64_e32 v[19:20], v[34:35], v[38:39]
	v_mul_f64_e32 v[38:39], v[32:33], v[38:39]
	s_delay_alu instid0(VALU_DEP_2) | instskip(NEXT) | instid1(VALU_DEP_2)
	v_fma_f64 v[19:20], v[32:33], v[36:37], -v[19:20]
	v_fma_f64 v[32:33], v[34:35], v[36:37], v[38:39]
	s_delay_alu instid0(VALU_DEP_2) | instskip(NEXT) | instid1(VALU_DEP_2)
	v_add_f64_e32 v[15:16], v[15:16], v[19:20]
	v_add_f64_e32 v[13:14], v[13:14], v[32:33]
	s_wait_alu 0xfffe
	s_and_not1_b32 exec_lo, exec_lo, s35
	s_cbranch_execnz .LBB169_25
; %bb.26:                               ;   in Loop: Header=BB169_4 Depth=1
	s_or_b32 exec_lo, exec_lo, s35
	s_delay_alu instid0(SALU_CYCLE_1)
	s_or_b32 exec_lo, exec_lo, s34
	s_and_saveexec_b32 s6, s2
	s_cbranch_execz .LBB169_17
.LBB169_27:                             ;   in Loop: Header=BB169_4 Depth=1
	s_mul_u64 s[34:35], s[18:19], s[24:25]
	s_mul_u64 s[36:37], s[38:39], s[24:25]
	s_wait_alu 0xfffe
	s_lshl_b64 s[34:35], s[34:35], 4
	s_lshl_b64 s[36:37], s[36:37], 4
	s_wait_alu 0xfffe
	v_add_co_u32 v4, vcc_lo, v27, s34
	s_wait_dscnt 0x0
	s_wait_alu 0xfffd
	v_add_co_ci_u32_e64 v17, null, s35, v28, vcc_lo
	s_add_nc_u64 s[34:35], s[14:15], s[36:37]
	s_lshl_b64 s[36:37], s[20:21], 4
	s_wait_alu 0xfffe
	v_add_co_u32 v2, vcc_lo, s34, v25
	s_wait_alu 0xfffd
	v_add_co_ci_u32_e64 v3, null, s35, v26, vcc_lo
	v_add_co_u32 v32, vcc_lo, v4, s36
	s_wait_alu 0xfffd
	v_add_co_ci_u32_e64 v33, null, s37, v17, vcc_lo
	global_load_b128 v[17:20], v[2:3], off
	global_load_b128 v[32:35], v[32:33], off
	s_wait_loadcnt 0x0
	v_mul_f64_e32 v[2:3], v[34:35], v[19:20]
	v_mul_f64_e32 v[19:20], v[32:33], v[19:20]
	s_delay_alu instid0(VALU_DEP_2) | instskip(NEXT) | instid1(VALU_DEP_2)
	v_fma_f64 v[2:3], v[32:33], v[17:18], -v[2:3]
	v_fma_f64 v[17:18], v[34:35], v[17:18], v[19:20]
	s_delay_alu instid0(VALU_DEP_2) | instskip(NEXT) | instid1(VALU_DEP_2)
	v_add_f64_e32 v[15:16], v[15:16], v[2:3]
	v_add_f64_e32 v[13:14], v[13:14], v[17:18]
	s_or_b32 exec_lo, exec_lo, s6
	s_and_saveexec_b32 s6, s3
	s_cbranch_execnz .LBB169_18
	s_branch .LBB169_19
.LBB169_28:                             ;   in Loop: Header=BB169_4 Depth=1
	ds_load_b128 v[17:20], v29
	s_wait_alu 0xfffe
	s_or_b32 exec_lo, exec_lo, s6
	s_and_saveexec_b32 s6, s3
	s_cbranch_execz .LBB169_23
.LBB169_29:                             ;   in Loop: Header=BB169_4 Depth=1
	s_wait_dscnt 0x0
	ds_bpermute_b32 v2, v4, v17
	ds_bpermute_b32 v3, v4, v18
	ds_bpermute_b32 v13, v4, v19
	ds_bpermute_b32 v14, v4, v20
	s_wait_dscnt 0x2
	v_add_f64_e32 v[2:3], v[17:18], v[2:3]
	s_wait_dscnt 0x0
	v_add_f64_e32 v[13:14], v[19:20], v[13:14]
	ds_bpermute_b32 v15, v32, v2
	ds_bpermute_b32 v16, v32, v3
	ds_bpermute_b32 v17, v32, v13
	ds_bpermute_b32 v18, v32, v14
	s_wait_dscnt 0x2
	v_add_f64_e32 v[2:3], v[2:3], v[15:16]
	s_wait_dscnt 0x0
	v_add_f64_e32 v[13:14], v[13:14], v[17:18]
	;; [unrolled: 8-line block ×3, first 2 shown]
	s_wait_alu 0xfffe
	s_or_b32 exec_lo, exec_lo, s6
                                        ; implicit-def: $vgpr15_vgpr16
	s_and_saveexec_b32 s34, s0
	s_cbranch_execz .LBB169_33
.LBB169_30:                             ;   in Loop: Header=BB169_4 Depth=1
	s_wait_dscnt 0x0
	s_delay_alu instid0(VALU_DEP_1) | instskip(SKIP_3) | instid1(VALU_DEP_4)
	v_mul_f64_e32 v[2:3], v[11:12], v[19:20]
	v_mul_f64_e32 v[15:16], v[9:10], v[19:20]
	v_cmp_neq_f64_e32 vcc_lo, 0, v[5:6]
	v_cmp_neq_f64_e64 s6, 0, v[7:8]
	v_fma_f64 v[13:14], v[9:10], v[17:18], -v[2:3]
	s_delay_alu instid0(VALU_DEP_4)
	v_fma_f64 v[15:16], v[11:12], v[17:18], v[15:16]
	s_or_b32 s6, vcc_lo, s6
	s_wait_alu 0xfffe
	s_and_not1_b32 vcc_lo, exec_lo, s6
	s_wait_alu 0xfffe
	s_cbranch_vccnz .LBB169_32
; %bb.31:                               ;   in Loop: Header=BB169_4 Depth=1
	s_add_nc_u64 s[36:37], s[30:31], s[28:29]
	global_load_b128 v[9:12], v1, s[36:37]
	s_wait_loadcnt 0x0
	v_mul_f64_e32 v[2:3], v[7:8], v[11:12]
	v_mul_f64_e32 v[11:12], v[5:6], v[11:12]
	s_delay_alu instid0(VALU_DEP_2) | instskip(NEXT) | instid1(VALU_DEP_2)
	v_fma_f64 v[2:3], v[5:6], v[9:10], -v[2:3]
	v_fma_f64 v[4:5], v[7:8], v[9:10], v[11:12]
	s_delay_alu instid0(VALU_DEP_2) | instskip(NEXT) | instid1(VALU_DEP_2)
	v_add_f64_e32 v[13:14], v[13:14], v[2:3]
	v_add_f64_e32 v[15:16], v[15:16], v[4:5]
.LBB169_32:                             ;   in Loop: Header=BB169_4 Depth=1
	s_or_b32 s33, s33, exec_lo
.LBB169_33:                             ;   in Loop: Header=BB169_4 Depth=1
	s_wait_alu 0xfffe
	s_or_b32 exec_lo, exec_lo, s34
.LBB169_34:                             ;   in Loop: Header=BB169_4 Depth=1
	s_and_saveexec_b32 s6, s33
	s_cbranch_execz .LBB169_2
; %bb.35:                               ;   in Loop: Header=BB169_4 Depth=1
	s_add_nc_u64 s[30:31], s[30:31], s[28:29]
	global_store_b128 v1, v[13:16], s[30:31]
	s_branch .LBB169_2
.LBB169_36:
	s_endpgm
	.section	.rodata,"a",@progbits
	.p2align	6, 0x0
	.amdhsa_kernel _ZL32rocblas_gemvt_warp_reduce_kernelILb0ELi256El19rocblas_complex_numIdEPKS1_S1_EviiT3_lPKT2_lT1_lS7_lS8_lS4_lPT4_lS8_li
		.amdhsa_group_segment_fixed_size 512
		.amdhsa_private_segment_fixed_size 0
		.amdhsa_kernarg_size 140
		.amdhsa_user_sgpr_count 2
		.amdhsa_user_sgpr_dispatch_ptr 0
		.amdhsa_user_sgpr_queue_ptr 0
		.amdhsa_user_sgpr_kernarg_segment_ptr 1
		.amdhsa_user_sgpr_dispatch_id 0
		.amdhsa_user_sgpr_private_segment_size 0
		.amdhsa_wavefront_size32 1
		.amdhsa_uses_dynamic_stack 0
		.amdhsa_enable_private_segment 0
		.amdhsa_system_sgpr_workgroup_id_x 1
		.amdhsa_system_sgpr_workgroup_id_y 0
		.amdhsa_system_sgpr_workgroup_id_z 1
		.amdhsa_system_sgpr_workgroup_info 0
		.amdhsa_system_vgpr_workitem_id 0
		.amdhsa_next_free_vgpr 40
		.amdhsa_next_free_sgpr 52
		.amdhsa_reserve_vcc 1
		.amdhsa_float_round_mode_32 0
		.amdhsa_float_round_mode_16_64 0
		.amdhsa_float_denorm_mode_32 3
		.amdhsa_float_denorm_mode_16_64 3
		.amdhsa_fp16_overflow 0
		.amdhsa_workgroup_processor_mode 1
		.amdhsa_memory_ordered 1
		.amdhsa_forward_progress 1
		.amdhsa_inst_pref_size 18
		.amdhsa_round_robin_scheduling 0
		.amdhsa_exception_fp_ieee_invalid_op 0
		.amdhsa_exception_fp_denorm_src 0
		.amdhsa_exception_fp_ieee_div_zero 0
		.amdhsa_exception_fp_ieee_overflow 0
		.amdhsa_exception_fp_ieee_underflow 0
		.amdhsa_exception_fp_ieee_inexact 0
		.amdhsa_exception_int_div_zero 0
	.end_amdhsa_kernel
	.section	.text._ZL32rocblas_gemvt_warp_reduce_kernelILb0ELi256El19rocblas_complex_numIdEPKS1_S1_EviiT3_lPKT2_lT1_lS7_lS8_lS4_lPT4_lS8_li,"axG",@progbits,_ZL32rocblas_gemvt_warp_reduce_kernelILb0ELi256El19rocblas_complex_numIdEPKS1_S1_EviiT3_lPKT2_lT1_lS7_lS8_lS4_lPT4_lS8_li,comdat
.Lfunc_end169:
	.size	_ZL32rocblas_gemvt_warp_reduce_kernelILb0ELi256El19rocblas_complex_numIdEPKS1_S1_EviiT3_lPKT2_lT1_lS7_lS8_lS4_lPT4_lS8_li, .Lfunc_end169-_ZL32rocblas_gemvt_warp_reduce_kernelILb0ELi256El19rocblas_complex_numIdEPKS1_S1_EviiT3_lPKT2_lT1_lS7_lS8_lS4_lPT4_lS8_li
                                        ; -- End function
	.set _ZL32rocblas_gemvt_warp_reduce_kernelILb0ELi256El19rocblas_complex_numIdEPKS1_S1_EviiT3_lPKT2_lT1_lS7_lS8_lS4_lPT4_lS8_li.num_vgpr, 40
	.set _ZL32rocblas_gemvt_warp_reduce_kernelILb0ELi256El19rocblas_complex_numIdEPKS1_S1_EviiT3_lPKT2_lT1_lS7_lS8_lS4_lPT4_lS8_li.num_agpr, 0
	.set _ZL32rocblas_gemvt_warp_reduce_kernelILb0ELi256El19rocblas_complex_numIdEPKS1_S1_EviiT3_lPKT2_lT1_lS7_lS8_lS4_lPT4_lS8_li.numbered_sgpr, 52
	.set _ZL32rocblas_gemvt_warp_reduce_kernelILb0ELi256El19rocblas_complex_numIdEPKS1_S1_EviiT3_lPKT2_lT1_lS7_lS8_lS4_lPT4_lS8_li.num_named_barrier, 0
	.set _ZL32rocblas_gemvt_warp_reduce_kernelILb0ELi256El19rocblas_complex_numIdEPKS1_S1_EviiT3_lPKT2_lT1_lS7_lS8_lS4_lPT4_lS8_li.private_seg_size, 0
	.set _ZL32rocblas_gemvt_warp_reduce_kernelILb0ELi256El19rocblas_complex_numIdEPKS1_S1_EviiT3_lPKT2_lT1_lS7_lS8_lS4_lPT4_lS8_li.uses_vcc, 1
	.set _ZL32rocblas_gemvt_warp_reduce_kernelILb0ELi256El19rocblas_complex_numIdEPKS1_S1_EviiT3_lPKT2_lT1_lS7_lS8_lS4_lPT4_lS8_li.uses_flat_scratch, 0
	.set _ZL32rocblas_gemvt_warp_reduce_kernelILb0ELi256El19rocblas_complex_numIdEPKS1_S1_EviiT3_lPKT2_lT1_lS7_lS8_lS4_lPT4_lS8_li.has_dyn_sized_stack, 0
	.set _ZL32rocblas_gemvt_warp_reduce_kernelILb0ELi256El19rocblas_complex_numIdEPKS1_S1_EviiT3_lPKT2_lT1_lS7_lS8_lS4_lPT4_lS8_li.has_recursion, 0
	.set _ZL32rocblas_gemvt_warp_reduce_kernelILb0ELi256El19rocblas_complex_numIdEPKS1_S1_EviiT3_lPKT2_lT1_lS7_lS8_lS4_lPT4_lS8_li.has_indirect_call, 0
	.section	.AMDGPU.csdata,"",@progbits
; Kernel info:
; codeLenInByte = 2204
; TotalNumSgprs: 54
; NumVgprs: 40
; ScratchSize: 0
; MemoryBound: 0
; FloatMode: 240
; IeeeMode: 1
; LDSByteSize: 512 bytes/workgroup (compile time only)
; SGPRBlocks: 0
; VGPRBlocks: 4
; NumSGPRsForWavesPerEU: 54
; NumVGPRsForWavesPerEU: 40
; Occupancy: 16
; WaveLimiterHint : 0
; COMPUTE_PGM_RSRC2:SCRATCH_EN: 0
; COMPUTE_PGM_RSRC2:USER_SGPR: 2
; COMPUTE_PGM_RSRC2:TRAP_HANDLER: 0
; COMPUTE_PGM_RSRC2:TGID_X_EN: 1
; COMPUTE_PGM_RSRC2:TGID_Y_EN: 0
; COMPUTE_PGM_RSRC2:TGID_Z_EN: 1
; COMPUTE_PGM_RSRC2:TIDIG_COMP_CNT: 0
	.section	.text._ZL32rocblas_gemvt_warp_reduce_kernelILb0ELi256Ei19rocblas_complex_numIdES1_S1_EviiT3_lPKT2_lT1_lS5_lS6_lS2_lPT4_lS6_li,"axG",@progbits,_ZL32rocblas_gemvt_warp_reduce_kernelILb0ELi256Ei19rocblas_complex_numIdES1_S1_EviiT3_lPKT2_lT1_lS5_lS6_lS2_lPT4_lS6_li,comdat
	.globl	_ZL32rocblas_gemvt_warp_reduce_kernelILb0ELi256Ei19rocblas_complex_numIdES1_S1_EviiT3_lPKT2_lT1_lS5_lS6_lS2_lPT4_lS6_li ; -- Begin function _ZL32rocblas_gemvt_warp_reduce_kernelILb0ELi256Ei19rocblas_complex_numIdES1_S1_EviiT3_lPKT2_lT1_lS5_lS6_lS2_lPT4_lS6_li
	.p2align	8
	.type	_ZL32rocblas_gemvt_warp_reduce_kernelILb0ELi256Ei19rocblas_complex_numIdES1_S1_EviiT3_lPKT2_lT1_lS5_lS6_lS2_lPT4_lS6_li,@function
_ZL32rocblas_gemvt_warp_reduce_kernelILb0ELi256Ei19rocblas_complex_numIdES1_S1_EviiT3_lPKT2_lT1_lS5_lS6_lS2_lPT4_lS6_li: ; @_ZL32rocblas_gemvt_warp_reduce_kernelILb0ELi256Ei19rocblas_complex_numIdES1_S1_EviiT3_lPKT2_lT1_lS5_lS6_lS2_lPT4_lS6_li
; %bb.0:
	s_load_b32 s33, s[0:1], 0x98
	s_lshr_b32 s28, ttmp7, 16
	s_wait_kmcnt 0x0
	s_cmp_ge_u32 s28, s33
	s_cbranch_scc1 .LBB170_34
; %bb.1:
	s_clause 0xa
	s_load_b128 s[8:11], s[0:1], 0x8
	s_load_b32 s27, s[0:1], 0x0
	s_load_b96 s[24:26], s[0:1], 0x48
	s_load_b128 s[4:7], s[0:1], 0x78
	s_load_b128 s[20:23], s[0:1], 0x20
	;; [unrolled: 1-line block ×3, first 2 shown]
	s_load_b64 s[30:31], s[0:1], 0x68
	s_load_b128 s[16:19], s[0:1], 0x38
	s_load_b32 s3, s[0:1], 0x88
	s_load_b32 s39, s[0:1], 0x30
	s_load_b64 s[34:35], s[0:1], 0x90
	v_dual_mov_b32 v1, 0 :: v_dual_and_b32 v2, 31, v0
	v_lshrrev_b32_e32 v3, 1, v0
	v_cmp_eq_u32_e64 s0, 0, v0
	v_cmp_gt_u32_e64 s1, 32, v0
	s_delay_alu instid0(VALU_DEP_4)
	v_lshlrev_b32_e32 v16, 4, v2
	v_cmp_eq_u32_e64 s2, 0, v2
	v_mbcnt_lo_u32_b32 v21, -1, 0
	s_mov_b32 s29, 0
	s_wait_kmcnt 0x0
	v_cmp_neq_f64_e64 s42, s[8:9], 0
	v_cmp_neq_f64_e64 s43, s[10:11], 0
	v_cmp_gt_i32_e32 vcc_lo, s27, v0
	v_and_b32_e32 v17, 0x70, v3
	s_lshl_b64 s[24:25], s[24:25], 4
	v_cmp_neq_f64_e64 s44, s[14:15], 1.0
	v_cmp_neq_f64_e64 s45, s[30:31], 0
	v_cmp_neq_f64_e64 s46, s[14:15], 0
	s_mul_i32 s38, s3, ttmp9
	s_ashr_i32 s3, s27, 31
	v_cndmask_b32_e32 v2, 0, v0, vcc_lo
	s_lshr_b32 s3, s3, 24
	s_add_nc_u64 s[18:19], s[18:19], s[24:25]
	s_add_co_i32 s3, s27, s3
	s_lshl_b64 s[6:7], s[6:7], 4
	s_and_b32 s24, s3, 0xffffff00
	v_lshlrev_b32_e32 v4, 4, v2
	s_lshl_b64 s[36:37], s[22:23], 4
	v_or_b32_e32 v3, s24, v0
	s_add_nc_u64 s[22:23], s[4:5], s[6:7]
	s_add_nc_u64 s[4:5], s[20:21], s[36:37]
	s_mul_i32 s40, s39, ttmp9
	v_add_co_u32 v5, s4, s4, v4
	s_ashr_i32 s41, s40, 31
	v_mul_lo_u32 v2, s26, v3
	s_wait_alu 0xf1ff
	v_add_co_ci_u32_e64 v6, null, s5, 0, s4
	s_lshl_b64 s[6:7], s[40:41], 4
	v_cmp_gt_i32_e64 s4, s27, v3
	s_add_nc_u64 s[36:37], s[36:37], s[6:7]
	v_add_co_u32 v18, vcc_lo, v5, s6
	s_wait_alu 0xfffd
	v_add_co_ci_u32_e64 v19, null, s7, v6, vcc_lo
	s_add_nc_u64 s[6:7], s[20:21], s[36:37]
	v_ashrrev_i32_e32 v3, 31, v2
	s_wait_alu 0xfffe
	v_add_co_u32 v4, s6, s6, v4
	s_wait_alu 0xf1ff
	v_add_co_ci_u32_e64 v5, null, s7, 0, s6
	v_mul_lo_u32 v20, v0, s26
	s_delay_alu instid0(VALU_DEP_3)
	v_add_co_u32 v10, vcc_lo, v4, 8
	s_or_b32 s27, s42, s43
	v_lshlrev_b64_e32 v[12:13], 4, v[2:3]
	v_cmp_gt_i32_e64 s3, s24, v0
	v_cmp_gt_u32_e64 s5, 8, v0
	s_wait_alu 0xfffd
	v_add_co_ci_u32_e64 v11, null, 0, v5, vcc_lo
	s_ashr_i32 s39, s38, 31
	s_ashr_i32 s25, s24, 31
	s_wait_alu 0xfffe
	s_or_b32 s6, s27, s44
	s_lshl_b64 s[20:21], s[16:17], 4
	s_wait_alu 0xfffe
	s_or_b32 s7, s6, s45
	s_xor_b32 s42, s27, -1
	s_or_b32 s43, s46, s45
	s_lshl_b32 s44, s26, 8
	s_lshl_b64 s[26:27], s[38:39], 4
	s_lshl_b64 s[36:37], s[24:25], 4
	s_branch .LBB170_4
.LBB170_2:                              ;   in Loop: Header=BB170_4 Depth=1
	s_wait_alu 0xfffe
	s_or_b32 exec_lo, exec_lo, s6
.LBB170_3:                              ;   in Loop: Header=BB170_4 Depth=1
	s_add_co_i32 s28, s28, 0x10000
	s_wait_alu 0xfffe
	s_cmp_lt_u32 s28, s33
	s_cbranch_scc0 .LBB170_34
.LBB170_4:                              ; =>This Loop Header: Depth=1
                                        ;     Child Loop BB170_23 Depth 2
	s_wait_alu 0xfffe
	s_and_not1_b32 vcc_lo, exec_lo, s7
	s_wait_alu 0xfffe
	s_cbranch_vccnz .LBB170_3
; %bb.5:                                ;   in Loop: Header=BB170_4 Depth=1
	s_mul_u64 s[38:39], s[34:35], s[28:29]
	s_and_not1_b32 vcc_lo, exec_lo, s42
	s_lshl_b64 s[38:39], s[38:39], 4
	s_delay_alu instid0(SALU_CYCLE_1)
	s_add_nc_u64 s[38:39], s[22:23], s[38:39]
	s_wait_alu 0xfffe
	s_cbranch_vccnz .LBB170_9
; %bb.6:                                ;   in Loop: Header=BB170_4 Depth=1
	s_mov_b32 s6, 0
	s_mov_b32 s25, 0
                                        ; implicit-def: $vgpr4_vgpr5
	s_and_saveexec_b32 s40, s0
	s_cbranch_execz .LBB170_10
; %bb.7:                                ;   in Loop: Header=BB170_4 Depth=1
	s_and_not1_b32 vcc_lo, exec_lo, s43
	s_wait_alu 0xfffe
	s_cbranch_vccnz .LBB170_11
; %bb.8:                                ;   in Loop: Header=BB170_4 Depth=1
	s_add_nc_u64 s[46:47], s[38:39], s[26:27]
	s_wait_dscnt 0x0
	global_load_b128 v[4:7], v1, s[46:47]
	s_wait_loadcnt 0x0
	v_mul_f64_e32 v[2:3], s[30:31], v[6:7]
	v_mul_f64_e32 v[6:7], s[14:15], v[6:7]
	s_delay_alu instid0(VALU_DEP_2) | instskip(NEXT) | instid1(VALU_DEP_2)
	v_fma_f64 v[2:3], s[14:15], v[4:5], -v[2:3]
	v_fma_f64 v[4:5], s[30:31], v[4:5], v[6:7]
	s_branch .LBB170_12
.LBB170_9:                              ;   in Loop: Header=BB170_4 Depth=1
	s_mov_b32 s25, 0
                                        ; implicit-def: $vgpr4_vgpr5
	s_cbranch_execnz .LBB170_13
	s_branch .LBB170_32
.LBB170_10:                             ;   in Loop: Header=BB170_4 Depth=1
	s_wait_alu 0xfffe
	s_or_b32 exec_lo, exec_lo, s40
	s_delay_alu instid0(SALU_CYCLE_1)
	s_and_b32 vcc_lo, exec_lo, s6
	s_wait_alu 0xfffe
	s_cbranch_vccnz .LBB170_13
	s_branch .LBB170_32
.LBB170_11:                             ;   in Loop: Header=BB170_4 Depth=1
	v_mov_b32_e32 v4, 0
	v_dual_mov_b32 v5, 0 :: v_dual_mov_b32 v2, 0
	v_mov_b32_e32 v3, 0
.LBB170_12:                             ;   in Loop: Header=BB170_4 Depth=1
	s_mov_b32 s25, exec_lo
	s_or_b32 exec_lo, exec_lo, s40
	s_delay_alu instid0(SALU_CYCLE_1)
	s_and_b32 vcc_lo, exec_lo, s6
	s_wait_alu 0xfffe
	s_cbranch_vccz .LBB170_32
.LBB170_13:                             ;   in Loop: Header=BB170_4 Depth=1
	s_wait_dscnt 0x0
	v_mov_b32_e32 v5, 0
	s_mul_u64 s[40:41], s[12:13], s[28:29]
	v_dual_mov_b32 v6, 0 :: v_dual_mov_b32 v7, 0
	v_mov_b32_e32 v8, 0
	s_wait_alu 0xfffe
	s_lshl_b64 s[40:41], s[40:41], 4
	s_wait_alu 0xfffe
	s_add_nc_u64 s[40:41], s[18:19], s[40:41]
	s_and_saveexec_b32 s45, s3
	s_cbranch_execnz .LBB170_22
; %bb.14:                               ;   in Loop: Header=BB170_4 Depth=1
	s_wait_alu 0xfffe
	s_or_b32 exec_lo, exec_lo, s45
	s_and_saveexec_b32 s6, s4
	s_cbranch_execnz .LBB170_25
.LBB170_15:                             ;   in Loop: Header=BB170_4 Depth=1
	s_wait_alu 0xfffe
	s_or_b32 exec_lo, exec_lo, s6
	s_and_saveexec_b32 s6, s1
.LBB170_16:                             ;   in Loop: Header=BB170_4 Depth=1
	v_dual_mov_b32 v2, v1 :: v_dual_mov_b32 v3, v1
	v_mov_b32_e32 v4, v1
	ds_store_b128 v16, v[1:4]
.LBB170_17:                             ;   in Loop: Header=BB170_4 Depth=1
	s_wait_alu 0xfffe
	s_or_b32 exec_lo, exec_lo, s6
	v_lshl_or_b32 v4, v21, 2, 64
	v_cmp_gt_u32_e32 vcc_lo, 24, v21
	s_wait_dscnt 0x0
	s_barrier_signal -1
	s_barrier_wait -1
	ds_bpermute_b32 v2, v4, v7
	ds_bpermute_b32 v3, v4, v8
	;; [unrolled: 1-line block ×4, first 2 shown]
	s_wait_dscnt 0x0
	global_inv scope:SCOPE_SE
	v_add_f64_e32 v[2:3], v[7:8], v[2:3]
	v_add_f64_e32 v[4:5], v[5:6], v[14:15]
	s_wait_alu 0xfffd
	v_cndmask_b32_e64 v6, 0, 8, vcc_lo
	v_cmp_gt_u32_e32 vcc_lo, 28, v21
	s_delay_alu instid0(VALU_DEP_2)
	v_add_lshl_u32 v9, v6, v21, 2
	ds_bpermute_b32 v6, v9, v2
	ds_bpermute_b32 v7, v9, v3
	;; [unrolled: 1-line block ×4, first 2 shown]
	s_wait_dscnt 0x2
	v_add_f64_e32 v[2:3], v[2:3], v[6:7]
	s_wait_alu 0xfffd
	v_cndmask_b32_e64 v6, 0, 4, vcc_lo
	s_wait_dscnt 0x0
	v_add_f64_e32 v[4:5], v[4:5], v[8:9]
	v_cmp_gt_u32_e32 vcc_lo, 30, v21
	s_delay_alu instid0(VALU_DEP_3)
	v_add_lshl_u32 v14, v6, v21, 2
	ds_bpermute_b32 v6, v14, v2
	ds_bpermute_b32 v7, v14, v3
	;; [unrolled: 1-line block ×4, first 2 shown]
	s_wait_dscnt 0x2
	v_add_f64_e32 v[2:3], v[2:3], v[6:7]
	s_wait_alu 0xfffd
	v_cndmask_b32_e64 v6, 0, 2, vcc_lo
	s_wait_dscnt 0x0
	v_add_f64_e32 v[4:5], v[4:5], v[8:9]
	v_cmp_ne_u32_e32 vcc_lo, 31, v21
	s_delay_alu instid0(VALU_DEP_3)
	v_add_lshl_u32 v15, v6, v21, 2
	ds_bpermute_b32 v6, v15, v2
	ds_bpermute_b32 v7, v15, v3
	;; [unrolled: 1-line block ×4, first 2 shown]
	s_wait_dscnt 0x2
	v_add_f64_e32 v[2:3], v[2:3], v[6:7]
	s_wait_alu 0xfffd
	v_add_co_ci_u32_e64 v6, null, 0, v21, vcc_lo
	s_wait_dscnt 0x0
	v_add_f64_e32 v[4:5], v[4:5], v[8:9]
	s_delay_alu instid0(VALU_DEP_2)
	v_lshlrev_b32_e32 v22, 2, v6
	ds_bpermute_b32 v6, v22, v2
	ds_bpermute_b32 v7, v22, v3
	;; [unrolled: 1-line block ×4, first 2 shown]
	s_and_saveexec_b32 s6, s2
	s_cbranch_execz .LBB170_19
; %bb.18:                               ;   in Loop: Header=BB170_4 Depth=1
	s_wait_dscnt 0x0
	v_add_f64_e32 v[4:5], v[4:5], v[8:9]
	v_add_f64_e32 v[2:3], v[2:3], v[6:7]
	ds_store_b128 v17, v[2:5]
.LBB170_19:                             ;   in Loop: Header=BB170_4 Depth=1
	s_wait_alu 0xfffe
	s_or_b32 exec_lo, exec_lo, s6
	s_wait_dscnt 0x0
	v_mov_b32_e32 v8, 0
	v_dual_mov_b32 v9, 0 :: v_dual_mov_b32 v6, 0
	v_mov_b32_e32 v7, 0
	s_wait_loadcnt 0x0
	s_barrier_signal -1
	s_barrier_wait -1
	global_inv scope:SCOPE_SE
	s_and_saveexec_b32 s6, s5
	s_cbranch_execnz .LBB170_26
; %bb.20:                               ;   in Loop: Header=BB170_4 Depth=1
	s_wait_alu 0xfffe
	s_or_b32 exec_lo, exec_lo, s6
	s_and_saveexec_b32 s6, s1
	s_cbranch_execnz .LBB170_27
.LBB170_21:                             ;   in Loop: Header=BB170_4 Depth=1
	s_wait_alu 0xfffe
	s_or_b32 exec_lo, exec_lo, s6
                                        ; implicit-def: $vgpr4_vgpr5
	s_and_saveexec_b32 s6, s0
	s_cbranch_execnz .LBB170_28
	s_branch .LBB170_31
.LBB170_22:                             ;   in Loop: Header=BB170_4 Depth=1
	v_mad_co_u64_u32 v[2:3], null, s20, s28, v[10:11]
	v_dual_mov_b32 v5, 0 :: v_dual_mov_b32 v14, v20
	v_dual_mov_b32 v6, 0 :: v_dual_mov_b32 v7, 0
	v_mov_b32_e32 v8, 0
	s_mov_b32 s46, 0
	s_delay_alu instid0(VALU_DEP_4)
	v_mad_co_u64_u32 v[3:4], null, s21, s28, v[3:4]
	v_mov_b32_e32 v4, v0
.LBB170_23:                             ;   Parent Loop BB170_4 Depth=1
                                        ; =>  This Inner Loop Header: Depth=2
	v_ashrrev_i32_e32 v15, 31, v14
	s_delay_alu instid0(VALU_DEP_2) | instskip(NEXT) | instid1(VALU_DEP_2)
	v_add_nc_u32_e32 v4, 0x100, v4
	v_lshlrev_b64_e32 v[22:23], 4, v[14:15]
	s_delay_alu instid0(VALU_DEP_2)
	v_cmp_le_i32_e64 s6, s24, v4
	v_add_nc_u32_e32 v14, s44, v14
	s_wait_alu 0xfffe
	s_or_b32 s46, s6, s46
	v_add_co_u32 v26, vcc_lo, s40, v22
	s_wait_alu 0xfffd
	v_add_co_ci_u32_e64 v27, null, s41, v23, vcc_lo
	global_load_b128 v[22:25], v[2:3], off offset:-8
	global_load_b128 v[26:29], v[26:27], off
	v_add_co_u32 v2, vcc_lo, 0x1000, v2
	s_wait_alu 0xfffd
	v_add_co_ci_u32_e64 v3, null, 0, v3, vcc_lo
	s_wait_loadcnt 0x0
	v_mul_f64_e32 v[30:31], v[24:25], v[28:29]
	v_mul_f64_e32 v[28:29], v[22:23], v[28:29]
	s_delay_alu instid0(VALU_DEP_2) | instskip(NEXT) | instid1(VALU_DEP_2)
	v_fma_f64 v[22:23], v[22:23], v[26:27], -v[30:31]
	v_fma_f64 v[24:25], v[24:25], v[26:27], v[28:29]
	s_delay_alu instid0(VALU_DEP_2) | instskip(NEXT) | instid1(VALU_DEP_2)
	v_add_f64_e32 v[7:8], v[7:8], v[22:23]
	v_add_f64_e32 v[5:6], v[5:6], v[24:25]
	s_wait_alu 0xfffe
	s_and_not1_b32 exec_lo, exec_lo, s46
	s_cbranch_execnz .LBB170_23
; %bb.24:                               ;   in Loop: Header=BB170_4 Depth=1
	s_or_b32 exec_lo, exec_lo, s46
	s_delay_alu instid0(SALU_CYCLE_1)
	s_or_b32 exec_lo, exec_lo, s45
	s_and_saveexec_b32 s6, s4
	s_cbranch_execz .LBB170_15
.LBB170_25:                             ;   in Loop: Header=BB170_4 Depth=1
	s_mul_u64 s[46:47], s[16:17], s[28:29]
	s_wait_alu 0xfffe
	s_lshl_b64 s[46:47], s[46:47], 4
	s_wait_alu 0xfffe
	v_add_co_u32 v4, vcc_lo, v18, s46
	s_wait_alu 0xfffd
	v_add_co_ci_u32_e64 v9, null, s47, v19, vcc_lo
	v_add_co_u32 v2, vcc_lo, s40, v12
	s_wait_alu 0xfffd
	v_add_co_ci_u32_e64 v3, null, s41, v13, vcc_lo
	v_add_co_u32 v14, vcc_lo, v4, s36
	s_wait_alu 0xfffd
	v_add_co_ci_u32_e64 v15, null, s37, v9, vcc_lo
	global_load_b128 v[22:25], v[2:3], off
	global_load_b128 v[26:29], v[14:15], off
	s_wait_loadcnt 0x0
	v_mul_f64_e32 v[2:3], v[28:29], v[24:25]
	v_mul_f64_e32 v[14:15], v[26:27], v[24:25]
	s_delay_alu instid0(VALU_DEP_2) | instskip(NEXT) | instid1(VALU_DEP_2)
	v_fma_f64 v[2:3], v[26:27], v[22:23], -v[2:3]
	v_fma_f64 v[14:15], v[28:29], v[22:23], v[14:15]
	s_delay_alu instid0(VALU_DEP_2) | instskip(NEXT) | instid1(VALU_DEP_2)
	v_add_f64_e32 v[7:8], v[7:8], v[2:3]
	v_add_f64_e32 v[5:6], v[5:6], v[14:15]
	s_or_b32 exec_lo, exec_lo, s6
	s_and_saveexec_b32 s6, s1
	s_cbranch_execnz .LBB170_16
	s_branch .LBB170_17
.LBB170_26:                             ;   in Loop: Header=BB170_4 Depth=1
	ds_load_b128 v[6:9], v16
	s_wait_alu 0xfffe
	s_or_b32 exec_lo, exec_lo, s6
	s_and_saveexec_b32 s6, s1
	s_cbranch_execz .LBB170_21
.LBB170_27:                             ;   in Loop: Header=BB170_4 Depth=1
	s_wait_dscnt 0x0
	ds_bpermute_b32 v2, v14, v6
	ds_bpermute_b32 v3, v14, v7
	ds_bpermute_b32 v4, v14, v8
	ds_bpermute_b32 v5, v14, v9
	s_wait_dscnt 0x2
	v_add_f64_e32 v[2:3], v[6:7], v[2:3]
	s_wait_dscnt 0x0
	v_add_f64_e32 v[4:5], v[8:9], v[4:5]
	ds_bpermute_b32 v6, v15, v2
	ds_bpermute_b32 v7, v15, v3
	ds_bpermute_b32 v8, v15, v4
	ds_bpermute_b32 v9, v15, v5
	s_wait_dscnt 0x2
	v_add_f64_e32 v[2:3], v[2:3], v[6:7]
	s_wait_dscnt 0x0
	v_add_f64_e32 v[4:5], v[4:5], v[8:9]
	;; [unrolled: 8-line block ×3, first 2 shown]
	s_wait_alu 0xfffe
	s_or_b32 exec_lo, exec_lo, s6
                                        ; implicit-def: $vgpr4_vgpr5
	s_and_saveexec_b32 s6, s0
	s_cbranch_execz .LBB170_31
.LBB170_28:                             ;   in Loop: Header=BB170_4 Depth=1
	s_wait_dscnt 0x0
	s_delay_alu instid0(VALU_DEP_1) | instskip(SKIP_2) | instid1(VALU_DEP_2)
	v_mul_f64_e32 v[2:3], s[10:11], v[8:9]
	v_mul_f64_e32 v[4:5], s[8:9], v[8:9]
	s_and_not1_b32 vcc_lo, exec_lo, s43
	v_fma_f64 v[2:3], s[8:9], v[6:7], -v[2:3]
	s_delay_alu instid0(VALU_DEP_2)
	v_fma_f64 v[4:5], s[10:11], v[6:7], v[4:5]
	s_wait_alu 0xfffe
	s_cbranch_vccnz .LBB170_30
; %bb.29:                               ;   in Loop: Header=BB170_4 Depth=1
	s_add_nc_u64 s[40:41], s[38:39], s[26:27]
	global_load_b128 v[6:9], v1, s[40:41]
	s_wait_loadcnt 0x0
	v_mul_f64_e32 v[14:15], s[30:31], v[8:9]
	v_mul_f64_e32 v[8:9], s[14:15], v[8:9]
	s_delay_alu instid0(VALU_DEP_2) | instskip(NEXT) | instid1(VALU_DEP_2)
	v_fma_f64 v[14:15], s[14:15], v[6:7], -v[14:15]
	v_fma_f64 v[6:7], s[30:31], v[6:7], v[8:9]
	s_delay_alu instid0(VALU_DEP_2) | instskip(NEXT) | instid1(VALU_DEP_2)
	v_add_f64_e32 v[2:3], v[2:3], v[14:15]
	v_add_f64_e32 v[4:5], v[4:5], v[6:7]
.LBB170_30:                             ;   in Loop: Header=BB170_4 Depth=1
	s_or_b32 s25, s25, exec_lo
.LBB170_31:                             ;   in Loop: Header=BB170_4 Depth=1
	s_wait_alu 0xfffe
	s_or_b32 exec_lo, exec_lo, s6
.LBB170_32:                             ;   in Loop: Header=BB170_4 Depth=1
	s_wait_alu 0xfffe
	s_and_saveexec_b32 s6, s25
	s_cbranch_execz .LBB170_2
; %bb.33:                               ;   in Loop: Header=BB170_4 Depth=1
	s_add_nc_u64 s[38:39], s[38:39], s[26:27]
	global_store_b128 v1, v[2:5], s[38:39]
	s_branch .LBB170_2
.LBB170_34:
	s_endpgm
	.section	.rodata,"a",@progbits
	.p2align	6, 0x0
	.amdhsa_kernel _ZL32rocblas_gemvt_warp_reduce_kernelILb0ELi256Ei19rocblas_complex_numIdES1_S1_EviiT3_lPKT2_lT1_lS5_lS6_lS2_lPT4_lS6_li
		.amdhsa_group_segment_fixed_size 512
		.amdhsa_private_segment_fixed_size 0
		.amdhsa_kernarg_size 156
		.amdhsa_user_sgpr_count 2
		.amdhsa_user_sgpr_dispatch_ptr 0
		.amdhsa_user_sgpr_queue_ptr 0
		.amdhsa_user_sgpr_kernarg_segment_ptr 1
		.amdhsa_user_sgpr_dispatch_id 0
		.amdhsa_user_sgpr_private_segment_size 0
		.amdhsa_wavefront_size32 1
		.amdhsa_uses_dynamic_stack 0
		.amdhsa_enable_private_segment 0
		.amdhsa_system_sgpr_workgroup_id_x 1
		.amdhsa_system_sgpr_workgroup_id_y 0
		.amdhsa_system_sgpr_workgroup_id_z 1
		.amdhsa_system_sgpr_workgroup_info 0
		.amdhsa_system_vgpr_workitem_id 0
		.amdhsa_next_free_vgpr 32
		.amdhsa_next_free_sgpr 48
		.amdhsa_reserve_vcc 1
		.amdhsa_float_round_mode_32 0
		.amdhsa_float_round_mode_16_64 0
		.amdhsa_float_denorm_mode_32 3
		.amdhsa_float_denorm_mode_16_64 3
		.amdhsa_fp16_overflow 0
		.amdhsa_workgroup_processor_mode 1
		.amdhsa_memory_ordered 1
		.amdhsa_forward_progress 1
		.amdhsa_inst_pref_size 17
		.amdhsa_round_robin_scheduling 0
		.amdhsa_exception_fp_ieee_invalid_op 0
		.amdhsa_exception_fp_denorm_src 0
		.amdhsa_exception_fp_ieee_div_zero 0
		.amdhsa_exception_fp_ieee_overflow 0
		.amdhsa_exception_fp_ieee_underflow 0
		.amdhsa_exception_fp_ieee_inexact 0
		.amdhsa_exception_int_div_zero 0
	.end_amdhsa_kernel
	.section	.text._ZL32rocblas_gemvt_warp_reduce_kernelILb0ELi256Ei19rocblas_complex_numIdES1_S1_EviiT3_lPKT2_lT1_lS5_lS6_lS2_lPT4_lS6_li,"axG",@progbits,_ZL32rocblas_gemvt_warp_reduce_kernelILb0ELi256Ei19rocblas_complex_numIdES1_S1_EviiT3_lPKT2_lT1_lS5_lS6_lS2_lPT4_lS6_li,comdat
.Lfunc_end170:
	.size	_ZL32rocblas_gemvt_warp_reduce_kernelILb0ELi256Ei19rocblas_complex_numIdES1_S1_EviiT3_lPKT2_lT1_lS5_lS6_lS2_lPT4_lS6_li, .Lfunc_end170-_ZL32rocblas_gemvt_warp_reduce_kernelILb0ELi256Ei19rocblas_complex_numIdES1_S1_EviiT3_lPKT2_lT1_lS5_lS6_lS2_lPT4_lS6_li
                                        ; -- End function
	.set _ZL32rocblas_gemvt_warp_reduce_kernelILb0ELi256Ei19rocblas_complex_numIdES1_S1_EviiT3_lPKT2_lT1_lS5_lS6_lS2_lPT4_lS6_li.num_vgpr, 32
	.set _ZL32rocblas_gemvt_warp_reduce_kernelILb0ELi256Ei19rocblas_complex_numIdES1_S1_EviiT3_lPKT2_lT1_lS5_lS6_lS2_lPT4_lS6_li.num_agpr, 0
	.set _ZL32rocblas_gemvt_warp_reduce_kernelILb0ELi256Ei19rocblas_complex_numIdES1_S1_EviiT3_lPKT2_lT1_lS5_lS6_lS2_lPT4_lS6_li.numbered_sgpr, 48
	.set _ZL32rocblas_gemvt_warp_reduce_kernelILb0ELi256Ei19rocblas_complex_numIdES1_S1_EviiT3_lPKT2_lT1_lS5_lS6_lS2_lPT4_lS6_li.num_named_barrier, 0
	.set _ZL32rocblas_gemvt_warp_reduce_kernelILb0ELi256Ei19rocblas_complex_numIdES1_S1_EviiT3_lPKT2_lT1_lS5_lS6_lS2_lPT4_lS6_li.private_seg_size, 0
	.set _ZL32rocblas_gemvt_warp_reduce_kernelILb0ELi256Ei19rocblas_complex_numIdES1_S1_EviiT3_lPKT2_lT1_lS5_lS6_lS2_lPT4_lS6_li.uses_vcc, 1
	.set _ZL32rocblas_gemvt_warp_reduce_kernelILb0ELi256Ei19rocblas_complex_numIdES1_S1_EviiT3_lPKT2_lT1_lS5_lS6_lS2_lPT4_lS6_li.uses_flat_scratch, 0
	.set _ZL32rocblas_gemvt_warp_reduce_kernelILb0ELi256Ei19rocblas_complex_numIdES1_S1_EviiT3_lPKT2_lT1_lS5_lS6_lS2_lPT4_lS6_li.has_dyn_sized_stack, 0
	.set _ZL32rocblas_gemvt_warp_reduce_kernelILb0ELi256Ei19rocblas_complex_numIdES1_S1_EviiT3_lPKT2_lT1_lS5_lS6_lS2_lPT4_lS6_li.has_recursion, 0
	.set _ZL32rocblas_gemvt_warp_reduce_kernelILb0ELi256Ei19rocblas_complex_numIdES1_S1_EviiT3_lPKT2_lT1_lS5_lS6_lS2_lPT4_lS6_li.has_indirect_call, 0
	.section	.AMDGPU.csdata,"",@progbits
; Kernel info:
; codeLenInByte = 2064
; TotalNumSgprs: 50
; NumVgprs: 32
; ScratchSize: 0
; MemoryBound: 0
; FloatMode: 240
; IeeeMode: 1
; LDSByteSize: 512 bytes/workgroup (compile time only)
; SGPRBlocks: 0
; VGPRBlocks: 3
; NumSGPRsForWavesPerEU: 50
; NumVGPRsForWavesPerEU: 32
; Occupancy: 16
; WaveLimiterHint : 1
; COMPUTE_PGM_RSRC2:SCRATCH_EN: 0
; COMPUTE_PGM_RSRC2:USER_SGPR: 2
; COMPUTE_PGM_RSRC2:TRAP_HANDLER: 0
; COMPUTE_PGM_RSRC2:TGID_X_EN: 1
; COMPUTE_PGM_RSRC2:TGID_Y_EN: 0
; COMPUTE_PGM_RSRC2:TGID_Z_EN: 1
; COMPUTE_PGM_RSRC2:TIDIG_COMP_CNT: 0
	.section	.text._ZL32rocblas_gemvt_warp_reduce_kernelILb0ELi256El19rocblas_complex_numIdES1_S1_EviiT3_lPKT2_lT1_lS5_lS6_lS2_lPT4_lS6_li,"axG",@progbits,_ZL32rocblas_gemvt_warp_reduce_kernelILb0ELi256El19rocblas_complex_numIdES1_S1_EviiT3_lPKT2_lT1_lS5_lS6_lS2_lPT4_lS6_li,comdat
	.globl	_ZL32rocblas_gemvt_warp_reduce_kernelILb0ELi256El19rocblas_complex_numIdES1_S1_EviiT3_lPKT2_lT1_lS5_lS6_lS2_lPT4_lS6_li ; -- Begin function _ZL32rocblas_gemvt_warp_reduce_kernelILb0ELi256El19rocblas_complex_numIdES1_S1_EviiT3_lPKT2_lT1_lS5_lS6_lS2_lPT4_lS6_li
	.p2align	8
	.type	_ZL32rocblas_gemvt_warp_reduce_kernelILb0ELi256El19rocblas_complex_numIdES1_S1_EviiT3_lPKT2_lT1_lS5_lS6_lS2_lPT4_lS6_li,@function
_ZL32rocblas_gemvt_warp_reduce_kernelILb0ELi256El19rocblas_complex_numIdES1_S1_EviiT3_lPKT2_lT1_lS5_lS6_lS2_lPT4_lS6_li: ; @_ZL32rocblas_gemvt_warp_reduce_kernelILb0ELi256El19rocblas_complex_numIdES1_S1_EviiT3_lPKT2_lT1_lS5_lS6_lS2_lPT4_lS6_li
; %bb.0:
	s_load_b32 s7, s[0:1], 0x98
	s_lshr_b32 s34, ttmp7, 16
	s_wait_kmcnt 0x0
	s_cmp_ge_u32 s34, s7
	s_cbranch_scc1 .LBB171_34
; %bb.1:
	s_clause 0x4
	s_load_b512 s[8:23], s[0:1], 0x20
	s_load_b256 s[24:31], s[0:1], 0x78
	s_load_b128 s[36:39], s[0:1], 0x8
	s_load_b128 s[40:43], s[0:1], 0x60
	s_load_b32 s6, s[0:1], 0x0
	v_lshrrev_b32_e32 v7, 1, v0
	s_mov_b32 s2, ttmp9
	s_ashr_i32 s3, ttmp9, 31
	v_dual_mov_b32 v1, 0 :: v_dual_and_b32 v6, 31, v0
	v_cmp_eq_u32_e64 s0, 0, v0
	v_cmp_gt_u32_e64 s1, 32, v0
	v_mbcnt_lo_u32_b32 v22, -1, 0
	s_delay_alu instid0(VALU_DEP_4)
	v_lshlrev_b32_e32 v18, 4, v6
	s_mov_b32 s35, 0
	v_and_b32_e32 v21, 0x70, v7
	s_wait_kmcnt 0x0
	v_mad_co_u64_u32 v[2:3], null, s20, v0, 0
	v_cmp_neq_f64_e64 s33, s[36:37], 0
	v_cmp_neq_f64_e64 s46, s[38:39], 0
	v_cmp_neq_f64_e64 s47, s[40:41], 1.0
	v_cmp_gt_i32_e32 vcc_lo, s6, v0
	v_cmp_neq_f64_e64 s48, s[42:43], 0
	v_cmp_neq_f64_e64 s49, s[40:41], 0
	s_lshl_b64 s[4:5], s[18:19], 4
	s_mul_u64 s[44:45], s[28:29], s[2:3]
	v_cndmask_b32_e32 v4, 0, v0, vcc_lo
	s_ashr_i32 s28, s6, 31
	s_lshl_b64 s[18:19], s[26:27], 4
	s_lshl_b64 s[26:27], s[10:11], 4
	s_mul_u64 s[2:3], s[12:13], s[2:3]
	v_lshlrev_b32_e32 v8, 4, v4
	v_mad_co_u64_u32 v[3:4], null, s21, v0, v[3:4]
	s_add_nc_u64 s[10:11], s[16:17], s[4:5]
	s_lshr_b32 s16, s28, 24
	s_add_nc_u64 s[12:13], s[24:25], s[18:19]
	s_lshl_b64 s[18:19], s[2:3], 4
	s_add_co_i32 s2, s6, s16
	s_add_nc_u64 s[4:5], s[8:9], s[26:27]
	s_and_b32 s16, s2, 0xffffff00
	v_add_co_u32 v10, s3, s4, v8
	v_or_b32_e32 v9, s16, v0
	v_lshlrev_b64_e32 v[2:3], 4, v[2:3]
	v_add_co_ci_u32_e64 v11, null, s5, 0, s3
	s_delay_alu instid0(VALU_DEP_4) | instskip(NEXT) | instid1(VALU_DEP_4)
	v_add_co_u32 v19, vcc_lo, v10, s18
	v_mul_lo_u32 v12, s21, v9
	v_mad_co_u64_u32 v[4:5], null, s20, v9, 0
	s_wait_alu 0xfffd
	v_add_co_ci_u32_e64 v20, null, s19, v11, vcc_lo
	v_add_co_u32 v2, vcc_lo, s10, v2
	s_add_nc_u64 s[18:19], s[18:19], s[26:27]
	s_ashr_i32 s17, s16, 31
	s_wait_alu 0xfffd
	v_add_co_ci_u32_e64 v3, null, s11, v3, vcc_lo
	s_wait_alu 0xfffe
	s_add_nc_u64 s[8:9], s[8:9], s[18:19]
	s_mul_i32 s4, s20, s17
	v_add_co_u32 v10, vcc_lo, v2, 8
	v_add_co_u32 v2, s8, s8, v8
	s_wait_alu 0xfffe
	v_add3_u32 v5, v5, s4, v12
	s_wait_alu 0xfffd
	v_add_co_ci_u32_e64 v11, null, 0, v3, vcc_lo
	s_wait_alu 0xf1ff
	v_add_co_ci_u32_e64 v3, null, s9, 0, s8
	v_add_co_u32 v12, vcc_lo, v2, 8
	v_cmp_gt_i32_e64 s3, s6, v9
	s_or_b32 s6, s33, s46
	v_lshlrev_b64_e32 v[14:15], 4, v[4:5]
	v_cmp_gt_i32_e64 s2, s16, v0
	v_cmp_eq_u32_e64 s4, 0, v6
	v_cmp_gt_u32_e64 s5, 8, v0
	s_wait_alu 0xfffd
	v_add_co_ci_u32_e64 v13, null, 0, v3, vcc_lo
	s_wait_alu 0xfffe
	s_or_b32 s24, s6, s47
	s_lshl_b64 s[8:9], s[22:23], 4
	s_or_b32 s28, s24, s48
	s_xor_b32 s29, s6, -1
	s_or_b32 s33, s49, s48
	s_lshl_b64 s[18:19], s[20:21], 12
	s_lshl_b64 s[20:21], s[14:15], 4
	;; [unrolled: 1-line block ×3, first 2 shown]
	s_branch .LBB171_4
.LBB171_2:                              ;   in Loop: Header=BB171_4 Depth=1
	s_wait_alu 0xfffe
	s_or_b32 exec_lo, exec_lo, s6
.LBB171_3:                              ;   in Loop: Header=BB171_4 Depth=1
	s_add_co_i32 s34, s34, 0x10000
	s_wait_alu 0xfffe
	s_cmp_lt_u32 s34, s7
	s_cbranch_scc0 .LBB171_34
.LBB171_4:                              ; =>This Loop Header: Depth=1
                                        ;     Child Loop BB171_23 Depth 2
	s_and_not1_b32 vcc_lo, exec_lo, s28
	s_wait_alu 0xfffe
	s_cbranch_vccnz .LBB171_3
; %bb.5:                                ;   in Loop: Header=BB171_4 Depth=1
	s_mul_u64 s[26:27], s[30:31], s[34:35]
	s_and_not1_b32 vcc_lo, exec_lo, s29
	s_lshl_b64 s[26:27], s[26:27], 4
	s_delay_alu instid0(SALU_CYCLE_1)
	s_add_nc_u64 s[26:27], s[12:13], s[26:27]
	s_wait_alu 0xfffe
	s_cbranch_vccnz .LBB171_9
; %bb.6:                                ;   in Loop: Header=BB171_4 Depth=1
	s_mov_b32 s6, 0
	s_mov_b32 s44, 0
                                        ; implicit-def: $vgpr4_vgpr5
	s_and_saveexec_b32 s45, s0
	s_cbranch_execz .LBB171_10
; %bb.7:                                ;   in Loop: Header=BB171_4 Depth=1
	s_and_not1_b32 vcc_lo, exec_lo, s33
	s_wait_alu 0xfffe
	s_cbranch_vccnz .LBB171_11
; %bb.8:                                ;   in Loop: Header=BB171_4 Depth=1
	s_add_nc_u64 s[46:47], s[26:27], s[24:25]
	s_wait_dscnt 0x0
	global_load_b128 v[4:7], v1, s[46:47]
	s_wait_loadcnt 0x0
	v_mul_f64_e32 v[2:3], s[42:43], v[6:7]
	v_mul_f64_e32 v[6:7], s[40:41], v[6:7]
	s_delay_alu instid0(VALU_DEP_2) | instskip(NEXT) | instid1(VALU_DEP_2)
	v_fma_f64 v[2:3], s[40:41], v[4:5], -v[2:3]
	v_fma_f64 v[4:5], s[42:43], v[4:5], v[6:7]
	s_branch .LBB171_12
.LBB171_9:                              ;   in Loop: Header=BB171_4 Depth=1
	s_mov_b32 s44, 0
                                        ; implicit-def: $vgpr4_vgpr5
	s_cbranch_execnz .LBB171_13
	s_branch .LBB171_32
.LBB171_10:                             ;   in Loop: Header=BB171_4 Depth=1
	s_or_b32 exec_lo, exec_lo, s45
	s_wait_alu 0xfffe
	s_and_b32 vcc_lo, exec_lo, s6
	s_wait_alu 0xfffe
	s_cbranch_vccnz .LBB171_13
	s_branch .LBB171_32
.LBB171_11:                             ;   in Loop: Header=BB171_4 Depth=1
	v_mov_b32_e32 v4, 0
	v_dual_mov_b32 v5, 0 :: v_dual_mov_b32 v2, 0
	v_mov_b32_e32 v3, 0
.LBB171_12:                             ;   in Loop: Header=BB171_4 Depth=1
	s_mov_b32 s44, exec_lo
	s_or_b32 exec_lo, exec_lo, s45
	s_delay_alu instid0(SALU_CYCLE_1)
	s_and_b32 vcc_lo, exec_lo, s6
	s_wait_alu 0xfffe
	s_cbranch_vccz .LBB171_32
.LBB171_13:                             ;   in Loop: Header=BB171_4 Depth=1
	s_wait_dscnt 0x0
	v_mov_b32_e32 v5, 0
	v_dual_mov_b32 v6, 0 :: v_dual_mov_b32 v7, 0
	v_mov_b32_e32 v8, 0
	s_and_saveexec_b32 s45, s2
	s_cbranch_execnz .LBB171_22
; %bb.14:                               ;   in Loop: Header=BB171_4 Depth=1
	s_or_b32 exec_lo, exec_lo, s45
	s_and_saveexec_b32 s6, s3
	s_cbranch_execnz .LBB171_25
.LBB171_15:                             ;   in Loop: Header=BB171_4 Depth=1
	s_wait_alu 0xfffe
	s_or_b32 exec_lo, exec_lo, s6
	s_and_saveexec_b32 s6, s1
.LBB171_16:                             ;   in Loop: Header=BB171_4 Depth=1
	v_dual_mov_b32 v2, v1 :: v_dual_mov_b32 v3, v1
	v_mov_b32_e32 v4, v1
	ds_store_b128 v18, v[1:4]
.LBB171_17:                             ;   in Loop: Header=BB171_4 Depth=1
	s_wait_alu 0xfffe
	s_or_b32 exec_lo, exec_lo, s6
	v_lshl_or_b32 v4, v22, 2, 64
	v_cmp_gt_u32_e32 vcc_lo, 24, v22
	s_wait_dscnt 0x0
	s_barrier_signal -1
	s_barrier_wait -1
	ds_bpermute_b32 v2, v4, v7
	ds_bpermute_b32 v3, v4, v8
	;; [unrolled: 1-line block ×4, first 2 shown]
	s_wait_dscnt 0x0
	global_inv scope:SCOPE_SE
	v_add_f64_e32 v[2:3], v[7:8], v[2:3]
	v_add_f64_e32 v[4:5], v[5:6], v[16:17]
	s_wait_alu 0xfffd
	v_cndmask_b32_e64 v6, 0, 8, vcc_lo
	v_cmp_gt_u32_e32 vcc_lo, 28, v22
	s_delay_alu instid0(VALU_DEP_2)
	v_add_lshl_u32 v9, v6, v22, 2
	ds_bpermute_b32 v6, v9, v2
	ds_bpermute_b32 v7, v9, v3
	ds_bpermute_b32 v8, v9, v4
	ds_bpermute_b32 v9, v9, v5
	s_wait_dscnt 0x2
	v_add_f64_e32 v[2:3], v[2:3], v[6:7]
	s_wait_alu 0xfffd
	v_cndmask_b32_e64 v6, 0, 4, vcc_lo
	s_wait_dscnt 0x0
	v_add_f64_e32 v[4:5], v[4:5], v[8:9]
	v_cmp_gt_u32_e32 vcc_lo, 30, v22
	s_delay_alu instid0(VALU_DEP_3)
	v_add_lshl_u32 v16, v6, v22, 2
	ds_bpermute_b32 v6, v16, v2
	ds_bpermute_b32 v7, v16, v3
	;; [unrolled: 1-line block ×4, first 2 shown]
	s_wait_dscnt 0x2
	v_add_f64_e32 v[2:3], v[2:3], v[6:7]
	s_wait_alu 0xfffd
	v_cndmask_b32_e64 v6, 0, 2, vcc_lo
	s_wait_dscnt 0x0
	v_add_f64_e32 v[4:5], v[4:5], v[8:9]
	v_cmp_ne_u32_e32 vcc_lo, 31, v22
	s_delay_alu instid0(VALU_DEP_3)
	v_add_lshl_u32 v17, v6, v22, 2
	ds_bpermute_b32 v6, v17, v2
	ds_bpermute_b32 v7, v17, v3
	;; [unrolled: 1-line block ×4, first 2 shown]
	s_wait_dscnt 0x2
	v_add_f64_e32 v[2:3], v[2:3], v[6:7]
	s_wait_alu 0xfffd
	v_add_co_ci_u32_e64 v6, null, 0, v22, vcc_lo
	s_wait_dscnt 0x0
	v_add_f64_e32 v[4:5], v[4:5], v[8:9]
	s_delay_alu instid0(VALU_DEP_2)
	v_lshlrev_b32_e32 v23, 2, v6
	ds_bpermute_b32 v6, v23, v2
	ds_bpermute_b32 v7, v23, v3
	;; [unrolled: 1-line block ×4, first 2 shown]
	s_and_saveexec_b32 s6, s4
	s_cbranch_execz .LBB171_19
; %bb.18:                               ;   in Loop: Header=BB171_4 Depth=1
	s_wait_dscnt 0x0
	v_add_f64_e32 v[4:5], v[4:5], v[8:9]
	v_add_f64_e32 v[2:3], v[2:3], v[6:7]
	ds_store_b128 v21, v[2:5]
.LBB171_19:                             ;   in Loop: Header=BB171_4 Depth=1
	s_wait_alu 0xfffe
	s_or_b32 exec_lo, exec_lo, s6
	s_wait_dscnt 0x0
	v_mov_b32_e32 v8, 0
	v_dual_mov_b32 v9, 0 :: v_dual_mov_b32 v6, 0
	v_mov_b32_e32 v7, 0
	s_wait_loadcnt 0x0
	s_barrier_signal -1
	s_barrier_wait -1
	global_inv scope:SCOPE_SE
	s_and_saveexec_b32 s6, s5
	s_cbranch_execnz .LBB171_26
; %bb.20:                               ;   in Loop: Header=BB171_4 Depth=1
	s_wait_alu 0xfffe
	s_or_b32 exec_lo, exec_lo, s6
	s_and_saveexec_b32 s6, s1
	s_cbranch_execnz .LBB171_27
.LBB171_21:                             ;   in Loop: Header=BB171_4 Depth=1
	s_wait_alu 0xfffe
	s_or_b32 exec_lo, exec_lo, s6
                                        ; implicit-def: $vgpr4_vgpr5
	s_and_saveexec_b32 s6, s0
	s_cbranch_execnz .LBB171_28
	s_branch .LBB171_31
.LBB171_22:                             ;   in Loop: Header=BB171_4 Depth=1
	v_mad_co_u64_u32 v[16:17], null, s20, s34, v[12:13]
	v_mad_co_u64_u32 v[2:3], null, s8, s34, v[10:11]
	s_mov_b32 s46, 0
	v_dual_mov_b32 v7, 0 :: v_dual_mov_b32 v4, v17
	s_delay_alu instid0(VALU_DEP_1) | instskip(SKIP_3) | instid1(VALU_DEP_4)
	v_mad_co_u64_u32 v[23:24], null, s9, s34, v[3:4]
	v_mad_co_u64_u32 v[4:5], null, s21, s34, v[4:5]
	v_mov_b32_e32 v5, 0
	v_mov_b32_e32 v6, 0
	v_dual_mov_b32 v8, 0 :: v_dual_mov_b32 v3, v23
	s_delay_alu instid0(VALU_DEP_4)
	v_dual_mov_b32 v17, v4 :: v_dual_mov_b32 v4, v0
.LBB171_23:                             ;   Parent Loop BB171_4 Depth=1
                                        ; =>  This Inner Loop Header: Depth=2
	global_load_b128 v[23:26], v[16:17], off offset:-8
	global_load_b128 v[27:30], v[2:3], off offset:-8
	v_add_nc_u32_e32 v4, 0x100, v4
	v_add_co_u32 v2, vcc_lo, v2, s18
	s_wait_alu 0xfffd
	v_add_co_ci_u32_e64 v3, null, s19, v3, vcc_lo
	s_delay_alu instid0(VALU_DEP_3)
	v_cmp_le_i32_e32 vcc_lo, s16, v4
	v_add_co_u32 v16, s6, 0x1000, v16
	s_wait_alu 0xf1ff
	v_add_co_ci_u32_e64 v17, null, 0, v17, s6
	s_wait_alu 0xfffe
	s_or_b32 s46, vcc_lo, s46
	s_wait_loadcnt 0x0
	v_mul_f64_e32 v[31:32], v[25:26], v[29:30]
	v_mul_f64_e32 v[29:30], v[23:24], v[29:30]
	s_delay_alu instid0(VALU_DEP_2) | instskip(NEXT) | instid1(VALU_DEP_2)
	v_fma_f64 v[23:24], v[23:24], v[27:28], -v[31:32]
	v_fma_f64 v[25:26], v[25:26], v[27:28], v[29:30]
	s_delay_alu instid0(VALU_DEP_2) | instskip(NEXT) | instid1(VALU_DEP_2)
	v_add_f64_e32 v[7:8], v[7:8], v[23:24]
	v_add_f64_e32 v[5:6], v[5:6], v[25:26]
	s_wait_alu 0xfffe
	s_and_not1_b32 exec_lo, exec_lo, s46
	s_cbranch_execnz .LBB171_23
; %bb.24:                               ;   in Loop: Header=BB171_4 Depth=1
	s_or_b32 exec_lo, exec_lo, s46
	s_delay_alu instid0(SALU_CYCLE_1)
	s_or_b32 exec_lo, exec_lo, s45
	s_and_saveexec_b32 s6, s3
	s_cbranch_execz .LBB171_15
.LBB171_25:                             ;   in Loop: Header=BB171_4 Depth=1
	s_mul_u64 s[46:47], s[14:15], s[34:35]
	s_mul_u64 s[48:49], s[22:23], s[34:35]
	s_wait_alu 0xfffe
	s_lshl_b64 s[46:47], s[46:47], 4
	s_lshl_b64 s[48:49], s[48:49], 4
	s_wait_alu 0xfffe
	v_add_co_u32 v4, vcc_lo, v19, s46
	s_wait_alu 0xfffd
	v_add_co_ci_u32_e64 v9, null, s47, v20, vcc_lo
	s_add_nc_u64 s[46:47], s[10:11], s[48:49]
	s_lshl_b64 s[48:49], s[16:17], 4
	s_wait_alu 0xfffe
	v_add_co_u32 v2, vcc_lo, s46, v14
	s_wait_alu 0xfffd
	v_add_co_ci_u32_e64 v3, null, s47, v15, vcc_lo
	v_add_co_u32 v16, vcc_lo, v4, s48
	s_wait_alu 0xfffd
	v_add_co_ci_u32_e64 v17, null, s49, v9, vcc_lo
	global_load_b128 v[23:26], v[2:3], off
	global_load_b128 v[27:30], v[16:17], off
	s_wait_loadcnt 0x0
	v_mul_f64_e32 v[2:3], v[29:30], v[25:26]
	v_mul_f64_e32 v[16:17], v[27:28], v[25:26]
	s_delay_alu instid0(VALU_DEP_2) | instskip(NEXT) | instid1(VALU_DEP_2)
	v_fma_f64 v[2:3], v[27:28], v[23:24], -v[2:3]
	v_fma_f64 v[16:17], v[29:30], v[23:24], v[16:17]
	s_delay_alu instid0(VALU_DEP_2) | instskip(NEXT) | instid1(VALU_DEP_2)
	v_add_f64_e32 v[7:8], v[7:8], v[2:3]
	v_add_f64_e32 v[5:6], v[5:6], v[16:17]
	s_or_b32 exec_lo, exec_lo, s6
	s_and_saveexec_b32 s6, s1
	s_cbranch_execnz .LBB171_16
	s_branch .LBB171_17
.LBB171_26:                             ;   in Loop: Header=BB171_4 Depth=1
	ds_load_b128 v[6:9], v18
	s_wait_alu 0xfffe
	s_or_b32 exec_lo, exec_lo, s6
	s_and_saveexec_b32 s6, s1
	s_cbranch_execz .LBB171_21
.LBB171_27:                             ;   in Loop: Header=BB171_4 Depth=1
	s_wait_dscnt 0x0
	ds_bpermute_b32 v2, v16, v6
	ds_bpermute_b32 v3, v16, v7
	ds_bpermute_b32 v4, v16, v8
	ds_bpermute_b32 v5, v16, v9
	s_wait_dscnt 0x2
	v_add_f64_e32 v[2:3], v[6:7], v[2:3]
	s_wait_dscnt 0x0
	v_add_f64_e32 v[4:5], v[8:9], v[4:5]
	ds_bpermute_b32 v6, v17, v2
	ds_bpermute_b32 v7, v17, v3
	ds_bpermute_b32 v8, v17, v4
	ds_bpermute_b32 v9, v17, v5
	s_wait_dscnt 0x2
	v_add_f64_e32 v[2:3], v[2:3], v[6:7]
	s_wait_dscnt 0x0
	v_add_f64_e32 v[4:5], v[4:5], v[8:9]
	;; [unrolled: 8-line block ×3, first 2 shown]
	s_wait_alu 0xfffe
	s_or_b32 exec_lo, exec_lo, s6
                                        ; implicit-def: $vgpr4_vgpr5
	s_and_saveexec_b32 s6, s0
	s_cbranch_execz .LBB171_31
.LBB171_28:                             ;   in Loop: Header=BB171_4 Depth=1
	s_wait_dscnt 0x0
	s_delay_alu instid0(VALU_DEP_1) | instskip(SKIP_2) | instid1(VALU_DEP_2)
	v_mul_f64_e32 v[2:3], s[38:39], v[8:9]
	v_mul_f64_e32 v[4:5], s[36:37], v[8:9]
	s_and_not1_b32 vcc_lo, exec_lo, s33
	v_fma_f64 v[2:3], s[36:37], v[6:7], -v[2:3]
	s_delay_alu instid0(VALU_DEP_2)
	v_fma_f64 v[4:5], s[38:39], v[6:7], v[4:5]
	s_wait_alu 0xfffe
	s_cbranch_vccnz .LBB171_30
; %bb.29:                               ;   in Loop: Header=BB171_4 Depth=1
	s_add_nc_u64 s[46:47], s[26:27], s[24:25]
	global_load_b128 v[6:9], v1, s[46:47]
	s_wait_loadcnt 0x0
	v_mul_f64_e32 v[16:17], s[42:43], v[8:9]
	v_mul_f64_e32 v[8:9], s[40:41], v[8:9]
	s_delay_alu instid0(VALU_DEP_2) | instskip(NEXT) | instid1(VALU_DEP_2)
	v_fma_f64 v[16:17], s[40:41], v[6:7], -v[16:17]
	v_fma_f64 v[6:7], s[42:43], v[6:7], v[8:9]
	s_delay_alu instid0(VALU_DEP_2) | instskip(NEXT) | instid1(VALU_DEP_2)
	v_add_f64_e32 v[2:3], v[2:3], v[16:17]
	v_add_f64_e32 v[4:5], v[4:5], v[6:7]
.LBB171_30:                             ;   in Loop: Header=BB171_4 Depth=1
	s_or_b32 s44, s44, exec_lo
.LBB171_31:                             ;   in Loop: Header=BB171_4 Depth=1
	s_wait_alu 0xfffe
	s_or_b32 exec_lo, exec_lo, s6
.LBB171_32:                             ;   in Loop: Header=BB171_4 Depth=1
	s_and_saveexec_b32 s6, s44
	s_cbranch_execz .LBB171_2
; %bb.33:                               ;   in Loop: Header=BB171_4 Depth=1
	s_add_nc_u64 s[26:27], s[26:27], s[24:25]
	global_store_b128 v1, v[2:5], s[26:27]
	s_branch .LBB171_2
.LBB171_34:
	s_endpgm
	.section	.rodata,"a",@progbits
	.p2align	6, 0x0
	.amdhsa_kernel _ZL32rocblas_gemvt_warp_reduce_kernelILb0ELi256El19rocblas_complex_numIdES1_S1_EviiT3_lPKT2_lT1_lS5_lS6_lS2_lPT4_lS6_li
		.amdhsa_group_segment_fixed_size 512
		.amdhsa_private_segment_fixed_size 0
		.amdhsa_kernarg_size 156
		.amdhsa_user_sgpr_count 2
		.amdhsa_user_sgpr_dispatch_ptr 0
		.amdhsa_user_sgpr_queue_ptr 0
		.amdhsa_user_sgpr_kernarg_segment_ptr 1
		.amdhsa_user_sgpr_dispatch_id 0
		.amdhsa_user_sgpr_private_segment_size 0
		.amdhsa_wavefront_size32 1
		.amdhsa_uses_dynamic_stack 0
		.amdhsa_enable_private_segment 0
		.amdhsa_system_sgpr_workgroup_id_x 1
		.amdhsa_system_sgpr_workgroup_id_y 0
		.amdhsa_system_sgpr_workgroup_id_z 1
		.amdhsa_system_sgpr_workgroup_info 0
		.amdhsa_system_vgpr_workitem_id 0
		.amdhsa_next_free_vgpr 33
		.amdhsa_next_free_sgpr 50
		.amdhsa_reserve_vcc 1
		.amdhsa_float_round_mode_32 0
		.amdhsa_float_round_mode_16_64 0
		.amdhsa_float_denorm_mode_32 3
		.amdhsa_float_denorm_mode_16_64 3
		.amdhsa_fp16_overflow 0
		.amdhsa_workgroup_processor_mode 1
		.amdhsa_memory_ordered 1
		.amdhsa_forward_progress 1
		.amdhsa_inst_pref_size 17
		.amdhsa_round_robin_scheduling 0
		.amdhsa_exception_fp_ieee_invalid_op 0
		.amdhsa_exception_fp_denorm_src 0
		.amdhsa_exception_fp_ieee_div_zero 0
		.amdhsa_exception_fp_ieee_overflow 0
		.amdhsa_exception_fp_ieee_underflow 0
		.amdhsa_exception_fp_ieee_inexact 0
		.amdhsa_exception_int_div_zero 0
	.end_amdhsa_kernel
	.section	.text._ZL32rocblas_gemvt_warp_reduce_kernelILb0ELi256El19rocblas_complex_numIdES1_S1_EviiT3_lPKT2_lT1_lS5_lS6_lS2_lPT4_lS6_li,"axG",@progbits,_ZL32rocblas_gemvt_warp_reduce_kernelILb0ELi256El19rocblas_complex_numIdES1_S1_EviiT3_lPKT2_lT1_lS5_lS6_lS2_lPT4_lS6_li,comdat
.Lfunc_end171:
	.size	_ZL32rocblas_gemvt_warp_reduce_kernelILb0ELi256El19rocblas_complex_numIdES1_S1_EviiT3_lPKT2_lT1_lS5_lS6_lS2_lPT4_lS6_li, .Lfunc_end171-_ZL32rocblas_gemvt_warp_reduce_kernelILb0ELi256El19rocblas_complex_numIdES1_S1_EviiT3_lPKT2_lT1_lS5_lS6_lS2_lPT4_lS6_li
                                        ; -- End function
	.set _ZL32rocblas_gemvt_warp_reduce_kernelILb0ELi256El19rocblas_complex_numIdES1_S1_EviiT3_lPKT2_lT1_lS5_lS6_lS2_lPT4_lS6_li.num_vgpr, 33
	.set _ZL32rocblas_gemvt_warp_reduce_kernelILb0ELi256El19rocblas_complex_numIdES1_S1_EviiT3_lPKT2_lT1_lS5_lS6_lS2_lPT4_lS6_li.num_agpr, 0
	.set _ZL32rocblas_gemvt_warp_reduce_kernelILb0ELi256El19rocblas_complex_numIdES1_S1_EviiT3_lPKT2_lT1_lS5_lS6_lS2_lPT4_lS6_li.numbered_sgpr, 50
	.set _ZL32rocblas_gemvt_warp_reduce_kernelILb0ELi256El19rocblas_complex_numIdES1_S1_EviiT3_lPKT2_lT1_lS5_lS6_lS2_lPT4_lS6_li.num_named_barrier, 0
	.set _ZL32rocblas_gemvt_warp_reduce_kernelILb0ELi256El19rocblas_complex_numIdES1_S1_EviiT3_lPKT2_lT1_lS5_lS6_lS2_lPT4_lS6_li.private_seg_size, 0
	.set _ZL32rocblas_gemvt_warp_reduce_kernelILb0ELi256El19rocblas_complex_numIdES1_S1_EviiT3_lPKT2_lT1_lS5_lS6_lS2_lPT4_lS6_li.uses_vcc, 1
	.set _ZL32rocblas_gemvt_warp_reduce_kernelILb0ELi256El19rocblas_complex_numIdES1_S1_EviiT3_lPKT2_lT1_lS5_lS6_lS2_lPT4_lS6_li.uses_flat_scratch, 0
	.set _ZL32rocblas_gemvt_warp_reduce_kernelILb0ELi256El19rocblas_complex_numIdES1_S1_EviiT3_lPKT2_lT1_lS5_lS6_lS2_lPT4_lS6_li.has_dyn_sized_stack, 0
	.set _ZL32rocblas_gemvt_warp_reduce_kernelILb0ELi256El19rocblas_complex_numIdES1_S1_EviiT3_lPKT2_lT1_lS5_lS6_lS2_lPT4_lS6_li.has_recursion, 0
	.set _ZL32rocblas_gemvt_warp_reduce_kernelILb0ELi256El19rocblas_complex_numIdES1_S1_EviiT3_lPKT2_lT1_lS5_lS6_lS2_lPT4_lS6_li.has_indirect_call, 0
	.section	.AMDGPU.csdata,"",@progbits
; Kernel info:
; codeLenInByte = 2072
; TotalNumSgprs: 52
; NumVgprs: 33
; ScratchSize: 0
; MemoryBound: 0
; FloatMode: 240
; IeeeMode: 1
; LDSByteSize: 512 bytes/workgroup (compile time only)
; SGPRBlocks: 0
; VGPRBlocks: 4
; NumSGPRsForWavesPerEU: 52
; NumVGPRsForWavesPerEU: 33
; Occupancy: 16
; WaveLimiterHint : 1
; COMPUTE_PGM_RSRC2:SCRATCH_EN: 0
; COMPUTE_PGM_RSRC2:USER_SGPR: 2
; COMPUTE_PGM_RSRC2:TRAP_HANDLER: 0
; COMPUTE_PGM_RSRC2:TGID_X_EN: 1
; COMPUTE_PGM_RSRC2:TGID_Y_EN: 0
; COMPUTE_PGM_RSRC2:TGID_Z_EN: 1
; COMPUTE_PGM_RSRC2:TIDIG_COMP_CNT: 0
	.section	.text._ZL20rocblas_gemvt_kernelILb0ELi256E19rocblas_complex_numIdEPKS1_S1_EviiT2_lPKT1_lilS7_lilS4_lPT3_lili,"axG",@progbits,_ZL20rocblas_gemvt_kernelILb0ELi256E19rocblas_complex_numIdEPKS1_S1_EviiT2_lPKT1_lilS7_lilS4_lPT3_lili,comdat
	.globl	_ZL20rocblas_gemvt_kernelILb0ELi256E19rocblas_complex_numIdEPKS1_S1_EviiT2_lPKT1_lilS7_lilS4_lPT3_lili ; -- Begin function _ZL20rocblas_gemvt_kernelILb0ELi256E19rocblas_complex_numIdEPKS1_S1_EviiT2_lPKT1_lilS7_lilS4_lPT3_lili
	.p2align	8
	.type	_ZL20rocblas_gemvt_kernelILb0ELi256E19rocblas_complex_numIdEPKS1_S1_EviiT2_lPKT1_lilS7_lilS4_lPT3_lili,@function
_ZL20rocblas_gemvt_kernelILb0ELi256E19rocblas_complex_numIdEPKS1_S1_EviiT2_lPKT1_lilS7_lilS4_lPT3_lili: ; @_ZL20rocblas_gemvt_kernelILb0ELi256E19rocblas_complex_numIdEPKS1_S1_EviiT2_lPKT1_lilS7_lilS4_lPT3_lili
; %bb.0:
	s_load_b32 s33, s[0:1], 0x88
	s_lshr_b32 s34, ttmp7, 16
	s_wait_kmcnt 0x0
	s_cmp_ge_u32 s34, s33
	s_cbranch_scc1 .LBB172_43
; %bb.1:
	s_clause 0x7
	s_load_b32 s38, s[0:1], 0x28
	s_load_b96 s[8:10], s[0:1], 0x40
	s_load_b96 s[4:6], s[0:1], 0x70
	s_load_b256 s[12:19], s[0:1], 0x8
	s_load_b32 s11, s[0:1], 0x0
	s_load_b128 s[28:31], s[0:1], 0x30
	s_load_b256 s[20:27], s[0:1], 0x50
	s_load_b64 s[36:37], s[0:1], 0x80
	s_mov_b32 s2, ttmp9
	s_ashr_i32 s3, ttmp9, 31
	v_lshlrev_b32_e32 v25, 4, v0
	s_mov_b32 s35, 0
	v_mov_b32_e32 v22, 0
	s_wait_kmcnt 0x0
	s_ashr_i32 s39, s38, 31
	s_lshl_b64 s[0:1], s[8:9], 4
	s_lshl_b64 s[4:5], s[4:5], 4
	;; [unrolled: 1-line block ×3, first 2 shown]
	v_cmp_gt_i32_e32 vcc_lo, s11, v0
	s_add_nc_u64 s[18:19], s[30:31], s[0:1]
	s_ashr_i32 s1, s11, 31
	s_add_nc_u64 s[26:27], s[26:27], s[4:5]
	s_lshr_b32 s1, s1, 24
	v_cndmask_b32_e32 v1, 0, v0, vcc_lo
	s_add_nc_u64 s[4:5], s[16:17], s[8:9]
	s_add_co_i32 s1, s11, s1
	s_ashr_i32 s7, s6, 31
	s_and_b32 s30, s1, 0xffffff00
	v_lshlrev_b32_e32 v5, 4, v1
	s_mul_u64 s[42:43], s[6:7], s[2:3]
	s_mul_u64 s[2:3], s[38:39], s[2:3]
	v_or_b32_e32 v3, s30, v0
	s_lshl_b64 s[38:39], s[2:3], 4
	v_add_co_u32 v1, s4, s4, v5
	s_wait_alu 0xf1ff
	v_add_co_ci_u32_e64 v2, null, s5, 0, s4
	v_cmp_gt_i32_e64 s1, s11, v3
	s_delay_alu instid0(VALU_DEP_3) | instskip(SKIP_1) | instid1(VALU_DEP_3)
	v_add_co_u32 v23, vcc_lo, v1, s38
	s_wait_alu 0xfffd
	v_add_co_ci_u32_e64 v24, null, s39, v2, vcc_lo
	v_mad_co_i64_i32 v[1:2], null, s10, v3, 0
	v_mad_co_i64_i32 v[3:4], null, s10, v0, 0
	s_ashr_i32 s41, s10, 31
	s_mov_b32 s40, s10
	s_cmp_gt_i32 s11, 0xff
	s_add_nc_u64 s[10:11], s[38:39], s[8:9]
	v_cmp_eq_u32_e64 s0, 0, v0
	s_wait_alu 0xfffe
	s_add_nc_u64 s[10:11], s[16:17], s[10:11]
	v_cmp_gt_u32_e64 s2, 0x80, v0
	v_cmp_gt_u32_e64 s3, 64, v0
	;; [unrolled: 1-line block ×7, first 2 shown]
	s_wait_alu 0xfffe
	v_add_co_u32 v0, s9, s10, v5
	v_lshlrev_b64_e32 v[3:4], 4, v[3:4]
	v_add_co_ci_u32_e64 v5, null, s11, 0, s9
	s_delay_alu instid0(VALU_DEP_3) | instskip(SKIP_2) | instid1(VALU_DEP_3)
	v_add_co_u32 v12, vcc_lo, v0, 8
	v_lshlrev_b64_e32 v[16:17], 4, v[1:2]
	s_wait_alu 0xfffd
	v_add_co_ci_u32_e64 v13, null, 0, v5, vcc_lo
	v_add_co_u32 v0, vcc_lo, s18, v3
	s_wait_alu 0xfffd
	v_add_co_ci_u32_e64 v3, null, s19, v4, vcc_lo
	s_cselect_b32 s44, -1, 0
	v_add_co_u32 v14, vcc_lo, v0, 8
	s_wait_alu 0xfffd
	v_add_co_ci_u32_e64 v15, null, 0, v3, vcc_lo
	s_ashr_i32 s31, s30, 31
	s_lshl_b64 s[10:11], s[28:29], 4
	s_lshl_b64 s[16:17], s[20:21], 4
	;; [unrolled: 1-line block ×4, first 2 shown]
	s_branch .LBB172_4
.LBB172_2:                              ;   in Loop: Header=BB172_4 Depth=1
	s_wait_alu 0xfffe
	s_or_b32 exec_lo, exec_lo, s9
.LBB172_3:                              ;   in Loop: Header=BB172_4 Depth=1
	s_add_co_i32 s34, s34, 0x10000
	s_wait_alu 0xfffe
	s_cmp_lt_u32 s34, s33
	s_cbranch_scc0 .LBB172_43
.LBB172_4:                              ; =>This Loop Header: Depth=1
                                        ;     Child Loop BB172_17 Depth 2
	s_mul_u64 s[42:43], s[14:15], s[34:35]
	s_delay_alu instid0(SALU_CYCLE_1) | instskip(NEXT) | instid1(SALU_CYCLE_1)
	s_lshl_b64 s[42:43], s[42:43], 4
	s_add_nc_u64 s[42:43], s[12:13], s[42:43]
	global_load_b128 v[4:7], v22, s[42:43]
	s_mul_u64 s[42:43], s[24:25], s[34:35]
	s_delay_alu instid0(SALU_CYCLE_1) | instskip(NEXT) | instid1(SALU_CYCLE_1)
	s_lshl_b64 s[42:43], s[42:43], 4
	s_add_nc_u64 s[42:43], s[22:23], s[42:43]
	s_wait_loadcnt 0x1
	global_load_b128 v[0:3], v22, s[42:43]
	s_wait_loadcnt 0x1
	v_cmp_neq_f64_e32 vcc_lo, 0, v[4:5]
	v_cmp_neq_f64_e64 s9, 0, v[6:7]
	s_or_b32 s42, vcc_lo, s9
	s_mov_b32 s9, -1
	s_and_b32 vcc_lo, exec_lo, s42
	s_wait_alu 0xfffe
	s_cbranch_vccz .LBB172_6
; %bb.5:                                ;   in Loop: Header=BB172_4 Depth=1
	s_and_not1_b32 vcc_lo, exec_lo, s9
	s_wait_alu 0xfffe
	s_cbranch_vccnz .LBB172_3
	s_branch .LBB172_7
.LBB172_6:                              ;   in Loop: Header=BB172_4 Depth=1
	s_wait_loadcnt 0x0
	v_cmp_neq_f64_e32 vcc_lo, 1.0, v[0:1]
	v_cmp_neq_f64_e64 s9, 0, v[2:3]
	s_or_b32 s9, vcc_lo, s9
	s_wait_alu 0xfffe
	s_and_not1_b32 vcc_lo, exec_lo, s9
	s_wait_alu 0xfffe
	s_cbranch_vccnz .LBB172_3
.LBB172_7:                              ;   in Loop: Header=BB172_4 Depth=1
	s_xor_b32 s9, s42, -1
	s_mul_u64 s[42:43], s[36:37], s[34:35]
	s_wait_alu 0xfffe
	s_and_not1_b32 vcc_lo, exec_lo, s9
	s_lshl_b64 s[42:43], s[42:43], 4
	s_delay_alu instid0(SALU_CYCLE_1)
	s_add_nc_u64 s[42:43], s[26:27], s[42:43]
	s_wait_alu 0xfffe
	s_cbranch_vccnz .LBB172_11
; %bb.8:                                ;   in Loop: Header=BB172_4 Depth=1
	s_mov_b32 s46, 0
	s_mov_b32 s45, 0
                                        ; implicit-def: $vgpr10_vgpr11
	s_and_saveexec_b32 s47, s0
	s_cbranch_execz .LBB172_12
; %bb.9:                                ;   in Loop: Header=BB172_4 Depth=1
	s_wait_loadcnt 0x0
	v_cmp_neq_f64_e32 vcc_lo, 0, v[0:1]
	v_cmp_neq_f64_e64 s9, 0, v[2:3]
	s_or_b32 s9, vcc_lo, s9
	s_wait_alu 0xfffe
	s_and_not1_b32 vcc_lo, exec_lo, s9
	s_wait_alu 0xfffe
	s_cbranch_vccnz .LBB172_13
; %bb.10:                               ;   in Loop: Header=BB172_4 Depth=1
	s_add_nc_u64 s[48:49], s[42:43], s[40:41]
	global_load_b128 v[18:21], v22, s[48:49]
	s_wait_loadcnt 0x0
	v_mul_f64_e32 v[8:9], v[2:3], v[20:21]
	v_mul_f64_e32 v[10:11], v[0:1], v[20:21]
	s_delay_alu instid0(VALU_DEP_2) | instskip(NEXT) | instid1(VALU_DEP_2)
	v_fma_f64 v[8:9], v[0:1], v[18:19], -v[8:9]
	v_fma_f64 v[10:11], v[2:3], v[18:19], v[10:11]
	s_branch .LBB172_14
.LBB172_11:                             ;   in Loop: Header=BB172_4 Depth=1
	s_mov_b32 s45, 0
                                        ; implicit-def: $vgpr10_vgpr11
	s_cbranch_execnz .LBB172_15
	s_branch .LBB172_41
.LBB172_12:                             ;   in Loop: Header=BB172_4 Depth=1
	s_wait_alu 0xfffe
	s_or_b32 exec_lo, exec_lo, s47
	s_delay_alu instid0(SALU_CYCLE_1)
	s_and_b32 vcc_lo, exec_lo, s46
	s_wait_alu 0xfffe
	s_cbranch_vccnz .LBB172_15
	s_branch .LBB172_41
.LBB172_13:                             ;   in Loop: Header=BB172_4 Depth=1
	v_mov_b32_e32 v10, 0
	v_dual_mov_b32 v11, 0 :: v_dual_mov_b32 v8, 0
	v_mov_b32_e32 v9, 0
.LBB172_14:                             ;   in Loop: Header=BB172_4 Depth=1
	s_mov_b32 s45, exec_lo
	s_or_b32 exec_lo, exec_lo, s47
	s_delay_alu instid0(SALU_CYCLE_1)
	s_and_b32 vcc_lo, exec_lo, s46
	s_wait_alu 0xfffe
	s_cbranch_vccz .LBB172_41
.LBB172_15:                             ;   in Loop: Header=BB172_4 Depth=1
	v_mov_b32_e32 v10, 0
	v_mov_b32_e32 v11, 0
	s_delay_alu instid0(VALU_DEP_2) | instskip(SKIP_1) | instid1(VALU_DEP_2)
	v_mov_b32_e32 v8, v10
	s_and_not1_b32 vcc_lo, exec_lo, s44
	v_mov_b32_e32 v9, v11
	s_wait_alu 0xfffe
	s_cbranch_vccnz .LBB172_18
; %bb.16:                               ;   in Loop: Header=BB172_4 Depth=1
	v_mad_co_u64_u32 v[18:19], null, s10, s34, v[12:13]
	v_mad_co_u64_u32 v[20:21], null, s16, s34, v[14:15]
	s_mov_b32 s9, 0
	v_dual_mov_b32 v8, v19 :: v_dual_mov_b32 v9, v21
	s_delay_alu instid0(VALU_DEP_1) | instskip(SKIP_3) | instid1(VALU_DEP_4)
	v_mad_co_u64_u32 v[26:27], null, s11, s34, v[8:9]
	v_mad_co_u64_u32 v[8:9], null, s17, s34, v[9:10]
	v_mov_b32_e32 v10, 0
	v_mov_b32_e32 v11, 0
	;; [unrolled: 1-line block ×3, first 2 shown]
	s_delay_alu instid0(VALU_DEP_3) | instskip(NEXT) | instid1(VALU_DEP_3)
	v_dual_mov_b32 v21, v8 :: v_dual_mov_b32 v8, v10
	v_mov_b32_e32 v9, v11
.LBB172_17:                             ;   Parent Loop BB172_4 Depth=1
                                        ; =>  This Inner Loop Header: Depth=2
	global_load_b128 v[26:29], v[18:19], off offset:-8
	global_load_b128 v[30:33], v[20:21], off offset:-8
	v_add_co_u32 v18, vcc_lo, 0x1000, v18
	s_wait_alu 0xfffd
	v_add_co_ci_u32_e64 v19, null, 0, v19, vcc_lo
	v_add_co_u32 v20, vcc_lo, v20, s38
	s_wait_alu 0xfffd
	v_add_co_ci_u32_e64 v21, null, s39, v21, vcc_lo
	s_wait_alu 0xfffe
	s_addk_co_i32 s9, 0x100
	s_wait_alu 0xfffe
	s_cmp_ge_i32 s9, s30
	s_wait_loadcnt 0x0
	v_mul_f64_e32 v[34:35], v[28:29], v[32:33]
	v_mul_f64_e32 v[32:33], v[26:27], v[32:33]
	s_delay_alu instid0(VALU_DEP_2) | instskip(NEXT) | instid1(VALU_DEP_2)
	v_fma_f64 v[26:27], v[26:27], v[30:31], -v[34:35]
	v_fma_f64 v[28:29], v[28:29], v[30:31], v[32:33]
	s_delay_alu instid0(VALU_DEP_2) | instskip(NEXT) | instid1(VALU_DEP_2)
	v_add_f64_e32 v[8:9], v[8:9], v[26:27]
	v_add_f64_e32 v[10:11], v[10:11], v[28:29]
	s_cbranch_scc0 .LBB172_17
.LBB172_18:                             ;   in Loop: Header=BB172_4 Depth=1
	s_and_saveexec_b32 s9, s1
	s_cbranch_execz .LBB172_20
; %bb.19:                               ;   in Loop: Header=BB172_4 Depth=1
	s_mul_u64 s[46:47], s[28:29], s[34:35]
	s_mul_u64 s[48:49], s[20:21], s[34:35]
	s_wait_alu 0xfffe
	s_lshl_b64 s[46:47], s[46:47], 4
	s_lshl_b64 s[48:49], s[48:49], 4
	s_wait_alu 0xfffe
	v_add_co_u32 v20, vcc_lo, v23, s46
	s_wait_alu 0xfffd
	v_add_co_ci_u32_e64 v21, null, s47, v24, vcc_lo
	s_add_nc_u64 s[46:47], s[18:19], s[48:49]
	s_lshl_b64 s[48:49], s[30:31], 4
	s_wait_alu 0xfffe
	v_add_co_u32 v18, vcc_lo, s46, v16
	s_wait_alu 0xfffd
	v_add_co_ci_u32_e64 v19, null, s47, v17, vcc_lo
	v_add_co_u32 v26, vcc_lo, v20, s48
	s_wait_alu 0xfffd
	v_add_co_ci_u32_e64 v27, null, s49, v21, vcc_lo
	global_load_b128 v[18:21], v[18:19], off
	global_load_b128 v[26:29], v[26:27], off
	s_wait_loadcnt 0x0
	v_mul_f64_e32 v[30:31], v[28:29], v[20:21]
	v_mul_f64_e32 v[20:21], v[26:27], v[20:21]
	s_delay_alu instid0(VALU_DEP_2) | instskip(NEXT) | instid1(VALU_DEP_2)
	v_fma_f64 v[26:27], v[26:27], v[18:19], -v[30:31]
	v_fma_f64 v[18:19], v[28:29], v[18:19], v[20:21]
	s_delay_alu instid0(VALU_DEP_2) | instskip(NEXT) | instid1(VALU_DEP_2)
	v_add_f64_e32 v[8:9], v[8:9], v[26:27]
	v_add_f64_e32 v[10:11], v[10:11], v[18:19]
.LBB172_20:                             ;   in Loop: Header=BB172_4 Depth=1
	s_wait_alu 0xfffe
	s_or_b32 exec_lo, exec_lo, s9
	ds_store_b128 v25, v[8:11]
	s_wait_loadcnt_dscnt 0x0
	s_barrier_signal -1
	s_barrier_wait -1
	global_inv scope:SCOPE_SE
	s_and_saveexec_b32 s9, s2
	s_cbranch_execz .LBB172_22
; %bb.21:                               ;   in Loop: Header=BB172_4 Depth=1
	ds_load_b128 v[8:11], v25 offset:2048
	ds_load_b128 v[18:21], v25
	s_wait_dscnt 0x0
	v_add_f64_e32 v[8:9], v[8:9], v[18:19]
	v_add_f64_e32 v[10:11], v[10:11], v[20:21]
	ds_store_b128 v25, v[8:11]
.LBB172_22:                             ;   in Loop: Header=BB172_4 Depth=1
	s_wait_alu 0xfffe
	s_or_b32 exec_lo, exec_lo, s9
	s_wait_loadcnt_dscnt 0x0
	s_barrier_signal -1
	s_barrier_wait -1
	global_inv scope:SCOPE_SE
	s_and_saveexec_b32 s9, s3
	s_cbranch_execz .LBB172_24
; %bb.23:                               ;   in Loop: Header=BB172_4 Depth=1
	ds_load_b128 v[8:11], v25 offset:1024
	ds_load_b128 v[18:21], v25
	s_wait_dscnt 0x0
	v_add_f64_e32 v[8:9], v[8:9], v[18:19]
	v_add_f64_e32 v[10:11], v[10:11], v[20:21]
	ds_store_b128 v25, v[8:11]
.LBB172_24:                             ;   in Loop: Header=BB172_4 Depth=1
	s_wait_alu 0xfffe
	s_or_b32 exec_lo, exec_lo, s9
	;; [unrolled: 16-line block ×6, first 2 shown]
	s_wait_loadcnt_dscnt 0x0
	s_barrier_signal -1
	s_barrier_wait -1
	global_inv scope:SCOPE_SE
	s_and_saveexec_b32 s9, s8
	s_cbranch_execz .LBB172_34
; %bb.33:                               ;   in Loop: Header=BB172_4 Depth=1
	ds_load_b128 v[8:11], v25
	ds_load_b128 v[18:21], v25 offset:32
	s_wait_dscnt 0x0
	v_add_f64_e32 v[8:9], v[18:19], v[8:9]
	v_add_f64_e32 v[10:11], v[20:21], v[10:11]
	ds_store_b128 v25, v[8:11]
.LBB172_34:                             ;   in Loop: Header=BB172_4 Depth=1
	s_wait_alu 0xfffe
	s_or_b32 exec_lo, exec_lo, s9
	s_wait_loadcnt_dscnt 0x0
	s_barrier_signal -1
	s_barrier_wait -1
	global_inv scope:SCOPE_SE
	s_and_saveexec_b32 s9, s0
	s_cbranch_execz .LBB172_36
; %bb.35:                               ;   in Loop: Header=BB172_4 Depth=1
	ds_load_b128 v[8:11], v22
	ds_load_b128 v[18:21], v22 offset:16
	s_wait_dscnt 0x0
	v_add_f64_e32 v[8:9], v[18:19], v[8:9]
	v_add_f64_e32 v[10:11], v[20:21], v[10:11]
	ds_store_b128 v22, v[8:11]
.LBB172_36:                             ;   in Loop: Header=BB172_4 Depth=1
	s_wait_alu 0xfffe
	s_or_b32 exec_lo, exec_lo, s9
	s_wait_loadcnt_dscnt 0x0
	s_barrier_signal -1
	s_barrier_wait -1
	global_inv scope:SCOPE_SE
                                        ; implicit-def: $vgpr10_vgpr11
	s_and_saveexec_b32 s46, s0
	s_cbranch_execz .LBB172_40
; %bb.37:                               ;   in Loop: Header=BB172_4 Depth=1
	ds_load_b128 v[18:21], v22
	v_cmp_neq_f64_e32 vcc_lo, 0, v[0:1]
	v_cmp_neq_f64_e64 s9, 0, v[2:3]
	s_wait_dscnt 0x0
	v_mul_f64_e32 v[8:9], v[6:7], v[20:21]
	v_mul_f64_e32 v[10:11], v[4:5], v[20:21]
	s_or_b32 s9, vcc_lo, s9
	s_wait_alu 0xfffe
	s_and_not1_b32 vcc_lo, exec_lo, s9
	s_delay_alu instid0(VALU_DEP_2) | instskip(NEXT) | instid1(VALU_DEP_2)
	v_fma_f64 v[8:9], v[4:5], v[18:19], -v[8:9]
	v_fma_f64 v[10:11], v[6:7], v[18:19], v[10:11]
	s_wait_alu 0xfffe
	s_cbranch_vccnz .LBB172_39
; %bb.38:                               ;   in Loop: Header=BB172_4 Depth=1
	s_add_nc_u64 s[48:49], s[42:43], s[40:41]
	global_load_b128 v[4:7], v22, s[48:49]
	s_wait_loadcnt 0x0
	v_mul_f64_e32 v[18:19], v[2:3], v[6:7]
	v_mul_f64_e32 v[6:7], v[0:1], v[6:7]
	s_delay_alu instid0(VALU_DEP_2) | instskip(NEXT) | instid1(VALU_DEP_2)
	v_fma_f64 v[0:1], v[0:1], v[4:5], -v[18:19]
	v_fma_f64 v[2:3], v[2:3], v[4:5], v[6:7]
	s_delay_alu instid0(VALU_DEP_2) | instskip(NEXT) | instid1(VALU_DEP_2)
	v_add_f64_e32 v[8:9], v[8:9], v[0:1]
	v_add_f64_e32 v[10:11], v[10:11], v[2:3]
.LBB172_39:                             ;   in Loop: Header=BB172_4 Depth=1
	s_or_b32 s45, s45, exec_lo
.LBB172_40:                             ;   in Loop: Header=BB172_4 Depth=1
	s_wait_alu 0xfffe
	s_or_b32 exec_lo, exec_lo, s46
.LBB172_41:                             ;   in Loop: Header=BB172_4 Depth=1
	s_and_saveexec_b32 s9, s45
	s_cbranch_execz .LBB172_2
; %bb.42:                               ;   in Loop: Header=BB172_4 Depth=1
	s_add_nc_u64 s[42:43], s[42:43], s[40:41]
	global_store_b128 v22, v[8:11], s[42:43]
	s_branch .LBB172_2
.LBB172_43:
	s_endpgm
	.section	.rodata,"a",@progbits
	.p2align	6, 0x0
	.amdhsa_kernel _ZL20rocblas_gemvt_kernelILb0ELi256E19rocblas_complex_numIdEPKS1_S1_EviiT2_lPKT1_lilS7_lilS4_lPT3_lili
		.amdhsa_group_segment_fixed_size 4096
		.amdhsa_private_segment_fixed_size 0
		.amdhsa_kernarg_size 140
		.amdhsa_user_sgpr_count 2
		.amdhsa_user_sgpr_dispatch_ptr 0
		.amdhsa_user_sgpr_queue_ptr 0
		.amdhsa_user_sgpr_kernarg_segment_ptr 1
		.amdhsa_user_sgpr_dispatch_id 0
		.amdhsa_user_sgpr_private_segment_size 0
		.amdhsa_wavefront_size32 1
		.amdhsa_uses_dynamic_stack 0
		.amdhsa_enable_private_segment 0
		.amdhsa_system_sgpr_workgroup_id_x 1
		.amdhsa_system_sgpr_workgroup_id_y 0
		.amdhsa_system_sgpr_workgroup_id_z 1
		.amdhsa_system_sgpr_workgroup_info 0
		.amdhsa_system_vgpr_workitem_id 0
		.amdhsa_next_free_vgpr 36
		.amdhsa_next_free_sgpr 50
		.amdhsa_reserve_vcc 1
		.amdhsa_float_round_mode_32 0
		.amdhsa_float_round_mode_16_64 0
		.amdhsa_float_denorm_mode_32 3
		.amdhsa_float_denorm_mode_16_64 3
		.amdhsa_fp16_overflow 0
		.amdhsa_workgroup_processor_mode 1
		.amdhsa_memory_ordered 1
		.amdhsa_forward_progress 1
		.amdhsa_inst_pref_size 17
		.amdhsa_round_robin_scheduling 0
		.amdhsa_exception_fp_ieee_invalid_op 0
		.amdhsa_exception_fp_denorm_src 0
		.amdhsa_exception_fp_ieee_div_zero 0
		.amdhsa_exception_fp_ieee_overflow 0
		.amdhsa_exception_fp_ieee_underflow 0
		.amdhsa_exception_fp_ieee_inexact 0
		.amdhsa_exception_int_div_zero 0
	.end_amdhsa_kernel
	.section	.text._ZL20rocblas_gemvt_kernelILb0ELi256E19rocblas_complex_numIdEPKS1_S1_EviiT2_lPKT1_lilS7_lilS4_lPT3_lili,"axG",@progbits,_ZL20rocblas_gemvt_kernelILb0ELi256E19rocblas_complex_numIdEPKS1_S1_EviiT2_lPKT1_lilS7_lilS4_lPT3_lili,comdat
.Lfunc_end172:
	.size	_ZL20rocblas_gemvt_kernelILb0ELi256E19rocblas_complex_numIdEPKS1_S1_EviiT2_lPKT1_lilS7_lilS4_lPT3_lili, .Lfunc_end172-_ZL20rocblas_gemvt_kernelILb0ELi256E19rocblas_complex_numIdEPKS1_S1_EviiT2_lPKT1_lilS7_lilS4_lPT3_lili
                                        ; -- End function
	.set _ZL20rocblas_gemvt_kernelILb0ELi256E19rocblas_complex_numIdEPKS1_S1_EviiT2_lPKT1_lilS7_lilS4_lPT3_lili.num_vgpr, 36
	.set _ZL20rocblas_gemvt_kernelILb0ELi256E19rocblas_complex_numIdEPKS1_S1_EviiT2_lPKT1_lilS7_lilS4_lPT3_lili.num_agpr, 0
	.set _ZL20rocblas_gemvt_kernelILb0ELi256E19rocblas_complex_numIdEPKS1_S1_EviiT2_lPKT1_lilS7_lilS4_lPT3_lili.numbered_sgpr, 50
	.set _ZL20rocblas_gemvt_kernelILb0ELi256E19rocblas_complex_numIdEPKS1_S1_EviiT2_lPKT1_lilS7_lilS4_lPT3_lili.num_named_barrier, 0
	.set _ZL20rocblas_gemvt_kernelILb0ELi256E19rocblas_complex_numIdEPKS1_S1_EviiT2_lPKT1_lilS7_lilS4_lPT3_lili.private_seg_size, 0
	.set _ZL20rocblas_gemvt_kernelILb0ELi256E19rocblas_complex_numIdEPKS1_S1_EviiT2_lPKT1_lilS7_lilS4_lPT3_lili.uses_vcc, 1
	.set _ZL20rocblas_gemvt_kernelILb0ELi256E19rocblas_complex_numIdEPKS1_S1_EviiT2_lPKT1_lilS7_lilS4_lPT3_lili.uses_flat_scratch, 0
	.set _ZL20rocblas_gemvt_kernelILb0ELi256E19rocblas_complex_numIdEPKS1_S1_EviiT2_lPKT1_lilS7_lilS4_lPT3_lili.has_dyn_sized_stack, 0
	.set _ZL20rocblas_gemvt_kernelILb0ELi256E19rocblas_complex_numIdEPKS1_S1_EviiT2_lPKT1_lilS7_lilS4_lPT3_lili.has_recursion, 0
	.set _ZL20rocblas_gemvt_kernelILb0ELi256E19rocblas_complex_numIdEPKS1_S1_EviiT2_lPKT1_lilS7_lilS4_lPT3_lili.has_indirect_call, 0
	.section	.AMDGPU.csdata,"",@progbits
; Kernel info:
; codeLenInByte = 2120
; TotalNumSgprs: 52
; NumVgprs: 36
; ScratchSize: 0
; MemoryBound: 0
; FloatMode: 240
; IeeeMode: 1
; LDSByteSize: 4096 bytes/workgroup (compile time only)
; SGPRBlocks: 0
; VGPRBlocks: 4
; NumSGPRsForWavesPerEU: 52
; NumVGPRsForWavesPerEU: 36
; Occupancy: 16
; WaveLimiterHint : 0
; COMPUTE_PGM_RSRC2:SCRATCH_EN: 0
; COMPUTE_PGM_RSRC2:USER_SGPR: 2
; COMPUTE_PGM_RSRC2:TRAP_HANDLER: 0
; COMPUTE_PGM_RSRC2:TGID_X_EN: 1
; COMPUTE_PGM_RSRC2:TGID_Y_EN: 0
; COMPUTE_PGM_RSRC2:TGID_Z_EN: 1
; COMPUTE_PGM_RSRC2:TIDIG_COMP_CNT: 0
	.section	.text._ZL20rocblas_gemvt_kernelILb0ELi256E19rocblas_complex_numIdES1_S1_EviiT2_lPKT1_lilS5_lilS2_lPT3_lili,"axG",@progbits,_ZL20rocblas_gemvt_kernelILb0ELi256E19rocblas_complex_numIdES1_S1_EviiT2_lPKT1_lilS5_lilS2_lPT3_lili,comdat
	.globl	_ZL20rocblas_gemvt_kernelILb0ELi256E19rocblas_complex_numIdES1_S1_EviiT2_lPKT1_lilS5_lilS2_lPT3_lili ; -- Begin function _ZL20rocblas_gemvt_kernelILb0ELi256E19rocblas_complex_numIdES1_S1_EviiT2_lPKT1_lilS5_lilS2_lPT3_lili
	.p2align	8
	.type	_ZL20rocblas_gemvt_kernelILb0ELi256E19rocblas_complex_numIdES1_S1_EviiT2_lPKT1_lilS5_lilS2_lPT3_lili,@function
_ZL20rocblas_gemvt_kernelILb0ELi256E19rocblas_complex_numIdES1_S1_EviiT2_lPKT1_lilS5_lilS2_lPT3_lili: ; @_ZL20rocblas_gemvt_kernelILb0ELi256E19rocblas_complex_numIdES1_S1_EviiT2_lPKT1_lilS5_lilS2_lPT3_lili
; %bb.0:
	s_load_b32 s33, s[0:1], 0x98
	s_lshr_b32 s34, ttmp7, 16
	s_wait_kmcnt 0x0
	s_cmp_ge_u32 s34, s33
	s_cbranch_scc1 .LBB173_41
; %bb.1:
	s_clause 0xa
	s_load_b128 s[12:15], s[0:1], 0x8
	s_load_b64 s[36:37], s[0:1], 0x68
	s_load_b128 s[16:19], s[0:1], 0x58
	s_load_b32 s31, s[0:1], 0x0
	s_load_b32 s40, s[0:1], 0x30
	s_load_b96 s[28:30], s[0:1], 0x48
	s_load_b128 s[24:27], s[0:1], 0x20
	s_load_b32 s42, s[0:1], 0x88
	s_load_b128 s[20:23], s[0:1], 0x38
	s_load_b128 s[8:11], s[0:1], 0x78
	s_load_b64 s[38:39], s[0:1], 0x90
	s_mov_b32 s6, ttmp9
	s_ashr_i32 s7, ttmp9, 31
	v_cmp_eq_u32_e64 s0, 0, v0
	v_dual_mov_b32 v14, 0 :: v_dual_lshlrev_b32 v15, 4, v0
	v_cmp_gt_u32_e64 s1, 0x80, v0
	v_cmp_gt_u32_e64 s2, 64, v0
	;; [unrolled: 1-line block ×4, first 2 shown]
	s_wait_kmcnt 0x0
	v_cmp_neq_f64_e64 s50, s[12:13], 0
	v_cmp_neq_f64_e64 s51, s[14:15], 0
	v_cmp_neq_f64_e64 s52, s[36:37], 0
	v_cmp_gt_i32_e32 vcc_lo, s31, v0
	v_cmp_neq_f64_e64 s53, s[18:19], 0
	v_cmp_neq_f64_e64 s54, s[18:19], 1.0
	s_ashr_i32 s5, s31, 31
	s_lshl_b64 s[28:29], s[28:29], 4
	v_cndmask_b32_e32 v1, 0, v0, vcc_lo
	s_lshl_b64 s[44:45], s[10:11], 4
	s_lshl_b64 s[46:47], s[26:27], 4
	s_lshr_b32 s5, s5, 24
	s_add_nc_u64 s[10:11], s[22:23], s[28:29]
	v_lshlrev_b32_e32 v5, 4, v1
	s_add_nc_u64 s[22:23], s[8:9], s[44:45]
	s_add_nc_u64 s[8:9], s[24:25], s[46:47]
	s_add_co_i32 s5, s31, s5
	s_ashr_i32 s41, s40, 31
	s_and_b32 s26, s5, 0xffffff00
	v_add_co_u32 v3, s5, s8, v5
	s_mul_u64 s[28:29], s[40:41], s[6:7]
	v_add_co_ci_u32_e64 v4, null, s9, 0, s5
	s_lshl_b64 s[28:29], s[28:29], 4
	s_ashr_i32 s43, s42, 31
	v_add_co_u32 v16, vcc_lo, v3, s28
	s_wait_alu 0xfffd
	v_add_co_ci_u32_e64 v17, null, s29, v4, vcc_lo
	v_mad_co_i64_i32 v[3:4], null, s30, v0, 0
	s_add_nc_u64 s[28:29], s[28:29], s[46:47]
	s_mul_u64 s[40:41], s[42:43], s[6:7]
	s_wait_alu 0xfffe
	s_add_nc_u64 s[24:25], s[24:25], s[28:29]
	v_or_b32_e32 v1, s26, v0
	v_cmp_gt_u32_e64 s6, 8, v0
	v_cmp_gt_u32_e64 s7, 4, v0
	;; [unrolled: 1-line block ×3, first 2 shown]
	v_add_co_u32 v0, s24, s24, v5
	v_lshlrev_b64_e32 v[6:7], 4, v[3:4]
	s_wait_alu 0xf1ff
	v_add_co_ci_u32_e64 v5, null, s25, 0, s24
	v_cmp_gt_i32_e64 s5, s31, v1
	v_mad_co_i64_i32 v[1:2], null, s30, v1, 0
	v_add_co_u32 v4, vcc_lo, v0, 8
	s_wait_alu 0xfffd
	v_add_co_ci_u32_e64 v5, null, 0, v5, vcc_lo
	v_add_co_u32 v0, vcc_lo, s10, v6
	s_wait_alu 0xfffd
	v_add_co_ci_u32_e64 v3, null, s11, v7, vcc_lo
	s_or_b32 s42, s50, s51
	s_ashr_i32 s49, s30, 31
	s_or_b32 s9, s53, s52
	s_xor_b32 s44, s42, -1
	v_add_co_u32 v6, vcc_lo, v0, 8
	s_cmp_gt_i32 s31, 0xff
	v_lshlrev_b64_e32 v[8:9], 4, v[1:2]
	s_wait_alu 0xfffd
	v_add_co_ci_u32_e64 v7, null, 0, v3, vcc_lo
	s_mov_b32 s48, s30
	s_cselect_b32 s45, -1, 0
	s_or_b32 s30, s42, s54
	s_mov_b32 s35, 0
	s_ashr_i32 s27, s26, 31
	s_lshl_b64 s[24:25], s[20:21], 4
	s_wait_alu 0xfffe
	s_or_b32 s46, s30, s52
	s_lshl_b64 s[28:29], s[16:17], 4
	s_lshl_b64 s[30:31], s[48:49], 12
	;; [unrolled: 1-line block ×3, first 2 shown]
	s_branch .LBB173_4
.LBB173_2:                              ;   in Loop: Header=BB173_4 Depth=1
	s_or_b32 exec_lo, exec_lo, s48
.LBB173_3:                              ;   in Loop: Header=BB173_4 Depth=1
	s_add_co_i32 s34, s34, 0x10000
	s_wait_alu 0xfffe
	s_cmp_lt_u32 s34, s33
	s_cbranch_scc0 .LBB173_41
.LBB173_4:                              ; =>This Loop Header: Depth=1
                                        ;     Child Loop BB173_15 Depth 2
	s_and_not1_b32 vcc_lo, exec_lo, s46
	s_wait_alu 0xfffe
	s_cbranch_vccnz .LBB173_3
; %bb.5:                                ;   in Loop: Header=BB173_4 Depth=1
	s_mul_u64 s[42:43], s[38:39], s[34:35]
	s_and_not1_b32 vcc_lo, exec_lo, s44
	s_lshl_b64 s[42:43], s[42:43], 4
	s_delay_alu instid0(SALU_CYCLE_1)
	s_add_nc_u64 s[42:43], s[22:23], s[42:43]
	s_wait_alu 0xfffe
	s_cbranch_vccnz .LBB173_9
; %bb.6:                                ;   in Loop: Header=BB173_4 Depth=1
	s_mov_b32 s48, 0
	s_mov_b32 s47, 0
                                        ; implicit-def: $vgpr2_vgpr3
	s_and_saveexec_b32 s49, s0
	s_cbranch_execz .LBB173_10
; %bb.7:                                ;   in Loop: Header=BB173_4 Depth=1
	s_and_not1_b32 vcc_lo, exec_lo, s9
	s_wait_alu 0xfffe
	s_cbranch_vccnz .LBB173_11
; %bb.8:                                ;   in Loop: Header=BB173_4 Depth=1
	s_add_nc_u64 s[50:51], s[42:43], s[40:41]
	global_load_b128 v[10:13], v14, s[50:51]
	s_wait_loadcnt 0x0
	v_mul_f64_e32 v[0:1], s[36:37], v[12:13]
	v_mul_f64_e32 v[2:3], s[18:19], v[12:13]
	s_delay_alu instid0(VALU_DEP_2) | instskip(NEXT) | instid1(VALU_DEP_2)
	v_fma_f64 v[0:1], s[18:19], v[10:11], -v[0:1]
	v_fma_f64 v[2:3], s[36:37], v[10:11], v[2:3]
	s_branch .LBB173_12
.LBB173_9:                              ;   in Loop: Header=BB173_4 Depth=1
	s_mov_b32 s47, 0
                                        ; implicit-def: $vgpr2_vgpr3
	s_cbranch_execnz .LBB173_13
	s_branch .LBB173_39
.LBB173_10:                             ;   in Loop: Header=BB173_4 Depth=1
	s_or_b32 exec_lo, exec_lo, s49
	s_delay_alu instid0(SALU_CYCLE_1)
	s_and_b32 vcc_lo, exec_lo, s48
	s_wait_alu 0xfffe
	s_cbranch_vccnz .LBB173_13
	s_branch .LBB173_39
.LBB173_11:                             ;   in Loop: Header=BB173_4 Depth=1
	v_mov_b32_e32 v2, 0
	v_dual_mov_b32 v3, 0 :: v_dual_mov_b32 v0, 0
	v_mov_b32_e32 v1, 0
.LBB173_12:                             ;   in Loop: Header=BB173_4 Depth=1
	s_mov_b32 s47, exec_lo
	s_or_b32 exec_lo, exec_lo, s49
	s_delay_alu instid0(SALU_CYCLE_1)
	s_and_b32 vcc_lo, exec_lo, s48
	s_wait_alu 0xfffe
	s_cbranch_vccz .LBB173_39
.LBB173_13:                             ;   in Loop: Header=BB173_4 Depth=1
	v_mov_b32_e32 v2, 0
	v_mov_b32_e32 v3, 0
	s_delay_alu instid0(VALU_DEP_2) | instskip(SKIP_1) | instid1(VALU_DEP_2)
	v_mov_b32_e32 v0, v2
	s_and_not1_b32 vcc_lo, exec_lo, s45
	v_mov_b32_e32 v1, v3
	s_wait_alu 0xfffe
	s_cbranch_vccnz .LBB173_16
; %bb.14:                               ;   in Loop: Header=BB173_4 Depth=1
	v_mad_co_u64_u32 v[10:11], null, s24, s34, v[4:5]
	v_mad_co_u64_u32 v[12:13], null, s28, s34, v[6:7]
	s_mov_b32 s48, 0
	v_dual_mov_b32 v0, v11 :: v_dual_mov_b32 v1, v13
	s_delay_alu instid0(VALU_DEP_1) | instskip(SKIP_3) | instid1(VALU_DEP_4)
	v_mad_co_u64_u32 v[18:19], null, s25, s34, v[0:1]
	v_mad_co_u64_u32 v[0:1], null, s29, s34, v[1:2]
	v_mov_b32_e32 v2, 0
	v_mov_b32_e32 v3, 0
	;; [unrolled: 1-line block ×3, first 2 shown]
	s_delay_alu instid0(VALU_DEP_3) | instskip(NEXT) | instid1(VALU_DEP_3)
	v_dual_mov_b32 v13, v0 :: v_dual_mov_b32 v0, v2
	v_mov_b32_e32 v1, v3
.LBB173_15:                             ;   Parent Loop BB173_4 Depth=1
                                        ; =>  This Inner Loop Header: Depth=2
	global_load_b128 v[18:21], v[10:11], off offset:-8
	global_load_b128 v[22:25], v[12:13], off offset:-8
	v_add_co_u32 v10, vcc_lo, 0x1000, v10
	s_wait_alu 0xfffd
	v_add_co_ci_u32_e64 v11, null, 0, v11, vcc_lo
	v_add_co_u32 v12, vcc_lo, v12, s30
	s_wait_alu 0xfffd
	v_add_co_ci_u32_e64 v13, null, s31, v13, vcc_lo
	s_addk_co_i32 s48, 0x100
	s_delay_alu instid0(SALU_CYCLE_1) | instskip(SKIP_3) | instid1(VALU_DEP_2)
	s_cmp_ge_i32 s48, s26
	s_wait_loadcnt 0x0
	v_mul_f64_e32 v[26:27], v[20:21], v[24:25]
	v_mul_f64_e32 v[24:25], v[18:19], v[24:25]
	v_fma_f64 v[18:19], v[18:19], v[22:23], -v[26:27]
	s_delay_alu instid0(VALU_DEP_2) | instskip(NEXT) | instid1(VALU_DEP_2)
	v_fma_f64 v[20:21], v[20:21], v[22:23], v[24:25]
	v_add_f64_e32 v[0:1], v[0:1], v[18:19]
	s_delay_alu instid0(VALU_DEP_2)
	v_add_f64_e32 v[2:3], v[2:3], v[20:21]
	s_cbranch_scc0 .LBB173_15
.LBB173_16:                             ;   in Loop: Header=BB173_4 Depth=1
	s_and_saveexec_b32 s48, s5
	s_cbranch_execz .LBB173_18
; %bb.17:                               ;   in Loop: Header=BB173_4 Depth=1
	s_mul_u64 s[50:51], s[20:21], s[34:35]
	s_mul_u64 s[52:53], s[16:17], s[34:35]
	s_wait_alu 0xfffe
	s_lshl_b64 s[50:51], s[50:51], 4
	s_lshl_b64 s[52:53], s[52:53], 4
	s_wait_alu 0xfffe
	v_add_co_u32 v12, vcc_lo, v16, s50
	s_wait_alu 0xfffd
	v_add_co_ci_u32_e64 v13, null, s51, v17, vcc_lo
	s_add_nc_u64 s[50:51], s[10:11], s[52:53]
	s_lshl_b64 s[52:53], s[26:27], 4
	s_wait_alu 0xfffe
	v_add_co_u32 v10, vcc_lo, s50, v8
	s_wait_alu 0xfffd
	v_add_co_ci_u32_e64 v11, null, s51, v9, vcc_lo
	v_add_co_u32 v18, vcc_lo, v12, s52
	s_wait_alu 0xfffd
	v_add_co_ci_u32_e64 v19, null, s53, v13, vcc_lo
	global_load_b128 v[10:13], v[10:11], off
	global_load_b128 v[18:21], v[18:19], off
	s_wait_loadcnt 0x0
	v_mul_f64_e32 v[22:23], v[20:21], v[12:13]
	v_mul_f64_e32 v[12:13], v[18:19], v[12:13]
	s_delay_alu instid0(VALU_DEP_2) | instskip(NEXT) | instid1(VALU_DEP_2)
	v_fma_f64 v[18:19], v[18:19], v[10:11], -v[22:23]
	v_fma_f64 v[10:11], v[20:21], v[10:11], v[12:13]
	s_delay_alu instid0(VALU_DEP_2) | instskip(NEXT) | instid1(VALU_DEP_2)
	v_add_f64_e32 v[0:1], v[0:1], v[18:19]
	v_add_f64_e32 v[2:3], v[2:3], v[10:11]
.LBB173_18:                             ;   in Loop: Header=BB173_4 Depth=1
	s_or_b32 exec_lo, exec_lo, s48
	ds_store_b128 v15, v[0:3]
	s_wait_dscnt 0x0
	s_barrier_signal -1
	s_barrier_wait -1
	global_inv scope:SCOPE_SE
	s_and_saveexec_b32 s48, s1
	s_cbranch_execz .LBB173_20
; %bb.19:                               ;   in Loop: Header=BB173_4 Depth=1
	ds_load_b128 v[0:3], v15 offset:2048
	ds_load_b128 v[10:13], v15
	s_wait_dscnt 0x0
	v_add_f64_e32 v[0:1], v[0:1], v[10:11]
	v_add_f64_e32 v[2:3], v[2:3], v[12:13]
	ds_store_b128 v15, v[0:3]
.LBB173_20:                             ;   in Loop: Header=BB173_4 Depth=1
	s_or_b32 exec_lo, exec_lo, s48
	s_wait_loadcnt_dscnt 0x0
	s_barrier_signal -1
	s_barrier_wait -1
	global_inv scope:SCOPE_SE
	s_and_saveexec_b32 s48, s2
	s_cbranch_execz .LBB173_22
; %bb.21:                               ;   in Loop: Header=BB173_4 Depth=1
	ds_load_b128 v[0:3], v15 offset:1024
	ds_load_b128 v[10:13], v15
	s_wait_dscnt 0x0
	v_add_f64_e32 v[0:1], v[0:1], v[10:11]
	v_add_f64_e32 v[2:3], v[2:3], v[12:13]
	ds_store_b128 v15, v[0:3]
.LBB173_22:                             ;   in Loop: Header=BB173_4 Depth=1
	s_or_b32 exec_lo, exec_lo, s48
	s_wait_loadcnt_dscnt 0x0
	s_barrier_signal -1
	s_barrier_wait -1
	global_inv scope:SCOPE_SE
	s_and_saveexec_b32 s48, s3
	s_cbranch_execz .LBB173_24
; %bb.23:                               ;   in Loop: Header=BB173_4 Depth=1
	ds_load_b128 v[0:3], v15 offset:512
	ds_load_b128 v[10:13], v15
	s_wait_dscnt 0x0
	v_add_f64_e32 v[0:1], v[0:1], v[10:11]
	v_add_f64_e32 v[2:3], v[2:3], v[12:13]
	ds_store_b128 v15, v[0:3]
.LBB173_24:                             ;   in Loop: Header=BB173_4 Depth=1
	s_or_b32 exec_lo, exec_lo, s48
	s_wait_loadcnt_dscnt 0x0
	s_barrier_signal -1
	s_barrier_wait -1
	global_inv scope:SCOPE_SE
	s_and_saveexec_b32 s48, s4
	s_cbranch_execz .LBB173_26
; %bb.25:                               ;   in Loop: Header=BB173_4 Depth=1
	ds_load_b128 v[0:3], v15 offset:256
	ds_load_b128 v[10:13], v15
	s_wait_dscnt 0x0
	v_add_f64_e32 v[0:1], v[0:1], v[10:11]
	v_add_f64_e32 v[2:3], v[2:3], v[12:13]
	ds_store_b128 v15, v[0:3]
.LBB173_26:                             ;   in Loop: Header=BB173_4 Depth=1
	s_or_b32 exec_lo, exec_lo, s48
	s_wait_loadcnt_dscnt 0x0
	s_barrier_signal -1
	s_barrier_wait -1
	global_inv scope:SCOPE_SE
	s_and_saveexec_b32 s48, s6
	s_cbranch_execz .LBB173_28
; %bb.27:                               ;   in Loop: Header=BB173_4 Depth=1
	ds_load_b128 v[0:3], v15 offset:128
	ds_load_b128 v[10:13], v15
	s_wait_dscnt 0x0
	v_add_f64_e32 v[0:1], v[0:1], v[10:11]
	v_add_f64_e32 v[2:3], v[2:3], v[12:13]
	ds_store_b128 v15, v[0:3]
.LBB173_28:                             ;   in Loop: Header=BB173_4 Depth=1
	s_or_b32 exec_lo, exec_lo, s48
	s_wait_loadcnt_dscnt 0x0
	s_barrier_signal -1
	s_barrier_wait -1
	global_inv scope:SCOPE_SE
	s_and_saveexec_b32 s48, s7
	s_cbranch_execz .LBB173_30
; %bb.29:                               ;   in Loop: Header=BB173_4 Depth=1
	ds_load_b128 v[0:3], v15 offset:64
	ds_load_b128 v[10:13], v15
	s_wait_dscnt 0x0
	v_add_f64_e32 v[0:1], v[0:1], v[10:11]
	v_add_f64_e32 v[2:3], v[2:3], v[12:13]
	ds_store_b128 v15, v[0:3]
.LBB173_30:                             ;   in Loop: Header=BB173_4 Depth=1
	s_or_b32 exec_lo, exec_lo, s48
	s_wait_loadcnt_dscnt 0x0
	s_barrier_signal -1
	s_barrier_wait -1
	global_inv scope:SCOPE_SE
	s_and_saveexec_b32 s48, s8
	s_cbranch_execz .LBB173_32
; %bb.31:                               ;   in Loop: Header=BB173_4 Depth=1
	ds_load_b128 v[0:3], v15
	ds_load_b128 v[10:13], v15 offset:32
	s_wait_dscnt 0x0
	v_add_f64_e32 v[0:1], v[10:11], v[0:1]
	v_add_f64_e32 v[2:3], v[12:13], v[2:3]
	ds_store_b128 v15, v[0:3]
.LBB173_32:                             ;   in Loop: Header=BB173_4 Depth=1
	s_or_b32 exec_lo, exec_lo, s48
	s_wait_loadcnt_dscnt 0x0
	s_barrier_signal -1
	s_barrier_wait -1
	global_inv scope:SCOPE_SE
	s_and_saveexec_b32 s48, s0
	s_cbranch_execz .LBB173_34
; %bb.33:                               ;   in Loop: Header=BB173_4 Depth=1
	ds_load_b128 v[0:3], v14
	ds_load_b128 v[10:13], v14 offset:16
	s_wait_dscnt 0x0
	v_add_f64_e32 v[0:1], v[10:11], v[0:1]
	v_add_f64_e32 v[2:3], v[12:13], v[2:3]
	ds_store_b128 v14, v[0:3]
.LBB173_34:                             ;   in Loop: Header=BB173_4 Depth=1
	s_or_b32 exec_lo, exec_lo, s48
	s_wait_loadcnt_dscnt 0x0
	s_barrier_signal -1
	s_barrier_wait -1
	global_inv scope:SCOPE_SE
                                        ; implicit-def: $vgpr2_vgpr3
	s_and_saveexec_b32 s48, s0
	s_cbranch_execz .LBB173_38
; %bb.35:                               ;   in Loop: Header=BB173_4 Depth=1
	ds_load_b128 v[10:13], v14
	s_and_not1_b32 vcc_lo, exec_lo, s9
	s_wait_dscnt 0x0
	v_mul_f64_e32 v[0:1], s[14:15], v[12:13]
	v_mul_f64_e32 v[2:3], s[12:13], v[12:13]
	s_delay_alu instid0(VALU_DEP_2) | instskip(NEXT) | instid1(VALU_DEP_2)
	v_fma_f64 v[0:1], s[12:13], v[10:11], -v[0:1]
	v_fma_f64 v[2:3], s[14:15], v[10:11], v[2:3]
	s_wait_alu 0xfffe
	s_cbranch_vccnz .LBB173_37
; %bb.36:                               ;   in Loop: Header=BB173_4 Depth=1
	s_add_nc_u64 s[50:51], s[42:43], s[40:41]
	global_load_b128 v[10:13], v14, s[50:51]
	s_wait_loadcnt 0x0
	v_mul_f64_e32 v[18:19], s[36:37], v[12:13]
	v_mul_f64_e32 v[12:13], s[18:19], v[12:13]
	s_delay_alu instid0(VALU_DEP_2) | instskip(NEXT) | instid1(VALU_DEP_2)
	v_fma_f64 v[18:19], s[18:19], v[10:11], -v[18:19]
	v_fma_f64 v[10:11], s[36:37], v[10:11], v[12:13]
	s_delay_alu instid0(VALU_DEP_2) | instskip(NEXT) | instid1(VALU_DEP_2)
	v_add_f64_e32 v[0:1], v[0:1], v[18:19]
	v_add_f64_e32 v[2:3], v[2:3], v[10:11]
.LBB173_37:                             ;   in Loop: Header=BB173_4 Depth=1
	s_or_b32 s47, s47, exec_lo
.LBB173_38:                             ;   in Loop: Header=BB173_4 Depth=1
	s_or_b32 exec_lo, exec_lo, s48
.LBB173_39:                             ;   in Loop: Header=BB173_4 Depth=1
	s_and_saveexec_b32 s48, s47
	s_cbranch_execz .LBB173_2
; %bb.40:                               ;   in Loop: Header=BB173_4 Depth=1
	s_add_nc_u64 s[42:43], s[42:43], s[40:41]
	global_store_b128 v14, v[0:3], s[42:43]
	s_branch .LBB173_2
.LBB173_41:
	s_endpgm
	.section	.rodata,"a",@progbits
	.p2align	6, 0x0
	.amdhsa_kernel _ZL20rocblas_gemvt_kernelILb0ELi256E19rocblas_complex_numIdES1_S1_EviiT2_lPKT1_lilS5_lilS2_lPT3_lili
		.amdhsa_group_segment_fixed_size 4096
		.amdhsa_private_segment_fixed_size 0
		.amdhsa_kernarg_size 156
		.amdhsa_user_sgpr_count 2
		.amdhsa_user_sgpr_dispatch_ptr 0
		.amdhsa_user_sgpr_queue_ptr 0
		.amdhsa_user_sgpr_kernarg_segment_ptr 1
		.amdhsa_user_sgpr_dispatch_id 0
		.amdhsa_user_sgpr_private_segment_size 0
		.amdhsa_wavefront_size32 1
		.amdhsa_uses_dynamic_stack 0
		.amdhsa_enable_private_segment 0
		.amdhsa_system_sgpr_workgroup_id_x 1
		.amdhsa_system_sgpr_workgroup_id_y 0
		.amdhsa_system_sgpr_workgroup_id_z 1
		.amdhsa_system_sgpr_workgroup_info 0
		.amdhsa_system_vgpr_workitem_id 0
		.amdhsa_next_free_vgpr 28
		.amdhsa_next_free_sgpr 55
		.amdhsa_reserve_vcc 1
		.amdhsa_float_round_mode_32 0
		.amdhsa_float_round_mode_16_64 0
		.amdhsa_float_denorm_mode_32 3
		.amdhsa_float_denorm_mode_16_64 3
		.amdhsa_fp16_overflow 0
		.amdhsa_workgroup_processor_mode 1
		.amdhsa_memory_ordered 1
		.amdhsa_forward_progress 1
		.amdhsa_inst_pref_size 16
		.amdhsa_round_robin_scheduling 0
		.amdhsa_exception_fp_ieee_invalid_op 0
		.amdhsa_exception_fp_denorm_src 0
		.amdhsa_exception_fp_ieee_div_zero 0
		.amdhsa_exception_fp_ieee_overflow 0
		.amdhsa_exception_fp_ieee_underflow 0
		.amdhsa_exception_fp_ieee_inexact 0
		.amdhsa_exception_int_div_zero 0
	.end_amdhsa_kernel
	.section	.text._ZL20rocblas_gemvt_kernelILb0ELi256E19rocblas_complex_numIdES1_S1_EviiT2_lPKT1_lilS5_lilS2_lPT3_lili,"axG",@progbits,_ZL20rocblas_gemvt_kernelILb0ELi256E19rocblas_complex_numIdES1_S1_EviiT2_lPKT1_lilS5_lilS2_lPT3_lili,comdat
.Lfunc_end173:
	.size	_ZL20rocblas_gemvt_kernelILb0ELi256E19rocblas_complex_numIdES1_S1_EviiT2_lPKT1_lilS5_lilS2_lPT3_lili, .Lfunc_end173-_ZL20rocblas_gemvt_kernelILb0ELi256E19rocblas_complex_numIdES1_S1_EviiT2_lPKT1_lilS5_lilS2_lPT3_lili
                                        ; -- End function
	.set _ZL20rocblas_gemvt_kernelILb0ELi256E19rocblas_complex_numIdES1_S1_EviiT2_lPKT1_lilS5_lilS2_lPT3_lili.num_vgpr, 28
	.set _ZL20rocblas_gemvt_kernelILb0ELi256E19rocblas_complex_numIdES1_S1_EviiT2_lPKT1_lilS5_lilS2_lPT3_lili.num_agpr, 0
	.set _ZL20rocblas_gemvt_kernelILb0ELi256E19rocblas_complex_numIdES1_S1_EviiT2_lPKT1_lilS5_lilS2_lPT3_lili.numbered_sgpr, 55
	.set _ZL20rocblas_gemvt_kernelILb0ELi256E19rocblas_complex_numIdES1_S1_EviiT2_lPKT1_lilS5_lilS2_lPT3_lili.num_named_barrier, 0
	.set _ZL20rocblas_gemvt_kernelILb0ELi256E19rocblas_complex_numIdES1_S1_EviiT2_lPKT1_lilS5_lilS2_lPT3_lili.private_seg_size, 0
	.set _ZL20rocblas_gemvt_kernelILb0ELi256E19rocblas_complex_numIdES1_S1_EviiT2_lPKT1_lilS5_lilS2_lPT3_lili.uses_vcc, 1
	.set _ZL20rocblas_gemvt_kernelILb0ELi256E19rocblas_complex_numIdES1_S1_EviiT2_lPKT1_lilS5_lilS2_lPT3_lili.uses_flat_scratch, 0
	.set _ZL20rocblas_gemvt_kernelILb0ELi256E19rocblas_complex_numIdES1_S1_EviiT2_lPKT1_lilS5_lilS2_lPT3_lili.has_dyn_sized_stack, 0
	.set _ZL20rocblas_gemvt_kernelILb0ELi256E19rocblas_complex_numIdES1_S1_EviiT2_lPKT1_lilS5_lilS2_lPT3_lili.has_recursion, 0
	.set _ZL20rocblas_gemvt_kernelILb0ELi256E19rocblas_complex_numIdES1_S1_EviiT2_lPKT1_lilS5_lilS2_lPT3_lili.has_indirect_call, 0
	.section	.AMDGPU.csdata,"",@progbits
; Kernel info:
; codeLenInByte = 1956
; TotalNumSgprs: 57
; NumVgprs: 28
; ScratchSize: 0
; MemoryBound: 0
; FloatMode: 240
; IeeeMode: 1
; LDSByteSize: 4096 bytes/workgroup (compile time only)
; SGPRBlocks: 0
; VGPRBlocks: 3
; NumSGPRsForWavesPerEU: 57
; NumVGPRsForWavesPerEU: 28
; Occupancy: 16
; WaveLimiterHint : 1
; COMPUTE_PGM_RSRC2:SCRATCH_EN: 0
; COMPUTE_PGM_RSRC2:USER_SGPR: 2
; COMPUTE_PGM_RSRC2:TRAP_HANDLER: 0
; COMPUTE_PGM_RSRC2:TGID_X_EN: 1
; COMPUTE_PGM_RSRC2:TGID_Y_EN: 0
; COMPUTE_PGM_RSRC2:TGID_Z_EN: 1
; COMPUTE_PGM_RSRC2:TIDIG_COMP_CNT: 0
	.section	.text._ZL32rocblas_gemvt_warp_reduce_kernelILb0ELi1024Ei19rocblas_complex_numIdEPKS1_S1_EviiT3_lPKT2_lT1_lS7_lS8_lS4_lPT4_lS8_li,"axG",@progbits,_ZL32rocblas_gemvt_warp_reduce_kernelILb0ELi1024Ei19rocblas_complex_numIdEPKS1_S1_EviiT3_lPKT2_lT1_lS7_lS8_lS4_lPT4_lS8_li,comdat
	.globl	_ZL32rocblas_gemvt_warp_reduce_kernelILb0ELi1024Ei19rocblas_complex_numIdEPKS1_S1_EviiT3_lPKT2_lT1_lS7_lS8_lS4_lPT4_lS8_li ; -- Begin function _ZL32rocblas_gemvt_warp_reduce_kernelILb0ELi1024Ei19rocblas_complex_numIdEPKS1_S1_EviiT3_lPKT2_lT1_lS7_lS8_lS4_lPT4_lS8_li
	.p2align	8
	.type	_ZL32rocblas_gemvt_warp_reduce_kernelILb0ELi1024Ei19rocblas_complex_numIdEPKS1_S1_EviiT3_lPKT2_lT1_lS7_lS8_lS4_lPT4_lS8_li,@function
_ZL32rocblas_gemvt_warp_reduce_kernelILb0ELi1024Ei19rocblas_complex_numIdEPKS1_S1_EviiT3_lPKT2_lT1_lS7_lS8_lS4_lPT4_lS8_li: ; @_ZL32rocblas_gemvt_warp_reduce_kernelILb0ELi1024Ei19rocblas_complex_numIdEPKS1_S1_EviiT3_lPKT2_lT1_lS7_lS8_lS4_lPT4_lS8_li
; %bb.0:
	s_load_b32 s33, s[0:1], 0x88
	s_lshr_b32 s28, ttmp7, 16
	s_wait_kmcnt 0x0
	s_cmp_ge_u32 s28, s33
	s_cbranch_scc1 .LBB174_36
; %bb.1:
	s_clause 0x7
	s_load_b96 s[4:6], s[0:1], 0x40
	s_load_b96 s[36:38], s[0:1], 0x70
	s_load_b256 s[8:15], s[0:1], 0x8
	s_load_b32 s7, s[0:1], 0x0
	s_load_b32 s39, s[0:1], 0x28
	s_load_b128 s[24:27], s[0:1], 0x30
	s_load_b256 s[16:23], s[0:1], 0x50
	s_load_b64 s[30:31], s[0:1], 0x80
	v_cmp_eq_u32_e64 s0, 0, v0
	v_mbcnt_lo_u32_b32 v30, -1, 0
	s_mov_b32 s29, 0
	s_wait_kmcnt 0x0
	s_lshl_b64 s[2:3], s[4:5], 4
	s_lshl_b64 s[4:5], s[36:37], 4
	;; [unrolled: 1-line block ×3, first 2 shown]
	v_cmp_gt_i32_e32 vcc_lo, s7, v0
	s_ashr_i32 s1, s7, 31
	v_mov_b32_e32 v1, 0
	s_lshr_b32 s1, s1, 22
	s_add_nc_u64 s[14:15], s[26:27], s[2:3]
	v_cndmask_b32_e32 v2, 0, v0, vcc_lo
	s_add_co_i32 s1, s7, s1
	s_mul_i32 s36, s38, ttmp9
	s_and_b32 s26, s1, 0xfffffc00
	s_mul_i32 s38, s39, ttmp9
	v_lshlrev_b32_e32 v4, 4, v2
	v_or_b32_e32 v3, s26, v0
	s_add_nc_u64 s[2:3], s[12:13], s[34:35]
	s_ashr_i32 s39, s38, 31
	s_add_nc_u64 s[22:23], s[22:23], s[4:5]
	v_add_co_u32 v5, s1, s2, v4
	v_mul_lo_u32 v2, s6, v3
	s_lshl_b64 s[38:39], s[38:39], 4
	v_add_co_ci_u32_e64 v6, null, s3, 0, s1
	s_add_nc_u64 s[34:35], s[34:35], s[38:39]
	v_add_co_u32 v25, vcc_lo, v5, s38
	v_and_b32_e32 v5, 31, v0
	s_add_nc_u64 s[12:13], s[12:13], s[34:35]
	v_cmp_gt_i32_e64 s2, s7, v3
	v_add_co_u32 v4, s5, s12, v4
	v_ashrrev_i32_e32 v3, 31, v2
	s_wait_alu 0xfffd
	v_add_co_ci_u32_e64 v26, null, s39, v6, vcc_lo
	v_lshrrev_b32_e32 v6, 1, v0
	v_lshlrev_b32_e32 v27, 4, v5
	v_cmp_eq_u32_e64 s4, 0, v5
	v_add_co_ci_u32_e64 v5, null, s13, 0, s5
	v_mul_lo_u32 v29, v0, s6
	v_add_co_u32 v21, vcc_lo, v4, 8
	v_lshlrev_b64_e32 v[23:24], 4, v[2:3]
	v_cmp_gt_i32_e64 s1, s26, v0
	v_cmp_gt_u32_e64 s3, 32, v0
	v_and_b32_e32 v28, 0x1f0, v6
	s_wait_alu 0xfffd
	v_add_co_ci_u32_e64 v22, null, 0, v5, vcc_lo
	s_ashr_i32 s37, s36, 31
	s_ashr_i32 s27, s26, 31
	s_lshl_b32 s40, s6, 10
	s_lshl_b64 s[6:7], s[24:25], 4
	s_lshl_b64 s[12:13], s[36:37], 4
	s_wait_alu 0xfffe
	s_lshl_b64 s[34:35], s[26:27], 4
	s_branch .LBB174_4
.LBB174_2:                              ;   in Loop: Header=BB174_4 Depth=1
	s_wait_alu 0xfffe
	s_or_b32 exec_lo, exec_lo, s5
.LBB174_3:                              ;   in Loop: Header=BB174_4 Depth=1
	s_add_co_i32 s28, s28, 0x10000
	s_wait_alu 0xfffe
	s_cmp_lt_u32 s28, s33
	s_cbranch_scc0 .LBB174_36
.LBB174_4:                              ; =>This Loop Header: Depth=1
                                        ;     Child Loop BB174_25 Depth 2
	s_mul_u64 s[36:37], s[10:11], s[28:29]
	s_delay_alu instid0(SALU_CYCLE_1) | instskip(NEXT) | instid1(SALU_CYCLE_1)
	s_lshl_b64 s[36:37], s[36:37], 4
	s_add_nc_u64 s[36:37], s[8:9], s[36:37]
	global_load_b128 v[9:12], v1, s[36:37]
	s_mul_u64 s[36:37], s[20:21], s[28:29]
	s_delay_alu instid0(SALU_CYCLE_1) | instskip(NEXT) | instid1(SALU_CYCLE_1)
	s_lshl_b64 s[36:37], s[36:37], 4
	s_add_nc_u64 s[36:37], s[18:19], s[36:37]
	s_wait_loadcnt 0x1
	global_load_b128 v[5:8], v1, s[36:37]
	s_wait_loadcnt 0x1
	v_cmp_neq_f64_e32 vcc_lo, 0, v[9:10]
	v_cmp_neq_f64_e64 s5, 0, v[11:12]
	s_or_b32 s27, vcc_lo, s5
	s_mov_b32 s5, -1
	s_wait_alu 0xfffe
	s_and_b32 vcc_lo, exec_lo, s27
	s_wait_alu 0xfffe
	s_cbranch_vccz .LBB174_6
; %bb.5:                                ;   in Loop: Header=BB174_4 Depth=1
	s_and_not1_b32 vcc_lo, exec_lo, s5
	s_wait_alu 0xfffe
	s_cbranch_vccnz .LBB174_3
	s_branch .LBB174_7
.LBB174_6:                              ;   in Loop: Header=BB174_4 Depth=1
	s_wait_loadcnt 0x0
	v_cmp_neq_f64_e32 vcc_lo, 1.0, v[5:6]
	v_cmp_neq_f64_e64 s5, 0, v[7:8]
	s_or_b32 s5, vcc_lo, s5
	s_wait_alu 0xfffe
	s_and_not1_b32 vcc_lo, exec_lo, s5
	s_wait_alu 0xfffe
	s_cbranch_vccnz .LBB174_3
.LBB174_7:                              ;   in Loop: Header=BB174_4 Depth=1
	s_mul_u64 s[36:37], s[30:31], s[28:29]
	s_xor_b32 s5, s27, -1
	s_lshl_b64 s[36:37], s[36:37], 4
	s_wait_alu 0xfffe
	s_and_not1_b32 vcc_lo, exec_lo, s5
	s_add_nc_u64 s[36:37], s[22:23], s[36:37]
	s_wait_alu 0xfffe
	s_cbranch_vccnz .LBB174_11
; %bb.8:                                ;   in Loop: Header=BB174_4 Depth=1
	s_mov_b32 s38, 0
	s_mov_b32 s27, 0
                                        ; implicit-def: $vgpr15_vgpr16
	s_and_saveexec_b32 s39, s0
	s_cbranch_execz .LBB174_12
; %bb.9:                                ;   in Loop: Header=BB174_4 Depth=1
	s_wait_loadcnt 0x0
	v_cmp_neq_f64_e32 vcc_lo, 0, v[5:6]
	v_cmp_neq_f64_e64 s5, 0, v[7:8]
	s_or_b32 s5, vcc_lo, s5
	s_wait_alu 0xfffe
	s_and_not1_b32 vcc_lo, exec_lo, s5
	s_wait_alu 0xfffe
	s_cbranch_vccnz .LBB174_13
; %bb.10:                               ;   in Loop: Header=BB174_4 Depth=1
	s_add_nc_u64 s[42:43], s[36:37], s[12:13]
	s_wait_dscnt 0x0
	global_load_b128 v[15:18], v1, s[42:43]
	s_wait_loadcnt 0x0
	v_mul_f64_e32 v[2:3], v[7:8], v[17:18]
	v_mul_f64_e32 v[17:18], v[5:6], v[17:18]
	s_delay_alu instid0(VALU_DEP_2) | instskip(NEXT) | instid1(VALU_DEP_2)
	v_fma_f64 v[13:14], v[5:6], v[15:16], -v[2:3]
	v_fma_f64 v[15:16], v[7:8], v[15:16], v[17:18]
	s_branch .LBB174_14
.LBB174_11:                             ;   in Loop: Header=BB174_4 Depth=1
	s_mov_b32 s27, 0
                                        ; implicit-def: $vgpr15_vgpr16
	s_cbranch_execnz .LBB174_15
	s_branch .LBB174_34
.LBB174_12:                             ;   in Loop: Header=BB174_4 Depth=1
	s_wait_alu 0xfffe
	s_or_b32 exec_lo, exec_lo, s39
	s_delay_alu instid0(SALU_CYCLE_1)
	s_and_b32 vcc_lo, exec_lo, s38
	s_wait_alu 0xfffe
	s_cbranch_vccnz .LBB174_15
	s_branch .LBB174_34
.LBB174_13:                             ;   in Loop: Header=BB174_4 Depth=1
	v_mov_b32_e32 v15, 0
	v_dual_mov_b32 v16, 0 :: v_dual_mov_b32 v13, 0
	v_mov_b32_e32 v14, 0
.LBB174_14:                             ;   in Loop: Header=BB174_4 Depth=1
	s_mov_b32 s27, exec_lo
	s_or_b32 exec_lo, exec_lo, s39
	s_delay_alu instid0(SALU_CYCLE_1)
	s_and_b32 vcc_lo, exec_lo, s38
	s_wait_alu 0xfffe
	s_cbranch_vccz .LBB174_34
.LBB174_15:                             ;   in Loop: Header=BB174_4 Depth=1
	v_mov_b32_e32 v13, 0
	s_mul_u64 s[38:39], s[16:17], s[28:29]
	v_dual_mov_b32 v14, 0 :: v_dual_mov_b32 v15, 0
	v_mov_b32_e32 v16, 0
	s_wait_alu 0xfffe
	s_lshl_b64 s[38:39], s[38:39], 4
	s_wait_alu 0xfffe
	s_add_nc_u64 s[38:39], s[14:15], s[38:39]
	s_and_saveexec_b32 s41, s1
	s_cbranch_execnz .LBB174_24
; %bb.16:                               ;   in Loop: Header=BB174_4 Depth=1
	s_wait_alu 0xfffe
	s_or_b32 exec_lo, exec_lo, s41
	s_and_saveexec_b32 s5, s2
	s_cbranch_execnz .LBB174_27
.LBB174_17:                             ;   in Loop: Header=BB174_4 Depth=1
	s_wait_alu 0xfffe
	s_or_b32 exec_lo, exec_lo, s5
	s_and_saveexec_b32 s5, s3
.LBB174_18:                             ;   in Loop: Header=BB174_4 Depth=1
	v_dual_mov_b32 v2, v1 :: v_dual_mov_b32 v3, v1
	v_mov_b32_e32 v4, v1
	ds_store_b128 v27, v[1:4]
.LBB174_19:                             ;   in Loop: Header=BB174_4 Depth=1
	s_wait_alu 0xfffe
	s_or_b32 exec_lo, exec_lo, s5
	v_lshl_or_b32 v4, v30, 2, 64
	v_cmp_gt_u32_e32 vcc_lo, 24, v30
	s_wait_loadcnt_dscnt 0x0
	s_barrier_signal -1
	s_barrier_wait -1
	ds_bpermute_b32 v2, v4, v15
	ds_bpermute_b32 v3, v4, v16
	;; [unrolled: 1-line block ×4, first 2 shown]
	s_wait_dscnt 0x0
	global_inv scope:SCOPE_SE
	v_add_f64_e32 v[2:3], v[15:16], v[2:3]
	s_wait_alu 0xfffd
	v_cndmask_b32_e64 v15, 0, 8, vcc_lo
	v_add_f64_e32 v[13:14], v[13:14], v[17:18]
	v_cmp_gt_u32_e32 vcc_lo, 28, v30
	s_delay_alu instid0(VALU_DEP_3)
	v_add_lshl_u32 v31, v15, v30, 2
	ds_bpermute_b32 v15, v31, v2
	ds_bpermute_b32 v16, v31, v3
	;; [unrolled: 1-line block ×4, first 2 shown]
	s_wait_dscnt 0x2
	v_add_f64_e32 v[2:3], v[2:3], v[15:16]
	s_wait_alu 0xfffd
	v_cndmask_b32_e64 v15, 0, 4, vcc_lo
	s_wait_dscnt 0x0
	v_add_f64_e32 v[13:14], v[13:14], v[17:18]
	v_cmp_gt_u32_e32 vcc_lo, 30, v30
	s_delay_alu instid0(VALU_DEP_3)
	v_add_lshl_u32 v32, v15, v30, 2
	ds_bpermute_b32 v15, v32, v2
	ds_bpermute_b32 v16, v32, v3
	;; [unrolled: 1-line block ×4, first 2 shown]
	s_wait_dscnt 0x2
	v_add_f64_e32 v[2:3], v[2:3], v[15:16]
	s_wait_alu 0xfffd
	v_cndmask_b32_e64 v15, 0, 2, vcc_lo
	s_wait_dscnt 0x0
	v_add_f64_e32 v[13:14], v[13:14], v[17:18]
	v_cmp_ne_u32_e32 vcc_lo, 31, v30
	s_delay_alu instid0(VALU_DEP_3)
	v_add_lshl_u32 v33, v15, v30, 2
	ds_bpermute_b32 v15, v33, v2
	ds_bpermute_b32 v16, v33, v3
	;; [unrolled: 1-line block ×4, first 2 shown]
	s_wait_dscnt 0x2
	v_add_f64_e32 v[2:3], v[2:3], v[15:16]
	s_wait_alu 0xfffd
	v_add_co_ci_u32_e64 v15, null, 0, v30, vcc_lo
	s_wait_dscnt 0x0
	v_add_f64_e32 v[13:14], v[13:14], v[17:18]
	s_delay_alu instid0(VALU_DEP_2)
	v_lshlrev_b32_e32 v34, 2, v15
	ds_bpermute_b32 v15, v34, v2
	ds_bpermute_b32 v16, v34, v3
	;; [unrolled: 1-line block ×4, first 2 shown]
	s_and_saveexec_b32 s5, s4
	s_cbranch_execz .LBB174_21
; %bb.20:                               ;   in Loop: Header=BB174_4 Depth=1
	s_wait_dscnt 0x0
	v_add_f64_e32 v[17:18], v[13:14], v[17:18]
	v_add_f64_e32 v[15:16], v[2:3], v[15:16]
	ds_store_b128 v28, v[15:18]
.LBB174_21:                             ;   in Loop: Header=BB174_4 Depth=1
	s_wait_alu 0xfffe
	s_or_b32 exec_lo, exec_lo, s5
	v_mov_b32_e32 v19, 0
	s_wait_dscnt 0x0
	v_dual_mov_b32 v20, 0 :: v_dual_mov_b32 v17, 0
	v_mov_b32_e32 v18, 0
	s_wait_loadcnt 0x0
	s_barrier_signal -1
	s_barrier_wait -1
	global_inv scope:SCOPE_SE
	s_and_saveexec_b32 s5, s3
	s_cbranch_execnz .LBB174_28
; %bb.22:                               ;   in Loop: Header=BB174_4 Depth=1
	s_wait_alu 0xfffe
	s_or_b32 exec_lo, exec_lo, s5
	s_and_saveexec_b32 s5, s3
	s_cbranch_execnz .LBB174_29
.LBB174_23:                             ;   in Loop: Header=BB174_4 Depth=1
	s_wait_alu 0xfffe
	s_or_b32 exec_lo, exec_lo, s5
                                        ; implicit-def: $vgpr15_vgpr16
	s_and_saveexec_b32 s38, s0
	s_cbranch_execnz .LBB174_30
	s_branch .LBB174_33
.LBB174_24:                             ;   in Loop: Header=BB174_4 Depth=1
	v_mad_co_u64_u32 v[2:3], null, s6, s28, v[21:22]
	v_mov_b32_e32 v13, 0
	v_dual_mov_b32 v14, 0 :: v_dual_mov_b32 v15, 0
	s_wait_dscnt 0x0
	v_dual_mov_b32 v16, 0 :: v_dual_mov_b32 v17, v29
	s_mov_b32 s42, 0
	s_delay_alu instid0(VALU_DEP_4)
	v_mad_co_u64_u32 v[3:4], null, s7, s28, v[3:4]
	v_mov_b32_e32 v4, v0
.LBB174_25:                             ;   Parent Loop BB174_4 Depth=1
                                        ; =>  This Inner Loop Header: Depth=2
	s_delay_alu instid0(VALU_DEP_3) | instskip(NEXT) | instid1(VALU_DEP_2)
	v_ashrrev_i32_e32 v18, 31, v17
	v_add_nc_u32_e32 v4, 0x400, v4
	s_delay_alu instid0(VALU_DEP_2) | instskip(NEXT) | instid1(VALU_DEP_2)
	v_lshlrev_b64_e32 v[18:19], 4, v[17:18]
	v_cmp_le_i32_e64 s5, s26, v4
	v_add_nc_u32_e32 v17, s40, v17
	s_wait_alu 0xfffe
	s_or_b32 s42, s5, s42
	v_add_co_u32 v18, vcc_lo, s38, v18
	s_wait_alu 0xfffd
	v_add_co_ci_u32_e64 v19, null, s39, v19, vcc_lo
	global_load_b128 v[31:34], v[2:3], off offset:-8
	global_load_b128 v[35:38], v[18:19], off
	v_add_co_u32 v2, vcc_lo, 0x4000, v2
	s_wait_alu 0xfffd
	v_add_co_ci_u32_e64 v3, null, 0, v3, vcc_lo
	s_wait_loadcnt 0x0
	v_mul_f64_e32 v[18:19], v[33:34], v[37:38]
	v_mul_f64_e32 v[37:38], v[31:32], v[37:38]
	s_delay_alu instid0(VALU_DEP_2) | instskip(NEXT) | instid1(VALU_DEP_2)
	v_fma_f64 v[18:19], v[31:32], v[35:36], -v[18:19]
	v_fma_f64 v[31:32], v[33:34], v[35:36], v[37:38]
	s_delay_alu instid0(VALU_DEP_2) | instskip(NEXT) | instid1(VALU_DEP_2)
	v_add_f64_e32 v[15:16], v[15:16], v[18:19]
	v_add_f64_e32 v[13:14], v[13:14], v[31:32]
	s_wait_alu 0xfffe
	s_and_not1_b32 exec_lo, exec_lo, s42
	s_cbranch_execnz .LBB174_25
; %bb.26:                               ;   in Loop: Header=BB174_4 Depth=1
	s_or_b32 exec_lo, exec_lo, s42
	s_delay_alu instid0(SALU_CYCLE_1)
	s_or_b32 exec_lo, exec_lo, s41
	s_and_saveexec_b32 s5, s2
	s_cbranch_execz .LBB174_17
.LBB174_27:                             ;   in Loop: Header=BB174_4 Depth=1
	s_mul_u64 s[42:43], s[24:25], s[28:29]
	s_wait_alu 0xfffe
	s_lshl_b64 s[42:43], s[42:43], 4
	s_wait_alu 0xfffe
	v_add_co_u32 v4, vcc_lo, v25, s42
	s_wait_dscnt 0x0
	s_wait_alu 0xfffd
	v_add_co_ci_u32_e64 v17, null, s43, v26, vcc_lo
	v_add_co_u32 v2, vcc_lo, s38, v23
	s_wait_alu 0xfffd
	v_add_co_ci_u32_e64 v3, null, s39, v24, vcc_lo
	v_add_co_u32 v31, vcc_lo, v4, s34
	s_wait_alu 0xfffd
	v_add_co_ci_u32_e64 v32, null, s35, v17, vcc_lo
	global_load_b128 v[17:20], v[2:3], off
	global_load_b128 v[31:34], v[31:32], off
	s_wait_loadcnt 0x0
	v_mul_f64_e32 v[2:3], v[33:34], v[19:20]
	v_mul_f64_e32 v[19:20], v[31:32], v[19:20]
	s_delay_alu instid0(VALU_DEP_2) | instskip(NEXT) | instid1(VALU_DEP_2)
	v_fma_f64 v[2:3], v[31:32], v[17:18], -v[2:3]
	v_fma_f64 v[17:18], v[33:34], v[17:18], v[19:20]
	s_delay_alu instid0(VALU_DEP_2) | instskip(NEXT) | instid1(VALU_DEP_2)
	v_add_f64_e32 v[15:16], v[15:16], v[2:3]
	v_add_f64_e32 v[13:14], v[13:14], v[17:18]
	s_or_b32 exec_lo, exec_lo, s5
	s_and_saveexec_b32 s5, s3
	s_cbranch_execnz .LBB174_18
	s_branch .LBB174_19
.LBB174_28:                             ;   in Loop: Header=BB174_4 Depth=1
	ds_load_b128 v[17:20], v27
	s_wait_alu 0xfffe
	s_or_b32 exec_lo, exec_lo, s5
	s_and_saveexec_b32 s5, s3
	s_cbranch_execz .LBB174_23
.LBB174_29:                             ;   in Loop: Header=BB174_4 Depth=1
	s_wait_dscnt 0x0
	ds_bpermute_b32 v2, v4, v17
	ds_bpermute_b32 v3, v4, v18
	ds_bpermute_b32 v13, v4, v19
	ds_bpermute_b32 v14, v4, v20
	s_wait_dscnt 0x2
	v_add_f64_e32 v[2:3], v[17:18], v[2:3]
	s_wait_dscnt 0x0
	v_add_f64_e32 v[13:14], v[19:20], v[13:14]
	ds_bpermute_b32 v15, v31, v2
	ds_bpermute_b32 v16, v31, v3
	ds_bpermute_b32 v17, v31, v13
	ds_bpermute_b32 v18, v31, v14
	s_wait_dscnt 0x2
	v_add_f64_e32 v[2:3], v[2:3], v[15:16]
	s_wait_dscnt 0x0
	v_add_f64_e32 v[13:14], v[13:14], v[17:18]
	;; [unrolled: 8-line block ×5, first 2 shown]
	s_wait_alu 0xfffe
	s_or_b32 exec_lo, exec_lo, s5
                                        ; implicit-def: $vgpr15_vgpr16
	s_and_saveexec_b32 s38, s0
	s_cbranch_execz .LBB174_33
.LBB174_30:                             ;   in Loop: Header=BB174_4 Depth=1
	s_wait_dscnt 0x0
	s_delay_alu instid0(VALU_DEP_1) | instskip(SKIP_3) | instid1(VALU_DEP_4)
	v_mul_f64_e32 v[2:3], v[11:12], v[19:20]
	v_mul_f64_e32 v[15:16], v[9:10], v[19:20]
	v_cmp_neq_f64_e32 vcc_lo, 0, v[5:6]
	v_cmp_neq_f64_e64 s5, 0, v[7:8]
	v_fma_f64 v[13:14], v[9:10], v[17:18], -v[2:3]
	s_delay_alu instid0(VALU_DEP_4)
	v_fma_f64 v[15:16], v[11:12], v[17:18], v[15:16]
	s_or_b32 s5, vcc_lo, s5
	s_wait_alu 0xfffe
	s_and_not1_b32 vcc_lo, exec_lo, s5
	s_wait_alu 0xfffe
	s_cbranch_vccnz .LBB174_32
; %bb.31:                               ;   in Loop: Header=BB174_4 Depth=1
	s_add_nc_u64 s[42:43], s[36:37], s[12:13]
	global_load_b128 v[9:12], v1, s[42:43]
	s_wait_loadcnt 0x0
	v_mul_f64_e32 v[2:3], v[7:8], v[11:12]
	v_mul_f64_e32 v[11:12], v[5:6], v[11:12]
	s_delay_alu instid0(VALU_DEP_2) | instskip(NEXT) | instid1(VALU_DEP_2)
	v_fma_f64 v[2:3], v[5:6], v[9:10], -v[2:3]
	v_fma_f64 v[4:5], v[7:8], v[9:10], v[11:12]
	s_delay_alu instid0(VALU_DEP_2) | instskip(NEXT) | instid1(VALU_DEP_2)
	v_add_f64_e32 v[13:14], v[13:14], v[2:3]
	v_add_f64_e32 v[15:16], v[15:16], v[4:5]
.LBB174_32:                             ;   in Loop: Header=BB174_4 Depth=1
	s_or_b32 s27, s27, exec_lo
.LBB174_33:                             ;   in Loop: Header=BB174_4 Depth=1
	s_wait_alu 0xfffe
	s_or_b32 exec_lo, exec_lo, s38
.LBB174_34:                             ;   in Loop: Header=BB174_4 Depth=1
	s_wait_alu 0xfffe
	s_and_saveexec_b32 s5, s27
	s_cbranch_execz .LBB174_2
; %bb.35:                               ;   in Loop: Header=BB174_4 Depth=1
	s_add_nc_u64 s[36:37], s[36:37], s[12:13]
	global_store_b128 v1, v[13:16], s[36:37]
	s_branch .LBB174_2
.LBB174_36:
	s_endpgm
	.section	.rodata,"a",@progbits
	.p2align	6, 0x0
	.amdhsa_kernel _ZL32rocblas_gemvt_warp_reduce_kernelILb0ELi1024Ei19rocblas_complex_numIdEPKS1_S1_EviiT3_lPKT2_lT1_lS7_lS8_lS4_lPT4_lS8_li
		.amdhsa_group_segment_fixed_size 512
		.amdhsa_private_segment_fixed_size 0
		.amdhsa_kernarg_size 140
		.amdhsa_user_sgpr_count 2
		.amdhsa_user_sgpr_dispatch_ptr 0
		.amdhsa_user_sgpr_queue_ptr 0
		.amdhsa_user_sgpr_kernarg_segment_ptr 1
		.amdhsa_user_sgpr_dispatch_id 0
		.amdhsa_user_sgpr_private_segment_size 0
		.amdhsa_wavefront_size32 1
		.amdhsa_uses_dynamic_stack 0
		.amdhsa_enable_private_segment 0
		.amdhsa_system_sgpr_workgroup_id_x 1
		.amdhsa_system_sgpr_workgroup_id_y 0
		.amdhsa_system_sgpr_workgroup_id_z 1
		.amdhsa_system_sgpr_workgroup_info 0
		.amdhsa_system_vgpr_workitem_id 0
		.amdhsa_next_free_vgpr 39
		.amdhsa_next_free_sgpr 44
		.amdhsa_reserve_vcc 1
		.amdhsa_float_round_mode_32 0
		.amdhsa_float_round_mode_16_64 0
		.amdhsa_float_denorm_mode_32 3
		.amdhsa_float_denorm_mode_16_64 3
		.amdhsa_fp16_overflow 0
		.amdhsa_workgroup_processor_mode 1
		.amdhsa_memory_ordered 1
		.amdhsa_forward_progress 1
		.amdhsa_inst_pref_size 18
		.amdhsa_round_robin_scheduling 0
		.amdhsa_exception_fp_ieee_invalid_op 0
		.amdhsa_exception_fp_denorm_src 0
		.amdhsa_exception_fp_ieee_div_zero 0
		.amdhsa_exception_fp_ieee_overflow 0
		.amdhsa_exception_fp_ieee_underflow 0
		.amdhsa_exception_fp_ieee_inexact 0
		.amdhsa_exception_int_div_zero 0
	.end_amdhsa_kernel
	.section	.text._ZL32rocblas_gemvt_warp_reduce_kernelILb0ELi1024Ei19rocblas_complex_numIdEPKS1_S1_EviiT3_lPKT2_lT1_lS7_lS8_lS4_lPT4_lS8_li,"axG",@progbits,_ZL32rocblas_gemvt_warp_reduce_kernelILb0ELi1024Ei19rocblas_complex_numIdEPKS1_S1_EviiT3_lPKT2_lT1_lS7_lS8_lS4_lPT4_lS8_li,comdat
.Lfunc_end174:
	.size	_ZL32rocblas_gemvt_warp_reduce_kernelILb0ELi1024Ei19rocblas_complex_numIdEPKS1_S1_EviiT3_lPKT2_lT1_lS7_lS8_lS4_lPT4_lS8_li, .Lfunc_end174-_ZL32rocblas_gemvt_warp_reduce_kernelILb0ELi1024Ei19rocblas_complex_numIdEPKS1_S1_EviiT3_lPKT2_lT1_lS7_lS8_lS4_lPT4_lS8_li
                                        ; -- End function
	.set _ZL32rocblas_gemvt_warp_reduce_kernelILb0ELi1024Ei19rocblas_complex_numIdEPKS1_S1_EviiT3_lPKT2_lT1_lS7_lS8_lS4_lPT4_lS8_li.num_vgpr, 39
	.set _ZL32rocblas_gemvt_warp_reduce_kernelILb0ELi1024Ei19rocblas_complex_numIdEPKS1_S1_EviiT3_lPKT2_lT1_lS7_lS8_lS4_lPT4_lS8_li.num_agpr, 0
	.set _ZL32rocblas_gemvt_warp_reduce_kernelILb0ELi1024Ei19rocblas_complex_numIdEPKS1_S1_EviiT3_lPKT2_lT1_lS7_lS8_lS4_lPT4_lS8_li.numbered_sgpr, 44
	.set _ZL32rocblas_gemvt_warp_reduce_kernelILb0ELi1024Ei19rocblas_complex_numIdEPKS1_S1_EviiT3_lPKT2_lT1_lS7_lS8_lS4_lPT4_lS8_li.num_named_barrier, 0
	.set _ZL32rocblas_gemvt_warp_reduce_kernelILb0ELi1024Ei19rocblas_complex_numIdEPKS1_S1_EviiT3_lPKT2_lT1_lS7_lS8_lS4_lPT4_lS8_li.private_seg_size, 0
	.set _ZL32rocblas_gemvt_warp_reduce_kernelILb0ELi1024Ei19rocblas_complex_numIdEPKS1_S1_EviiT3_lPKT2_lT1_lS7_lS8_lS4_lPT4_lS8_li.uses_vcc, 1
	.set _ZL32rocblas_gemvt_warp_reduce_kernelILb0ELi1024Ei19rocblas_complex_numIdEPKS1_S1_EviiT3_lPKT2_lT1_lS7_lS8_lS4_lPT4_lS8_li.uses_flat_scratch, 0
	.set _ZL32rocblas_gemvt_warp_reduce_kernelILb0ELi1024Ei19rocblas_complex_numIdEPKS1_S1_EviiT3_lPKT2_lT1_lS7_lS8_lS4_lPT4_lS8_li.has_dyn_sized_stack, 0
	.set _ZL32rocblas_gemvt_warp_reduce_kernelILb0ELi1024Ei19rocblas_complex_numIdEPKS1_S1_EviiT3_lPKT2_lT1_lS7_lS8_lS4_lPT4_lS8_li.has_recursion, 0
	.set _ZL32rocblas_gemvt_warp_reduce_kernelILb0ELi1024Ei19rocblas_complex_numIdEPKS1_S1_EviiT3_lPKT2_lT1_lS7_lS8_lS4_lPT4_lS8_li.has_indirect_call, 0
	.section	.AMDGPU.csdata,"",@progbits
; Kernel info:
; codeLenInByte = 2232
; TotalNumSgprs: 46
; NumVgprs: 39
; ScratchSize: 0
; MemoryBound: 0
; FloatMode: 240
; IeeeMode: 1
; LDSByteSize: 512 bytes/workgroup (compile time only)
; SGPRBlocks: 0
; VGPRBlocks: 4
; NumSGPRsForWavesPerEU: 46
; NumVGPRsForWavesPerEU: 39
; Occupancy: 16
; WaveLimiterHint : 0
; COMPUTE_PGM_RSRC2:SCRATCH_EN: 0
; COMPUTE_PGM_RSRC2:USER_SGPR: 2
; COMPUTE_PGM_RSRC2:TRAP_HANDLER: 0
; COMPUTE_PGM_RSRC2:TGID_X_EN: 1
; COMPUTE_PGM_RSRC2:TGID_Y_EN: 0
; COMPUTE_PGM_RSRC2:TGID_Z_EN: 1
; COMPUTE_PGM_RSRC2:TIDIG_COMP_CNT: 0
	.section	.text._ZL32rocblas_gemvt_warp_reduce_kernelILb0ELi1024El19rocblas_complex_numIdEPKS1_S1_EviiT3_lPKT2_lT1_lS7_lS8_lS4_lPT4_lS8_li,"axG",@progbits,_ZL32rocblas_gemvt_warp_reduce_kernelILb0ELi1024El19rocblas_complex_numIdEPKS1_S1_EviiT3_lPKT2_lT1_lS7_lS8_lS4_lPT4_lS8_li,comdat
	.globl	_ZL32rocblas_gemvt_warp_reduce_kernelILb0ELi1024El19rocblas_complex_numIdEPKS1_S1_EviiT3_lPKT2_lT1_lS7_lS8_lS4_lPT4_lS8_li ; -- Begin function _ZL32rocblas_gemvt_warp_reduce_kernelILb0ELi1024El19rocblas_complex_numIdEPKS1_S1_EviiT3_lPKT2_lT1_lS7_lS8_lS4_lPT4_lS8_li
	.p2align	8
	.type	_ZL32rocblas_gemvt_warp_reduce_kernelILb0ELi1024El19rocblas_complex_numIdEPKS1_S1_EviiT3_lPKT2_lT1_lS7_lS8_lS4_lPT4_lS8_li,@function
_ZL32rocblas_gemvt_warp_reduce_kernelILb0ELi1024El19rocblas_complex_numIdEPKS1_S1_EviiT3_lPKT2_lT1_lS7_lS8_lS4_lPT4_lS8_li: ; @_ZL32rocblas_gemvt_warp_reduce_kernelILb0ELi1024El19rocblas_complex_numIdEPKS1_S1_EviiT3_lPKT2_lT1_lS7_lS8_lS4_lPT4_lS8_li
; %bb.0:
	s_load_b32 s33, s[0:1], 0x88
	s_lshr_b32 s6, ttmp7, 16
	s_wait_kmcnt 0x0
	s_cmp_ge_u32 s6, s33
	s_cbranch_scc1 .LBB175_36
; %bb.1:
	s_clause 0x2
	s_load_b512 s[8:23], s[0:1], 0x8
	s_load_b512 s[36:51], s[0:1], 0x48
	s_load_b32 s28, s[0:1], 0x0
	s_mov_b32 s2, ttmp9
	s_ashr_i32 s3, ttmp9, 31
	v_cmp_eq_u32_e64 s0, 0, v0
	v_mbcnt_lo_u32_b32 v31, -1, 0
	s_mov_b32 s7, 0
	s_wait_kmcnt 0x0
	s_lshl_b64 s[4:5], s[22:23], 4
	v_mad_co_u64_u32 v[2:3], null, s36, v0, 0
	v_cmp_gt_i32_e32 vcc_lo, s28, v0
	v_mov_b32_e32 v1, 0
	s_ashr_i32 s1, s28, 31
	s_lshl_b64 s[24:25], s[14:15], 4
	s_lshr_b32 s1, s1, 22
	v_cndmask_b32_e32 v4, 0, v0, vcc_lo
	s_add_co_i32 s1, s28, s1
	s_add_nc_u64 s[14:15], s[20:21], s[4:5]
	s_add_nc_u64 s[4:5], s[12:13], s[24:25]
	s_and_b32 s20, s1, 0xfffffc00
	v_lshlrev_b32_e32 v6, 4, v4
	v_mad_co_u64_u32 v[3:4], null, s37, v0, v[3:4]
	v_or_b32_e32 v7, s20, v0
	s_lshl_b64 s[22:23], s[46:47], 4
	s_delay_alu instid0(VALU_DEP_3)
	v_add_co_u32 v8, s1, s4, v6
	s_mul_u64 s[26:27], s[48:49], s[2:3]
	s_mul_u64 s[2:3], s[16:17], s[2:3]
	v_lshlrev_b64_e32 v[2:3], 4, v[2:3]
	v_add_co_ci_u32_e64 v9, null, s5, 0, s1
	s_add_nc_u64 s[16:17], s[44:45], s[22:23]
	s_lshl_b64 s[22:23], s[2:3], 4
	v_mul_lo_u32 v10, s37, v7
	v_mad_co_u64_u32 v[4:5], null, s36, v7, 0
	v_add_co_u32 v27, vcc_lo, v8, s22
	s_wait_alu 0xfffd
	v_add_co_ci_u32_e64 v28, null, s23, v9, vcc_lo
	v_add_co_u32 v2, vcc_lo, s14, v2
	s_add_nc_u64 s[24:25], s[22:23], s[24:25]
	s_ashr_i32 s21, s20, 31
	s_wait_alu 0xfffd
	v_add_co_ci_u32_e64 v3, null, s15, v3, vcc_lo
	s_add_nc_u64 s[12:13], s[12:13], s[24:25]
	s_wait_alu 0xfffe
	s_mul_i32 s3, s36, s21
	v_add_co_u32 v21, vcc_lo, v2, 8
	v_add_co_u32 v2, s5, s12, v6
	v_add3_u32 v5, v5, s3, v10
	v_and_b32_e32 v8, 31, v0
	v_cmp_gt_i32_e64 s2, s28, v7
	v_lshrrev_b32_e32 v7, 1, v0
	s_wait_alu 0xfffd
	v_add_co_ci_u32_e64 v22, null, 0, v3, vcc_lo
	s_wait_alu 0xf1ff
	v_add_co_ci_u32_e64 v3, null, s13, 0, s5
	v_add_co_u32 v23, vcc_lo, v2, 8
	v_lshlrev_b64_e32 v[25:26], 4, v[4:5]
	v_cmp_gt_i32_e64 s1, s20, v0
	v_cmp_gt_u32_e64 s3, 32, v0
	v_lshlrev_b32_e32 v29, 4, v8
	v_cmp_eq_u32_e64 s4, 0, v8
	v_and_b32_e32 v30, 0x1f0, v7
	s_wait_alu 0xfffd
	v_add_co_ci_u32_e64 v24, null, 0, v3, vcc_lo
	s_lshl_b64 s[22:23], s[38:39], 4
	s_lshl_b64 s[12:13], s[36:37], 14
	;; [unrolled: 1-line block ×5, first 2 shown]
	s_branch .LBB175_4
.LBB175_2:                              ;   in Loop: Header=BB175_4 Depth=1
	s_wait_alu 0xfffe
	s_or_b32 exec_lo, exec_lo, s5
.LBB175_3:                              ;   in Loop: Header=BB175_4 Depth=1
	s_add_co_i32 s6, s6, 0x10000
	s_wait_alu 0xfffe
	s_cmp_lt_u32 s6, s33
	s_cbranch_scc0 .LBB175_36
.LBB175_4:                              ; =>This Loop Header: Depth=1
                                        ;     Child Loop BB175_25 Depth 2
	s_mul_u64 s[30:31], s[10:11], s[6:7]
	s_delay_alu instid0(SALU_CYCLE_1) | instskip(NEXT) | instid1(SALU_CYCLE_1)
	s_lshl_b64 s[30:31], s[30:31], 4
	s_add_nc_u64 s[30:31], s[8:9], s[30:31]
	global_load_b128 v[9:12], v1, s[30:31]
	s_mul_u64 s[30:31], s[42:43], s[6:7]
	s_delay_alu instid0(SALU_CYCLE_1) | instskip(NEXT) | instid1(SALU_CYCLE_1)
	s_lshl_b64 s[30:31], s[30:31], 4
	s_add_nc_u64 s[30:31], s[40:41], s[30:31]
	s_wait_loadcnt 0x1
	global_load_b128 v[5:8], v1, s[30:31]
	s_wait_loadcnt 0x1
	v_cmp_neq_f64_e32 vcc_lo, 0, v[9:10]
	v_cmp_neq_f64_e64 s5, 0, v[11:12]
	s_or_b32 s21, vcc_lo, s5
	s_mov_b32 s5, -1
	s_wait_alu 0xfffe
	s_and_b32 vcc_lo, exec_lo, s21
	s_wait_alu 0xfffe
	s_cbranch_vccz .LBB175_6
; %bb.5:                                ;   in Loop: Header=BB175_4 Depth=1
	s_and_not1_b32 vcc_lo, exec_lo, s5
	s_wait_alu 0xfffe
	s_cbranch_vccnz .LBB175_3
	s_branch .LBB175_7
.LBB175_6:                              ;   in Loop: Header=BB175_4 Depth=1
	s_wait_loadcnt 0x0
	v_cmp_neq_f64_e32 vcc_lo, 1.0, v[5:6]
	v_cmp_neq_f64_e64 s5, 0, v[7:8]
	s_or_b32 s5, vcc_lo, s5
	s_wait_alu 0xfffe
	s_and_not1_b32 vcc_lo, exec_lo, s5
	s_wait_alu 0xfffe
	s_cbranch_vccnz .LBB175_3
.LBB175_7:                              ;   in Loop: Header=BB175_4 Depth=1
	s_mul_u64 s[30:31], s[50:51], s[6:7]
	s_xor_b32 s5, s21, -1
	s_lshl_b64 s[30:31], s[30:31], 4
	s_wait_alu 0xfffe
	s_and_not1_b32 vcc_lo, exec_lo, s5
	s_add_nc_u64 s[30:31], s[16:17], s[30:31]
	s_wait_alu 0xfffe
	s_cbranch_vccnz .LBB175_11
; %bb.8:                                ;   in Loop: Header=BB175_4 Depth=1
	s_mov_b32 s34, 0
	s_mov_b32 s21, 0
                                        ; implicit-def: $vgpr15_vgpr16
	s_and_saveexec_b32 s35, s0
	s_cbranch_execz .LBB175_12
; %bb.9:                                ;   in Loop: Header=BB175_4 Depth=1
	s_wait_loadcnt 0x0
	v_cmp_neq_f64_e32 vcc_lo, 0, v[5:6]
	v_cmp_neq_f64_e64 s5, 0, v[7:8]
	s_or_b32 s5, vcc_lo, s5
	s_wait_alu 0xfffe
	s_and_not1_b32 vcc_lo, exec_lo, s5
	s_wait_alu 0xfffe
	s_cbranch_vccnz .LBB175_13
; %bb.10:                               ;   in Loop: Header=BB175_4 Depth=1
	s_add_nc_u64 s[36:37], s[30:31], s[26:27]
	s_wait_dscnt 0x0
	global_load_b128 v[15:18], v1, s[36:37]
	s_wait_loadcnt 0x0
	v_mul_f64_e32 v[2:3], v[7:8], v[17:18]
	v_mul_f64_e32 v[17:18], v[5:6], v[17:18]
	s_delay_alu instid0(VALU_DEP_2) | instskip(NEXT) | instid1(VALU_DEP_2)
	v_fma_f64 v[13:14], v[5:6], v[15:16], -v[2:3]
	v_fma_f64 v[15:16], v[7:8], v[15:16], v[17:18]
	s_branch .LBB175_14
.LBB175_11:                             ;   in Loop: Header=BB175_4 Depth=1
	s_mov_b32 s21, 0
                                        ; implicit-def: $vgpr15_vgpr16
	s_cbranch_execnz .LBB175_15
	s_branch .LBB175_34
.LBB175_12:                             ;   in Loop: Header=BB175_4 Depth=1
	s_wait_alu 0xfffe
	s_or_b32 exec_lo, exec_lo, s35
	s_delay_alu instid0(SALU_CYCLE_1)
	s_and_b32 vcc_lo, exec_lo, s34
	s_wait_alu 0xfffe
	s_cbranch_vccnz .LBB175_15
	s_branch .LBB175_34
.LBB175_13:                             ;   in Loop: Header=BB175_4 Depth=1
	v_mov_b32_e32 v15, 0
	v_dual_mov_b32 v16, 0 :: v_dual_mov_b32 v13, 0
	v_mov_b32_e32 v14, 0
.LBB175_14:                             ;   in Loop: Header=BB175_4 Depth=1
	s_mov_b32 s21, exec_lo
	s_or_b32 exec_lo, exec_lo, s35
	s_delay_alu instid0(SALU_CYCLE_1)
	s_and_b32 vcc_lo, exec_lo, s34
	s_wait_alu 0xfffe
	s_cbranch_vccz .LBB175_34
.LBB175_15:                             ;   in Loop: Header=BB175_4 Depth=1
	v_mov_b32_e32 v13, 0
	v_dual_mov_b32 v14, 0 :: v_dual_mov_b32 v15, 0
	v_mov_b32_e32 v16, 0
	s_and_saveexec_b32 s34, s1
	s_cbranch_execnz .LBB175_24
; %bb.16:                               ;   in Loop: Header=BB175_4 Depth=1
	s_wait_alu 0xfffe
	s_or_b32 exec_lo, exec_lo, s34
	s_and_saveexec_b32 s5, s2
	s_cbranch_execnz .LBB175_27
.LBB175_17:                             ;   in Loop: Header=BB175_4 Depth=1
	s_wait_alu 0xfffe
	s_or_b32 exec_lo, exec_lo, s5
	s_and_saveexec_b32 s5, s3
.LBB175_18:                             ;   in Loop: Header=BB175_4 Depth=1
	v_dual_mov_b32 v2, v1 :: v_dual_mov_b32 v3, v1
	v_mov_b32_e32 v4, v1
	ds_store_b128 v29, v[1:4]
.LBB175_19:                             ;   in Loop: Header=BB175_4 Depth=1
	s_wait_alu 0xfffe
	s_or_b32 exec_lo, exec_lo, s5
	v_lshl_or_b32 v4, v31, 2, 64
	v_cmp_gt_u32_e32 vcc_lo, 24, v31
	s_wait_loadcnt_dscnt 0x0
	s_barrier_signal -1
	s_barrier_wait -1
	ds_bpermute_b32 v2, v4, v15
	ds_bpermute_b32 v3, v4, v16
	;; [unrolled: 1-line block ×4, first 2 shown]
	s_wait_dscnt 0x0
	global_inv scope:SCOPE_SE
	v_add_f64_e32 v[2:3], v[15:16], v[2:3]
	s_wait_alu 0xfffd
	v_cndmask_b32_e64 v15, 0, 8, vcc_lo
	v_add_f64_e32 v[13:14], v[13:14], v[17:18]
	v_cmp_gt_u32_e32 vcc_lo, 28, v31
	s_delay_alu instid0(VALU_DEP_3)
	v_add_lshl_u32 v32, v15, v31, 2
	ds_bpermute_b32 v15, v32, v2
	ds_bpermute_b32 v16, v32, v3
	;; [unrolled: 1-line block ×4, first 2 shown]
	s_wait_dscnt 0x2
	v_add_f64_e32 v[2:3], v[2:3], v[15:16]
	s_wait_alu 0xfffd
	v_cndmask_b32_e64 v15, 0, 4, vcc_lo
	s_wait_dscnt 0x0
	v_add_f64_e32 v[13:14], v[13:14], v[17:18]
	v_cmp_gt_u32_e32 vcc_lo, 30, v31
	s_delay_alu instid0(VALU_DEP_3)
	v_add_lshl_u32 v33, v15, v31, 2
	ds_bpermute_b32 v15, v33, v2
	ds_bpermute_b32 v16, v33, v3
	;; [unrolled: 1-line block ×4, first 2 shown]
	s_wait_dscnt 0x2
	v_add_f64_e32 v[2:3], v[2:3], v[15:16]
	s_wait_alu 0xfffd
	v_cndmask_b32_e64 v15, 0, 2, vcc_lo
	s_wait_dscnt 0x0
	v_add_f64_e32 v[13:14], v[13:14], v[17:18]
	v_cmp_ne_u32_e32 vcc_lo, 31, v31
	s_delay_alu instid0(VALU_DEP_3)
	v_add_lshl_u32 v34, v15, v31, 2
	ds_bpermute_b32 v15, v34, v2
	ds_bpermute_b32 v16, v34, v3
	ds_bpermute_b32 v17, v34, v13
	ds_bpermute_b32 v18, v34, v14
	s_wait_dscnt 0x2
	v_add_f64_e32 v[2:3], v[2:3], v[15:16]
	s_wait_alu 0xfffd
	v_add_co_ci_u32_e64 v15, null, 0, v31, vcc_lo
	s_wait_dscnt 0x0
	v_add_f64_e32 v[13:14], v[13:14], v[17:18]
	s_delay_alu instid0(VALU_DEP_2)
	v_lshlrev_b32_e32 v35, 2, v15
	ds_bpermute_b32 v15, v35, v2
	ds_bpermute_b32 v16, v35, v3
	ds_bpermute_b32 v17, v35, v13
	ds_bpermute_b32 v18, v35, v14
	s_and_saveexec_b32 s5, s4
	s_cbranch_execz .LBB175_21
; %bb.20:                               ;   in Loop: Header=BB175_4 Depth=1
	s_wait_dscnt 0x0
	v_add_f64_e32 v[17:18], v[13:14], v[17:18]
	v_add_f64_e32 v[15:16], v[2:3], v[15:16]
	ds_store_b128 v30, v[15:18]
.LBB175_21:                             ;   in Loop: Header=BB175_4 Depth=1
	s_wait_alu 0xfffe
	s_or_b32 exec_lo, exec_lo, s5
	v_mov_b32_e32 v19, 0
	s_wait_dscnt 0x0
	v_dual_mov_b32 v20, 0 :: v_dual_mov_b32 v17, 0
	v_mov_b32_e32 v18, 0
	s_wait_loadcnt 0x0
	s_barrier_signal -1
	s_barrier_wait -1
	global_inv scope:SCOPE_SE
	s_and_saveexec_b32 s5, s3
	s_cbranch_execnz .LBB175_28
; %bb.22:                               ;   in Loop: Header=BB175_4 Depth=1
	s_wait_alu 0xfffe
	s_or_b32 exec_lo, exec_lo, s5
	s_and_saveexec_b32 s5, s3
	s_cbranch_execnz .LBB175_29
.LBB175_23:                             ;   in Loop: Header=BB175_4 Depth=1
	s_wait_alu 0xfffe
	s_or_b32 exec_lo, exec_lo, s5
                                        ; implicit-def: $vgpr15_vgpr16
	s_and_saveexec_b32 s34, s0
	s_cbranch_execnz .LBB175_30
	s_branch .LBB175_33
.LBB175_24:                             ;   in Loop: Header=BB175_4 Depth=1
	s_wait_dscnt 0x0
	v_mad_co_u64_u32 v[17:18], null, s24, s6, v[23:24]
	v_mad_co_u64_u32 v[2:3], null, s22, s6, v[21:22]
	s_mov_b32 s35, 0
	v_mov_b32_e32 v13, 0
	v_dual_mov_b32 v14, 0 :: v_dual_mov_b32 v15, 0
	v_mov_b32_e32 v4, v18
	s_delay_alu instid0(VALU_DEP_1) | instskip(SKIP_3) | instid1(VALU_DEP_3)
	v_mad_co_u64_u32 v[18:19], null, s23, s6, v[3:4]
	s_wait_loadcnt 0x0
	v_mad_co_u64_u32 v[19:20], null, s25, s6, v[4:5]
	v_mov_b32_e32 v16, 0
	v_dual_mov_b32 v4, v0 :: v_dual_mov_b32 v3, v18
	s_delay_alu instid0(VALU_DEP_3)
	v_mov_b32_e32 v18, v19
.LBB175_25:                             ;   Parent Loop BB175_4 Depth=1
                                        ; =>  This Inner Loop Header: Depth=2
	global_load_b128 v[32:35], v[17:18], off offset:-8
	global_load_b128 v[36:39], v[2:3], off offset:-8
	v_add_nc_u32_e32 v4, 0x400, v4
	v_add_co_u32 v2, vcc_lo, v2, s12
	s_wait_alu 0xfffd
	v_add_co_ci_u32_e64 v3, null, s13, v3, vcc_lo
	s_delay_alu instid0(VALU_DEP_3)
	v_cmp_le_i32_e32 vcc_lo, s20, v4
	v_add_co_u32 v17, s5, 0x4000, v17
	s_wait_alu 0xf1ff
	v_add_co_ci_u32_e64 v18, null, 0, v18, s5
	s_wait_alu 0xfffe
	s_or_b32 s35, vcc_lo, s35
	s_wait_loadcnt 0x0
	v_mul_f64_e32 v[19:20], v[34:35], v[38:39]
	v_mul_f64_e32 v[38:39], v[32:33], v[38:39]
	s_delay_alu instid0(VALU_DEP_2) | instskip(NEXT) | instid1(VALU_DEP_2)
	v_fma_f64 v[19:20], v[32:33], v[36:37], -v[19:20]
	v_fma_f64 v[32:33], v[34:35], v[36:37], v[38:39]
	s_delay_alu instid0(VALU_DEP_2) | instskip(NEXT) | instid1(VALU_DEP_2)
	v_add_f64_e32 v[15:16], v[15:16], v[19:20]
	v_add_f64_e32 v[13:14], v[13:14], v[32:33]
	s_wait_alu 0xfffe
	s_and_not1_b32 exec_lo, exec_lo, s35
	s_cbranch_execnz .LBB175_25
; %bb.26:                               ;   in Loop: Header=BB175_4 Depth=1
	s_or_b32 exec_lo, exec_lo, s35
	s_delay_alu instid0(SALU_CYCLE_1)
	s_or_b32 exec_lo, exec_lo, s34
	s_and_saveexec_b32 s5, s2
	s_cbranch_execz .LBB175_17
.LBB175_27:                             ;   in Loop: Header=BB175_4 Depth=1
	s_mul_u64 s[34:35], s[18:19], s[6:7]
	s_mul_u64 s[36:37], s[38:39], s[6:7]
	s_wait_alu 0xfffe
	s_lshl_b64 s[34:35], s[34:35], 4
	s_lshl_b64 s[36:37], s[36:37], 4
	s_wait_alu 0xfffe
	v_add_co_u32 v4, vcc_lo, v27, s34
	s_wait_dscnt 0x0
	s_wait_alu 0xfffd
	v_add_co_ci_u32_e64 v17, null, s35, v28, vcc_lo
	s_add_nc_u64 s[34:35], s[14:15], s[36:37]
	s_wait_alu 0xfffe
	v_add_co_u32 v2, vcc_lo, s34, v25
	s_wait_alu 0xfffd
	v_add_co_ci_u32_e64 v3, null, s35, v26, vcc_lo
	v_add_co_u32 v32, vcc_lo, v4, s28
	s_wait_alu 0xfffd
	v_add_co_ci_u32_e64 v33, null, s29, v17, vcc_lo
	global_load_b128 v[17:20], v[2:3], off
	global_load_b128 v[32:35], v[32:33], off
	s_wait_loadcnt 0x0
	v_mul_f64_e32 v[2:3], v[34:35], v[19:20]
	v_mul_f64_e32 v[19:20], v[32:33], v[19:20]
	s_delay_alu instid0(VALU_DEP_2) | instskip(NEXT) | instid1(VALU_DEP_2)
	v_fma_f64 v[2:3], v[32:33], v[17:18], -v[2:3]
	v_fma_f64 v[17:18], v[34:35], v[17:18], v[19:20]
	s_delay_alu instid0(VALU_DEP_2) | instskip(NEXT) | instid1(VALU_DEP_2)
	v_add_f64_e32 v[15:16], v[15:16], v[2:3]
	v_add_f64_e32 v[13:14], v[13:14], v[17:18]
	s_or_b32 exec_lo, exec_lo, s5
	s_and_saveexec_b32 s5, s3
	s_cbranch_execnz .LBB175_18
	s_branch .LBB175_19
.LBB175_28:                             ;   in Loop: Header=BB175_4 Depth=1
	ds_load_b128 v[17:20], v29
	s_wait_alu 0xfffe
	s_or_b32 exec_lo, exec_lo, s5
	s_and_saveexec_b32 s5, s3
	s_cbranch_execz .LBB175_23
.LBB175_29:                             ;   in Loop: Header=BB175_4 Depth=1
	s_wait_dscnt 0x0
	ds_bpermute_b32 v2, v4, v17
	ds_bpermute_b32 v3, v4, v18
	ds_bpermute_b32 v13, v4, v19
	ds_bpermute_b32 v14, v4, v20
	s_wait_dscnt 0x2
	v_add_f64_e32 v[2:3], v[17:18], v[2:3]
	s_wait_dscnt 0x0
	v_add_f64_e32 v[13:14], v[19:20], v[13:14]
	ds_bpermute_b32 v15, v32, v2
	ds_bpermute_b32 v16, v32, v3
	ds_bpermute_b32 v17, v32, v13
	ds_bpermute_b32 v18, v32, v14
	s_wait_dscnt 0x2
	v_add_f64_e32 v[2:3], v[2:3], v[15:16]
	s_wait_dscnt 0x0
	v_add_f64_e32 v[13:14], v[13:14], v[17:18]
	;; [unrolled: 8-line block ×5, first 2 shown]
	s_wait_alu 0xfffe
	s_or_b32 exec_lo, exec_lo, s5
                                        ; implicit-def: $vgpr15_vgpr16
	s_and_saveexec_b32 s34, s0
	s_cbranch_execz .LBB175_33
.LBB175_30:                             ;   in Loop: Header=BB175_4 Depth=1
	s_wait_dscnt 0x0
	s_delay_alu instid0(VALU_DEP_1) | instskip(SKIP_3) | instid1(VALU_DEP_4)
	v_mul_f64_e32 v[2:3], v[11:12], v[19:20]
	v_mul_f64_e32 v[15:16], v[9:10], v[19:20]
	v_cmp_neq_f64_e32 vcc_lo, 0, v[5:6]
	v_cmp_neq_f64_e64 s5, 0, v[7:8]
	v_fma_f64 v[13:14], v[9:10], v[17:18], -v[2:3]
	s_delay_alu instid0(VALU_DEP_4)
	v_fma_f64 v[15:16], v[11:12], v[17:18], v[15:16]
	s_or_b32 s5, vcc_lo, s5
	s_wait_alu 0xfffe
	s_and_not1_b32 vcc_lo, exec_lo, s5
	s_wait_alu 0xfffe
	s_cbranch_vccnz .LBB175_32
; %bb.31:                               ;   in Loop: Header=BB175_4 Depth=1
	s_add_nc_u64 s[36:37], s[30:31], s[26:27]
	global_load_b128 v[9:12], v1, s[36:37]
	s_wait_loadcnt 0x0
	v_mul_f64_e32 v[2:3], v[7:8], v[11:12]
	v_mul_f64_e32 v[11:12], v[5:6], v[11:12]
	s_delay_alu instid0(VALU_DEP_2) | instskip(NEXT) | instid1(VALU_DEP_2)
	v_fma_f64 v[2:3], v[5:6], v[9:10], -v[2:3]
	v_fma_f64 v[4:5], v[7:8], v[9:10], v[11:12]
	s_delay_alu instid0(VALU_DEP_2) | instskip(NEXT) | instid1(VALU_DEP_2)
	v_add_f64_e32 v[13:14], v[13:14], v[2:3]
	v_add_f64_e32 v[15:16], v[15:16], v[4:5]
.LBB175_32:                             ;   in Loop: Header=BB175_4 Depth=1
	s_or_b32 s21, s21, exec_lo
.LBB175_33:                             ;   in Loop: Header=BB175_4 Depth=1
	s_wait_alu 0xfffe
	s_or_b32 exec_lo, exec_lo, s34
.LBB175_34:                             ;   in Loop: Header=BB175_4 Depth=1
	s_wait_alu 0xfffe
	s_and_saveexec_b32 s5, s21
	s_cbranch_execz .LBB175_2
; %bb.35:                               ;   in Loop: Header=BB175_4 Depth=1
	s_add_nc_u64 s[30:31], s[30:31], s[26:27]
	global_store_b128 v1, v[13:16], s[30:31]
	s_branch .LBB175_2
.LBB175_36:
	s_endpgm
	.section	.rodata,"a",@progbits
	.p2align	6, 0x0
	.amdhsa_kernel _ZL32rocblas_gemvt_warp_reduce_kernelILb0ELi1024El19rocblas_complex_numIdEPKS1_S1_EviiT3_lPKT2_lT1_lS7_lS8_lS4_lPT4_lS8_li
		.amdhsa_group_segment_fixed_size 512
		.amdhsa_private_segment_fixed_size 0
		.amdhsa_kernarg_size 140
		.amdhsa_user_sgpr_count 2
		.amdhsa_user_sgpr_dispatch_ptr 0
		.amdhsa_user_sgpr_queue_ptr 0
		.amdhsa_user_sgpr_kernarg_segment_ptr 1
		.amdhsa_user_sgpr_dispatch_id 0
		.amdhsa_user_sgpr_private_segment_size 0
		.amdhsa_wavefront_size32 1
		.amdhsa_uses_dynamic_stack 0
		.amdhsa_enable_private_segment 0
		.amdhsa_system_sgpr_workgroup_id_x 1
		.amdhsa_system_sgpr_workgroup_id_y 0
		.amdhsa_system_sgpr_workgroup_id_z 1
		.amdhsa_system_sgpr_workgroup_info 0
		.amdhsa_system_vgpr_workitem_id 0
		.amdhsa_next_free_vgpr 40
		.amdhsa_next_free_sgpr 52
		.amdhsa_reserve_vcc 1
		.amdhsa_float_round_mode_32 0
		.amdhsa_float_round_mode_16_64 0
		.amdhsa_float_denorm_mode_32 3
		.amdhsa_float_denorm_mode_16_64 3
		.amdhsa_fp16_overflow 0
		.amdhsa_workgroup_processor_mode 1
		.amdhsa_memory_ordered 1
		.amdhsa_forward_progress 1
		.amdhsa_inst_pref_size 18
		.amdhsa_round_robin_scheduling 0
		.amdhsa_exception_fp_ieee_invalid_op 0
		.amdhsa_exception_fp_denorm_src 0
		.amdhsa_exception_fp_ieee_div_zero 0
		.amdhsa_exception_fp_ieee_overflow 0
		.amdhsa_exception_fp_ieee_underflow 0
		.amdhsa_exception_fp_ieee_inexact 0
		.amdhsa_exception_int_div_zero 0
	.end_amdhsa_kernel
	.section	.text._ZL32rocblas_gemvt_warp_reduce_kernelILb0ELi1024El19rocblas_complex_numIdEPKS1_S1_EviiT3_lPKT2_lT1_lS7_lS8_lS4_lPT4_lS8_li,"axG",@progbits,_ZL32rocblas_gemvt_warp_reduce_kernelILb0ELi1024El19rocblas_complex_numIdEPKS1_S1_EviiT3_lPKT2_lT1_lS7_lS8_lS4_lPT4_lS8_li,comdat
.Lfunc_end175:
	.size	_ZL32rocblas_gemvt_warp_reduce_kernelILb0ELi1024El19rocblas_complex_numIdEPKS1_S1_EviiT3_lPKT2_lT1_lS7_lS8_lS4_lPT4_lS8_li, .Lfunc_end175-_ZL32rocblas_gemvt_warp_reduce_kernelILb0ELi1024El19rocblas_complex_numIdEPKS1_S1_EviiT3_lPKT2_lT1_lS7_lS8_lS4_lPT4_lS8_li
                                        ; -- End function
	.set _ZL32rocblas_gemvt_warp_reduce_kernelILb0ELi1024El19rocblas_complex_numIdEPKS1_S1_EviiT3_lPKT2_lT1_lS7_lS8_lS4_lPT4_lS8_li.num_vgpr, 40
	.set _ZL32rocblas_gemvt_warp_reduce_kernelILb0ELi1024El19rocblas_complex_numIdEPKS1_S1_EviiT3_lPKT2_lT1_lS7_lS8_lS4_lPT4_lS8_li.num_agpr, 0
	.set _ZL32rocblas_gemvt_warp_reduce_kernelILb0ELi1024El19rocblas_complex_numIdEPKS1_S1_EviiT3_lPKT2_lT1_lS7_lS8_lS4_lPT4_lS8_li.numbered_sgpr, 52
	.set _ZL32rocblas_gemvt_warp_reduce_kernelILb0ELi1024El19rocblas_complex_numIdEPKS1_S1_EviiT3_lPKT2_lT1_lS7_lS8_lS4_lPT4_lS8_li.num_named_barrier, 0
	.set _ZL32rocblas_gemvt_warp_reduce_kernelILb0ELi1024El19rocblas_complex_numIdEPKS1_S1_EviiT3_lPKT2_lT1_lS7_lS8_lS4_lPT4_lS8_li.private_seg_size, 0
	.set _ZL32rocblas_gemvt_warp_reduce_kernelILb0ELi1024El19rocblas_complex_numIdEPKS1_S1_EviiT3_lPKT2_lT1_lS7_lS8_lS4_lPT4_lS8_li.uses_vcc, 1
	.set _ZL32rocblas_gemvt_warp_reduce_kernelILb0ELi1024El19rocblas_complex_numIdEPKS1_S1_EviiT3_lPKT2_lT1_lS7_lS8_lS4_lPT4_lS8_li.uses_flat_scratch, 0
	.set _ZL32rocblas_gemvt_warp_reduce_kernelILb0ELi1024El19rocblas_complex_numIdEPKS1_S1_EviiT3_lPKT2_lT1_lS7_lS8_lS4_lPT4_lS8_li.has_dyn_sized_stack, 0
	.set _ZL32rocblas_gemvt_warp_reduce_kernelILb0ELi1024El19rocblas_complex_numIdEPKS1_S1_EviiT3_lPKT2_lT1_lS7_lS8_lS4_lPT4_lS8_li.has_recursion, 0
	.set _ZL32rocblas_gemvt_warp_reduce_kernelILb0ELi1024El19rocblas_complex_numIdEPKS1_S1_EviiT3_lPKT2_lT1_lS7_lS8_lS4_lPT4_lS8_li.has_indirect_call, 0
	.section	.AMDGPU.csdata,"",@progbits
; Kernel info:
; codeLenInByte = 2280
; TotalNumSgprs: 54
; NumVgprs: 40
; ScratchSize: 0
; MemoryBound: 0
; FloatMode: 240
; IeeeMode: 1
; LDSByteSize: 512 bytes/workgroup (compile time only)
; SGPRBlocks: 0
; VGPRBlocks: 4
; NumSGPRsForWavesPerEU: 54
; NumVGPRsForWavesPerEU: 40
; Occupancy: 16
; WaveLimiterHint : 0
; COMPUTE_PGM_RSRC2:SCRATCH_EN: 0
; COMPUTE_PGM_RSRC2:USER_SGPR: 2
; COMPUTE_PGM_RSRC2:TRAP_HANDLER: 0
; COMPUTE_PGM_RSRC2:TGID_X_EN: 1
; COMPUTE_PGM_RSRC2:TGID_Y_EN: 0
; COMPUTE_PGM_RSRC2:TGID_Z_EN: 1
; COMPUTE_PGM_RSRC2:TIDIG_COMP_CNT: 0
	.section	.text._ZL32rocblas_gemvt_warp_reduce_kernelILb0ELi1024Ei19rocblas_complex_numIdES1_S1_EviiT3_lPKT2_lT1_lS5_lS6_lS2_lPT4_lS6_li,"axG",@progbits,_ZL32rocblas_gemvt_warp_reduce_kernelILb0ELi1024Ei19rocblas_complex_numIdES1_S1_EviiT3_lPKT2_lT1_lS5_lS6_lS2_lPT4_lS6_li,comdat
	.globl	_ZL32rocblas_gemvt_warp_reduce_kernelILb0ELi1024Ei19rocblas_complex_numIdES1_S1_EviiT3_lPKT2_lT1_lS5_lS6_lS2_lPT4_lS6_li ; -- Begin function _ZL32rocblas_gemvt_warp_reduce_kernelILb0ELi1024Ei19rocblas_complex_numIdES1_S1_EviiT3_lPKT2_lT1_lS5_lS6_lS2_lPT4_lS6_li
	.p2align	8
	.type	_ZL32rocblas_gemvt_warp_reduce_kernelILb0ELi1024Ei19rocblas_complex_numIdES1_S1_EviiT3_lPKT2_lT1_lS5_lS6_lS2_lPT4_lS6_li,@function
_ZL32rocblas_gemvt_warp_reduce_kernelILb0ELi1024Ei19rocblas_complex_numIdES1_S1_EviiT3_lPKT2_lT1_lS5_lS6_lS2_lPT4_lS6_li: ; @_ZL32rocblas_gemvt_warp_reduce_kernelILb0ELi1024Ei19rocblas_complex_numIdES1_S1_EviiT3_lPKT2_lT1_lS5_lS6_lS2_lPT4_lS6_li
; %bb.0:
	s_load_b32 s33, s[0:1], 0x98
	s_lshr_b32 s28, ttmp7, 16
	s_wait_kmcnt 0x0
	s_cmp_ge_u32 s28, s33
	s_cbranch_scc1 .LBB176_34
; %bb.1:
	s_clause 0xa
	s_load_b128 s[8:11], s[0:1], 0x8
	s_load_b32 s27, s[0:1], 0x0
	s_load_b128 s[12:15], s[0:1], 0x58
	s_load_b96 s[24:26], s[0:1], 0x48
	s_load_b128 s[4:7], s[0:1], 0x78
	s_load_b128 s[20:23], s[0:1], 0x20
	s_load_b64 s[30:31], s[0:1], 0x68
	s_load_b128 s[16:19], s[0:1], 0x38
	s_load_b32 s3, s[0:1], 0x88
	s_load_b32 s40, s[0:1], 0x30
	s_load_b64 s[34:35], s[0:1], 0x90
	v_dual_mov_b32 v1, 0 :: v_dual_and_b32 v2, 31, v0
	v_lshrrev_b32_e32 v3, 1, v0
	v_cmp_eq_u32_e64 s0, 0, v0
	v_cmp_gt_u32_e64 s1, 32, v0
	s_delay_alu instid0(VALU_DEP_4)
	v_lshlrev_b32_e32 v16, 4, v2
	v_cmp_eq_u32_e64 s2, 0, v2
	v_mbcnt_lo_u32_b32 v21, -1, 0
	s_mov_b32 s29, 0
	s_wait_kmcnt 0x0
	v_cmp_neq_f64_e64 s42, s[8:9], 0
	v_cmp_neq_f64_e64 s43, s[10:11], 0
	v_cmp_neq_f64_e64 s46, s[14:15], 1.0
	v_cmp_neq_f64_e64 s48, s[14:15], 0
	v_cmp_gt_i32_e32 vcc_lo, s27, v0
	s_lshl_b64 s[38:39], s[22:23], 4
	v_cmp_neq_f64_e64 s47, s[30:31], 0
	v_and_b32_e32 v17, 0x1f0, v3
	s_mul_i32 s44, s3, ttmp9
	s_ashr_i32 s3, s27, 31
	v_cndmask_b32_e32 v2, 0, v0, vcc_lo
	s_lshr_b32 s3, s3, 22
	s_mul_i32 s40, s40, ttmp9
	s_add_co_i32 s3, s27, s3
	s_lshl_b64 s[24:25], s[24:25], 4
	s_and_b32 s22, s3, 0xfffffc00
	s_ashr_i32 s41, s40, 31
	v_or_b32_e32 v3, s22, v0
	v_lshlrev_b32_e32 v4, 4, v2
	s_lshl_b64 s[36:37], s[6:7], 4
	s_add_nc_u64 s[6:7], s[18:19], s[24:25]
	s_lshl_b64 s[24:25], s[40:41], 4
	v_mul_lo_u32 v2, s26, v3
	s_add_nc_u64 s[18:19], s[4:5], s[36:37]
	s_add_nc_u64 s[4:5], s[20:21], s[38:39]
	;; [unrolled: 1-line block ×3, first 2 shown]
	v_add_co_u32 v5, s4, s4, v4
	s_add_nc_u64 s[20:21], s[20:21], s[36:37]
	s_wait_alu 0xf1ff
	v_add_co_ci_u32_e64 v6, null, s5, 0, s4
	v_add_co_u32 v4, s20, s20, v4
	v_cmp_gt_i32_e64 s4, s27, v3
	v_ashrrev_i32_e32 v3, 31, v2
	v_add_co_u32 v19, vcc_lo, v5, s24
	s_wait_alu 0xf1ff
	v_add_co_ci_u32_e64 v5, null, s21, 0, s20
	v_mul_lo_u32 v18, v0, s26
	s_wait_alu 0xfffd
	v_add_co_ci_u32_e64 v20, null, s25, v6, vcc_lo
	v_add_co_u32 v10, vcc_lo, v4, 8
	s_or_b32 s5, s42, s43
	v_lshlrev_b64_e32 v[12:13], 4, v[2:3]
	v_cmp_gt_i32_e64 s3, s22, v0
	s_wait_alu 0xfffd
	v_add_co_ci_u32_e64 v11, null, 0, v5, vcc_lo
	s_ashr_i32 s45, s44, 31
	s_ashr_i32 s23, s22, 31
	s_wait_alu 0xfffe
	s_or_b32 s24, s5, s46
	s_lshl_b32 s40, s26, 10
	s_wait_alu 0xfffe
	s_or_b32 s41, s24, s47
	s_xor_b32 s42, s5, -1
	s_or_b32 s43, s48, s47
	s_lshl_b64 s[20:21], s[16:17], 4
	s_lshl_b64 s[24:25], s[44:45], 4
	;; [unrolled: 1-line block ×3, first 2 shown]
	s_branch .LBB176_4
.LBB176_2:                              ;   in Loop: Header=BB176_4 Depth=1
	s_wait_alu 0xfffe
	s_or_b32 exec_lo, exec_lo, s5
.LBB176_3:                              ;   in Loop: Header=BB176_4 Depth=1
	s_add_co_i32 s28, s28, 0x10000
	s_wait_alu 0xfffe
	s_cmp_lt_u32 s28, s33
	s_cbranch_scc0 .LBB176_34
.LBB176_4:                              ; =>This Loop Header: Depth=1
                                        ;     Child Loop BB176_23 Depth 2
	s_and_not1_b32 vcc_lo, exec_lo, s41
	s_wait_alu 0xfffe
	s_cbranch_vccnz .LBB176_3
; %bb.5:                                ;   in Loop: Header=BB176_4 Depth=1
	s_mul_u64 s[36:37], s[34:35], s[28:29]
	s_and_not1_b32 vcc_lo, exec_lo, s42
	s_lshl_b64 s[36:37], s[36:37], 4
	s_delay_alu instid0(SALU_CYCLE_1)
	s_add_nc_u64 s[36:37], s[18:19], s[36:37]
	s_wait_alu 0xfffe
	s_cbranch_vccnz .LBB176_9
; %bb.6:                                ;   in Loop: Header=BB176_4 Depth=1
	s_mov_b32 s5, 0
	s_mov_b32 s23, 0
                                        ; implicit-def: $vgpr4_vgpr5
	s_and_saveexec_b32 s38, s0
	s_cbranch_execz .LBB176_10
; %bb.7:                                ;   in Loop: Header=BB176_4 Depth=1
	s_and_not1_b32 vcc_lo, exec_lo, s43
	s_wait_alu 0xfffe
	s_cbranch_vccnz .LBB176_11
; %bb.8:                                ;   in Loop: Header=BB176_4 Depth=1
	s_add_nc_u64 s[44:45], s[36:37], s[24:25]
	s_wait_dscnt 0x0
	global_load_b128 v[4:7], v1, s[44:45]
	s_wait_loadcnt 0x0
	v_mul_f64_e32 v[2:3], s[30:31], v[6:7]
	v_mul_f64_e32 v[6:7], s[14:15], v[6:7]
	s_delay_alu instid0(VALU_DEP_2) | instskip(NEXT) | instid1(VALU_DEP_2)
	v_fma_f64 v[2:3], s[14:15], v[4:5], -v[2:3]
	v_fma_f64 v[4:5], s[30:31], v[4:5], v[6:7]
	s_branch .LBB176_12
.LBB176_9:                              ;   in Loop: Header=BB176_4 Depth=1
	s_mov_b32 s23, 0
                                        ; implicit-def: $vgpr4_vgpr5
	s_cbranch_execnz .LBB176_13
	s_branch .LBB176_32
.LBB176_10:                             ;   in Loop: Header=BB176_4 Depth=1
	s_wait_alu 0xfffe
	s_or_b32 exec_lo, exec_lo, s38
	s_delay_alu instid0(SALU_CYCLE_1)
	s_and_b32 vcc_lo, exec_lo, s5
	s_wait_alu 0xfffe
	s_cbranch_vccnz .LBB176_13
	s_branch .LBB176_32
.LBB176_11:                             ;   in Loop: Header=BB176_4 Depth=1
	v_mov_b32_e32 v4, 0
	v_dual_mov_b32 v5, 0 :: v_dual_mov_b32 v2, 0
	v_mov_b32_e32 v3, 0
.LBB176_12:                             ;   in Loop: Header=BB176_4 Depth=1
	s_mov_b32 s23, exec_lo
	s_or_b32 exec_lo, exec_lo, s38
	s_delay_alu instid0(SALU_CYCLE_1)
	s_and_b32 vcc_lo, exec_lo, s5
	s_wait_alu 0xfffe
	s_cbranch_vccz .LBB176_32
.LBB176_13:                             ;   in Loop: Header=BB176_4 Depth=1
	s_wait_dscnt 0x0
	v_mov_b32_e32 v5, 0
	s_mul_u64 s[38:39], s[12:13], s[28:29]
	v_dual_mov_b32 v6, 0 :: v_dual_mov_b32 v7, 0
	v_mov_b32_e32 v8, 0
	s_wait_alu 0xfffe
	s_lshl_b64 s[38:39], s[38:39], 4
	s_wait_alu 0xfffe
	s_add_nc_u64 s[38:39], s[6:7], s[38:39]
	s_and_saveexec_b32 s44, s3
	s_cbranch_execnz .LBB176_22
; %bb.14:                               ;   in Loop: Header=BB176_4 Depth=1
	s_wait_alu 0xfffe
	s_or_b32 exec_lo, exec_lo, s44
	s_and_saveexec_b32 s5, s4
	s_cbranch_execnz .LBB176_25
.LBB176_15:                             ;   in Loop: Header=BB176_4 Depth=1
	s_wait_alu 0xfffe
	s_or_b32 exec_lo, exec_lo, s5
	s_and_saveexec_b32 s5, s1
.LBB176_16:                             ;   in Loop: Header=BB176_4 Depth=1
	v_dual_mov_b32 v2, v1 :: v_dual_mov_b32 v3, v1
	v_mov_b32_e32 v4, v1
	ds_store_b128 v16, v[1:4]
.LBB176_17:                             ;   in Loop: Header=BB176_4 Depth=1
	s_wait_alu 0xfffe
	s_or_b32 exec_lo, exec_lo, s5
	v_lshl_or_b32 v14, v21, 2, 64
	v_cmp_gt_u32_e32 vcc_lo, 24, v21
	s_wait_dscnt 0x0
	s_barrier_signal -1
	s_barrier_wait -1
	ds_bpermute_b32 v2, v14, v7
	ds_bpermute_b32 v3, v14, v8
	ds_bpermute_b32 v22, v14, v5
	ds_bpermute_b32 v23, v14, v6
	s_wait_dscnt 0x0
	global_inv scope:SCOPE_SE
	v_add_f64_e32 v[2:3], v[7:8], v[2:3]
	v_add_f64_e32 v[4:5], v[5:6], v[22:23]
	s_wait_alu 0xfffd
	v_cndmask_b32_e64 v6, 0, 8, vcc_lo
	v_cmp_gt_u32_e32 vcc_lo, 28, v21
	s_delay_alu instid0(VALU_DEP_2)
	v_add_lshl_u32 v15, v6, v21, 2
	ds_bpermute_b32 v6, v15, v2
	ds_bpermute_b32 v7, v15, v3
	;; [unrolled: 1-line block ×4, first 2 shown]
	s_wait_dscnt 0x2
	v_add_f64_e32 v[2:3], v[2:3], v[6:7]
	s_wait_alu 0xfffd
	v_cndmask_b32_e64 v6, 0, 4, vcc_lo
	s_wait_dscnt 0x0
	v_add_f64_e32 v[4:5], v[4:5], v[8:9]
	v_cmp_gt_u32_e32 vcc_lo, 30, v21
	s_delay_alu instid0(VALU_DEP_3)
	v_add_lshl_u32 v22, v6, v21, 2
	ds_bpermute_b32 v6, v22, v2
	ds_bpermute_b32 v7, v22, v3
	;; [unrolled: 1-line block ×4, first 2 shown]
	s_wait_dscnt 0x2
	v_add_f64_e32 v[2:3], v[2:3], v[6:7]
	s_wait_alu 0xfffd
	v_cndmask_b32_e64 v6, 0, 2, vcc_lo
	s_wait_dscnt 0x0
	v_add_f64_e32 v[4:5], v[4:5], v[8:9]
	v_cmp_ne_u32_e32 vcc_lo, 31, v21
	s_delay_alu instid0(VALU_DEP_3)
	v_add_lshl_u32 v23, v6, v21, 2
	ds_bpermute_b32 v6, v23, v2
	ds_bpermute_b32 v7, v23, v3
	;; [unrolled: 1-line block ×4, first 2 shown]
	s_wait_dscnt 0x2
	v_add_f64_e32 v[2:3], v[2:3], v[6:7]
	s_wait_alu 0xfffd
	v_add_co_ci_u32_e64 v6, null, 0, v21, vcc_lo
	s_wait_dscnt 0x0
	v_add_f64_e32 v[4:5], v[4:5], v[8:9]
	s_delay_alu instid0(VALU_DEP_2)
	v_lshlrev_b32_e32 v24, 2, v6
	ds_bpermute_b32 v6, v24, v2
	ds_bpermute_b32 v7, v24, v3
	;; [unrolled: 1-line block ×4, first 2 shown]
	s_and_saveexec_b32 s5, s2
	s_cbranch_execz .LBB176_19
; %bb.18:                               ;   in Loop: Header=BB176_4 Depth=1
	s_wait_dscnt 0x0
	v_add_f64_e32 v[4:5], v[4:5], v[8:9]
	v_add_f64_e32 v[2:3], v[2:3], v[6:7]
	ds_store_b128 v17, v[2:5]
.LBB176_19:                             ;   in Loop: Header=BB176_4 Depth=1
	s_wait_alu 0xfffe
	s_or_b32 exec_lo, exec_lo, s5
	s_wait_dscnt 0x0
	v_mov_b32_e32 v8, 0
	v_dual_mov_b32 v9, 0 :: v_dual_mov_b32 v6, 0
	v_mov_b32_e32 v7, 0
	s_wait_loadcnt 0x0
	s_barrier_signal -1
	s_barrier_wait -1
	global_inv scope:SCOPE_SE
	s_and_saveexec_b32 s5, s1
	s_cbranch_execnz .LBB176_26
; %bb.20:                               ;   in Loop: Header=BB176_4 Depth=1
	s_wait_alu 0xfffe
	s_or_b32 exec_lo, exec_lo, s5
	s_and_saveexec_b32 s5, s1
	s_cbranch_execnz .LBB176_27
.LBB176_21:                             ;   in Loop: Header=BB176_4 Depth=1
	s_wait_alu 0xfffe
	s_or_b32 exec_lo, exec_lo, s5
                                        ; implicit-def: $vgpr4_vgpr5
	s_and_saveexec_b32 s5, s0
	s_cbranch_execnz .LBB176_28
	s_branch .LBB176_31
.LBB176_22:                             ;   in Loop: Header=BB176_4 Depth=1
	v_mad_co_u64_u32 v[2:3], null, s20, s28, v[10:11]
	v_mov_b32_e32 v5, 0
	v_dual_mov_b32 v6, 0 :: v_dual_mov_b32 v7, 0
	v_mov_b32_e32 v8, 0
	v_mov_b32_e32 v14, v18
	s_mov_b32 s45, 0
	v_mad_co_u64_u32 v[3:4], null, s21, s28, v[3:4]
	v_mov_b32_e32 v4, v0
.LBB176_23:                             ;   Parent Loop BB176_4 Depth=1
                                        ; =>  This Inner Loop Header: Depth=2
	s_delay_alu instid0(VALU_DEP_3) | instskip(NEXT) | instid1(VALU_DEP_2)
	v_ashrrev_i32_e32 v15, 31, v14
	v_add_nc_u32_e32 v4, 0x400, v4
	s_delay_alu instid0(VALU_DEP_2) | instskip(NEXT) | instid1(VALU_DEP_2)
	v_lshlrev_b64_e32 v[22:23], 4, v[14:15]
	v_cmp_le_i32_e64 s5, s22, v4
	v_add_nc_u32_e32 v14, s40, v14
	s_wait_alu 0xfffe
	s_or_b32 s45, s5, s45
	v_add_co_u32 v26, vcc_lo, s38, v22
	s_wait_alu 0xfffd
	v_add_co_ci_u32_e64 v27, null, s39, v23, vcc_lo
	global_load_b128 v[22:25], v[2:3], off offset:-8
	global_load_b128 v[26:29], v[26:27], off
	v_add_co_u32 v2, vcc_lo, 0x4000, v2
	s_wait_alu 0xfffd
	v_add_co_ci_u32_e64 v3, null, 0, v3, vcc_lo
	s_wait_loadcnt 0x0
	v_mul_f64_e32 v[30:31], v[24:25], v[28:29]
	v_mul_f64_e32 v[28:29], v[22:23], v[28:29]
	s_delay_alu instid0(VALU_DEP_2) | instskip(NEXT) | instid1(VALU_DEP_2)
	v_fma_f64 v[22:23], v[22:23], v[26:27], -v[30:31]
	v_fma_f64 v[24:25], v[24:25], v[26:27], v[28:29]
	s_delay_alu instid0(VALU_DEP_2) | instskip(NEXT) | instid1(VALU_DEP_2)
	v_add_f64_e32 v[7:8], v[7:8], v[22:23]
	v_add_f64_e32 v[5:6], v[5:6], v[24:25]
	s_wait_alu 0xfffe
	s_and_not1_b32 exec_lo, exec_lo, s45
	s_cbranch_execnz .LBB176_23
; %bb.24:                               ;   in Loop: Header=BB176_4 Depth=1
	s_or_b32 exec_lo, exec_lo, s45
	s_delay_alu instid0(SALU_CYCLE_1)
	s_or_b32 exec_lo, exec_lo, s44
	s_and_saveexec_b32 s5, s4
	s_cbranch_execz .LBB176_15
.LBB176_25:                             ;   in Loop: Header=BB176_4 Depth=1
	s_mul_u64 s[44:45], s[16:17], s[28:29]
	s_wait_alu 0xfffe
	s_lshl_b64 s[44:45], s[44:45], 4
	s_wait_alu 0xfffe
	v_add_co_u32 v4, vcc_lo, v19, s44
	s_wait_alu 0xfffd
	v_add_co_ci_u32_e64 v9, null, s45, v20, vcc_lo
	v_add_co_u32 v2, vcc_lo, s38, v12
	s_wait_alu 0xfffd
	v_add_co_ci_u32_e64 v3, null, s39, v13, vcc_lo
	;; [unrolled: 3-line block ×3, first 2 shown]
	global_load_b128 v[22:25], v[2:3], off
	global_load_b128 v[26:29], v[14:15], off
	s_wait_loadcnt 0x0
	v_mul_f64_e32 v[2:3], v[28:29], v[24:25]
	v_mul_f64_e32 v[14:15], v[26:27], v[24:25]
	s_delay_alu instid0(VALU_DEP_2) | instskip(NEXT) | instid1(VALU_DEP_2)
	v_fma_f64 v[2:3], v[26:27], v[22:23], -v[2:3]
	v_fma_f64 v[14:15], v[28:29], v[22:23], v[14:15]
	s_delay_alu instid0(VALU_DEP_2) | instskip(NEXT) | instid1(VALU_DEP_2)
	v_add_f64_e32 v[7:8], v[7:8], v[2:3]
	v_add_f64_e32 v[5:6], v[5:6], v[14:15]
	s_or_b32 exec_lo, exec_lo, s5
	s_and_saveexec_b32 s5, s1
	s_cbranch_execnz .LBB176_16
	s_branch .LBB176_17
.LBB176_26:                             ;   in Loop: Header=BB176_4 Depth=1
	ds_load_b128 v[6:9], v16
	s_wait_alu 0xfffe
	s_or_b32 exec_lo, exec_lo, s5
	s_and_saveexec_b32 s5, s1
	s_cbranch_execz .LBB176_21
.LBB176_27:                             ;   in Loop: Header=BB176_4 Depth=1
	s_wait_dscnt 0x0
	ds_bpermute_b32 v2, v14, v6
	ds_bpermute_b32 v3, v14, v7
	ds_bpermute_b32 v4, v14, v8
	ds_bpermute_b32 v5, v14, v9
	s_wait_dscnt 0x2
	v_add_f64_e32 v[2:3], v[6:7], v[2:3]
	s_wait_dscnt 0x0
	v_add_f64_e32 v[4:5], v[8:9], v[4:5]
	ds_bpermute_b32 v6, v15, v2
	ds_bpermute_b32 v7, v15, v3
	ds_bpermute_b32 v8, v15, v4
	ds_bpermute_b32 v9, v15, v5
	s_wait_dscnt 0x2
	v_add_f64_e32 v[2:3], v[2:3], v[6:7]
	s_wait_dscnt 0x0
	v_add_f64_e32 v[4:5], v[4:5], v[8:9]
	;; [unrolled: 8-line block ×5, first 2 shown]
	s_wait_alu 0xfffe
	s_or_b32 exec_lo, exec_lo, s5
                                        ; implicit-def: $vgpr4_vgpr5
	s_and_saveexec_b32 s5, s0
	s_cbranch_execz .LBB176_31
.LBB176_28:                             ;   in Loop: Header=BB176_4 Depth=1
	s_wait_dscnt 0x0
	s_delay_alu instid0(VALU_DEP_1) | instskip(SKIP_2) | instid1(VALU_DEP_2)
	v_mul_f64_e32 v[2:3], s[10:11], v[8:9]
	v_mul_f64_e32 v[4:5], s[8:9], v[8:9]
	s_and_not1_b32 vcc_lo, exec_lo, s43
	v_fma_f64 v[2:3], s[8:9], v[6:7], -v[2:3]
	s_delay_alu instid0(VALU_DEP_2)
	v_fma_f64 v[4:5], s[10:11], v[6:7], v[4:5]
	s_wait_alu 0xfffe
	s_cbranch_vccnz .LBB176_30
; %bb.29:                               ;   in Loop: Header=BB176_4 Depth=1
	s_add_nc_u64 s[38:39], s[36:37], s[24:25]
	global_load_b128 v[6:9], v1, s[38:39]
	s_wait_loadcnt 0x0
	v_mul_f64_e32 v[14:15], s[30:31], v[8:9]
	v_mul_f64_e32 v[8:9], s[14:15], v[8:9]
	s_delay_alu instid0(VALU_DEP_2) | instskip(NEXT) | instid1(VALU_DEP_2)
	v_fma_f64 v[14:15], s[14:15], v[6:7], -v[14:15]
	v_fma_f64 v[6:7], s[30:31], v[6:7], v[8:9]
	s_delay_alu instid0(VALU_DEP_2) | instskip(NEXT) | instid1(VALU_DEP_2)
	v_add_f64_e32 v[2:3], v[2:3], v[14:15]
	v_add_f64_e32 v[4:5], v[4:5], v[6:7]
.LBB176_30:                             ;   in Loop: Header=BB176_4 Depth=1
	s_or_b32 s23, s23, exec_lo
.LBB176_31:                             ;   in Loop: Header=BB176_4 Depth=1
	s_wait_alu 0xfffe
	s_or_b32 exec_lo, exec_lo, s5
.LBB176_32:                             ;   in Loop: Header=BB176_4 Depth=1
	s_wait_alu 0xfffe
	s_and_saveexec_b32 s5, s23
	s_cbranch_execz .LBB176_2
; %bb.33:                               ;   in Loop: Header=BB176_4 Depth=1
	s_add_nc_u64 s[36:37], s[36:37], s[24:25]
	global_store_b128 v1, v[2:5], s[36:37]
	s_branch .LBB176_2
.LBB176_34:
	s_endpgm
	.section	.rodata,"a",@progbits
	.p2align	6, 0x0
	.amdhsa_kernel _ZL32rocblas_gemvt_warp_reduce_kernelILb0ELi1024Ei19rocblas_complex_numIdES1_S1_EviiT3_lPKT2_lT1_lS5_lS6_lS2_lPT4_lS6_li
		.amdhsa_group_segment_fixed_size 512
		.amdhsa_private_segment_fixed_size 0
		.amdhsa_kernarg_size 156
		.amdhsa_user_sgpr_count 2
		.amdhsa_user_sgpr_dispatch_ptr 0
		.amdhsa_user_sgpr_queue_ptr 0
		.amdhsa_user_sgpr_kernarg_segment_ptr 1
		.amdhsa_user_sgpr_dispatch_id 0
		.amdhsa_user_sgpr_private_segment_size 0
		.amdhsa_wavefront_size32 1
		.amdhsa_uses_dynamic_stack 0
		.amdhsa_enable_private_segment 0
		.amdhsa_system_sgpr_workgroup_id_x 1
		.amdhsa_system_sgpr_workgroup_id_y 0
		.amdhsa_system_sgpr_workgroup_id_z 1
		.amdhsa_system_sgpr_workgroup_info 0
		.amdhsa_system_vgpr_workitem_id 0
		.amdhsa_next_free_vgpr 32
		.amdhsa_next_free_sgpr 49
		.amdhsa_reserve_vcc 1
		.amdhsa_float_round_mode_32 0
		.amdhsa_float_round_mode_16_64 0
		.amdhsa_float_denorm_mode_32 3
		.amdhsa_float_denorm_mode_16_64 3
		.amdhsa_fp16_overflow 0
		.amdhsa_workgroup_processor_mode 1
		.amdhsa_memory_ordered 1
		.amdhsa_forward_progress 1
		.amdhsa_inst_pref_size 17
		.amdhsa_round_robin_scheduling 0
		.amdhsa_exception_fp_ieee_invalid_op 0
		.amdhsa_exception_fp_denorm_src 0
		.amdhsa_exception_fp_ieee_div_zero 0
		.amdhsa_exception_fp_ieee_overflow 0
		.amdhsa_exception_fp_ieee_underflow 0
		.amdhsa_exception_fp_ieee_inexact 0
		.amdhsa_exception_int_div_zero 0
	.end_amdhsa_kernel
	.section	.text._ZL32rocblas_gemvt_warp_reduce_kernelILb0ELi1024Ei19rocblas_complex_numIdES1_S1_EviiT3_lPKT2_lT1_lS5_lS6_lS2_lPT4_lS6_li,"axG",@progbits,_ZL32rocblas_gemvt_warp_reduce_kernelILb0ELi1024Ei19rocblas_complex_numIdES1_S1_EviiT3_lPKT2_lT1_lS5_lS6_lS2_lPT4_lS6_li,comdat
.Lfunc_end176:
	.size	_ZL32rocblas_gemvt_warp_reduce_kernelILb0ELi1024Ei19rocblas_complex_numIdES1_S1_EviiT3_lPKT2_lT1_lS5_lS6_lS2_lPT4_lS6_li, .Lfunc_end176-_ZL32rocblas_gemvt_warp_reduce_kernelILb0ELi1024Ei19rocblas_complex_numIdES1_S1_EviiT3_lPKT2_lT1_lS5_lS6_lS2_lPT4_lS6_li
                                        ; -- End function
	.set _ZL32rocblas_gemvt_warp_reduce_kernelILb0ELi1024Ei19rocblas_complex_numIdES1_S1_EviiT3_lPKT2_lT1_lS5_lS6_lS2_lPT4_lS6_li.num_vgpr, 32
	.set _ZL32rocblas_gemvt_warp_reduce_kernelILb0ELi1024Ei19rocblas_complex_numIdES1_S1_EviiT3_lPKT2_lT1_lS5_lS6_lS2_lPT4_lS6_li.num_agpr, 0
	.set _ZL32rocblas_gemvt_warp_reduce_kernelILb0ELi1024Ei19rocblas_complex_numIdES1_S1_EviiT3_lPKT2_lT1_lS5_lS6_lS2_lPT4_lS6_li.numbered_sgpr, 49
	.set _ZL32rocblas_gemvt_warp_reduce_kernelILb0ELi1024Ei19rocblas_complex_numIdES1_S1_EviiT3_lPKT2_lT1_lS5_lS6_lS2_lPT4_lS6_li.num_named_barrier, 0
	.set _ZL32rocblas_gemvt_warp_reduce_kernelILb0ELi1024Ei19rocblas_complex_numIdES1_S1_EviiT3_lPKT2_lT1_lS5_lS6_lS2_lPT4_lS6_li.private_seg_size, 0
	.set _ZL32rocblas_gemvt_warp_reduce_kernelILb0ELi1024Ei19rocblas_complex_numIdES1_S1_EviiT3_lPKT2_lT1_lS5_lS6_lS2_lPT4_lS6_li.uses_vcc, 1
	.set _ZL32rocblas_gemvt_warp_reduce_kernelILb0ELi1024Ei19rocblas_complex_numIdES1_S1_EviiT3_lPKT2_lT1_lS5_lS6_lS2_lPT4_lS6_li.uses_flat_scratch, 0
	.set _ZL32rocblas_gemvt_warp_reduce_kernelILb0ELi1024Ei19rocblas_complex_numIdES1_S1_EviiT3_lPKT2_lT1_lS5_lS6_lS2_lPT4_lS6_li.has_dyn_sized_stack, 0
	.set _ZL32rocblas_gemvt_warp_reduce_kernelILb0ELi1024Ei19rocblas_complex_numIdES1_S1_EviiT3_lPKT2_lT1_lS5_lS6_lS2_lPT4_lS6_li.has_recursion, 0
	.set _ZL32rocblas_gemvt_warp_reduce_kernelILb0ELi1024Ei19rocblas_complex_numIdES1_S1_EviiT3_lPKT2_lT1_lS5_lS6_lS2_lPT4_lS6_li.has_indirect_call, 0
	.section	.AMDGPU.csdata,"",@progbits
; Kernel info:
; codeLenInByte = 2136
; TotalNumSgprs: 51
; NumVgprs: 32
; ScratchSize: 0
; MemoryBound: 0
; FloatMode: 240
; IeeeMode: 1
; LDSByteSize: 512 bytes/workgroup (compile time only)
; SGPRBlocks: 0
; VGPRBlocks: 3
; NumSGPRsForWavesPerEU: 51
; NumVGPRsForWavesPerEU: 32
; Occupancy: 16
; WaveLimiterHint : 1
; COMPUTE_PGM_RSRC2:SCRATCH_EN: 0
; COMPUTE_PGM_RSRC2:USER_SGPR: 2
; COMPUTE_PGM_RSRC2:TRAP_HANDLER: 0
; COMPUTE_PGM_RSRC2:TGID_X_EN: 1
; COMPUTE_PGM_RSRC2:TGID_Y_EN: 0
; COMPUTE_PGM_RSRC2:TGID_Z_EN: 1
; COMPUTE_PGM_RSRC2:TIDIG_COMP_CNT: 0
	.section	.text._ZL32rocblas_gemvt_warp_reduce_kernelILb0ELi1024El19rocblas_complex_numIdES1_S1_EviiT3_lPKT2_lT1_lS5_lS6_lS2_lPT4_lS6_li,"axG",@progbits,_ZL32rocblas_gemvt_warp_reduce_kernelILb0ELi1024El19rocblas_complex_numIdES1_S1_EviiT3_lPKT2_lT1_lS5_lS6_lS2_lPT4_lS6_li,comdat
	.globl	_ZL32rocblas_gemvt_warp_reduce_kernelILb0ELi1024El19rocblas_complex_numIdES1_S1_EviiT3_lPKT2_lT1_lS5_lS6_lS2_lPT4_lS6_li ; -- Begin function _ZL32rocblas_gemvt_warp_reduce_kernelILb0ELi1024El19rocblas_complex_numIdES1_S1_EviiT3_lPKT2_lT1_lS5_lS6_lS2_lPT4_lS6_li
	.p2align	8
	.type	_ZL32rocblas_gemvt_warp_reduce_kernelILb0ELi1024El19rocblas_complex_numIdES1_S1_EviiT3_lPKT2_lT1_lS5_lS6_lS2_lPT4_lS6_li,@function
_ZL32rocblas_gemvt_warp_reduce_kernelILb0ELi1024El19rocblas_complex_numIdES1_S1_EviiT3_lPKT2_lT1_lS5_lS6_lS2_lPT4_lS6_li: ; @_ZL32rocblas_gemvt_warp_reduce_kernelILb0ELi1024El19rocblas_complex_numIdES1_S1_EviiT3_lPKT2_lT1_lS5_lS6_lS2_lPT4_lS6_li
; %bb.0:
	s_load_b32 s33, s[0:1], 0x98
	s_lshr_b32 s6, ttmp7, 16
	s_wait_kmcnt 0x0
	s_cmp_ge_u32 s6, s33
	s_cbranch_scc1 .LBB177_34
; %bb.1:
	s_clause 0x4
	s_load_b512 s[8:23], s[0:1], 0x20
	s_load_b256 s[24:31], s[0:1], 0x78
	s_load_b128 s[36:39], s[0:1], 0x8
	s_load_b128 s[40:43], s[0:1], 0x60
	s_load_b32 s34, s[0:1], 0x0
	v_lshrrev_b32_e32 v7, 1, v0
	s_mov_b32 s2, ttmp9
	s_ashr_i32 s3, ttmp9, 31
	v_dual_mov_b32 v1, 0 :: v_dual_and_b32 v6, 31, v0
	v_cmp_eq_u32_e64 s0, 0, v0
	v_cmp_gt_u32_e64 s1, 32, v0
	v_mbcnt_lo_u32_b32 v22, -1, 0
	s_mov_b32 s7, 0
	v_lshlrev_b32_e32 v20, 4, v6
	v_and_b32_e32 v21, 0x1f0, v7
	s_wait_kmcnt 0x0
	v_mad_co_u64_u32 v[2:3], null, s20, v0, 0
	v_cmp_neq_f64_e64 s35, s[36:37], 0
	v_cmp_neq_f64_e64 s46, s[38:39], 0
	v_cmp_neq_f64_e64 s47, s[40:41], 1.0
	v_cmp_gt_i32_e32 vcc_lo, s34, v0
	v_cmp_neq_f64_e64 s48, s[42:43], 0
	v_cmp_neq_f64_e64 s49, s[40:41], 0
	s_lshl_b64 s[4:5], s[18:19], 4
	s_mul_u64 s[44:45], s[28:29], s[2:3]
	v_cndmask_b32_e32 v4, 0, v0, vcc_lo
	s_ashr_i32 s28, s34, 31
	s_lshl_b64 s[18:19], s[26:27], 4
	s_lshl_b64 s[26:27], s[10:11], 4
	s_mul_u64 s[2:3], s[12:13], s[2:3]
	v_lshlrev_b32_e32 v8, 4, v4
	v_mad_co_u64_u32 v[3:4], null, s21, v0, v[3:4]
	s_add_nc_u64 s[10:11], s[16:17], s[4:5]
	s_lshr_b32 s16, s28, 22
	s_add_nc_u64 s[12:13], s[24:25], s[18:19]
	s_lshl_b64 s[18:19], s[2:3], 4
	s_add_co_i32 s2, s34, s16
	s_add_nc_u64 s[4:5], s[8:9], s[26:27]
	s_and_b32 s16, s2, 0xfffffc00
	v_add_co_u32 v10, s3, s4, v8
	v_or_b32_e32 v9, s16, v0
	v_lshlrev_b64_e32 v[2:3], 4, v[2:3]
	v_add_co_ci_u32_e64 v11, null, s5, 0, s3
	s_delay_alu instid0(VALU_DEP_4) | instskip(NEXT) | instid1(VALU_DEP_4)
	v_add_co_u32 v18, vcc_lo, v10, s18
	v_mul_lo_u32 v12, s21, v9
	v_mad_co_u64_u32 v[4:5], null, s20, v9, 0
	s_wait_alu 0xfffd
	v_add_co_ci_u32_e64 v19, null, s19, v11, vcc_lo
	v_add_co_u32 v2, vcc_lo, s10, v2
	s_add_nc_u64 s[18:19], s[18:19], s[26:27]
	s_ashr_i32 s17, s16, 31
	s_wait_alu 0xfffd
	v_add_co_ci_u32_e64 v3, null, s11, v3, vcc_lo
	s_wait_alu 0xfffe
	s_add_nc_u64 s[8:9], s[8:9], s[18:19]
	s_mul_i32 s4, s20, s17
	v_add_co_u32 v10, vcc_lo, v2, 8
	v_add_co_u32 v2, s8, s8, v8
	s_wait_alu 0xfffe
	v_add3_u32 v5, v5, s4, v12
	s_wait_alu 0xfffd
	v_add_co_ci_u32_e64 v11, null, 0, v3, vcc_lo
	s_wait_alu 0xf1ff
	v_add_co_ci_u32_e64 v3, null, s9, 0, s8
	v_add_co_u32 v12, vcc_lo, v2, 8
	s_or_b32 s5, s35, s46
	v_lshlrev_b64_e32 v[14:15], 4, v[4:5]
	v_cmp_gt_i32_e64 s2, s16, v0
	v_cmp_gt_i32_e64 s3, s34, v9
	v_cmp_eq_u32_e64 s4, 0, v6
	s_wait_alu 0xfffd
	v_add_co_ci_u32_e64 v13, null, 0, v3, vcc_lo
	s_wait_alu 0xfffe
	s_or_b32 s24, s5, s47
	s_lshl_b64 s[8:9], s[22:23], 4
	s_or_b32 s28, s24, s48
	s_xor_b32 s29, s5, -1
	s_or_b32 s34, s49, s48
	s_lshl_b64 s[18:19], s[20:21], 14
	s_lshl_b64 s[20:21], s[14:15], 4
	;; [unrolled: 1-line block ×3, first 2 shown]
	s_branch .LBB177_4
.LBB177_2:                              ;   in Loop: Header=BB177_4 Depth=1
	s_wait_alu 0xfffe
	s_or_b32 exec_lo, exec_lo, s5
.LBB177_3:                              ;   in Loop: Header=BB177_4 Depth=1
	s_add_co_i32 s6, s6, 0x10000
	s_wait_alu 0xfffe
	s_cmp_lt_u32 s6, s33
	s_cbranch_scc0 .LBB177_34
.LBB177_4:                              ; =>This Loop Header: Depth=1
                                        ;     Child Loop BB177_23 Depth 2
	s_and_not1_b32 vcc_lo, exec_lo, s28
	s_wait_alu 0xfffe
	s_cbranch_vccnz .LBB177_3
; %bb.5:                                ;   in Loop: Header=BB177_4 Depth=1
	s_mul_u64 s[26:27], s[30:31], s[6:7]
	s_and_not1_b32 vcc_lo, exec_lo, s29
	s_lshl_b64 s[26:27], s[26:27], 4
	s_delay_alu instid0(SALU_CYCLE_1)
	s_add_nc_u64 s[26:27], s[12:13], s[26:27]
	s_wait_alu 0xfffe
	s_cbranch_vccnz .LBB177_9
; %bb.6:                                ;   in Loop: Header=BB177_4 Depth=1
	s_mov_b32 s5, 0
	s_mov_b32 s35, 0
                                        ; implicit-def: $vgpr4_vgpr5
	s_and_saveexec_b32 s44, s0
	s_cbranch_execz .LBB177_10
; %bb.7:                                ;   in Loop: Header=BB177_4 Depth=1
	s_and_not1_b32 vcc_lo, exec_lo, s34
	s_wait_alu 0xfffe
	s_cbranch_vccnz .LBB177_11
; %bb.8:                                ;   in Loop: Header=BB177_4 Depth=1
	s_add_nc_u64 s[46:47], s[26:27], s[24:25]
	s_wait_dscnt 0x0
	global_load_b128 v[4:7], v1, s[46:47]
	s_wait_loadcnt 0x0
	v_mul_f64_e32 v[2:3], s[42:43], v[6:7]
	v_mul_f64_e32 v[6:7], s[40:41], v[6:7]
	s_delay_alu instid0(VALU_DEP_2) | instskip(NEXT) | instid1(VALU_DEP_2)
	v_fma_f64 v[2:3], s[40:41], v[4:5], -v[2:3]
	v_fma_f64 v[4:5], s[42:43], v[4:5], v[6:7]
	s_branch .LBB177_12
.LBB177_9:                              ;   in Loop: Header=BB177_4 Depth=1
	s_mov_b32 s35, 0
                                        ; implicit-def: $vgpr4_vgpr5
	s_cbranch_execnz .LBB177_13
	s_branch .LBB177_32
.LBB177_10:                             ;   in Loop: Header=BB177_4 Depth=1
	s_wait_alu 0xfffe
	s_or_b32 exec_lo, exec_lo, s44
	s_delay_alu instid0(SALU_CYCLE_1)
	s_and_b32 vcc_lo, exec_lo, s5
	s_wait_alu 0xfffe
	s_cbranch_vccnz .LBB177_13
	s_branch .LBB177_32
.LBB177_11:                             ;   in Loop: Header=BB177_4 Depth=1
	v_mov_b32_e32 v4, 0
	v_dual_mov_b32 v5, 0 :: v_dual_mov_b32 v2, 0
	v_mov_b32_e32 v3, 0
.LBB177_12:                             ;   in Loop: Header=BB177_4 Depth=1
	s_mov_b32 s35, exec_lo
	s_or_b32 exec_lo, exec_lo, s44
	s_delay_alu instid0(SALU_CYCLE_1)
	s_and_b32 vcc_lo, exec_lo, s5
	s_wait_alu 0xfffe
	s_cbranch_vccz .LBB177_32
.LBB177_13:                             ;   in Loop: Header=BB177_4 Depth=1
	s_wait_dscnt 0x0
	v_mov_b32_e32 v5, 0
	v_dual_mov_b32 v6, 0 :: v_dual_mov_b32 v7, 0
	v_mov_b32_e32 v8, 0
	s_and_saveexec_b32 s44, s2
	s_cbranch_execnz .LBB177_22
; %bb.14:                               ;   in Loop: Header=BB177_4 Depth=1
	s_wait_alu 0xfffe
	s_or_b32 exec_lo, exec_lo, s44
	s_and_saveexec_b32 s5, s3
	s_cbranch_execnz .LBB177_25
.LBB177_15:                             ;   in Loop: Header=BB177_4 Depth=1
	s_wait_alu 0xfffe
	s_or_b32 exec_lo, exec_lo, s5
	s_and_saveexec_b32 s5, s1
.LBB177_16:                             ;   in Loop: Header=BB177_4 Depth=1
	v_dual_mov_b32 v2, v1 :: v_dual_mov_b32 v3, v1
	v_mov_b32_e32 v4, v1
	ds_store_b128 v20, v[1:4]
.LBB177_17:                             ;   in Loop: Header=BB177_4 Depth=1
	s_wait_alu 0xfffe
	s_or_b32 exec_lo, exec_lo, s5
	v_lshl_or_b32 v16, v22, 2, 64
	v_cmp_gt_u32_e32 vcc_lo, 24, v22
	s_wait_dscnt 0x0
	s_barrier_signal -1
	s_barrier_wait -1
	ds_bpermute_b32 v2, v16, v7
	ds_bpermute_b32 v3, v16, v8
	ds_bpermute_b32 v23, v16, v5
	ds_bpermute_b32 v24, v16, v6
	s_wait_dscnt 0x0
	global_inv scope:SCOPE_SE
	v_add_f64_e32 v[2:3], v[7:8], v[2:3]
	v_add_f64_e32 v[4:5], v[5:6], v[23:24]
	s_wait_alu 0xfffd
	v_cndmask_b32_e64 v6, 0, 8, vcc_lo
	v_cmp_gt_u32_e32 vcc_lo, 28, v22
	s_delay_alu instid0(VALU_DEP_2)
	v_add_lshl_u32 v17, v6, v22, 2
	ds_bpermute_b32 v6, v17, v2
	ds_bpermute_b32 v7, v17, v3
	;; [unrolled: 1-line block ×4, first 2 shown]
	s_wait_dscnt 0x2
	v_add_f64_e32 v[2:3], v[2:3], v[6:7]
	s_wait_alu 0xfffd
	v_cndmask_b32_e64 v6, 0, 4, vcc_lo
	s_wait_dscnt 0x0
	v_add_f64_e32 v[4:5], v[4:5], v[8:9]
	v_cmp_gt_u32_e32 vcc_lo, 30, v22
	s_delay_alu instid0(VALU_DEP_3)
	v_add_lshl_u32 v23, v6, v22, 2
	ds_bpermute_b32 v6, v23, v2
	ds_bpermute_b32 v7, v23, v3
	;; [unrolled: 1-line block ×4, first 2 shown]
	s_wait_dscnt 0x2
	v_add_f64_e32 v[2:3], v[2:3], v[6:7]
	s_wait_alu 0xfffd
	v_cndmask_b32_e64 v6, 0, 2, vcc_lo
	s_wait_dscnt 0x0
	v_add_f64_e32 v[4:5], v[4:5], v[8:9]
	v_cmp_ne_u32_e32 vcc_lo, 31, v22
	s_delay_alu instid0(VALU_DEP_3)
	v_add_lshl_u32 v24, v6, v22, 2
	ds_bpermute_b32 v6, v24, v2
	ds_bpermute_b32 v7, v24, v3
	;; [unrolled: 1-line block ×4, first 2 shown]
	s_wait_dscnt 0x2
	v_add_f64_e32 v[2:3], v[2:3], v[6:7]
	s_wait_alu 0xfffd
	v_add_co_ci_u32_e64 v6, null, 0, v22, vcc_lo
	s_wait_dscnt 0x0
	v_add_f64_e32 v[4:5], v[4:5], v[8:9]
	s_delay_alu instid0(VALU_DEP_2)
	v_lshlrev_b32_e32 v25, 2, v6
	ds_bpermute_b32 v6, v25, v2
	ds_bpermute_b32 v7, v25, v3
	ds_bpermute_b32 v8, v25, v4
	ds_bpermute_b32 v9, v25, v5
	s_and_saveexec_b32 s5, s4
	s_cbranch_execz .LBB177_19
; %bb.18:                               ;   in Loop: Header=BB177_4 Depth=1
	s_wait_dscnt 0x0
	v_add_f64_e32 v[4:5], v[4:5], v[8:9]
	v_add_f64_e32 v[2:3], v[2:3], v[6:7]
	ds_store_b128 v21, v[2:5]
.LBB177_19:                             ;   in Loop: Header=BB177_4 Depth=1
	s_wait_alu 0xfffe
	s_or_b32 exec_lo, exec_lo, s5
	s_wait_dscnt 0x0
	v_mov_b32_e32 v8, 0
	v_dual_mov_b32 v9, 0 :: v_dual_mov_b32 v6, 0
	v_mov_b32_e32 v7, 0
	s_wait_loadcnt 0x0
	s_barrier_signal -1
	s_barrier_wait -1
	global_inv scope:SCOPE_SE
	s_and_saveexec_b32 s5, s1
	s_cbranch_execnz .LBB177_26
; %bb.20:                               ;   in Loop: Header=BB177_4 Depth=1
	s_wait_alu 0xfffe
	s_or_b32 exec_lo, exec_lo, s5
	s_and_saveexec_b32 s5, s1
	s_cbranch_execnz .LBB177_27
.LBB177_21:                             ;   in Loop: Header=BB177_4 Depth=1
	s_wait_alu 0xfffe
	s_or_b32 exec_lo, exec_lo, s5
                                        ; implicit-def: $vgpr4_vgpr5
	s_and_saveexec_b32 s5, s0
	s_cbranch_execnz .LBB177_28
	s_branch .LBB177_31
.LBB177_22:                             ;   in Loop: Header=BB177_4 Depth=1
	v_mad_co_u64_u32 v[16:17], null, s20, s6, v[12:13]
	v_mad_co_u64_u32 v[2:3], null, s8, s6, v[10:11]
	s_mov_b32 s45, 0
	v_dual_mov_b32 v7, 0 :: v_dual_mov_b32 v4, v17
	s_delay_alu instid0(VALU_DEP_1) | instskip(SKIP_3) | instid1(VALU_DEP_4)
	v_mad_co_u64_u32 v[23:24], null, s9, s6, v[3:4]
	v_mad_co_u64_u32 v[4:5], null, s21, s6, v[4:5]
	v_mov_b32_e32 v5, 0
	v_mov_b32_e32 v6, 0
	v_dual_mov_b32 v8, 0 :: v_dual_mov_b32 v3, v23
	s_delay_alu instid0(VALU_DEP_4)
	v_dual_mov_b32 v17, v4 :: v_dual_mov_b32 v4, v0
.LBB177_23:                             ;   Parent Loop BB177_4 Depth=1
                                        ; =>  This Inner Loop Header: Depth=2
	global_load_b128 v[23:26], v[16:17], off offset:-8
	global_load_b128 v[27:30], v[2:3], off offset:-8
	v_add_nc_u32_e32 v4, 0x400, v4
	v_add_co_u32 v2, vcc_lo, v2, s18
	s_wait_alu 0xfffd
	v_add_co_ci_u32_e64 v3, null, s19, v3, vcc_lo
	s_delay_alu instid0(VALU_DEP_3)
	v_cmp_le_i32_e32 vcc_lo, s16, v4
	v_add_co_u32 v16, s5, 0x4000, v16
	s_wait_alu 0xf1ff
	v_add_co_ci_u32_e64 v17, null, 0, v17, s5
	s_wait_alu 0xfffe
	s_or_b32 s45, vcc_lo, s45
	s_wait_loadcnt 0x0
	v_mul_f64_e32 v[31:32], v[25:26], v[29:30]
	v_mul_f64_e32 v[29:30], v[23:24], v[29:30]
	s_delay_alu instid0(VALU_DEP_2) | instskip(NEXT) | instid1(VALU_DEP_2)
	v_fma_f64 v[23:24], v[23:24], v[27:28], -v[31:32]
	v_fma_f64 v[25:26], v[25:26], v[27:28], v[29:30]
	s_delay_alu instid0(VALU_DEP_2) | instskip(NEXT) | instid1(VALU_DEP_2)
	v_add_f64_e32 v[7:8], v[7:8], v[23:24]
	v_add_f64_e32 v[5:6], v[5:6], v[25:26]
	s_wait_alu 0xfffe
	s_and_not1_b32 exec_lo, exec_lo, s45
	s_cbranch_execnz .LBB177_23
; %bb.24:                               ;   in Loop: Header=BB177_4 Depth=1
	s_or_b32 exec_lo, exec_lo, s45
	s_delay_alu instid0(SALU_CYCLE_1)
	s_or_b32 exec_lo, exec_lo, s44
	s_and_saveexec_b32 s5, s3
	s_cbranch_execz .LBB177_15
.LBB177_25:                             ;   in Loop: Header=BB177_4 Depth=1
	s_mul_u64 s[44:45], s[14:15], s[6:7]
	s_mul_u64 s[46:47], s[22:23], s[6:7]
	s_wait_alu 0xfffe
	s_lshl_b64 s[44:45], s[44:45], 4
	s_lshl_b64 s[46:47], s[46:47], 4
	s_wait_alu 0xfffe
	v_add_co_u32 v4, vcc_lo, v18, s44
	s_wait_alu 0xfffd
	v_add_co_ci_u32_e64 v9, null, s45, v19, vcc_lo
	s_add_nc_u64 s[44:45], s[10:11], s[46:47]
	s_lshl_b64 s[46:47], s[16:17], 4
	s_wait_alu 0xfffe
	v_add_co_u32 v2, vcc_lo, s44, v14
	s_wait_alu 0xfffd
	v_add_co_ci_u32_e64 v3, null, s45, v15, vcc_lo
	v_add_co_u32 v16, vcc_lo, v4, s46
	s_wait_alu 0xfffd
	v_add_co_ci_u32_e64 v17, null, s47, v9, vcc_lo
	global_load_b128 v[23:26], v[2:3], off
	global_load_b128 v[27:30], v[16:17], off
	s_wait_loadcnt 0x0
	v_mul_f64_e32 v[2:3], v[29:30], v[25:26]
	v_mul_f64_e32 v[16:17], v[27:28], v[25:26]
	s_delay_alu instid0(VALU_DEP_2) | instskip(NEXT) | instid1(VALU_DEP_2)
	v_fma_f64 v[2:3], v[27:28], v[23:24], -v[2:3]
	v_fma_f64 v[16:17], v[29:30], v[23:24], v[16:17]
	s_delay_alu instid0(VALU_DEP_2) | instskip(NEXT) | instid1(VALU_DEP_2)
	v_add_f64_e32 v[7:8], v[7:8], v[2:3]
	v_add_f64_e32 v[5:6], v[5:6], v[16:17]
	s_or_b32 exec_lo, exec_lo, s5
	s_and_saveexec_b32 s5, s1
	s_cbranch_execnz .LBB177_16
	s_branch .LBB177_17
.LBB177_26:                             ;   in Loop: Header=BB177_4 Depth=1
	ds_load_b128 v[6:9], v20
	s_wait_alu 0xfffe
	s_or_b32 exec_lo, exec_lo, s5
	s_and_saveexec_b32 s5, s1
	s_cbranch_execz .LBB177_21
.LBB177_27:                             ;   in Loop: Header=BB177_4 Depth=1
	s_wait_dscnt 0x0
	ds_bpermute_b32 v2, v16, v6
	ds_bpermute_b32 v3, v16, v7
	ds_bpermute_b32 v4, v16, v8
	ds_bpermute_b32 v5, v16, v9
	s_wait_dscnt 0x2
	v_add_f64_e32 v[2:3], v[6:7], v[2:3]
	s_wait_dscnt 0x0
	v_add_f64_e32 v[4:5], v[8:9], v[4:5]
	ds_bpermute_b32 v6, v17, v2
	ds_bpermute_b32 v7, v17, v3
	ds_bpermute_b32 v8, v17, v4
	ds_bpermute_b32 v9, v17, v5
	s_wait_dscnt 0x2
	v_add_f64_e32 v[2:3], v[2:3], v[6:7]
	s_wait_dscnt 0x0
	v_add_f64_e32 v[4:5], v[4:5], v[8:9]
	;; [unrolled: 8-line block ×5, first 2 shown]
	s_wait_alu 0xfffe
	s_or_b32 exec_lo, exec_lo, s5
                                        ; implicit-def: $vgpr4_vgpr5
	s_and_saveexec_b32 s5, s0
	s_cbranch_execz .LBB177_31
.LBB177_28:                             ;   in Loop: Header=BB177_4 Depth=1
	s_wait_dscnt 0x0
	s_delay_alu instid0(VALU_DEP_1) | instskip(SKIP_2) | instid1(VALU_DEP_2)
	v_mul_f64_e32 v[2:3], s[38:39], v[8:9]
	v_mul_f64_e32 v[4:5], s[36:37], v[8:9]
	s_and_not1_b32 vcc_lo, exec_lo, s34
	v_fma_f64 v[2:3], s[36:37], v[6:7], -v[2:3]
	s_delay_alu instid0(VALU_DEP_2)
	v_fma_f64 v[4:5], s[38:39], v[6:7], v[4:5]
	s_wait_alu 0xfffe
	s_cbranch_vccnz .LBB177_30
; %bb.29:                               ;   in Loop: Header=BB177_4 Depth=1
	s_add_nc_u64 s[44:45], s[26:27], s[24:25]
	global_load_b128 v[6:9], v1, s[44:45]
	s_wait_loadcnt 0x0
	v_mul_f64_e32 v[16:17], s[42:43], v[8:9]
	v_mul_f64_e32 v[8:9], s[40:41], v[8:9]
	s_delay_alu instid0(VALU_DEP_2) | instskip(NEXT) | instid1(VALU_DEP_2)
	v_fma_f64 v[16:17], s[40:41], v[6:7], -v[16:17]
	v_fma_f64 v[6:7], s[42:43], v[6:7], v[8:9]
	s_delay_alu instid0(VALU_DEP_2) | instskip(NEXT) | instid1(VALU_DEP_2)
	v_add_f64_e32 v[2:3], v[2:3], v[16:17]
	v_add_f64_e32 v[4:5], v[4:5], v[6:7]
.LBB177_30:                             ;   in Loop: Header=BB177_4 Depth=1
	s_or_b32 s35, s35, exec_lo
.LBB177_31:                             ;   in Loop: Header=BB177_4 Depth=1
	s_wait_alu 0xfffe
	s_or_b32 exec_lo, exec_lo, s5
.LBB177_32:                             ;   in Loop: Header=BB177_4 Depth=1
	s_wait_alu 0xfffe
	s_and_saveexec_b32 s5, s35
	s_cbranch_execz .LBB177_2
; %bb.33:                               ;   in Loop: Header=BB177_4 Depth=1
	s_add_nc_u64 s[26:27], s[26:27], s[24:25]
	global_store_b128 v1, v[2:5], s[26:27]
	s_branch .LBB177_2
.LBB177_34:
	s_endpgm
	.section	.rodata,"a",@progbits
	.p2align	6, 0x0
	.amdhsa_kernel _ZL32rocblas_gemvt_warp_reduce_kernelILb0ELi1024El19rocblas_complex_numIdES1_S1_EviiT3_lPKT2_lT1_lS5_lS6_lS2_lPT4_lS6_li
		.amdhsa_group_segment_fixed_size 512
		.amdhsa_private_segment_fixed_size 0
		.amdhsa_kernarg_size 156
		.amdhsa_user_sgpr_count 2
		.amdhsa_user_sgpr_dispatch_ptr 0
		.amdhsa_user_sgpr_queue_ptr 0
		.amdhsa_user_sgpr_kernarg_segment_ptr 1
		.amdhsa_user_sgpr_dispatch_id 0
		.amdhsa_user_sgpr_private_segment_size 0
		.amdhsa_wavefront_size32 1
		.amdhsa_uses_dynamic_stack 0
		.amdhsa_enable_private_segment 0
		.amdhsa_system_sgpr_workgroup_id_x 1
		.amdhsa_system_sgpr_workgroup_id_y 0
		.amdhsa_system_sgpr_workgroup_id_z 1
		.amdhsa_system_sgpr_workgroup_info 0
		.amdhsa_system_vgpr_workitem_id 0
		.amdhsa_next_free_vgpr 33
		.amdhsa_next_free_sgpr 50
		.amdhsa_reserve_vcc 1
		.amdhsa_float_round_mode_32 0
		.amdhsa_float_round_mode_16_64 0
		.amdhsa_float_denorm_mode_32 3
		.amdhsa_float_denorm_mode_16_64 3
		.amdhsa_fp16_overflow 0
		.amdhsa_workgroup_processor_mode 1
		.amdhsa_memory_ordered 1
		.amdhsa_forward_progress 1
		.amdhsa_inst_pref_size 17
		.amdhsa_round_robin_scheduling 0
		.amdhsa_exception_fp_ieee_invalid_op 0
		.amdhsa_exception_fp_denorm_src 0
		.amdhsa_exception_fp_ieee_div_zero 0
		.amdhsa_exception_fp_ieee_overflow 0
		.amdhsa_exception_fp_ieee_underflow 0
		.amdhsa_exception_fp_ieee_inexact 0
		.amdhsa_exception_int_div_zero 0
	.end_amdhsa_kernel
	.section	.text._ZL32rocblas_gemvt_warp_reduce_kernelILb0ELi1024El19rocblas_complex_numIdES1_S1_EviiT3_lPKT2_lT1_lS5_lS6_lS2_lPT4_lS6_li,"axG",@progbits,_ZL32rocblas_gemvt_warp_reduce_kernelILb0ELi1024El19rocblas_complex_numIdES1_S1_EviiT3_lPKT2_lT1_lS5_lS6_lS2_lPT4_lS6_li,comdat
.Lfunc_end177:
	.size	_ZL32rocblas_gemvt_warp_reduce_kernelILb0ELi1024El19rocblas_complex_numIdES1_S1_EviiT3_lPKT2_lT1_lS5_lS6_lS2_lPT4_lS6_li, .Lfunc_end177-_ZL32rocblas_gemvt_warp_reduce_kernelILb0ELi1024El19rocblas_complex_numIdES1_S1_EviiT3_lPKT2_lT1_lS5_lS6_lS2_lPT4_lS6_li
                                        ; -- End function
	.set _ZL32rocblas_gemvt_warp_reduce_kernelILb0ELi1024El19rocblas_complex_numIdES1_S1_EviiT3_lPKT2_lT1_lS5_lS6_lS2_lPT4_lS6_li.num_vgpr, 33
	.set _ZL32rocblas_gemvt_warp_reduce_kernelILb0ELi1024El19rocblas_complex_numIdES1_S1_EviiT3_lPKT2_lT1_lS5_lS6_lS2_lPT4_lS6_li.num_agpr, 0
	.set _ZL32rocblas_gemvt_warp_reduce_kernelILb0ELi1024El19rocblas_complex_numIdES1_S1_EviiT3_lPKT2_lT1_lS5_lS6_lS2_lPT4_lS6_li.numbered_sgpr, 50
	.set _ZL32rocblas_gemvt_warp_reduce_kernelILb0ELi1024El19rocblas_complex_numIdES1_S1_EviiT3_lPKT2_lT1_lS5_lS6_lS2_lPT4_lS6_li.num_named_barrier, 0
	.set _ZL32rocblas_gemvt_warp_reduce_kernelILb0ELi1024El19rocblas_complex_numIdES1_S1_EviiT3_lPKT2_lT1_lS5_lS6_lS2_lPT4_lS6_li.private_seg_size, 0
	.set _ZL32rocblas_gemvt_warp_reduce_kernelILb0ELi1024El19rocblas_complex_numIdES1_S1_EviiT3_lPKT2_lT1_lS5_lS6_lS2_lPT4_lS6_li.uses_vcc, 1
	.set _ZL32rocblas_gemvt_warp_reduce_kernelILb0ELi1024El19rocblas_complex_numIdES1_S1_EviiT3_lPKT2_lT1_lS5_lS6_lS2_lPT4_lS6_li.uses_flat_scratch, 0
	.set _ZL32rocblas_gemvt_warp_reduce_kernelILb0ELi1024El19rocblas_complex_numIdES1_S1_EviiT3_lPKT2_lT1_lS5_lS6_lS2_lPT4_lS6_li.has_dyn_sized_stack, 0
	.set _ZL32rocblas_gemvt_warp_reduce_kernelILb0ELi1024El19rocblas_complex_numIdES1_S1_EviiT3_lPKT2_lT1_lS5_lS6_lS2_lPT4_lS6_li.has_recursion, 0
	.set _ZL32rocblas_gemvt_warp_reduce_kernelILb0ELi1024El19rocblas_complex_numIdES1_S1_EviiT3_lPKT2_lT1_lS5_lS6_lS2_lPT4_lS6_li.has_indirect_call, 0
	.section	.AMDGPU.csdata,"",@progbits
; Kernel info:
; codeLenInByte = 2168
; TotalNumSgprs: 52
; NumVgprs: 33
; ScratchSize: 0
; MemoryBound: 0
; FloatMode: 240
; IeeeMode: 1
; LDSByteSize: 512 bytes/workgroup (compile time only)
; SGPRBlocks: 0
; VGPRBlocks: 4
; NumSGPRsForWavesPerEU: 52
; NumVGPRsForWavesPerEU: 33
; Occupancy: 16
; WaveLimiterHint : 1
; COMPUTE_PGM_RSRC2:SCRATCH_EN: 0
; COMPUTE_PGM_RSRC2:USER_SGPR: 2
; COMPUTE_PGM_RSRC2:TRAP_HANDLER: 0
; COMPUTE_PGM_RSRC2:TGID_X_EN: 1
; COMPUTE_PGM_RSRC2:TGID_Y_EN: 0
; COMPUTE_PGM_RSRC2:TGID_Z_EN: 1
; COMPUTE_PGM_RSRC2:TIDIG_COMP_CNT: 0
	.section	.text._ZL22rocblas_gemvtsm_kernelILb1ELi256E19rocblas_complex_numIdEPKS1_S1_EviiT2_lPKT1_lilS7_lilS4_lPT3_lil,"axG",@progbits,_ZL22rocblas_gemvtsm_kernelILb1ELi256E19rocblas_complex_numIdEPKS1_S1_EviiT2_lPKT1_lilS7_lilS4_lPT3_lil,comdat
	.globl	_ZL22rocblas_gemvtsm_kernelILb1ELi256E19rocblas_complex_numIdEPKS1_S1_EviiT2_lPKT1_lilS7_lilS4_lPT3_lil ; -- Begin function _ZL22rocblas_gemvtsm_kernelILb1ELi256E19rocblas_complex_numIdEPKS1_S1_EviiT2_lPKT1_lilS7_lilS4_lPT3_lil
	.p2align	8
	.type	_ZL22rocblas_gemvtsm_kernelILb1ELi256E19rocblas_complex_numIdEPKS1_S1_EviiT2_lPKT1_lilS7_lilS4_lPT3_lil,@function
_ZL22rocblas_gemvtsm_kernelILb1ELi256E19rocblas_complex_numIdEPKS1_S1_EviiT2_lPKT1_lilS7_lilS4_lPT3_lil: ; @_ZL22rocblas_gemvtsm_kernelILb1ELi256E19rocblas_complex_numIdEPKS1_S1_EviiT2_lPKT1_lilS7_lilS4_lPT3_lil
; %bb.0:
	s_load_b256 s[4:11], s[0:1], 0x8
	s_mov_b32 s34, ttmp9
	s_mov_b32 s35, 0
	s_wait_kmcnt 0x0
	s_mul_u64 s[2:3], s[6:7], s[34:35]
	s_delay_alu instid0(SALU_CYCLE_1) | instskip(NEXT) | instid1(SALU_CYCLE_1)
	s_lshl_b64 s[2:3], s[2:3], 4
	s_add_nc_u64 s[2:3], s[4:5], s[2:3]
	s_load_b128 s[20:23], s[2:3], 0x0
	s_load_b256 s[12:19], s[0:1], 0x50
	s_wait_kmcnt 0x0
	v_cmp_neq_f64_e64 s24, s[20:21], 0
	v_cmp_neq_f64_e64 s25, s[22:23], 0
	s_mul_u64 s[2:3], s[16:17], s[34:35]
	s_delay_alu instid0(SALU_CYCLE_1) | instskip(NEXT) | instid1(SALU_CYCLE_1)
	s_lshl_b64 s[2:3], s[2:3], 4
	s_add_nc_u64 s[2:3], s[14:15], s[2:3]
	s_load_b128 s[4:7], s[2:3], 0x0
	s_mov_b32 s2, -1
	s_or_b32 s14, s24, s25
	s_delay_alu instid0(SALU_CYCLE_1)
	s_and_b32 vcc_lo, exec_lo, s14
	s_cbranch_vccnz .LBB178_2
; %bb.1:
	s_wait_kmcnt 0x0
	v_cmp_neq_f64_e64 s2, s[4:5], 1.0
	v_cmp_neq_f64_e64 s3, s[6:7], 0
	s_or_b32 s2, s2, s3
.LBB178_2:
	s_delay_alu instid0(SALU_CYCLE_1)
	s_and_not1_b32 vcc_lo, exec_lo, s2
	s_cbranch_vccnz .LBB178_36
; %bb.3:
	s_clause 0x2
	s_load_b64 s[16:17], s[0:1], 0x80
	s_load_b96 s[28:30], s[0:1], 0x70
	s_load_b64 s[2:3], s[0:1], 0x0
	s_xor_b32 s14, s14, -1
	s_delay_alu instid0(SALU_CYCLE_1)
	s_and_not1_b32 vcc_lo, exec_lo, s14
	s_wait_kmcnt 0x0
	s_mul_u64 s[14:15], s[16:17], s[34:35]
	s_mov_b32 s16, -1
	s_cbranch_vccnz .LBB178_18
; %bb.4:
	v_cmp_neq_f64_e64 s16, s[4:5], 0
	v_cmp_neq_f64_e64 s17, s[6:7], 0
	s_or_b32 s16, s16, s17
	s_cmp_gt_i32 s3, 0
	s_cselect_b32 s24, -1, 0
	s_and_b32 vcc_lo, exec_lo, s16
	s_mov_b32 s16, -1
	s_cbranch_vccnz .LBB178_11
; %bb.5:
	s_and_not1_b32 vcc_lo, exec_lo, s24
	s_cbranch_vccnz .LBB178_10
; %bb.6:
	v_mad_co_i64_i32 v[1:2], null, s30, v0, 0
	s_lshl_b64 s[16:17], s[28:29], 4
	s_lshl_b64 s[26:27], s[14:15], 4
	s_add_nc_u64 s[16:17], s[18:19], s[16:17]
	s_ashr_i32 s37, s30, 31
	s_add_nc_u64 s[16:17], s[16:17], s[26:27]
	s_mov_b32 s36, s30
	v_lshlrev_b64_e32 v[1:2], 4, v[1:2]
	s_mov_b32 s25, 0
	s_delay_alu instid0(VALU_DEP_1) | instskip(NEXT) | instid1(VALU_DEP_1)
	v_add_co_u32 v1, vcc_lo, s16, v1
	v_add_co_ci_u32_e64 v2, null, s17, v2, vcc_lo
	s_lshl_b64 s[16:17], s[36:37], 12
	v_add_co_u32 v5, vcc_lo, v1, 8
	s_wait_alu 0xfffd
	v_add_co_ci_u32_e64 v6, null, 0, v2, vcc_lo
	v_mov_b32_e32 v1, 0
	s_branch .LBB178_8
.LBB178_7:                              ;   in Loop: Header=BB178_8 Depth=1
	s_or_b32 exec_lo, exec_lo, s26
	s_wait_alu 0xfffe
	v_add_co_u32 v5, vcc_lo, v5, s16
	s_wait_alu 0xfffd
	v_add_co_ci_u32_e64 v6, null, s17, v6, vcc_lo
	s_addk_co_i32 s25, 0x100
	s_wait_alu 0xfffe
	s_cmp_ge_i32 s25, s3
	s_cbranch_scc1 .LBB178_10
.LBB178_8:                              ; =>This Inner Loop Header: Depth=1
	v_add_nc_u32_e32 v2, s25, v0
	s_mov_b32 s26, exec_lo
	s_delay_alu instid0(VALU_DEP_1)
	v_cmpx_gt_i32_e64 s3, v2
	s_cbranch_execz .LBB178_7
; %bb.9:                                ;   in Loop: Header=BB178_8 Depth=1
	v_dual_mov_b32 v2, v1 :: v_dual_mov_b32 v3, v1
	v_mov_b32_e32 v4, v1
	global_store_b128 v[5:6], v[1:4], off offset:-8
	s_branch .LBB178_7
.LBB178_10:
	s_mov_b32 s16, 0
.LBB178_11:
	s_wait_alu 0xfffe
	s_and_not1_b32 vcc_lo, exec_lo, s16
	s_wait_alu 0xfffe
	s_cbranch_vccnz .LBB178_17
; %bb.12:
	s_and_not1_b32 vcc_lo, exec_lo, s24
	s_wait_alu 0xfffe
	s_cbranch_vccnz .LBB178_17
; %bb.13:
	v_mad_co_i64_i32 v[1:2], null, s30, v0, 0
	s_lshl_b64 s[16:17], s[28:29], 4
	s_lshl_b64 s[24:25], s[14:15], 4
	s_wait_alu 0xfffe
	s_add_nc_u64 s[16:17], s[18:19], s[16:17]
	s_ashr_i32 s27, s30, 31
	s_wait_alu 0xfffe
	s_add_nc_u64 s[16:17], s[16:17], s[24:25]
	s_mov_b32 s26, s30
	v_lshlrev_b64_e32 v[1:2], 4, v[1:2]
	s_mov_b32 s24, 0
	s_wait_alu 0xfffe
	s_delay_alu instid0(VALU_DEP_1) | instskip(SKIP_1) | instid1(VALU_DEP_2)
	v_add_co_u32 v1, vcc_lo, s16, v1
	s_wait_alu 0xfffd
	v_add_co_ci_u32_e64 v2, null, s17, v2, vcc_lo
	s_lshl_b64 s[16:17], s[26:27], 12
	v_add_co_u32 v1, vcc_lo, v1, 8
	s_wait_alu 0xfffd
	v_add_co_ci_u32_e64 v2, null, 0, v2, vcc_lo
	s_branch .LBB178_15
.LBB178_14:                             ;   in Loop: Header=BB178_15 Depth=1
	s_wait_alu 0xfffe
	s_or_b32 exec_lo, exec_lo, s25
	v_add_co_u32 v1, vcc_lo, v1, s16
	s_wait_alu 0xfffd
	v_add_co_ci_u32_e64 v2, null, s17, v2, vcc_lo
	s_addk_co_i32 s24, 0x100
	s_wait_alu 0xfffe
	s_cmp_ge_i32 s24, s3
	s_cbranch_scc1 .LBB178_17
.LBB178_15:                             ; =>This Inner Loop Header: Depth=1
	v_add_nc_u32_e32 v3, s24, v0
	s_mov_b32 s25, exec_lo
	s_delay_alu instid0(VALU_DEP_1)
	v_cmpx_gt_i32_e64 s3, v3
	s_cbranch_execz .LBB178_14
; %bb.16:                               ;   in Loop: Header=BB178_15 Depth=1
	global_load_b128 v[3:6], v[1:2], off offset:-8
	s_wait_loadcnt 0x0
	v_mul_f64_e32 v[7:8], s[6:7], v[5:6]
	v_mul_f64_e32 v[9:10], s[4:5], v[5:6]
	s_delay_alu instid0(VALU_DEP_2) | instskip(NEXT) | instid1(VALU_DEP_2)
	v_fma_f64 v[5:6], s[4:5], v[3:4], -v[7:8]
	v_fma_f64 v[7:8], s[6:7], v[3:4], v[9:10]
	global_store_b128 v[1:2], v[5:8], off offset:-8
	s_branch .LBB178_14
.LBB178_17:
	s_mov_b32 s16, 0
.LBB178_18:
	s_wait_alu 0xfffe
	s_and_not1_b32 vcc_lo, exec_lo, s16
	s_wait_alu 0xfffe
	s_cbranch_vccnz .LBB178_36
; %bb.19:
	s_clause 0x1
	s_load_b128 s[24:27], s[0:1], 0x30
	s_load_b64 s[16:17], s[0:1], 0x40
	s_mov_b32 s31, exec_lo
	v_cmpx_gt_i32_e64 s2, v0
	s_cbranch_execz .LBB178_21
; %bb.20:
	s_load_b32 s33, s[0:1], 0x48
	s_mul_u64 s[12:13], s[12:13], s[34:35]
	s_wait_kmcnt 0x0
	s_lshl_b64 s[16:17], s[16:17], 4
	s_lshl_b64 s[12:13], s[12:13], 4
	s_delay_alu instid0(SALU_CYCLE_1) | instskip(SKIP_3) | instid1(VALU_DEP_1)
	s_add_nc_u64 s[12:13], s[26:27], s[12:13]
	s_wait_alu 0xfffe
	s_add_nc_u64 s[12:13], s[12:13], s[16:17]
	v_mad_co_i64_i32 v[1:2], null, s33, v0, 0
	v_lshlrev_b64_e32 v[1:2], 4, v[1:2]
	s_delay_alu instid0(VALU_DEP_1) | instskip(SKIP_1) | instid1(VALU_DEP_2)
	v_add_co_u32 v1, vcc_lo, s12, v1
	s_wait_alu 0xfffd
	v_add_co_ci_u32_e64 v2, null, s13, v2, vcc_lo
	global_load_b128 v[1:4], v[1:2], off
	s_wait_loadcnt 0x0
	v_mul_f64_e32 v[5:6], s[22:23], v[3:4]
	v_mul_f64_e32 v[7:8], s[20:21], v[3:4]
	s_delay_alu instid0(VALU_DEP_2) | instskip(NEXT) | instid1(VALU_DEP_2)
	v_fma_f64 v[3:4], s[20:21], v[1:2], -v[5:6]
	v_fma_f64 v[5:6], s[22:23], v[1:2], v[7:8]
	v_lshlrev_b32_e32 v1, 4, v0
	ds_store_b128 v1, v[3:6]
.LBB178_21:
	s_wait_alu 0xfffe
	s_or_b32 exec_lo, exec_lo, s31
	s_cmp_lt_i32 s3, 1
	s_wait_storecnt_dscnt 0x0
	s_barrier_signal -1
	s_barrier_wait -1
	global_inv scope:SCOPE_SE
	s_cbranch_scc1 .LBB178_36
; %bb.22:
	s_wait_kmcnt 0x0
	v_cmp_neq_f64_e64 s16, s[4:5], 0
	v_cmp_neq_f64_e64 s17, s[6:7], 0
	s_load_b32 s20, s[0:1], 0x28
	s_lshl_b64 s[0:1], s[14:15], 4
	s_lshl_b64 s[22:23], s[28:29], 4
	s_ashr_i32 s12, s30, 31
	s_mul_u64 s[24:25], s[24:25], s[34:35]
	s_add_nc_u64 s[0:1], s[18:19], s[0:1]
	s_mov_b32 s13, s30
	s_wait_alu 0xfffe
	s_add_nc_u64 s[0:1], s[0:1], s[22:23]
	s_mov_b32 s19, 0
	s_wait_kmcnt 0x0
	s_ashr_i32 s21, s20, 31
	v_mad_co_i64_i32 v[1:2], null, s20, v0, 0
	s_delay_alu instid0(VALU_DEP_1)
	v_lshlrev_b64_e32 v[1:2], 4, v[1:2]
	s_or_b32 s14, s16, s17
	s_cmp_gt_i32 s2, 0
	s_cselect_b32 s15, -1, 0
	s_and_b32 s16, s2, 7
	s_cmp_gt_u32 s2, 7
	s_cselect_b32 s17, -1, 0
	s_and_b32 s2, s2, 0x7ffffff8
	s_wait_alu 0xfffe
	s_cmp_lg_u32 s16, 0
	s_cselect_b32 s18, -1, 0
	s_lshl_b64 s[10:11], s[10:11], 4
	s_lshl_b64 s[22:23], s[24:25], 4
	s_add_nc_u64 s[8:9], s[8:9], s[10:11]
	s_lshl_b64 s[10:11], s[20:21], 12
	s_wait_alu 0xfffe
	s_add_nc_u64 s[8:9], s[8:9], s[22:23]
	s_delay_alu instid0(SALU_CYCLE_1)
	v_add_co_u32 v11, vcc_lo, s8, v1
	s_wait_alu 0xfffd
	v_add_co_ci_u32_e64 v12, null, s9, v2, vcc_lo
	s_mov_b32 s9, 0
	v_add_co_u32 v5, vcc_lo, 0x78, v11
	s_wait_alu 0xfffd
	v_add_co_ci_u32_e64 v6, null, 0, v12, vcc_lo
	s_branch .LBB178_25
.LBB178_23:                             ;   in Loop: Header=BB178_25 Depth=1
	v_add_co_u32 v7, vcc_lo, s0, v7
	s_wait_alu 0xfffd
	v_add_co_ci_u32_e64 v8, null, s1, v8, vcc_lo
	global_store_b128 v[7:8], v[1:4], off
.LBB178_24:                             ;   in Loop: Header=BB178_25 Depth=1
	s_wait_alu 0xfffe
	s_or_b32 exec_lo, exec_lo, s20
	v_add_co_u32 v5, vcc_lo, v5, s10
	s_wait_alu 0xfffd
	v_add_co_ci_u32_e64 v6, null, s11, v6, vcc_lo
	v_add_co_u32 v11, vcc_lo, v11, s10
	s_wait_alu 0xfffd
	v_add_co_ci_u32_e64 v12, null, s11, v12, vcc_lo
	s_addk_co_i32 s19, 0x100
	s_wait_alu 0xfffe
	s_cmp_ge_i32 s19, s3
	s_cbranch_scc1 .LBB178_36
.LBB178_25:                             ; =>This Loop Header: Depth=1
                                        ;     Child Loop BB178_31 Depth 2
                                        ;     Child Loop BB178_35 Depth 2
	v_add_nc_u32_e32 v1, s19, v0
	s_mov_b32 s20, exec_lo
	s_delay_alu instid0(VALU_DEP_1)
	v_cmpx_gt_i32_e64 s3, v1
	s_cbranch_execz .LBB178_24
; %bb.26:                               ;   in Loop: Header=BB178_25 Depth=1
	v_mad_co_u64_u32 v[3:4], null, v1, s13, 0
	s_and_not1_b32 vcc_lo, exec_lo, s14
	v_mov_b32_e32 v2, v4
	s_delay_alu instid0(VALU_DEP_1) | instskip(NEXT) | instid1(VALU_DEP_1)
	v_mad_co_u64_u32 v[1:2], null, v1, s12, v[2:3]
	v_dual_mov_b32 v4, v1 :: v_dual_mov_b32 v1, 0
	v_mov_b32_e32 v2, 0
	s_delay_alu instid0(VALU_DEP_2)
	v_lshlrev_b64_e32 v[7:8], 4, v[3:4]
	v_mov_b32_e32 v3, 0
	v_mov_b32_e32 v4, 0
	s_wait_alu 0xfffe
	s_cbranch_vccnz .LBB178_28
; %bb.27:                               ;   in Loop: Header=BB178_25 Depth=1
	s_delay_alu instid0(VALU_DEP_3)
	v_add_co_u32 v1, vcc_lo, s0, v7
	s_wait_alu 0xfffd
	v_add_co_ci_u32_e64 v2, null, s1, v8, vcc_lo
	global_load_b128 v[13:16], v[1:2], off
	s_wait_loadcnt 0x0
	v_mul_f64_e32 v[1:2], s[6:7], v[15:16]
	v_mul_f64_e32 v[3:4], s[4:5], v[15:16]
	s_delay_alu instid0(VALU_DEP_2) | instskip(NEXT) | instid1(VALU_DEP_2)
	v_fma_f64 v[1:2], s[4:5], v[13:14], -v[1:2]
	v_fma_f64 v[3:4], s[6:7], v[13:14], v[3:4]
.LBB178_28:                             ;   in Loop: Header=BB178_25 Depth=1
	s_and_not1_b32 vcc_lo, exec_lo, s15
	s_wait_alu 0xfffe
	s_cbranch_vccnz .LBB178_23
; %bb.29:                               ;   in Loop: Header=BB178_25 Depth=1
	s_and_not1_b32 vcc_lo, exec_lo, s17
	s_mov_b32 s8, 0
	s_wait_alu 0xfffe
	s_cbranch_vccnz .LBB178_33
; %bb.30:                               ;   in Loop: Header=BB178_25 Depth=1
	v_dual_mov_b32 v10, v6 :: v_dual_mov_b32 v9, v5
	s_mov_b32 s21, 0
.LBB178_31:                             ;   Parent Loop BB178_25 Depth=1
                                        ; =>  This Inner Loop Header: Depth=2
	s_clause 0x7
	global_load_b128 v[13:16], v[9:10], off offset:-120
	global_load_b128 v[17:20], v[9:10], off offset:-104
	;; [unrolled: 1-line block ×8, first 2 shown]
	v_mov_b32_e32 v61, s8
	v_add_co_u32 v9, vcc_lo, 0x80, v9
	s_wait_alu 0xfffd
	v_add_co_ci_u32_e64 v10, null, 0, v10, vcc_lo
	ds_load_b128 v[45:48], v61
	ds_load_b128 v[49:52], v61 offset:16
	s_wait_alu 0xfffe
	s_add_co_i32 s21, s21, 8
	s_addk_co_i32 s8, 0x80
	s_wait_alu 0xfffe
	s_cmp_eq_u32 s2, s21
	s_wait_loadcnt_dscnt 0x701
	v_mul_f64_e32 v[53:54], v[15:16], v[47:48]
	v_mul_f64_e32 v[15:16], v[15:16], v[45:46]
	s_wait_loadcnt_dscnt 0x600
	v_mul_f64_e32 v[55:56], v[19:20], v[51:52]
	v_mul_f64_e32 v[19:20], v[19:20], v[49:50]
	s_delay_alu instid0(VALU_DEP_4) | instskip(NEXT) | instid1(VALU_DEP_4)
	v_fma_f64 v[53:54], v[13:14], v[45:46], v[53:54]
	v_fma_f64 v[57:58], v[13:14], v[47:48], -v[15:16]
	ds_load_b128 v[13:16], v61 offset:32
	ds_load_b128 v[45:48], v61 offset:48
	v_fma_f64 v[49:50], v[17:18], v[49:50], v[55:56]
	v_fma_f64 v[17:18], v[17:18], v[51:52], -v[19:20]
	s_wait_loadcnt_dscnt 0x501
	v_mul_f64_e32 v[59:60], v[23:24], v[15:16]
	v_mul_f64_e32 v[23:24], v[23:24], v[13:14]
	s_wait_loadcnt_dscnt 0x400
	v_mul_f64_e32 v[19:20], v[27:28], v[47:48]
	v_mul_f64_e32 v[27:28], v[27:28], v[45:46]
	v_add_f64_e32 v[1:2], v[1:2], v[53:54]
	v_add_f64_e32 v[3:4], v[3:4], v[57:58]
	v_fma_f64 v[51:52], v[21:22], v[13:14], v[59:60]
	v_fma_f64 v[21:22], v[21:22], v[15:16], -v[23:24]
	v_fma_f64 v[19:20], v[25:26], v[45:46], v[19:20]
	v_fma_f64 v[25:26], v[25:26], v[47:48], -v[27:28]
	v_add_f64_e32 v[23:24], v[1:2], v[49:50]
	v_add_f64_e32 v[17:18], v[3:4], v[17:18]
	ds_load_b128 v[1:4], v61 offset:64
	ds_load_b128 v[13:16], v61 offset:80
	s_wait_loadcnt_dscnt 0x301
	v_mul_f64_e32 v[49:50], v[31:32], v[3:4]
	v_mul_f64_e32 v[31:32], v[31:32], v[1:2]
	s_wait_loadcnt_dscnt 0x200
	v_mul_f64_e32 v[27:28], v[35:36], v[13:14]
	v_add_f64_e32 v[23:24], v[23:24], v[51:52]
	v_add_f64_e32 v[17:18], v[17:18], v[21:22]
	v_mul_f64_e32 v[21:22], v[35:36], v[15:16]
	v_fma_f64 v[35:36], v[29:30], v[1:2], v[49:50]
	v_fma_f64 v[29:30], v[29:30], v[3:4], -v[31:32]
	v_fma_f64 v[15:16], v[33:34], v[15:16], -v[27:28]
	v_add_f64_e32 v[23:24], v[23:24], v[19:20]
	v_add_f64_e32 v[25:26], v[17:18], v[25:26]
	ds_load_b128 v[1:4], v61 offset:96
	ds_load_b128 v[17:20], v61 offset:112
	v_fma_f64 v[13:14], v[33:34], v[13:14], v[21:22]
	s_wait_loadcnt_dscnt 0x101
	v_mul_f64_e32 v[31:32], v[39:40], v[3:4]
	v_mul_f64_e32 v[39:40], v[39:40], v[1:2]
	s_wait_loadcnt_dscnt 0x0
	v_mul_f64_e32 v[27:28], v[43:44], v[17:18]
	v_add_f64_e32 v[21:22], v[23:24], v[35:36]
	v_add_f64_e32 v[23:24], v[25:26], v[29:30]
	v_mul_f64_e32 v[25:26], v[43:44], v[19:20]
	v_fma_f64 v[1:2], v[37:38], v[1:2], v[31:32]
	v_fma_f64 v[3:4], v[37:38], v[3:4], -v[39:40]
	v_fma_f64 v[19:20], v[41:42], v[19:20], -v[27:28]
	v_add_f64_e32 v[13:14], v[21:22], v[13:14]
	v_add_f64_e32 v[15:16], v[23:24], v[15:16]
	v_fma_f64 v[17:18], v[41:42], v[17:18], v[25:26]
	s_delay_alu instid0(VALU_DEP_3) | instskip(NEXT) | instid1(VALU_DEP_3)
	v_add_f64_e32 v[1:2], v[13:14], v[1:2]
	v_add_f64_e32 v[3:4], v[15:16], v[3:4]
	s_delay_alu instid0(VALU_DEP_2) | instskip(NEXT) | instid1(VALU_DEP_2)
	v_add_f64_e32 v[1:2], v[1:2], v[17:18]
	v_add_f64_e32 v[3:4], v[3:4], v[19:20]
	s_cbranch_scc0 .LBB178_31
; %bb.32:                               ;   in Loop: Header=BB178_25 Depth=1
	s_mov_b32 s8, s2
.LBB178_33:                             ;   in Loop: Header=BB178_25 Depth=1
	s_and_not1_b32 vcc_lo, exec_lo, s18
	s_wait_alu 0xfffe
	s_cbranch_vccnz .LBB178_23
; %bb.34:                               ;   in Loop: Header=BB178_25 Depth=1
	s_lshl_b64 s[22:23], s[8:9], 4
	s_lshl_b32 s8, s8, 4
	s_wait_alu 0xfffe
	v_add_co_u32 v9, vcc_lo, v11, s22
	s_wait_alu 0xfffd
	v_add_co_ci_u32_e64 v10, null, s23, v12, vcc_lo
	s_mov_b32 s21, s16
.LBB178_35:                             ;   Parent Loop BB178_25 Depth=1
                                        ; =>  This Inner Loop Header: Depth=2
	global_load_b128 v[13:16], v[9:10], off
	v_mov_b32_e32 v17, s8
	v_add_co_u32 v9, vcc_lo, v9, 16
	s_wait_alu 0xfffd
	v_add_co_ci_u32_e64 v10, null, 0, v10, vcc_lo
	ds_load_b128 v[17:20], v17
	s_wait_alu 0xfffe
	s_add_co_i32 s21, s21, -1
	s_add_co_i32 s8, s8, 16
	s_wait_alu 0xfffe
	s_cmp_lg_u32 s21, 0
	s_wait_loadcnt_dscnt 0x0
	v_mul_f64_e32 v[21:22], v[15:16], v[19:20]
	v_mul_f64_e32 v[15:16], v[15:16], v[17:18]
	s_delay_alu instid0(VALU_DEP_2) | instskip(NEXT) | instid1(VALU_DEP_2)
	v_fma_f64 v[17:18], v[13:14], v[17:18], v[21:22]
	v_fma_f64 v[13:14], v[13:14], v[19:20], -v[15:16]
	s_delay_alu instid0(VALU_DEP_2) | instskip(NEXT) | instid1(VALU_DEP_2)
	v_add_f64_e32 v[1:2], v[1:2], v[17:18]
	v_add_f64_e32 v[3:4], v[3:4], v[13:14]
	s_cbranch_scc1 .LBB178_35
	s_branch .LBB178_23
.LBB178_36:
	s_endpgm
	.section	.rodata,"a",@progbits
	.p2align	6, 0x0
	.amdhsa_kernel _ZL22rocblas_gemvtsm_kernelILb1ELi256E19rocblas_complex_numIdEPKS1_S1_EviiT2_lPKT1_lilS7_lilS4_lPT3_lil
		.amdhsa_group_segment_fixed_size 1024
		.amdhsa_private_segment_fixed_size 0
		.amdhsa_kernarg_size 136
		.amdhsa_user_sgpr_count 2
		.amdhsa_user_sgpr_dispatch_ptr 0
		.amdhsa_user_sgpr_queue_ptr 0
		.amdhsa_user_sgpr_kernarg_segment_ptr 1
		.amdhsa_user_sgpr_dispatch_id 0
		.amdhsa_user_sgpr_private_segment_size 0
		.amdhsa_wavefront_size32 1
		.amdhsa_uses_dynamic_stack 0
		.amdhsa_enable_private_segment 0
		.amdhsa_system_sgpr_workgroup_id_x 1
		.amdhsa_system_sgpr_workgroup_id_y 0
		.amdhsa_system_sgpr_workgroup_id_z 0
		.amdhsa_system_sgpr_workgroup_info 0
		.amdhsa_system_vgpr_workitem_id 0
		.amdhsa_next_free_vgpr 62
		.amdhsa_next_free_sgpr 38
		.amdhsa_reserve_vcc 1
		.amdhsa_float_round_mode_32 0
		.amdhsa_float_round_mode_16_64 0
		.amdhsa_float_denorm_mode_32 3
		.amdhsa_float_denorm_mode_16_64 3
		.amdhsa_fp16_overflow 0
		.amdhsa_workgroup_processor_mode 1
		.amdhsa_memory_ordered 1
		.amdhsa_forward_progress 1
		.amdhsa_inst_pref_size 17
		.amdhsa_round_robin_scheduling 0
		.amdhsa_exception_fp_ieee_invalid_op 0
		.amdhsa_exception_fp_denorm_src 0
		.amdhsa_exception_fp_ieee_div_zero 0
		.amdhsa_exception_fp_ieee_overflow 0
		.amdhsa_exception_fp_ieee_underflow 0
		.amdhsa_exception_fp_ieee_inexact 0
		.amdhsa_exception_int_div_zero 0
	.end_amdhsa_kernel
	.section	.text._ZL22rocblas_gemvtsm_kernelILb1ELi256E19rocblas_complex_numIdEPKS1_S1_EviiT2_lPKT1_lilS7_lilS4_lPT3_lil,"axG",@progbits,_ZL22rocblas_gemvtsm_kernelILb1ELi256E19rocblas_complex_numIdEPKS1_S1_EviiT2_lPKT1_lilS7_lilS4_lPT3_lil,comdat
.Lfunc_end178:
	.size	_ZL22rocblas_gemvtsm_kernelILb1ELi256E19rocblas_complex_numIdEPKS1_S1_EviiT2_lPKT1_lilS7_lilS4_lPT3_lil, .Lfunc_end178-_ZL22rocblas_gemvtsm_kernelILb1ELi256E19rocblas_complex_numIdEPKS1_S1_EviiT2_lPKT1_lilS7_lilS4_lPT3_lil
                                        ; -- End function
	.set _ZL22rocblas_gemvtsm_kernelILb1ELi256E19rocblas_complex_numIdEPKS1_S1_EviiT2_lPKT1_lilS7_lilS4_lPT3_lil.num_vgpr, 62
	.set _ZL22rocblas_gemvtsm_kernelILb1ELi256E19rocblas_complex_numIdEPKS1_S1_EviiT2_lPKT1_lilS7_lilS4_lPT3_lil.num_agpr, 0
	.set _ZL22rocblas_gemvtsm_kernelILb1ELi256E19rocblas_complex_numIdEPKS1_S1_EviiT2_lPKT1_lilS7_lilS4_lPT3_lil.numbered_sgpr, 38
	.set _ZL22rocblas_gemvtsm_kernelILb1ELi256E19rocblas_complex_numIdEPKS1_S1_EviiT2_lPKT1_lilS7_lilS4_lPT3_lil.num_named_barrier, 0
	.set _ZL22rocblas_gemvtsm_kernelILb1ELi256E19rocblas_complex_numIdEPKS1_S1_EviiT2_lPKT1_lilS7_lilS4_lPT3_lil.private_seg_size, 0
	.set _ZL22rocblas_gemvtsm_kernelILb1ELi256E19rocblas_complex_numIdEPKS1_S1_EviiT2_lPKT1_lilS7_lilS4_lPT3_lil.uses_vcc, 1
	.set _ZL22rocblas_gemvtsm_kernelILb1ELi256E19rocblas_complex_numIdEPKS1_S1_EviiT2_lPKT1_lilS7_lilS4_lPT3_lil.uses_flat_scratch, 0
	.set _ZL22rocblas_gemvtsm_kernelILb1ELi256E19rocblas_complex_numIdEPKS1_S1_EviiT2_lPKT1_lilS7_lilS4_lPT3_lil.has_dyn_sized_stack, 0
	.set _ZL22rocblas_gemvtsm_kernelILb1ELi256E19rocblas_complex_numIdEPKS1_S1_EviiT2_lPKT1_lilS7_lilS4_lPT3_lil.has_recursion, 0
	.set _ZL22rocblas_gemvtsm_kernelILb1ELi256E19rocblas_complex_numIdEPKS1_S1_EviiT2_lPKT1_lilS7_lilS4_lPT3_lil.has_indirect_call, 0
	.section	.AMDGPU.csdata,"",@progbits
; Kernel info:
; codeLenInByte = 2128
; TotalNumSgprs: 40
; NumVgprs: 62
; ScratchSize: 0
; MemoryBound: 0
; FloatMode: 240
; IeeeMode: 1
; LDSByteSize: 1024 bytes/workgroup (compile time only)
; SGPRBlocks: 0
; VGPRBlocks: 7
; NumSGPRsForWavesPerEU: 40
; NumVGPRsForWavesPerEU: 62
; Occupancy: 16
; WaveLimiterHint : 1
; COMPUTE_PGM_RSRC2:SCRATCH_EN: 0
; COMPUTE_PGM_RSRC2:USER_SGPR: 2
; COMPUTE_PGM_RSRC2:TRAP_HANDLER: 0
; COMPUTE_PGM_RSRC2:TGID_X_EN: 1
; COMPUTE_PGM_RSRC2:TGID_Y_EN: 0
; COMPUTE_PGM_RSRC2:TGID_Z_EN: 0
; COMPUTE_PGM_RSRC2:TIDIG_COMP_CNT: 0
	.section	.text._ZL22rocblas_gemvtsm_kernelILb1ELi256E19rocblas_complex_numIdES1_S1_EviiT2_lPKT1_lilS5_lilS2_lPT3_lil,"axG",@progbits,_ZL22rocblas_gemvtsm_kernelILb1ELi256E19rocblas_complex_numIdES1_S1_EviiT2_lPKT1_lilS5_lilS2_lPT3_lil,comdat
	.globl	_ZL22rocblas_gemvtsm_kernelILb1ELi256E19rocblas_complex_numIdES1_S1_EviiT2_lPKT1_lilS5_lilS2_lPT3_lil ; -- Begin function _ZL22rocblas_gemvtsm_kernelILb1ELi256E19rocblas_complex_numIdES1_S1_EviiT2_lPKT1_lilS5_lilS2_lPT3_lil
	.p2align	8
	.type	_ZL22rocblas_gemvtsm_kernelILb1ELi256E19rocblas_complex_numIdES1_S1_EviiT2_lPKT1_lilS5_lilS2_lPT3_lil,@function
_ZL22rocblas_gemvtsm_kernelILb1ELi256E19rocblas_complex_numIdES1_S1_EviiT2_lPKT1_lilS5_lilS2_lPT3_lil: ; @_ZL22rocblas_gemvtsm_kernelILb1ELi256E19rocblas_complex_numIdES1_S1_EviiT2_lPKT1_lilS5_lilS2_lPT3_lil
; %bb.0:
	s_clause 0x2
	s_load_b128 s[12:15], s[0:1], 0x8
	s_load_b128 s[4:7], s[0:1], 0x58
	s_load_b64 s[2:3], s[0:1], 0x68
	s_wait_kmcnt 0x0
	v_cmp_neq_f64_e64 s8, s[12:13], 0
	v_cmp_neq_f64_e64 s9, s[14:15], 0
	s_or_b32 s16, s8, s9
	s_mov_b32 s8, -1
	s_and_b32 vcc_lo, exec_lo, s16
	s_cbranch_vccnz .LBB179_2
; %bb.1:
	v_cmp_neq_f64_e64 s8, s[6:7], 1.0
	v_cmp_neq_f64_e64 s9, s[2:3], 0
	s_or_b32 s8, s8, s9
.LBB179_2:
	s_delay_alu instid0(SALU_CYCLE_1)
	s_and_not1_b32 vcc_lo, exec_lo, s8
	s_cbranch_vccnz .LBB179_36
; %bb.3:
	s_clause 0x3
	s_load_b64 s[18:19], s[0:1], 0x90
	s_load_b32 s20, s[0:1], 0x88
	s_load_b64 s[22:23], s[0:1], 0x0
	s_load_b128 s[8:11], s[0:1], 0x78
	s_mov_b32 s24, ttmp9
	s_xor_b32 s16, s16, -1
	s_mov_b32 s25, 0
	s_and_not1_b32 vcc_lo, exec_lo, s16
	s_mov_b32 s16, -1
	s_wait_kmcnt 0x0
	s_mul_u64 s[26:27], s[18:19], s[24:25]
	s_cbranch_vccnz .LBB179_18
; %bb.4:
	v_cmp_neq_f64_e64 s16, s[6:7], 0
	v_cmp_neq_f64_e64 s17, s[2:3], 0
	s_or_b32 s16, s16, s17
	s_cmp_gt_i32 s23, 0
	s_cselect_b32 s18, -1, 0
	s_and_b32 vcc_lo, exec_lo, s16
	s_mov_b32 s16, -1
	s_cbranch_vccnz .LBB179_11
; %bb.5:
	s_and_not1_b32 vcc_lo, exec_lo, s18
	s_cbranch_vccnz .LBB179_10
; %bb.6:
	v_mad_co_i64_i32 v[1:2], null, s20, v0, 0
	s_lshl_b64 s[16:17], s[10:11], 4
	s_lshl_b64 s[28:29], s[26:27], 4
	s_add_nc_u64 s[16:17], s[8:9], s[16:17]
	s_ashr_i32 s21, s20, 31
	s_add_nc_u64 s[16:17], s[16:17], s[28:29]
	s_mov_b32 s19, 0
	v_lshlrev_b64_e32 v[1:2], 4, v[1:2]
	s_delay_alu instid0(VALU_DEP_1) | instskip(NEXT) | instid1(VALU_DEP_1)
	v_add_co_u32 v1, vcc_lo, s16, v1
	v_add_co_ci_u32_e64 v2, null, s17, v2, vcc_lo
	s_wait_alu 0xfffe
	s_lshl_b64 s[16:17], s[20:21], 12
	s_delay_alu instid0(VALU_DEP_2)
	v_add_co_u32 v5, vcc_lo, v1, 8
	s_wait_alu 0xfffd
	v_add_co_ci_u32_e64 v6, null, 0, v2, vcc_lo
	v_mov_b32_e32 v1, 0
	s_branch .LBB179_8
.LBB179_7:                              ;   in Loop: Header=BB179_8 Depth=1
	s_wait_alu 0xfffe
	s_or_b32 exec_lo, exec_lo, s21
	v_add_co_u32 v5, vcc_lo, v5, s16
	s_wait_alu 0xfffd
	v_add_co_ci_u32_e64 v6, null, s17, v6, vcc_lo
	s_addk_co_i32 s19, 0x100
	s_wait_alu 0xfffe
	s_cmp_ge_i32 s19, s23
	s_cbranch_scc1 .LBB179_10
.LBB179_8:                              ; =>This Inner Loop Header: Depth=1
	v_add_nc_u32_e32 v2, s19, v0
	s_mov_b32 s21, exec_lo
	s_delay_alu instid0(VALU_DEP_1)
	v_cmpx_gt_i32_e64 s23, v2
	s_cbranch_execz .LBB179_7
; %bb.9:                                ;   in Loop: Header=BB179_8 Depth=1
	v_dual_mov_b32 v2, v1 :: v_dual_mov_b32 v3, v1
	v_mov_b32_e32 v4, v1
	global_store_b128 v[5:6], v[1:4], off offset:-8
	s_branch .LBB179_7
.LBB179_10:
	s_mov_b32 s16, 0
.LBB179_11:
	s_wait_alu 0xfffe
	s_and_not1_b32 vcc_lo, exec_lo, s16
	s_wait_alu 0xfffe
	s_cbranch_vccnz .LBB179_17
; %bb.12:
	s_and_not1_b32 vcc_lo, exec_lo, s18
	s_wait_alu 0xfffe
	s_cbranch_vccnz .LBB179_17
; %bb.13:
	v_mad_co_i64_i32 v[1:2], null, s20, v0, 0
	s_lshl_b64 s[16:17], s[10:11], 4
	s_lshl_b64 s[18:19], s[26:27], 4
	s_wait_alu 0xfffe
	s_add_nc_u64 s[16:17], s[8:9], s[16:17]
	s_ashr_i32 s21, s20, 31
	s_wait_alu 0xfffe
	s_add_nc_u64 s[16:17], s[16:17], s[18:19]
	s_mov_b32 s18, 0
	v_lshlrev_b64_e32 v[1:2], 4, v[1:2]
	s_wait_alu 0xfffe
	s_delay_alu instid0(VALU_DEP_1) | instskip(SKIP_1) | instid1(VALU_DEP_2)
	v_add_co_u32 v1, vcc_lo, s16, v1
	s_wait_alu 0xfffd
	v_add_co_ci_u32_e64 v2, null, s17, v2, vcc_lo
	s_lshl_b64 s[16:17], s[20:21], 12
	v_add_co_u32 v1, vcc_lo, v1, 8
	s_wait_alu 0xfffd
	v_add_co_ci_u32_e64 v2, null, 0, v2, vcc_lo
	s_branch .LBB179_15
.LBB179_14:                             ;   in Loop: Header=BB179_15 Depth=1
	s_wait_alu 0xfffe
	s_or_b32 exec_lo, exec_lo, s19
	v_add_co_u32 v1, vcc_lo, v1, s16
	s_wait_alu 0xfffd
	v_add_co_ci_u32_e64 v2, null, s17, v2, vcc_lo
	s_addk_co_i32 s18, 0x100
	s_wait_alu 0xfffe
	s_cmp_ge_i32 s18, s23
	s_cbranch_scc1 .LBB179_17
.LBB179_15:                             ; =>This Inner Loop Header: Depth=1
	v_add_nc_u32_e32 v3, s18, v0
	s_mov_b32 s19, exec_lo
	s_delay_alu instid0(VALU_DEP_1)
	v_cmpx_gt_i32_e64 s23, v3
	s_cbranch_execz .LBB179_14
; %bb.16:                               ;   in Loop: Header=BB179_15 Depth=1
	global_load_b128 v[3:6], v[1:2], off offset:-8
	s_wait_loadcnt 0x0
	v_mul_f64_e32 v[7:8], s[2:3], v[5:6]
	v_mul_f64_e32 v[9:10], s[6:7], v[5:6]
	s_delay_alu instid0(VALU_DEP_2) | instskip(NEXT) | instid1(VALU_DEP_2)
	v_fma_f64 v[5:6], s[6:7], v[3:4], -v[7:8]
	v_fma_f64 v[7:8], s[2:3], v[3:4], v[9:10]
	global_store_b128 v[1:2], v[5:8], off offset:-8
	s_branch .LBB179_14
.LBB179_17:
	s_mov_b32 s16, 0
.LBB179_18:
	s_wait_alu 0xfffe
	s_and_not1_b32 vcc_lo, exec_lo, s16
	s_wait_alu 0xfffe
	s_cbranch_vccnz .LBB179_36
; %bb.19:
	s_clause 0x1
	s_load_b128 s[16:19], s[0:1], 0x38
	s_load_b64 s[28:29], s[0:1], 0x48
	s_mov_b32 s21, exec_lo
	v_cmpx_gt_i32_e64 s22, v0
	s_cbranch_execz .LBB179_21
; %bb.20:
	s_load_b32 s30, s[0:1], 0x50
	s_mul_u64 s[4:5], s[4:5], s[24:25]
	s_wait_kmcnt 0x0
	s_lshl_b64 s[28:29], s[28:29], 4
	s_lshl_b64 s[4:5], s[4:5], 4
	s_delay_alu instid0(SALU_CYCLE_1) | instskip(NEXT) | instid1(SALU_CYCLE_1)
	s_add_nc_u64 s[4:5], s[18:19], s[4:5]
	s_add_nc_u64 s[4:5], s[4:5], s[28:29]
	v_mad_co_i64_i32 v[1:2], null, s30, v0, 0
	s_delay_alu instid0(VALU_DEP_1) | instskip(NEXT) | instid1(VALU_DEP_1)
	v_lshlrev_b64_e32 v[1:2], 4, v[1:2]
	v_add_co_u32 v1, vcc_lo, s4, v1
	s_wait_alu 0xfffd
	s_delay_alu instid0(VALU_DEP_2) | instskip(SKIP_4) | instid1(VALU_DEP_2)
	v_add_co_ci_u32_e64 v2, null, s5, v2, vcc_lo
	global_load_b128 v[1:4], v[1:2], off
	s_wait_loadcnt 0x0
	v_mul_f64_e32 v[5:6], s[14:15], v[3:4]
	v_mul_f64_e32 v[7:8], s[12:13], v[3:4]
	v_fma_f64 v[3:4], s[12:13], v[1:2], -v[5:6]
	s_delay_alu instid0(VALU_DEP_2)
	v_fma_f64 v[5:6], s[14:15], v[1:2], v[7:8]
	v_lshlrev_b32_e32 v1, 4, v0
	ds_store_b128 v1, v[3:6]
.LBB179_21:
	s_wait_alu 0xfffe
	s_or_b32 exec_lo, exec_lo, s21
	s_cmp_lt_i32 s23, 1
	s_wait_storecnt_dscnt 0x0
	s_barrier_signal -1
	s_barrier_wait -1
	global_inv scope:SCOPE_SE
	s_cbranch_scc1 .LBB179_36
; %bb.22:
	v_cmp_neq_f64_e64 s12, s[6:7], 0
	v_cmp_neq_f64_e64 s13, s[2:3], 0
	s_wait_kmcnt 0x0
	s_clause 0x1
	s_load_b32 s18, s[0:1], 0x30
	s_load_b128 s[28:31], s[0:1], 0x20
	s_lshl_b64 s[0:1], s[26:27], 4
	s_lshl_b64 s[4:5], s[10:11], 4
	s_ashr_i32 s10, s20, 31
	s_add_nc_u64 s[0:1], s[8:9], s[0:1]
	s_mul_u64 s[24:25], s[16:17], s[24:25]
	s_wait_alu 0xfffe
	s_add_nc_u64 s[0:1], s[0:1], s[4:5]
	s_mov_b32 s17, 0
	s_wait_kmcnt 0x0
	s_ashr_i32 s19, s18, 31
	v_mad_co_i64_i32 v[1:2], null, s18, v0, 0
	s_delay_alu instid0(VALU_DEP_1)
	v_lshlrev_b64_e32 v[1:2], 4, v[1:2]
	s_or_b32 s11, s12, s13
	s_cmp_gt_i32 s22, 0
	s_cselect_b32 s12, -1, 0
	s_and_b32 s13, s22, 7
	s_cmp_gt_u32 s22, 7
	s_cselect_b32 s14, -1, 0
	s_and_b32 s15, s22, 0x7ffffff8
	s_wait_alu 0xfffe
	s_cmp_lg_u32 s13, 0
	s_cselect_b32 s16, -1, 0
	s_lshl_b64 s[4:5], s[30:31], 4
	s_lshl_b64 s[8:9], s[24:25], 4
	s_wait_alu 0xfffe
	s_add_nc_u64 s[4:5], s[28:29], s[4:5]
	s_wait_alu 0xfffe
	s_add_nc_u64 s[4:5], s[4:5], s[8:9]
	s_lshl_b64 s[8:9], s[18:19], 12
	s_wait_alu 0xfffe
	v_add_co_u32 v11, vcc_lo, s4, v1
	s_wait_alu 0xfffd
	v_add_co_ci_u32_e64 v12, null, s5, v2, vcc_lo
	s_mov_b32 s5, 0
	v_add_co_u32 v5, vcc_lo, 0x78, v11
	s_wait_alu 0xfffd
	v_add_co_ci_u32_e64 v6, null, 0, v12, vcc_lo
	s_branch .LBB179_25
.LBB179_23:                             ;   in Loop: Header=BB179_25 Depth=1
	v_add_co_u32 v7, vcc_lo, s0, v7
	s_wait_alu 0xfffd
	v_add_co_ci_u32_e64 v8, null, s1, v8, vcc_lo
	global_store_b128 v[7:8], v[1:4], off
.LBB179_24:                             ;   in Loop: Header=BB179_25 Depth=1
	s_wait_alu 0xfffe
	s_or_b32 exec_lo, exec_lo, s18
	v_add_co_u32 v5, vcc_lo, v5, s8
	s_wait_alu 0xfffd
	v_add_co_ci_u32_e64 v6, null, s9, v6, vcc_lo
	v_add_co_u32 v11, vcc_lo, v11, s8
	s_wait_alu 0xfffd
	v_add_co_ci_u32_e64 v12, null, s9, v12, vcc_lo
	s_addk_co_i32 s17, 0x100
	s_wait_alu 0xfffe
	s_cmp_ge_i32 s17, s23
	s_cbranch_scc1 .LBB179_36
.LBB179_25:                             ; =>This Loop Header: Depth=1
                                        ;     Child Loop BB179_31 Depth 2
                                        ;     Child Loop BB179_35 Depth 2
	v_add_nc_u32_e32 v1, s17, v0
	s_mov_b32 s18, exec_lo
	s_delay_alu instid0(VALU_DEP_1)
	v_cmpx_gt_i32_e64 s23, v1
	s_cbranch_execz .LBB179_24
; %bb.26:                               ;   in Loop: Header=BB179_25 Depth=1
	v_mad_co_u64_u32 v[3:4], null, v1, s20, 0
	s_and_not1_b32 vcc_lo, exec_lo, s11
	v_mov_b32_e32 v2, v4
	s_delay_alu instid0(VALU_DEP_1) | instskip(NEXT) | instid1(VALU_DEP_1)
	v_mad_co_u64_u32 v[1:2], null, v1, s10, v[2:3]
	v_dual_mov_b32 v4, v1 :: v_dual_mov_b32 v1, 0
	v_mov_b32_e32 v2, 0
	s_delay_alu instid0(VALU_DEP_2)
	v_lshlrev_b64_e32 v[7:8], 4, v[3:4]
	v_mov_b32_e32 v3, 0
	v_mov_b32_e32 v4, 0
	s_wait_alu 0xfffe
	s_cbranch_vccnz .LBB179_28
; %bb.27:                               ;   in Loop: Header=BB179_25 Depth=1
	s_delay_alu instid0(VALU_DEP_3)
	v_add_co_u32 v1, vcc_lo, s0, v7
	s_wait_alu 0xfffd
	v_add_co_ci_u32_e64 v2, null, s1, v8, vcc_lo
	global_load_b128 v[13:16], v[1:2], off
	s_wait_loadcnt 0x0
	v_mul_f64_e32 v[1:2], s[2:3], v[15:16]
	v_mul_f64_e32 v[3:4], s[6:7], v[15:16]
	s_delay_alu instid0(VALU_DEP_2) | instskip(NEXT) | instid1(VALU_DEP_2)
	v_fma_f64 v[1:2], s[6:7], v[13:14], -v[1:2]
	v_fma_f64 v[3:4], s[2:3], v[13:14], v[3:4]
.LBB179_28:                             ;   in Loop: Header=BB179_25 Depth=1
	s_and_not1_b32 vcc_lo, exec_lo, s12
	s_wait_alu 0xfffe
	s_cbranch_vccnz .LBB179_23
; %bb.29:                               ;   in Loop: Header=BB179_25 Depth=1
	s_and_not1_b32 vcc_lo, exec_lo, s14
	s_mov_b32 s4, 0
	s_wait_alu 0xfffe
	s_cbranch_vccnz .LBB179_33
; %bb.30:                               ;   in Loop: Header=BB179_25 Depth=1
	v_dual_mov_b32 v10, v6 :: v_dual_mov_b32 v9, v5
	s_mov_b32 s19, 0
.LBB179_31:                             ;   Parent Loop BB179_25 Depth=1
                                        ; =>  This Inner Loop Header: Depth=2
	s_clause 0x7
	global_load_b128 v[13:16], v[9:10], off offset:-120
	global_load_b128 v[17:20], v[9:10], off offset:-104
	;; [unrolled: 1-line block ×8, first 2 shown]
	v_mov_b32_e32 v61, s4
	v_add_co_u32 v9, vcc_lo, 0x80, v9
	s_wait_alu 0xfffd
	v_add_co_ci_u32_e64 v10, null, 0, v10, vcc_lo
	ds_load_b128 v[45:48], v61
	ds_load_b128 v[49:52], v61 offset:16
	s_wait_alu 0xfffe
	s_add_co_i32 s19, s19, 8
	s_addk_co_i32 s4, 0x80
	s_wait_alu 0xfffe
	s_cmp_eq_u32 s15, s19
	s_wait_loadcnt_dscnt 0x701
	v_mul_f64_e32 v[53:54], v[15:16], v[47:48]
	v_mul_f64_e32 v[15:16], v[15:16], v[45:46]
	s_wait_loadcnt_dscnt 0x600
	v_mul_f64_e32 v[55:56], v[19:20], v[51:52]
	v_mul_f64_e32 v[19:20], v[19:20], v[49:50]
	s_delay_alu instid0(VALU_DEP_4) | instskip(NEXT) | instid1(VALU_DEP_4)
	v_fma_f64 v[53:54], v[13:14], v[45:46], v[53:54]
	v_fma_f64 v[57:58], v[13:14], v[47:48], -v[15:16]
	ds_load_b128 v[13:16], v61 offset:32
	ds_load_b128 v[45:48], v61 offset:48
	v_fma_f64 v[49:50], v[17:18], v[49:50], v[55:56]
	v_fma_f64 v[17:18], v[17:18], v[51:52], -v[19:20]
	s_wait_loadcnt_dscnt 0x501
	v_mul_f64_e32 v[59:60], v[23:24], v[15:16]
	v_mul_f64_e32 v[23:24], v[23:24], v[13:14]
	s_wait_loadcnt_dscnt 0x400
	v_mul_f64_e32 v[19:20], v[27:28], v[47:48]
	v_mul_f64_e32 v[27:28], v[27:28], v[45:46]
	v_add_f64_e32 v[1:2], v[1:2], v[53:54]
	v_add_f64_e32 v[3:4], v[3:4], v[57:58]
	v_fma_f64 v[51:52], v[21:22], v[13:14], v[59:60]
	v_fma_f64 v[21:22], v[21:22], v[15:16], -v[23:24]
	v_fma_f64 v[19:20], v[25:26], v[45:46], v[19:20]
	v_fma_f64 v[25:26], v[25:26], v[47:48], -v[27:28]
	v_add_f64_e32 v[23:24], v[1:2], v[49:50]
	v_add_f64_e32 v[17:18], v[3:4], v[17:18]
	ds_load_b128 v[1:4], v61 offset:64
	ds_load_b128 v[13:16], v61 offset:80
	s_wait_loadcnt_dscnt 0x301
	v_mul_f64_e32 v[49:50], v[31:32], v[3:4]
	v_mul_f64_e32 v[31:32], v[31:32], v[1:2]
	s_wait_loadcnt_dscnt 0x200
	v_mul_f64_e32 v[27:28], v[35:36], v[13:14]
	v_add_f64_e32 v[23:24], v[23:24], v[51:52]
	v_add_f64_e32 v[17:18], v[17:18], v[21:22]
	v_mul_f64_e32 v[21:22], v[35:36], v[15:16]
	v_fma_f64 v[35:36], v[29:30], v[1:2], v[49:50]
	v_fma_f64 v[29:30], v[29:30], v[3:4], -v[31:32]
	v_fma_f64 v[15:16], v[33:34], v[15:16], -v[27:28]
	v_add_f64_e32 v[23:24], v[23:24], v[19:20]
	v_add_f64_e32 v[25:26], v[17:18], v[25:26]
	ds_load_b128 v[1:4], v61 offset:96
	ds_load_b128 v[17:20], v61 offset:112
	v_fma_f64 v[13:14], v[33:34], v[13:14], v[21:22]
	s_wait_loadcnt_dscnt 0x101
	v_mul_f64_e32 v[31:32], v[39:40], v[3:4]
	v_mul_f64_e32 v[39:40], v[39:40], v[1:2]
	s_wait_loadcnt_dscnt 0x0
	v_mul_f64_e32 v[27:28], v[43:44], v[17:18]
	v_add_f64_e32 v[21:22], v[23:24], v[35:36]
	v_add_f64_e32 v[23:24], v[25:26], v[29:30]
	v_mul_f64_e32 v[25:26], v[43:44], v[19:20]
	v_fma_f64 v[1:2], v[37:38], v[1:2], v[31:32]
	v_fma_f64 v[3:4], v[37:38], v[3:4], -v[39:40]
	v_fma_f64 v[19:20], v[41:42], v[19:20], -v[27:28]
	v_add_f64_e32 v[13:14], v[21:22], v[13:14]
	v_add_f64_e32 v[15:16], v[23:24], v[15:16]
	v_fma_f64 v[17:18], v[41:42], v[17:18], v[25:26]
	s_delay_alu instid0(VALU_DEP_3) | instskip(NEXT) | instid1(VALU_DEP_3)
	v_add_f64_e32 v[1:2], v[13:14], v[1:2]
	v_add_f64_e32 v[3:4], v[15:16], v[3:4]
	s_delay_alu instid0(VALU_DEP_2) | instskip(NEXT) | instid1(VALU_DEP_2)
	v_add_f64_e32 v[1:2], v[1:2], v[17:18]
	v_add_f64_e32 v[3:4], v[3:4], v[19:20]
	s_cbranch_scc0 .LBB179_31
; %bb.32:                               ;   in Loop: Header=BB179_25 Depth=1
	s_mov_b32 s4, s15
.LBB179_33:                             ;   in Loop: Header=BB179_25 Depth=1
	s_and_not1_b32 vcc_lo, exec_lo, s16
	s_wait_alu 0xfffe
	s_cbranch_vccnz .LBB179_23
; %bb.34:                               ;   in Loop: Header=BB179_25 Depth=1
	s_lshl_b64 s[24:25], s[4:5], 4
	s_lshl_b32 s4, s4, 4
	s_wait_alu 0xfffe
	v_add_co_u32 v9, vcc_lo, v11, s24
	s_wait_alu 0xfffd
	v_add_co_ci_u32_e64 v10, null, s25, v12, vcc_lo
	s_mov_b32 s19, s13
.LBB179_35:                             ;   Parent Loop BB179_25 Depth=1
                                        ; =>  This Inner Loop Header: Depth=2
	global_load_b128 v[13:16], v[9:10], off
	s_wait_alu 0xfffe
	v_mov_b32_e32 v17, s4
	v_add_co_u32 v9, vcc_lo, v9, 16
	s_wait_alu 0xfffd
	v_add_co_ci_u32_e64 v10, null, 0, v10, vcc_lo
	ds_load_b128 v[17:20], v17
	s_add_co_i32 s19, s19, -1
	s_add_co_i32 s4, s4, 16
	s_wait_alu 0xfffe
	s_cmp_lg_u32 s19, 0
	s_wait_loadcnt_dscnt 0x0
	v_mul_f64_e32 v[21:22], v[15:16], v[19:20]
	v_mul_f64_e32 v[15:16], v[15:16], v[17:18]
	s_delay_alu instid0(VALU_DEP_2) | instskip(NEXT) | instid1(VALU_DEP_2)
	v_fma_f64 v[17:18], v[13:14], v[17:18], v[21:22]
	v_fma_f64 v[13:14], v[13:14], v[19:20], -v[15:16]
	s_delay_alu instid0(VALU_DEP_2) | instskip(NEXT) | instid1(VALU_DEP_2)
	v_add_f64_e32 v[1:2], v[1:2], v[17:18]
	v_add_f64_e32 v[3:4], v[3:4], v[13:14]
	s_cbranch_scc1 .LBB179_35
	s_branch .LBB179_23
.LBB179_36:
	s_endpgm
	.section	.rodata,"a",@progbits
	.p2align	6, 0x0
	.amdhsa_kernel _ZL22rocblas_gemvtsm_kernelILb1ELi256E19rocblas_complex_numIdES1_S1_EviiT2_lPKT1_lilS5_lilS2_lPT3_lil
		.amdhsa_group_segment_fixed_size 1024
		.amdhsa_private_segment_fixed_size 0
		.amdhsa_kernarg_size 152
		.amdhsa_user_sgpr_count 2
		.amdhsa_user_sgpr_dispatch_ptr 0
		.amdhsa_user_sgpr_queue_ptr 0
		.amdhsa_user_sgpr_kernarg_segment_ptr 1
		.amdhsa_user_sgpr_dispatch_id 0
		.amdhsa_user_sgpr_private_segment_size 0
		.amdhsa_wavefront_size32 1
		.amdhsa_uses_dynamic_stack 0
		.amdhsa_enable_private_segment 0
		.amdhsa_system_sgpr_workgroup_id_x 1
		.amdhsa_system_sgpr_workgroup_id_y 0
		.amdhsa_system_sgpr_workgroup_id_z 0
		.amdhsa_system_sgpr_workgroup_info 0
		.amdhsa_system_vgpr_workitem_id 0
		.amdhsa_next_free_vgpr 62
		.amdhsa_next_free_sgpr 32
		.amdhsa_reserve_vcc 1
		.amdhsa_float_round_mode_32 0
		.amdhsa_float_round_mode_16_64 0
		.amdhsa_float_denorm_mode_32 3
		.amdhsa_float_denorm_mode_16_64 3
		.amdhsa_fp16_overflow 0
		.amdhsa_workgroup_processor_mode 1
		.amdhsa_memory_ordered 1
		.amdhsa_forward_progress 1
		.amdhsa_inst_pref_size 17
		.amdhsa_round_robin_scheduling 0
		.amdhsa_exception_fp_ieee_invalid_op 0
		.amdhsa_exception_fp_denorm_src 0
		.amdhsa_exception_fp_ieee_div_zero 0
		.amdhsa_exception_fp_ieee_overflow 0
		.amdhsa_exception_fp_ieee_underflow 0
		.amdhsa_exception_fp_ieee_inexact 0
		.amdhsa_exception_int_div_zero 0
	.end_amdhsa_kernel
	.section	.text._ZL22rocblas_gemvtsm_kernelILb1ELi256E19rocblas_complex_numIdES1_S1_EviiT2_lPKT1_lilS5_lilS2_lPT3_lil,"axG",@progbits,_ZL22rocblas_gemvtsm_kernelILb1ELi256E19rocblas_complex_numIdES1_S1_EviiT2_lPKT1_lilS5_lilS2_lPT3_lil,comdat
.Lfunc_end179:
	.size	_ZL22rocblas_gemvtsm_kernelILb1ELi256E19rocblas_complex_numIdES1_S1_EviiT2_lPKT1_lilS5_lilS2_lPT3_lil, .Lfunc_end179-_ZL22rocblas_gemvtsm_kernelILb1ELi256E19rocblas_complex_numIdES1_S1_EviiT2_lPKT1_lilS5_lilS2_lPT3_lil
                                        ; -- End function
	.set _ZL22rocblas_gemvtsm_kernelILb1ELi256E19rocblas_complex_numIdES1_S1_EviiT2_lPKT1_lilS5_lilS2_lPT3_lil.num_vgpr, 62
	.set _ZL22rocblas_gemvtsm_kernelILb1ELi256E19rocblas_complex_numIdES1_S1_EviiT2_lPKT1_lilS5_lilS2_lPT3_lil.num_agpr, 0
	.set _ZL22rocblas_gemvtsm_kernelILb1ELi256E19rocblas_complex_numIdES1_S1_EviiT2_lPKT1_lilS5_lilS2_lPT3_lil.numbered_sgpr, 32
	.set _ZL22rocblas_gemvtsm_kernelILb1ELi256E19rocblas_complex_numIdES1_S1_EviiT2_lPKT1_lilS5_lilS2_lPT3_lil.num_named_barrier, 0
	.set _ZL22rocblas_gemvtsm_kernelILb1ELi256E19rocblas_complex_numIdES1_S1_EviiT2_lPKT1_lilS5_lilS2_lPT3_lil.private_seg_size, 0
	.set _ZL22rocblas_gemvtsm_kernelILb1ELi256E19rocblas_complex_numIdES1_S1_EviiT2_lPKT1_lilS5_lilS2_lPT3_lil.uses_vcc, 1
	.set _ZL22rocblas_gemvtsm_kernelILb1ELi256E19rocblas_complex_numIdES1_S1_EviiT2_lPKT1_lilS5_lilS2_lPT3_lil.uses_flat_scratch, 0
	.set _ZL22rocblas_gemvtsm_kernelILb1ELi256E19rocblas_complex_numIdES1_S1_EviiT2_lPKT1_lilS5_lilS2_lPT3_lil.has_dyn_sized_stack, 0
	.set _ZL22rocblas_gemvtsm_kernelILb1ELi256E19rocblas_complex_numIdES1_S1_EviiT2_lPKT1_lilS5_lilS2_lPT3_lil.has_recursion, 0
	.set _ZL22rocblas_gemvtsm_kernelILb1ELi256E19rocblas_complex_numIdES1_S1_EviiT2_lPKT1_lilS5_lilS2_lPT3_lil.has_indirect_call, 0
	.section	.AMDGPU.csdata,"",@progbits
; Kernel info:
; codeLenInByte = 2096
; TotalNumSgprs: 34
; NumVgprs: 62
; ScratchSize: 0
; MemoryBound: 0
; FloatMode: 240
; IeeeMode: 1
; LDSByteSize: 1024 bytes/workgroup (compile time only)
; SGPRBlocks: 0
; VGPRBlocks: 7
; NumSGPRsForWavesPerEU: 34
; NumVGPRsForWavesPerEU: 62
; Occupancy: 16
; WaveLimiterHint : 1
; COMPUTE_PGM_RSRC2:SCRATCH_EN: 0
; COMPUTE_PGM_RSRC2:USER_SGPR: 2
; COMPUTE_PGM_RSRC2:TRAP_HANDLER: 0
; COMPUTE_PGM_RSRC2:TGID_X_EN: 1
; COMPUTE_PGM_RSRC2:TGID_Y_EN: 0
; COMPUTE_PGM_RSRC2:TGID_Z_EN: 0
; COMPUTE_PGM_RSRC2:TIDIG_COMP_CNT: 0
	.section	.text._ZL23rocblas_gemvt_sn_kernelILb1ELi256ELi4Ei19rocblas_complex_numIdEPKS1_S1_EviiT4_lPKT3_lilS7_lilPT5_i,"axG",@progbits,_ZL23rocblas_gemvt_sn_kernelILb1ELi256ELi4Ei19rocblas_complex_numIdEPKS1_S1_EviiT4_lPKT3_lilS7_lilPT5_i,comdat
	.globl	_ZL23rocblas_gemvt_sn_kernelILb1ELi256ELi4Ei19rocblas_complex_numIdEPKS1_S1_EviiT4_lPKT3_lilS7_lilPT5_i ; -- Begin function _ZL23rocblas_gemvt_sn_kernelILb1ELi256ELi4Ei19rocblas_complex_numIdEPKS1_S1_EviiT4_lPKT3_lilS7_lilPT5_i
	.p2align	8
	.type	_ZL23rocblas_gemvt_sn_kernelILb1ELi256ELi4Ei19rocblas_complex_numIdEPKS1_S1_EviiT4_lPKT3_lilS7_lilPT5_i,@function
_ZL23rocblas_gemvt_sn_kernelILb1ELi256ELi4Ei19rocblas_complex_numIdEPKS1_S1_EviiT4_lPKT3_lilS7_lilPT5_i: ; @_ZL23rocblas_gemvt_sn_kernelILb1ELi256ELi4Ei19rocblas_complex_numIdEPKS1_S1_EviiT4_lPKT3_lilS7_lilPT5_i
; %bb.0:
	s_load_b32 s11, s[0:1], 0x60
	s_lshr_b32 s28, ttmp7, 16
	s_wait_kmcnt 0x0
	s_cmp_ge_u32 s28, s11
	s_cbranch_scc1 .LBB180_80
; %bb.1:
	s_clause 0x6
	s_load_b96 s[8:10], s[0:1], 0x40
	s_load_b256 s[12:19], s[0:1], 0x8
	s_load_b64 s[34:35], s[0:1], 0x0
	s_load_b128 s[20:23], s[0:1], 0x30
	s_load_b32 s36, s[0:1], 0x68
	s_load_b32 s33, s[0:1], 0x28
	s_load_b128 s[24:27], s[0:1], 0x50
	v_cmp_eq_u32_e64 s0, 0, v0
	s_mov_b32 s39, 0
	v_mbcnt_lo_u32_b32 v51, -1, 0
	s_mov_b32 s30, ttmp9
	s_mov_b32 s31, s39
	s_mov_b32 s37, s39
	;; [unrolled: 1-line block ×3, first 2 shown]
	v_lshl_or_b32 v52, v51, 2, 64
	s_mov_b32 s63, 32
	s_mov_b32 s64, 48
	s_wait_kmcnt 0x0
	s_lshl_b64 s[2:3], s[8:9], 4
	s_lshl_b64 s[4:5], s[18:19], 4
	s_ashr_i32 s7, s35, 31
	s_cmp_gt_i32 s35, 0
	s_add_nc_u64 s[18:19], s[22:23], s[2:3]
	s_add_nc_u64 s[2:3], s[16:17], s[4:5]
	s_cselect_b32 s1, -1, 0
	s_lshl_b32 s4, ttmp9, 10
	s_lshr_b32 s5, s7, 30
	v_lshl_or_b32 v1, v0, 2, s4
	s_ashr_i32 s4, s34, 31
	s_and_b32 s58, s0, s1
	s_wait_alu 0xfffe
	s_lshr_b32 s4, s4, 30
	s_add_co_i32 s1, s35, s5
	v_ashrrev_i32_e32 v2, 31, v1
	s_wait_alu 0xfffe
	s_add_co_i32 s4, s34, s4
	s_and_b32 s59, s1, -4
	s_wait_alu 0xfffe
	s_and_b32 s1, s4, -4
	v_mul_lo_u32 v24, s10, v1
	v_lshlrev_b64_e32 v[2:3], 4, v[1:2]
	s_sub_co_i32 s60, s34, s1
	v_add_nc_u32_e32 v4, 4, v1
	v_add_nc_u32_e32 v1, s60, v1
	v_cmp_gt_u32_e64 s5, 8, v0
	s_cmp_gt_i32 s59, 0
	v_add_co_u32 v45, vcc_lo, s2, v2
	s_delay_alu instid0(VALU_DEP_1)
	v_add_co_ci_u32_e64 v46, null, s3, v3, vcc_lo
	v_cmp_ge_i32_e64 s1, s34, v4
	v_and_b32_e32 v2, 31, v0
	v_cmp_gt_u32_e64 s3, 32, v0
	v_lshrrev_b32_e32 v4, 1, v0
	v_mov_b32_e32 v0, 0
	v_cmp_ge_i32_e64 s2, s34, v1
	v_add_nc_u32_e32 v1, s10, v24
	v_cmp_eq_u32_e64 s4, 0, v2
	v_lshlrev_b32_e32 v47, 4, v2
	v_and_b32_e32 v48, 0x70, v4
	v_ashrrev_i32_e32 v25, 31, v24
	v_add_nc_u32_e32 v3, s10, v1
	v_ashrrev_i32_e32 v2, 31, v1
	s_cselect_b32 s61, -1, 0
	s_cmp_gt_i32 s60, 0
	v_add_co_u32 v49, vcc_lo, v45, 8
	v_add_nc_u32_e32 v5, s10, v3
	v_ashrrev_i32_e32 v4, 31, v3
	s_mov_b32 s6, s35
	s_cselect_b32 s34, -1, 0
	s_lshl_b64 s[22:23], s[30:31], 4
	v_ashrrev_i32_e32 v6, 31, v5
	v_lshlrev_b64_e32 v[25:26], 4, v[24:25]
	v_lshlrev_b64_e32 v[27:28], 4, v[1:2]
	;; [unrolled: 1-line block ×3, first 2 shown]
	s_wait_alu 0xfffd
	v_add_co_ci_u32_e64 v50, null, 0, v46, vcc_lo
	v_lshlrev_b64_e32 v[31:32], 4, v[5:6]
	s_mul_u64 s[16:17], s[6:7], s[36:37]
	s_add_nc_u64 s[6:7], s[26:27], s[22:23]
	s_or_b32 s31, 0, 8
	s_wait_alu 0xfffe
	s_and_b32 s65, s34, s2
	s_add_nc_u64 s[40:41], s[6:7], 8
	s_lshl_b64 s[42:43], s[16:17], 4
	s_lshl_b64 s[44:45], s[36:37], 4
	s_lshl_b32 s66, s33, 2
	s_lshl_b32 s67, s33, 1
	s_mul_i32 s68, s33, 3
	s_lshl_b64 s[46:47], s[20:21], 4
	s_branch .LBB180_3
.LBB180_2:                              ;   in Loop: Header=BB180_3 Depth=1
	s_add_co_i32 s28, s28, 0x10000
	s_delay_alu instid0(SALU_CYCLE_1)
	s_cmp_lt_u32 s28, s11
	s_cbranch_scc0 .LBB180_80
.LBB180_3:                              ; =>This Loop Header: Depth=1
                                        ;     Child Loop BB180_6 Depth 2
                                        ;     Child Loop BB180_12 Depth 2
                                        ;       Child Loop BB180_43 Depth 3
                                        ;       Child Loop BB180_45 Depth 3
                                        ;     Child Loop BB180_61 Depth 2
                                        ;       Child Loop BB180_73 Depth 3
                                        ;       Child Loop BB180_75 Depth 3
	s_mov_b32 s29, s39
	s_delay_alu instid0(SALU_CYCLE_1)
	s_mul_u64 s[6:7], s[14:15], s[28:29]
	s_wait_alu 0xfffe
	s_lshl_b64 s[6:7], s[6:7], 4
	s_wait_alu 0xfffe
	s_add_nc_u64 s[6:7], s[12:13], s[6:7]
	global_load_b128 v[4:7], v0, s[6:7]
	s_wait_loadcnt 0x0
	v_cmp_neq_f64_e32 vcc_lo, 0, v[4:5]
	v_cmp_neq_f64_e64 s6, 0, v[6:7]
	s_wait_alu 0xfffe
	s_or_b32 s6, vcc_lo, s6
	s_wait_alu 0xfffe
	s_and_b32 vcc_lo, exec_lo, s6
	s_mov_b32 s6, -1
	s_wait_alu 0xfffe
	s_cbranch_vccnz .LBB180_8
; %bb.4:                                ;   in Loop: Header=BB180_3 Depth=1
	s_and_saveexec_b32 s8, s58
	s_cbranch_execz .LBB180_7
; %bb.5:                                ;   in Loop: Header=BB180_3 Depth=1
	s_mul_u64 s[6:7], s[42:43], s[28:29]
	s_mov_b32 s9, s35
	s_wait_alu 0xfffe
	s_add_nc_u64 s[6:7], s[40:41], s[6:7]
.LBB180_6:                              ;   Parent Loop BB180_3 Depth=1
                                        ; =>  This Inner Loop Header: Depth=2
	v_dual_mov_b32 v1, v0 :: v_dual_mov_b32 v2, v0
	v_mov_b32_e32 v3, v0
	s_add_co_i32 s9, s9, -1
	s_wait_alu 0xfffe
	s_cmp_eq_u32 s9, 0
	global_store_b128 v0, v[0:3], s[6:7] offset:-8
	s_add_nc_u64 s[6:7], s[6:7], s[44:45]
	s_cbranch_scc0 .LBB180_6
.LBB180_7:                              ;   in Loop: Header=BB180_3 Depth=1
	s_wait_alu 0xfffe
	s_or_b32 exec_lo, exec_lo, s8
	s_mov_b32 s6, 0
.LBB180_8:                              ;   in Loop: Header=BB180_3 Depth=1
	s_wait_alu 0xfffe
	s_and_not1_b32 vcc_lo, exec_lo, s6
	s_wait_alu 0xfffe
	s_cbranch_vccnz .LBB180_2
; %bb.9:                                ;   in Loop: Header=BB180_3 Depth=1
	s_mul_u64 s[6:7], s[24:25], s[28:29]
	s_mul_u64 s[8:9], s[20:21], s[28:29]
	s_wait_alu 0xfffe
	s_lshl_b64 s[6:7], s[6:7], 4
	s_mul_u64 s[52:53], s[16:17], s[28:29]
	s_wait_alu 0xfffe
	s_add_nc_u64 s[48:49], s[18:19], s[6:7]
	s_lshl_b64 s[6:7], s[8:9], 4
	v_cmp_gt_u32_e64 s9, 24, v51
	s_wait_alu 0xfffe
	v_add_co_u32 v53, vcc_lo, v45, s6
	s_wait_alu 0xfffd
	v_add_co_ci_u32_e64 v54, null, s7, v46, vcc_lo
	v_cmp_gt_u32_e64 s8, 28, v51
	v_cmp_gt_u32_e64 s7, 30, v51
	v_cmp_ne_u32_e64 s6, 31, v51
	s_lshl_b64 s[52:53], s[52:53], 4
	s_mul_u64 s[50:51], s[46:47], s[28:29]
	s_and_not1_b32 vcc_lo, exec_lo, s61
	s_wait_alu 0xfffe
	s_add_nc_u64 s[52:53], s[26:27], s[52:53]
	s_cbranch_vccnz .LBB180_57
; %bb.10:                               ;   in Loop: Header=BB180_3 Depth=1
	v_add_co_u32 v33, vcc_lo, s48, v25
	s_wait_alu 0xfffd
	v_add_co_ci_u32_e64 v34, null, s49, v26, vcc_lo
	v_add_co_u32 v35, vcc_lo, s48, v27
	s_wait_alu 0xfffd
	v_add_co_ci_u32_e64 v36, null, s49, v28, vcc_lo
	v_add_co_u32 v37, vcc_lo, s48, v29
	v_cndmask_b32_e64 v1, 0, 8, s9
	v_cndmask_b32_e64 v2, 0, 4, s8
	;; [unrolled: 1-line block ×3, first 2 shown]
	s_wait_dscnt 0x0
	v_add_co_ci_u32_e64 v8, null, 0, v51, s6
	s_wait_alu 0xfffd
	v_add_co_ci_u32_e64 v38, null, s49, v30, vcc_lo
	v_add_co_u32 v39, vcc_lo, s48, v31
	s_wait_alu 0xfffd
	v_add_co_ci_u32_e64 v40, null, s49, v32, vcc_lo
	v_add_co_u32 v59, vcc_lo, v49, s50
	v_add_lshl_u32 v55, v1, v51, 2
	v_add_lshl_u32 v56, v2, v51, 2
	;; [unrolled: 1-line block ×3, first 2 shown]
	v_lshlrev_b32_e32 v58, 2, v8
	s_wait_alu 0xfffd
	v_add_co_ci_u32_e64 v60, null, s51, v50, vcc_lo
	s_mov_b32 s6, 0
	s_mov_b32 s69, s68
	;; [unrolled: 1-line block ×5, first 2 shown]
	s_branch .LBB180_12
.LBB180_11:                             ;   in Loop: Header=BB180_12 Depth=2
	s_wait_alu 0xfffe
	s_or_b32 exec_lo, exec_lo, s7
	s_add_co_i32 s29, s29, 4
	s_add_co_i32 s71, s71, s66
	;; [unrolled: 1-line block ×5, first 2 shown]
	s_cmp_ge_i32 s29, s59
	s_cbranch_scc1 .LBB180_58
.LBB180_12:                             ;   Parent Loop BB180_3 Depth=1
                                        ; =>  This Loop Header: Depth=2
                                        ;       Child Loop BB180_43 Depth 3
                                        ;       Child Loop BB180_45 Depth 3
                                        ; implicit-def: $vgpr20_vgpr21
                                        ; implicit-def: $vgpr22_vgpr23
                                        ; implicit-def: $vgpr16_vgpr17
                                        ; implicit-def: $vgpr18_vgpr19
                                        ; implicit-def: $vgpr12_vgpr13
                                        ; implicit-def: $vgpr14_vgpr15
                                        ; implicit-def: $vgpr43_vgpr44
                                        ; implicit-def: $vgpr41_vgpr42
	s_and_saveexec_b32 s7, s1
	s_wait_alu 0xfffe
	s_xor_b32 s7, exec_lo, s7
	s_cbranch_execnz .LBB180_39
; %bb.13:                               ;   in Loop: Header=BB180_12 Depth=2
	s_wait_alu 0xfffe
	s_and_not1_saveexec_b32 s38, s7
	s_cbranch_execnz .LBB180_40
.LBB180_14:                             ;   in Loop: Header=BB180_12 Depth=2
	s_or_b32 exec_lo, exec_lo, s38
	s_and_saveexec_b32 s7, s3
.LBB180_15:                             ;   in Loop: Header=BB180_12 Depth=2
	v_dual_mov_b32 v1, v0 :: v_dual_mov_b32 v2, v0
	v_mov_b32_e32 v3, v0
	ds_store_b128 v47, v[0:3]
.LBB180_16:                             ;   in Loop: Header=BB180_12 Depth=2
	s_wait_alu 0xfffe
	s_or_b32 exec_lo, exec_lo, s7
	ds_bpermute_b32 v1, v52, v43
	ds_bpermute_b32 v2, v52, v44
	ds_bpermute_b32 v8, v52, v41
	ds_bpermute_b32 v9, v52, v42
	s_wait_storecnt_dscnt 0x0
	s_barrier_signal -1
	s_barrier_wait -1
	global_inv scope:SCOPE_SE
	v_add_f64_e32 v[1:2], v[43:44], v[1:2]
	v_add_f64_e32 v[8:9], v[41:42], v[8:9]
	ds_bpermute_b32 v10, v55, v1
	ds_bpermute_b32 v11, v55, v2
	ds_bpermute_b32 v41, v55, v8
	ds_bpermute_b32 v42, v55, v9
	s_wait_dscnt 0x2
	v_add_f64_e32 v[1:2], v[1:2], v[10:11]
	s_wait_dscnt 0x0
	v_add_f64_e32 v[8:9], v[8:9], v[41:42]
	ds_bpermute_b32 v10, v56, v1
	ds_bpermute_b32 v11, v56, v2
	ds_bpermute_b32 v41, v56, v8
	ds_bpermute_b32 v42, v56, v9
	s_wait_dscnt 0x2
	v_add_f64_e32 v[1:2], v[1:2], v[10:11]
	s_wait_dscnt 0x0
	;; [unrolled: 8-line block ×3, first 2 shown]
	v_add_f64_e32 v[10:11], v[8:9], v[41:42]
	ds_bpermute_b32 v8, v58, v1
	ds_bpermute_b32 v9, v58, v2
	;; [unrolled: 1-line block ×4, first 2 shown]
	s_and_saveexec_b32 s7, s4
	s_cbranch_execz .LBB180_18
; %bb.17:                               ;   in Loop: Header=BB180_12 Depth=2
	s_wait_dscnt 0x0
	v_add_f64_e32 v[10:11], v[10:11], v[41:42]
	v_add_f64_e32 v[8:9], v[1:2], v[8:9]
	ds_store_b128 v48, v[8:11]
.LBB180_18:                             ;   in Loop: Header=BB180_12 Depth=2
	s_wait_alu 0xfffe
	s_or_b32 exec_lo, exec_lo, s7
	v_mov_b32_e32 v10, 0
	s_wait_dscnt 0x2
	v_dual_mov_b32 v11, 0 :: v_dual_mov_b32 v8, 0
	v_mov_b32_e32 v9, 0
	s_wait_loadcnt_dscnt 0x0
	s_barrier_signal -1
	s_barrier_wait -1
	global_inv scope:SCOPE_SE
	s_and_saveexec_b32 s7, s5
	s_cbranch_execnz .LBB180_46
; %bb.19:                               ;   in Loop: Header=BB180_12 Depth=2
	s_wait_alu 0xfffe
	s_or_b32 exec_lo, exec_lo, s7
	s_and_saveexec_b32 s7, s3
	s_cbranch_execnz .LBB180_47
.LBB180_20:                             ;   in Loop: Header=BB180_12 Depth=2
	s_wait_alu 0xfffe
	s_or_b32 exec_lo, exec_lo, s7
	s_and_saveexec_b32 s7, s3
.LBB180_21:                             ;   in Loop: Header=BB180_12 Depth=2
	v_dual_mov_b32 v1, v0 :: v_dual_mov_b32 v2, v0
	v_mov_b32_e32 v3, v0
	ds_store_b128 v47, v[0:3]
.LBB180_22:                             ;   in Loop: Header=BB180_12 Depth=2
	s_wait_alu 0xfffe
	s_or_b32 exec_lo, exec_lo, s7
	ds_bpermute_b32 v1, v52, v12
	ds_bpermute_b32 v2, v52, v13
	;; [unrolled: 1-line block ×4, first 2 shown]
	s_wait_loadcnt_dscnt 0x0
	s_barrier_signal -1
	s_barrier_wait -1
	global_inv scope:SCOPE_SE
	v_add_f64_e32 v[1:2], v[12:13], v[1:2]
	v_add_f64_e32 v[12:13], v[14:15], v[41:42]
	ds_bpermute_b32 v14, v55, v1
	ds_bpermute_b32 v15, v55, v2
	ds_bpermute_b32 v41, v55, v12
	ds_bpermute_b32 v42, v55, v13
	s_wait_dscnt 0x2
	v_add_f64_e32 v[1:2], v[1:2], v[14:15]
	s_wait_dscnt 0x0
	v_add_f64_e32 v[12:13], v[12:13], v[41:42]
	ds_bpermute_b32 v14, v56, v1
	ds_bpermute_b32 v15, v56, v2
	ds_bpermute_b32 v41, v56, v12
	ds_bpermute_b32 v42, v56, v13
	s_wait_dscnt 0x2
	v_add_f64_e32 v[1:2], v[1:2], v[14:15]
	s_wait_dscnt 0x0
	;; [unrolled: 8-line block ×3, first 2 shown]
	v_add_f64_e32 v[14:15], v[12:13], v[41:42]
	ds_bpermute_b32 v12, v58, v1
	ds_bpermute_b32 v13, v58, v2
	;; [unrolled: 1-line block ×4, first 2 shown]
	s_and_saveexec_b32 s7, s4
	s_cbranch_execz .LBB180_24
; %bb.23:                               ;   in Loop: Header=BB180_12 Depth=2
	s_wait_dscnt 0x0
	v_add_f64_e32 v[14:15], v[14:15], v[41:42]
	v_add_f64_e32 v[12:13], v[1:2], v[12:13]
	ds_store_b128 v48, v[12:15]
.LBB180_24:                             ;   in Loop: Header=BB180_12 Depth=2
	s_wait_alu 0xfffe
	s_or_b32 exec_lo, exec_lo, s7
	v_mov_b32_e32 v14, 0
	s_wait_dscnt 0x2
	v_dual_mov_b32 v15, 0 :: v_dual_mov_b32 v12, 0
	v_mov_b32_e32 v13, 0
	s_wait_loadcnt_dscnt 0x0
	s_barrier_signal -1
	s_barrier_wait -1
	global_inv scope:SCOPE_SE
	s_and_saveexec_b32 s7, s5
	s_cbranch_execnz .LBB180_48
; %bb.25:                               ;   in Loop: Header=BB180_12 Depth=2
	s_wait_alu 0xfffe
	s_or_b32 exec_lo, exec_lo, s7
	s_and_saveexec_b32 s7, s3
	s_cbranch_execnz .LBB180_49
.LBB180_26:                             ;   in Loop: Header=BB180_12 Depth=2
	s_wait_alu 0xfffe
	s_or_b32 exec_lo, exec_lo, s7
	s_and_saveexec_b32 s7, s3
.LBB180_27:                             ;   in Loop: Header=BB180_12 Depth=2
	v_dual_mov_b32 v1, v0 :: v_dual_mov_b32 v2, v0
	v_mov_b32_e32 v3, v0
	ds_store_b128 v47, v[0:3]
.LBB180_28:                             ;   in Loop: Header=BB180_12 Depth=2
	s_wait_alu 0xfffe
	s_or_b32 exec_lo, exec_lo, s7
	ds_bpermute_b32 v1, v52, v16
	ds_bpermute_b32 v2, v52, v17
	;; [unrolled: 1-line block ×4, first 2 shown]
	s_wait_loadcnt_dscnt 0x0
	s_barrier_signal -1
	s_barrier_wait -1
	global_inv scope:SCOPE_SE
	v_add_f64_e32 v[1:2], v[16:17], v[1:2]
	v_add_f64_e32 v[16:17], v[18:19], v[41:42]
	ds_bpermute_b32 v18, v55, v1
	ds_bpermute_b32 v19, v55, v2
	ds_bpermute_b32 v41, v55, v16
	ds_bpermute_b32 v42, v55, v17
	s_wait_dscnt 0x2
	v_add_f64_e32 v[1:2], v[1:2], v[18:19]
	s_wait_dscnt 0x0
	v_add_f64_e32 v[16:17], v[16:17], v[41:42]
	ds_bpermute_b32 v18, v56, v1
	ds_bpermute_b32 v19, v56, v2
	ds_bpermute_b32 v41, v56, v16
	ds_bpermute_b32 v42, v56, v17
	s_wait_dscnt 0x2
	v_add_f64_e32 v[1:2], v[1:2], v[18:19]
	s_wait_dscnt 0x0
	;; [unrolled: 8-line block ×3, first 2 shown]
	v_add_f64_e32 v[18:19], v[16:17], v[41:42]
	ds_bpermute_b32 v16, v58, v1
	ds_bpermute_b32 v17, v58, v2
	;; [unrolled: 1-line block ×4, first 2 shown]
	s_and_saveexec_b32 s7, s4
	s_cbranch_execz .LBB180_30
; %bb.29:                               ;   in Loop: Header=BB180_12 Depth=2
	s_wait_dscnt 0x0
	v_add_f64_e32 v[18:19], v[18:19], v[41:42]
	v_add_f64_e32 v[16:17], v[1:2], v[16:17]
	ds_store_b128 v48, v[16:19]
.LBB180_30:                             ;   in Loop: Header=BB180_12 Depth=2
	s_wait_alu 0xfffe
	s_or_b32 exec_lo, exec_lo, s7
	v_mov_b32_e32 v18, 0
	s_wait_dscnt 0x2
	v_dual_mov_b32 v19, 0 :: v_dual_mov_b32 v16, 0
	v_mov_b32_e32 v17, 0
	s_wait_loadcnt_dscnt 0x0
	s_barrier_signal -1
	s_barrier_wait -1
	global_inv scope:SCOPE_SE
	s_and_saveexec_b32 s7, s5
	s_cbranch_execnz .LBB180_50
; %bb.31:                               ;   in Loop: Header=BB180_12 Depth=2
	s_wait_alu 0xfffe
	s_or_b32 exec_lo, exec_lo, s7
	s_and_saveexec_b32 s7, s3
	s_cbranch_execnz .LBB180_51
.LBB180_32:                             ;   in Loop: Header=BB180_12 Depth=2
	s_wait_alu 0xfffe
	s_or_b32 exec_lo, exec_lo, s7
	s_and_saveexec_b32 s7, s3
.LBB180_33:                             ;   in Loop: Header=BB180_12 Depth=2
	v_dual_mov_b32 v1, v0 :: v_dual_mov_b32 v2, v0
	v_mov_b32_e32 v3, v0
	ds_store_b128 v47, v[0:3]
.LBB180_34:                             ;   in Loop: Header=BB180_12 Depth=2
	s_wait_alu 0xfffe
	s_or_b32 exec_lo, exec_lo, s7
	ds_bpermute_b32 v1, v52, v20
	ds_bpermute_b32 v2, v52, v21
	ds_bpermute_b32 v41, v52, v22
	ds_bpermute_b32 v42, v52, v23
	s_wait_loadcnt_dscnt 0x0
	s_barrier_signal -1
	s_barrier_wait -1
	global_inv scope:SCOPE_SE
	v_add_f64_e32 v[1:2], v[20:21], v[1:2]
	v_add_f64_e32 v[20:21], v[22:23], v[41:42]
	ds_bpermute_b32 v22, v55, v1
	ds_bpermute_b32 v23, v55, v2
	ds_bpermute_b32 v41, v55, v20
	ds_bpermute_b32 v42, v55, v21
	s_wait_dscnt 0x2
	v_add_f64_e32 v[1:2], v[1:2], v[22:23]
	s_wait_dscnt 0x0
	v_add_f64_e32 v[20:21], v[20:21], v[41:42]
	ds_bpermute_b32 v22, v56, v1
	ds_bpermute_b32 v23, v56, v2
	ds_bpermute_b32 v41, v56, v20
	ds_bpermute_b32 v42, v56, v21
	s_wait_dscnt 0x2
	v_add_f64_e32 v[1:2], v[1:2], v[22:23]
	s_wait_dscnt 0x0
	;; [unrolled: 8-line block ×3, first 2 shown]
	v_add_f64_e32 v[22:23], v[20:21], v[41:42]
	ds_bpermute_b32 v20, v58, v1
	ds_bpermute_b32 v21, v58, v2
	;; [unrolled: 1-line block ×4, first 2 shown]
	s_and_saveexec_b32 s7, s4
	s_cbranch_execz .LBB180_36
; %bb.35:                               ;   in Loop: Header=BB180_12 Depth=2
	s_wait_dscnt 0x0
	v_add_f64_e32 v[22:23], v[22:23], v[41:42]
	v_add_f64_e32 v[20:21], v[1:2], v[20:21]
	ds_store_b128 v48, v[20:23]
.LBB180_36:                             ;   in Loop: Header=BB180_12 Depth=2
	s_wait_alu 0xfffe
	s_or_b32 exec_lo, exec_lo, s7
	v_mov_b32_e32 v22, 0
	s_wait_dscnt 0x2
	v_dual_mov_b32 v23, 0 :: v_dual_mov_b32 v20, 0
	v_mov_b32_e32 v21, 0
	s_wait_loadcnt_dscnt 0x0
	s_barrier_signal -1
	s_barrier_wait -1
	global_inv scope:SCOPE_SE
	s_and_saveexec_b32 s7, s5
	s_cbranch_execnz .LBB180_52
; %bb.37:                               ;   in Loop: Header=BB180_12 Depth=2
	s_wait_alu 0xfffe
	s_or_b32 exec_lo, exec_lo, s7
	s_and_saveexec_b32 s7, s3
	s_cbranch_execnz .LBB180_53
.LBB180_38:                             ;   in Loop: Header=BB180_12 Depth=2
	s_wait_alu 0xfffe
	s_or_b32 exec_lo, exec_lo, s7
	s_and_saveexec_b32 s7, s0
	s_cbranch_execz .LBB180_11
	s_branch .LBB180_54
.LBB180_39:                             ;   in Loop: Header=BB180_12 Depth=2
	s_clause 0x1
	global_load_b128 v[8:11], v[35:36], off
	global_load_b128 v[12:15], v[37:38], off
	s_mul_i32 s8, s29, s33
	s_wait_alu 0xfffe
	s_ashr_i32 s9, s8, 31
	s_add_co_i32 s54, s8, s33
	s_wait_alu 0xfffe
	s_lshl_b64 s[8:9], s[8:9], 4
	s_ashr_i32 s55, s54, 31
	s_add_co_i32 s56, s54, s33
	s_wait_alu 0xfffe
	v_add_co_u32 v101, vcc_lo, v53, s8
	s_lshl_b64 s[54:55], s[54:55], 4
	s_ashr_i32 s57, s56, 31
	s_add_co_i32 s8, s56, s33
	s_wait_alu 0xfffd
	v_add_co_ci_u32_e64 v102, null, s9, v54, vcc_lo
	s_wait_alu 0xfffe
	v_add_co_u32 v18, vcc_lo, v53, s54
	s_lshl_b64 s[56:57], s[56:57], 4
	s_ashr_i32 s9, s8, 31
	s_wait_alu 0xfffd
	v_add_co_ci_u32_e64 v19, null, s55, v54, vcc_lo
	s_wait_dscnt 0x0
	s_wait_alu 0xfffe
	v_add_co_u32 v20, vcc_lo, v53, s56
	s_lshl_b64 s[8:9], s[8:9], 4
	s_wait_alu 0xfffd
	v_add_co_ci_u32_e64 v21, null, s57, v54, vcc_lo
	s_wait_alu 0xfffe
	v_add_co_u32 v22, vcc_lo, v53, s8
	s_wait_alu 0xfffd
	v_add_co_ci_u32_e64 v23, null, s9, v54, vcc_lo
	s_clause 0x2
	global_load_b128 v[41:44], v[101:102], off offset:16
	global_load_b128 v[65:68], v[18:19], off offset:16
	;; [unrolled: 1-line block ×3, first 2 shown]
	s_wait_loadcnt 0x4
	scratch_store_b128 off, v[8:11], s62
	scratch_load_b128 v[61:64], off, off offset:16
	s_clause 0x1
	global_load_b128 v[73:76], v[22:23], off offset:16
	global_load_b128 v[77:80], v[101:102], off offset:32
	s_wait_loadcnt 0x6
	scratch_store_b128 off, v[12:15], s63
	scratch_load_b128 v[81:84], off, off offset:32
	s_clause 0x2
	global_load_b128 v[85:88], v[18:19], off offset:32
	global_load_b128 v[89:92], v[20:21], off offset:32
	;; [unrolled: 1-line block ×3, first 2 shown]
	global_load_b128 v[8:11], v[33:34], off
	global_load_b128 v[97:100], v[101:102], off
	s_wait_loadcnt 0x8
	v_mul_f64_e32 v[1:2], v[63:64], v[43:44]
	v_mul_f64_e32 v[12:13], v[61:62], v[43:44]
	;; [unrolled: 1-line block ×6, first 2 shown]
	s_wait_loadcnt 0x7
	v_mul_f64_e32 v[107:108], v[63:64], v[75:76]
	v_mul_f64_e32 v[75:76], v[61:62], v[75:76]
	s_wait_loadcnt 0x4
	v_mul_f64_e32 v[109:110], v[83:84], v[87:88]
	v_fma_f64 v[16:17], v[61:62], v[41:42], v[1:2]
	v_fma_f64 v[14:15], v[63:64], v[41:42], -v[12:13]
	global_load_b128 v[41:44], v[18:19], off
	v_fma_f64 v[12:13], v[61:62], v[65:66], v[103:104]
	v_fma_f64 v[1:2], v[63:64], v[65:66], -v[67:68]
	global_load_b128 v[65:68], v[39:40], off
	;; [unrolled: 3-line block ×4, first 2 shown]
	v_mul_f64_e32 v[73:74], v[83:84], v[79:80]
	v_mul_f64_e32 v[79:80], v[81:82], v[79:80]
	s_delay_alu instid0(VALU_DEP_2) | instskip(SKIP_1) | instid1(VALU_DEP_3)
	v_fma_f64 v[111:112], v[81:82], v[77:78], v[73:74]
	v_mul_f64_e32 v[73:74], v[81:82], v[87:88]
	v_fma_f64 v[77:78], v[83:84], v[77:78], -v[79:80]
	s_wait_loadcnt 0x7
	v_mul_f64_e32 v[79:80], v[83:84], v[91:92]
	v_fma_f64 v[87:88], v[81:82], v[85:86], v[109:110]
	s_delay_alu instid0(VALU_DEP_4) | instskip(SKIP_1) | instid1(VALU_DEP_4)
	v_fma_f64 v[85:86], v[83:84], v[85:86], -v[73:74]
	v_mul_f64_e32 v[73:74], v[81:82], v[91:92]
	v_fma_f64 v[79:80], v[81:82], v[89:90], v[79:80]
	s_wait_loadcnt 0x6
	v_mul_f64_e32 v[91:92], v[83:84], v[95:96]
	s_delay_alu instid0(VALU_DEP_3) | instskip(SKIP_3) | instid1(VALU_DEP_4)
	v_fma_f64 v[89:90], v[83:84], v[89:90], -v[73:74]
	v_mul_f64_e32 v[73:74], v[81:82], v[95:96]
	s_wait_loadcnt 0x4
	v_mul_f64_e32 v[95:96], v[10:11], v[99:100]
	v_fma_f64 v[81:82], v[81:82], v[93:94], v[91:92]
	s_delay_alu instid0(VALU_DEP_3) | instskip(SKIP_1) | instid1(VALU_DEP_4)
	v_fma_f64 v[83:84], v[83:84], v[93:94], -v[73:74]
	v_mul_f64_e32 v[73:74], v[8:9], v[99:100]
	v_fma_f64 v[95:96], v[8:9], v[97:98], v[95:96]
	s_delay_alu instid0(VALU_DEP_2)
	v_fma_f64 v[97:98], v[10:11], v[97:98], -v[73:74]
	s_wait_loadcnt 0x3
	v_mul_f64_e32 v[91:92], v[10:11], v[43:44]
	v_mul_f64_e32 v[43:44], v[8:9], v[43:44]
	s_wait_loadcnt 0x2
	scratch_store_b128 off, v[65:68], s64
	s_wait_loadcnt 0x1
	v_mul_f64_e32 v[67:68], v[10:11], v[71:72]
	v_mul_f64_e32 v[71:72], v[8:9], v[71:72]
	s_wait_loadcnt 0x0
	v_mul_f64_e32 v[93:94], v[10:11], v[63:64]
	v_mul_f64_e32 v[73:74], v[8:9], v[63:64]
	global_load_b128 v[63:66], v[101:102], off offset:48
	v_fma_f64 v[91:92], v[8:9], v[41:42], v[91:92]
	v_fma_f64 v[99:100], v[10:11], v[41:42], -v[43:44]
	scratch_load_b128 v[41:44], off, off offset:48
	v_fma_f64 v[101:102], v[8:9], v[69:70], v[67:68]
	v_fma_f64 v[109:110], v[10:11], v[69:70], -v[71:72]
	s_clause 0x1
	global_load_b128 v[67:70], v[18:19], off offset:48
	global_load_b128 v[18:21], v[20:21], off offset:48
	v_fma_f64 v[93:94], v[8:9], v[61:62], v[93:94]
	v_fma_f64 v[61:62], v[10:11], v[61:62], -v[73:74]
	global_load_b128 v[71:74], v[22:23], off offset:48
	v_add_f64_e32 v[22:23], 0, v[95:96]
	v_add_f64_e32 v[95:96], 0, v[97:98]
	scratch_store_b128 off, v[8:11], off
	v_add_f64_e32 v[91:92], 0, v[91:92]
	v_add_f64_e32 v[97:98], 0, v[99:100]
	;; [unrolled: 1-line block ×20, first 2 shown]
	s_wait_loadcnt 0x3
	v_mul_f64_e32 v[109:110], v[43:44], v[65:66]
	v_mul_f64_e32 v[22:23], v[41:42], v[65:66]
	s_wait_loadcnt 0x2
	v_mul_f64_e32 v[65:66], v[43:44], v[69:70]
	v_mul_f64_e32 v[69:70], v[41:42], v[69:70]
	;; [unrolled: 3-line block ×4, first 2 shown]
	v_fma_f64 v[75:76], v[41:42], v[63:64], v[109:110]
	v_fma_f64 v[22:23], v[43:44], v[63:64], -v[22:23]
	v_fma_f64 v[63:64], v[41:42], v[67:68], v[65:66]
	v_fma_f64 v[65:66], v[43:44], v[67:68], -v[69:70]
	;; [unrolled: 2-line block ×4, first 2 shown]
	v_add_f64_e32 v[71:72], v[95:96], v[79:80]
	v_add_f64_e32 v[73:74], v[97:98], v[89:90]
	;; [unrolled: 1-line block ×10, first 2 shown]
	s_and_not1_saveexec_b32 s38, s7
	s_cbranch_execz .LBB180_14
.LBB180_40:                             ;   in Loop: Header=BB180_12 Depth=2
	s_wait_dscnt 0x0
	v_mov_b32_e32 v20, 0
	v_mov_b32_e32 v16, 0
	v_dual_mov_b32 v12, 0 :: v_dual_mov_b32 v43, 0
	v_dual_mov_b32 v21, 0 :: v_dual_mov_b32 v22, 0
	;; [unrolled: 1-line block ×5, first 2 shown]
	v_mov_b32_e32 v23, 0
	v_mov_b32_e32 v19, 0
	v_dual_mov_b32 v15, 0 :: v_dual_mov_b32 v42, 0
	s_and_saveexec_b32 s72, s2
	s_cbranch_execz .LBB180_56
; %bb.41:                               ;   in Loop: Header=BB180_12 Depth=2
	s_and_not1_b32 vcc_lo, exec_lo, s34
	s_wait_alu 0xfffe
	s_cbranch_vccnz .LBB180_55
; %bb.42:                               ;   in Loop: Header=BB180_12 Depth=2
	v_mov_b32_e32 v1, v24
	s_mov_b32 s7, 0
	s_mov_b32 s8, s60
.LBB180_43:                             ;   Parent Loop BB180_3 Depth=1
                                        ;     Parent Loop BB180_12 Depth=2
                                        ; =>    This Inner Loop Header: Depth=3
	s_delay_alu instid0(VALU_DEP_1) | instskip(SKIP_2) | instid1(VALU_DEP_1)
	v_ashrrev_i32_e32 v2, 31, v1
	s_wait_alu 0xfffe
	s_add_co_i32 s8, s8, -1
	v_lshlrev_b64_e32 v[2:3], 4, v[1:2]
	v_add_nc_u32_e32 v1, s10, v1
	s_delay_alu instid0(VALU_DEP_2) | instskip(SKIP_1) | instid1(VALU_DEP_3)
	v_add_co_u32 v2, vcc_lo, s48, v2
	s_wait_alu 0xfffd
	v_add_co_ci_u32_e64 v3, null, s49, v3, vcc_lo
	global_load_b128 v[8:11], v[2:3], off
	s_wait_loadcnt 0x0
	scratch_store_b128 off, v[8:11], s7
	s_add_co_i32 s7, s7, 16
	s_wait_alu 0xfffe
	s_cmp_eq_u32 s8, 0
	s_cbranch_scc0 .LBB180_43
; %bb.44:                               ;   in Loop: Header=BB180_12 Depth=2
	s_ashr_i32 s7, s6, 31
	v_mov_b32_e32 v41, 0
	s_wait_alu 0xfffe
	s_lshl_b64 s[8:9], s[6:7], 4
	v_mov_b32_e32 v14, 0
	s_wait_alu 0xfffe
	v_add_co_u32 v1, vcc_lo, v59, s8
	v_mov_b32_e32 v18, 0
	v_mov_b32_e32 v22, 0
	v_dual_mov_b32 v42, 0 :: v_dual_mov_b32 v43, 0
	v_dual_mov_b32 v15, 0 :: v_dual_mov_b32 v12, 0
	;; [unrolled: 1-line block ×4, first 2 shown]
	s_wait_alu 0xfffd
	v_add_co_ci_u32_e64 v2, null, s9, v60, vcc_lo
	v_dual_mov_b32 v44, 0 :: v_dual_mov_b32 v13, 0
	v_mov_b32_e32 v17, 0
	v_mov_b32_e32 v21, 0
	s_mov_b32 s7, s31
	s_mov_b32 s8, s69
	;; [unrolled: 1-line block ×5, first 2 shown]
.LBB180_45:                             ;   Parent Loop BB180_3 Depth=1
                                        ;     Parent Loop BB180_12 Depth=2
                                        ; =>    This Inner Loop Header: Depth=3
	s_wait_alu 0xfffe
	s_ashr_i32 s57, s56, 31
	s_ashr_i32 s55, s54, 31
	s_wait_alu 0xfffe
	s_lshl_b64 s[74:75], s[56:57], 4
	s_ashr_i32 s9, s8, 31
	s_lshl_b64 s[76:77], s[54:55], 4
	s_wait_alu 0xfffe
	v_add_co_u32 v65, vcc_lo, v53, s74
	s_lshl_b64 s[78:79], s[8:9], 4
	s_wait_alu 0xfffd
	v_add_co_ci_u32_e64 v66, null, s75, v54, vcc_lo
	v_add_co_u32 v69, vcc_lo, v53, s76
	s_wait_alu 0xfffd
	v_add_co_ci_u32_e64 v70, null, s77, v54, vcc_lo
	s_wait_alu 0xfffe
	v_add_co_u32 v73, vcc_lo, v53, s78
	s_wait_alu 0xfffd
	v_add_co_ci_u32_e64 v74, null, s79, v54, vcc_lo
	scratch_load_b128 v[8:11], off, s7 offset:-8
	global_load_b128 v[61:64], v[1:2], off offset:-8
	s_clause 0x2
	global_load_b128 v[65:68], v[65:66], off
	global_load_b128 v[69:72], v[69:70], off
	;; [unrolled: 1-line block ×3, first 2 shown]
	v_add_co_u32 v1, vcc_lo, v1, 16
	s_wait_alu 0xfffd
	v_add_co_ci_u32_e64 v2, null, 0, v2, vcc_lo
	s_add_co_i32 s73, s73, -1
	s_add_co_i32 s7, s7, 16
	s_add_co_i32 s56, s56, 1
	;; [unrolled: 1-line block ×4, first 2 shown]
	s_cmp_lg_u32 s73, 0
	s_wait_loadcnt 0x2
	v_mul_f64_e32 v[79:80], v[10:11], v[67:68]
	v_mul_f64_e32 v[77:78], v[10:11], v[63:64]
	v_mul_f64_e32 v[63:64], v[8:9], v[63:64]
	v_mul_f64_e32 v[67:68], v[8:9], v[67:68]
	s_wait_loadcnt 0x1
	v_mul_f64_e32 v[81:82], v[10:11], v[71:72]
	v_mul_f64_e32 v[71:72], v[8:9], v[71:72]
	s_wait_loadcnt 0x0
	v_mul_f64_e32 v[83:84], v[10:11], v[75:76]
	v_mul_f64_e32 v[75:76], v[8:9], v[75:76]
	v_fma_f64 v[77:78], v[8:9], v[61:62], v[77:78]
	v_fma_f64 v[61:62], v[10:11], v[61:62], -v[63:64]
	v_fma_f64 v[63:64], v[8:9], v[65:66], v[79:80]
	v_fma_f64 v[65:66], v[10:11], v[65:66], -v[67:68]
	;; [unrolled: 2-line block ×4, first 2 shown]
	v_add_f64_e32 v[43:44], v[43:44], v[77:78]
	v_add_f64_e32 v[41:42], v[41:42], v[61:62]
	;; [unrolled: 1-line block ×8, first 2 shown]
	s_cbranch_scc1 .LBB180_45
	s_branch .LBB180_56
.LBB180_46:                             ;   in Loop: Header=BB180_12 Depth=2
	ds_load_b128 v[8:11], v47
	s_wait_alu 0xfffe
	s_or_b32 exec_lo, exec_lo, s7
	s_and_saveexec_b32 s7, s3
	s_cbranch_execz .LBB180_20
.LBB180_47:                             ;   in Loop: Header=BB180_12 Depth=2
	s_wait_dscnt 0x0
	ds_bpermute_b32 v1, v56, v8
	ds_bpermute_b32 v2, v56, v9
	ds_bpermute_b32 v41, v56, v10
	ds_bpermute_b32 v42, v56, v11
	s_wait_dscnt 0x2
	v_add_f64_e32 v[1:2], v[8:9], v[1:2]
	s_wait_dscnt 0x0
	v_add_f64_e32 v[8:9], v[10:11], v[41:42]
	ds_bpermute_b32 v10, v57, v1
	ds_bpermute_b32 v11, v57, v2
	ds_bpermute_b32 v41, v57, v8
	ds_bpermute_b32 v42, v57, v9
	s_wait_dscnt 0x2
	v_add_f64_e32 v[1:2], v[1:2], v[10:11]
	s_wait_dscnt 0x0
	v_add_f64_e32 v[10:11], v[8:9], v[41:42]
	;; [unrolled: 8-line block ×3, first 2 shown]
	s_wait_alu 0xfffe
	s_or_b32 exec_lo, exec_lo, s7
	s_and_saveexec_b32 s7, s3
	s_cbranch_execnz .LBB180_21
	s_branch .LBB180_22
.LBB180_48:                             ;   in Loop: Header=BB180_12 Depth=2
	ds_load_b128 v[12:15], v47
	s_wait_alu 0xfffe
	s_or_b32 exec_lo, exec_lo, s7
	s_and_saveexec_b32 s7, s3
	s_cbranch_execz .LBB180_26
.LBB180_49:                             ;   in Loop: Header=BB180_12 Depth=2
	s_wait_dscnt 0x0
	ds_bpermute_b32 v1, v56, v12
	ds_bpermute_b32 v2, v56, v13
	ds_bpermute_b32 v41, v56, v14
	ds_bpermute_b32 v42, v56, v15
	s_wait_dscnt 0x2
	v_add_f64_e32 v[1:2], v[12:13], v[1:2]
	s_wait_dscnt 0x0
	v_add_f64_e32 v[12:13], v[14:15], v[41:42]
	ds_bpermute_b32 v14, v57, v1
	ds_bpermute_b32 v15, v57, v2
	ds_bpermute_b32 v41, v57, v12
	ds_bpermute_b32 v42, v57, v13
	s_wait_dscnt 0x2
	v_add_f64_e32 v[1:2], v[1:2], v[14:15]
	s_wait_dscnt 0x0
	v_add_f64_e32 v[14:15], v[12:13], v[41:42]
	;; [unrolled: 8-line block ×3, first 2 shown]
	s_wait_alu 0xfffe
	s_or_b32 exec_lo, exec_lo, s7
	s_and_saveexec_b32 s7, s3
	s_cbranch_execnz .LBB180_27
	s_branch .LBB180_28
.LBB180_50:                             ;   in Loop: Header=BB180_12 Depth=2
	ds_load_b128 v[16:19], v47
	s_wait_alu 0xfffe
	s_or_b32 exec_lo, exec_lo, s7
	s_and_saveexec_b32 s7, s3
	s_cbranch_execz .LBB180_32
.LBB180_51:                             ;   in Loop: Header=BB180_12 Depth=2
	s_wait_dscnt 0x0
	ds_bpermute_b32 v1, v56, v16
	ds_bpermute_b32 v2, v56, v17
	ds_bpermute_b32 v41, v56, v18
	ds_bpermute_b32 v42, v56, v19
	s_wait_dscnt 0x2
	v_add_f64_e32 v[1:2], v[16:17], v[1:2]
	s_wait_dscnt 0x0
	v_add_f64_e32 v[16:17], v[18:19], v[41:42]
	ds_bpermute_b32 v18, v57, v1
	ds_bpermute_b32 v19, v57, v2
	ds_bpermute_b32 v41, v57, v16
	ds_bpermute_b32 v42, v57, v17
	s_wait_dscnt 0x2
	v_add_f64_e32 v[1:2], v[1:2], v[18:19]
	s_wait_dscnt 0x0
	v_add_f64_e32 v[18:19], v[16:17], v[41:42]
	;; [unrolled: 8-line block ×3, first 2 shown]
	s_wait_alu 0xfffe
	s_or_b32 exec_lo, exec_lo, s7
	s_and_saveexec_b32 s7, s3
	s_cbranch_execnz .LBB180_33
	s_branch .LBB180_34
.LBB180_52:                             ;   in Loop: Header=BB180_12 Depth=2
	ds_load_b128 v[20:23], v47
	s_wait_alu 0xfffe
	s_or_b32 exec_lo, exec_lo, s7
	s_and_saveexec_b32 s7, s3
	s_cbranch_execz .LBB180_38
.LBB180_53:                             ;   in Loop: Header=BB180_12 Depth=2
	s_wait_dscnt 0x0
	ds_bpermute_b32 v1, v56, v20
	ds_bpermute_b32 v2, v56, v21
	ds_bpermute_b32 v41, v56, v22
	ds_bpermute_b32 v42, v56, v23
	s_wait_dscnt 0x2
	v_add_f64_e32 v[1:2], v[20:21], v[1:2]
	s_wait_dscnt 0x0
	v_add_f64_e32 v[20:21], v[22:23], v[41:42]
	ds_bpermute_b32 v22, v57, v1
	ds_bpermute_b32 v23, v57, v2
	ds_bpermute_b32 v41, v57, v20
	ds_bpermute_b32 v42, v57, v21
	s_wait_dscnt 0x2
	v_add_f64_e32 v[1:2], v[1:2], v[22:23]
	s_wait_dscnt 0x0
	v_add_f64_e32 v[22:23], v[20:21], v[41:42]
	;; [unrolled: 8-line block ×3, first 2 shown]
	s_wait_alu 0xfffe
	s_or_b32 exec_lo, exec_lo, s7
	s_and_saveexec_b32 s7, s0
	s_cbranch_execz .LBB180_11
.LBB180_54:                             ;   in Loop: Header=BB180_12 Depth=2
	v_mul_f64_e32 v[1:2], v[6:7], v[10:11]
	v_mul_f64_e32 v[10:11], v[4:5], v[10:11]
	;; [unrolled: 1-line block ×6, first 2 shown]
	s_wait_dscnt 0x0
	v_mul_f64_e32 v[65:66], v[6:7], v[22:23]
	v_mul_f64_e32 v[22:23], v[4:5], v[22:23]
	s_mul_i32 s8, s29, s36
	s_wait_alu 0xfffe
	s_add_co_i32 s38, s8, s30
	s_delay_alu instid0(SALU_CYCLE_1)
	s_lshl_b64 s[8:9], s[38:39], 4
	s_add_co_i32 s38, s38, s36
	s_wait_alu 0xfffe
	s_add_nc_u64 s[8:9], s[52:53], s[8:9]
	s_lshl_b64 s[54:55], s[38:39], 4
	s_add_co_i32 s38, s38, s36
	s_wait_alu 0xfffe
	s_add_nc_u64 s[54:55], s[52:53], s[54:55]
	;; [unrolled: 4-line block ×3, first 2 shown]
	s_lshl_b64 s[72:73], s[38:39], 4
	s_delay_alu instid0(SALU_CYCLE_1)
	s_add_nc_u64 s[72:73], s[52:53], s[72:73]
	v_fma_f64 v[41:42], v[4:5], v[8:9], -v[1:2]
	v_fma_f64 v[43:44], v[6:7], v[8:9], v[10:11]
	v_fma_f64 v[8:9], v[4:5], v[12:13], -v[61:62]
	v_fma_f64 v[10:11], v[6:7], v[12:13], v[14:15]
	v_fma_f64 v[12:13], v[4:5], v[16:17], -v[63:64]
	v_fma_f64 v[14:15], v[6:7], v[16:17], v[18:19]
	v_fma_f64 v[16:17], v[4:5], v[20:21], -v[65:66]
	v_fma_f64 v[18:19], v[6:7], v[20:21], v[22:23]
	s_clause 0x3
	global_store_b128 v0, v[41:44], s[8:9]
	global_store_b128 v0, v[8:11], s[54:55]
	;; [unrolled: 1-line block ×4, first 2 shown]
	s_branch .LBB180_11
.LBB180_55:                             ;   in Loop: Header=BB180_12 Depth=2
	v_mov_b32_e32 v20, 0
	v_mov_b32_e32 v16, 0
	v_dual_mov_b32 v12, 0 :: v_dual_mov_b32 v43, 0
	v_dual_mov_b32 v21, 0 :: v_dual_mov_b32 v22, 0
	;; [unrolled: 1-line block ×5, first 2 shown]
	v_mov_b32_e32 v23, 0
	v_mov_b32_e32 v19, 0
	v_dual_mov_b32 v15, 0 :: v_dual_mov_b32 v42, 0
.LBB180_56:                             ;   in Loop: Header=BB180_12 Depth=2
	s_or_b32 exec_lo, exec_lo, s72
	s_delay_alu instid0(SALU_CYCLE_1)
	s_or_b32 exec_lo, exec_lo, s38
	s_and_saveexec_b32 s7, s3
	s_cbranch_execnz .LBB180_15
	s_branch .LBB180_16
.LBB180_57:                             ;   in Loop: Header=BB180_3 Depth=1
	s_mov_b32 s29, 0
.LBB180_58:                             ;   in Loop: Header=BB180_3 Depth=1
	s_delay_alu instid0(SALU_CYCLE_1)
	s_cmp_ge_i32 s29, s35
	s_cbranch_scc1 .LBB180_2
; %bb.59:                               ;   in Loop: Header=BB180_3 Depth=1
	v_cmp_gt_u32_e32 vcc_lo, 24, v51
	s_wait_alu 0xfffe
	s_add_nc_u64 s[6:7], s[52:53], s[22:23]
	s_mul_i32 s8, s33, s29
	s_mov_b32 s38, s29
	s_wait_alu 0xfffd
	v_cndmask_b32_e64 v1, 0, 8, vcc_lo
	v_cmp_gt_u32_e32 vcc_lo, 28, v51
	s_wait_dscnt 0x0
	s_delay_alu instid0(VALU_DEP_2) | instskip(SKIP_3) | instid1(VALU_DEP_2)
	v_add_lshl_u32 v22, v1, v51, 2
	s_wait_alu 0xfffd
	v_cndmask_b32_e64 v2, 0, 4, vcc_lo
	v_cmp_gt_u32_e32 vcc_lo, 30, v51
	v_add_lshl_u32 v23, v2, v51, 2
	s_wait_alu 0xfffd
	v_cndmask_b32_e64 v3, 0, 2, vcc_lo
	v_cmp_ne_u32_e32 vcc_lo, 31, v51
	s_delay_alu instid0(VALU_DEP_2)
	v_add_lshl_u32 v33, v3, v51, 2
	s_wait_alu 0xfffd
	v_add_co_ci_u32_e64 v8, null, 0, v51, vcc_lo
	v_add_co_u32 v12, vcc_lo, s48, v25
	s_wait_alu 0xfffd
	v_add_co_ci_u32_e64 v13, null, s49, v26, vcc_lo
	v_add_co_u32 v14, vcc_lo, s48, v27
	;; [unrolled: 3-line block ×5, first 2 shown]
	v_lshlrev_b32_e32 v34, 2, v8
	s_wait_alu 0xfffd
	v_add_co_ci_u32_e64 v36, null, s51, v50, vcc_lo
	s_branch .LBB180_61
.LBB180_60:                             ;   in Loop: Header=BB180_61 Depth=2
	s_wait_alu 0xfffe
	s_or_b32 exec_lo, exec_lo, s9
	s_add_co_i32 s38, s38, 1
	s_add_co_i32 s8, s8, s33
	s_cmp_lt_i32 s38, s35
	s_cbranch_scc0 .LBB180_2
.LBB180_61:                             ;   Parent Loop BB180_3 Depth=1
                                        ; =>  This Loop Header: Depth=2
                                        ;       Child Loop BB180_73 Depth 3
                                        ;       Child Loop BB180_75 Depth 3
                                        ; implicit-def: $vgpr8_vgpr9
                                        ; implicit-def: $vgpr10_vgpr11
	s_and_saveexec_b32 s9, s1
	s_wait_alu 0xfffe
	s_xor_b32 s9, exec_lo, s9
	s_cbranch_execnz .LBB180_70
; %bb.62:                               ;   in Loop: Header=BB180_61 Depth=2
	s_wait_alu 0xfffe
	s_and_not1_saveexec_b32 s29, s9
	s_cbranch_execnz .LBB180_71
.LBB180_63:                             ;   in Loop: Header=BB180_61 Depth=2
	s_or_b32 exec_lo, exec_lo, s29
	s_and_saveexec_b32 s9, s3
.LBB180_64:                             ;   in Loop: Header=BB180_61 Depth=2
	v_dual_mov_b32 v1, v0 :: v_dual_mov_b32 v2, v0
	v_mov_b32_e32 v3, v0
	ds_store_b128 v47, v[0:3]
.LBB180_65:                             ;   in Loop: Header=BB180_61 Depth=2
	s_wait_alu 0xfffe
	s_or_b32 exec_lo, exec_lo, s9
	s_wait_dscnt 0x0
	ds_bpermute_b32 v1, v52, v8
	ds_bpermute_b32 v2, v52, v9
	;; [unrolled: 1-line block ×4, first 2 shown]
	s_wait_storecnt 0x0
	s_wait_loadcnt_dscnt 0x0
	s_barrier_signal -1
	s_barrier_wait -1
	global_inv scope:SCOPE_SE
	v_add_f64_e32 v[1:2], v[8:9], v[1:2]
	v_add_f64_e32 v[8:9], v[10:11], v[20:21]
	ds_bpermute_b32 v10, v22, v1
	ds_bpermute_b32 v11, v22, v2
	ds_bpermute_b32 v20, v22, v8
	ds_bpermute_b32 v21, v22, v9
	s_wait_dscnt 0x2
	v_add_f64_e32 v[1:2], v[1:2], v[10:11]
	s_wait_dscnt 0x0
	v_add_f64_e32 v[8:9], v[8:9], v[20:21]
	ds_bpermute_b32 v10, v23, v1
	ds_bpermute_b32 v11, v23, v2
	ds_bpermute_b32 v20, v23, v8
	ds_bpermute_b32 v21, v23, v9
	s_wait_dscnt 0x2
	v_add_f64_e32 v[1:2], v[1:2], v[10:11]
	s_wait_dscnt 0x0
	;; [unrolled: 8-line block ×3, first 2 shown]
	v_add_f64_e32 v[10:11], v[8:9], v[20:21]
	ds_bpermute_b32 v8, v34, v1
	ds_bpermute_b32 v9, v34, v2
	;; [unrolled: 1-line block ×4, first 2 shown]
	s_and_saveexec_b32 s9, s4
	s_cbranch_execz .LBB180_67
; %bb.66:                               ;   in Loop: Header=BB180_61 Depth=2
	s_wait_dscnt 0x0
	v_add_f64_e32 v[10:11], v[10:11], v[20:21]
	v_add_f64_e32 v[8:9], v[1:2], v[8:9]
	ds_store_b128 v48, v[8:11]
.LBB180_67:                             ;   in Loop: Header=BB180_61 Depth=2
	s_wait_alu 0xfffe
	s_or_b32 exec_lo, exec_lo, s9
	v_mov_b32_e32 v10, 0
	s_wait_dscnt 0x2
	v_dual_mov_b32 v11, 0 :: v_dual_mov_b32 v8, 0
	v_mov_b32_e32 v9, 0
	s_wait_loadcnt_dscnt 0x0
	s_barrier_signal -1
	s_barrier_wait -1
	global_inv scope:SCOPE_SE
	s_and_saveexec_b32 s9, s5
	s_cbranch_execnz .LBB180_77
; %bb.68:                               ;   in Loop: Header=BB180_61 Depth=2
	s_wait_alu 0xfffe
	s_or_b32 exec_lo, exec_lo, s9
	s_and_saveexec_b32 s9, s3
	s_cbranch_execnz .LBB180_78
.LBB180_69:                             ;   in Loop: Header=BB180_61 Depth=2
	s_wait_alu 0xfffe
	s_or_b32 exec_lo, exec_lo, s9
	s_and_saveexec_b32 s9, s0
	s_cbranch_execz .LBB180_60
	s_branch .LBB180_79
.LBB180_70:                             ;   in Loop: Header=BB180_61 Depth=2
	s_wait_dscnt 0x0
	s_clause 0x2
	global_load_b128 v[8:11], v[14:15], off
	global_load_b128 v[37:40], v[16:17], off
	;; [unrolled: 1-line block ×3, first 2 shown]
	s_mul_i32 s50, s38, s33
	s_wait_alu 0xfffe
	s_ashr_i32 s51, s50, 31
	s_wait_alu 0xfffe
	s_lshl_b64 s[50:51], s[50:51], 4
	s_wait_alu 0xfffe
	v_add_co_u32 v1, vcc_lo, v53, s50
	s_wait_alu 0xfffd
	v_add_co_ci_u32_e64 v2, null, s51, v54, vcc_lo
	global_load_b128 v[55:58], v[12:13], off
	s_clause 0x1
	global_load_b128 v[59:62], v[1:2], off
	global_load_b128 v[63:66], v[1:2], off offset:16
	s_wait_loadcnt 0x5
	scratch_store_b128 off, v[8:11], s62
	s_wait_loadcnt 0x4
	scratch_store_b128 off, v[37:40], s63
	s_clause 0x1
	scratch_load_b128 v[8:11], off, off offset:16
	scratch_load_b128 v[37:40], off, off offset:32
	s_clause 0x1
	global_load_b128 v[67:70], v[1:2], off offset:32
	global_load_b128 v[71:74], v[1:2], off offset:48
	s_wait_loadcnt 0x7
	scratch_store_b128 off, v[41:44], s64
	scratch_load_b128 v[41:44], off, off offset:48
	s_wait_loadcnt 0x7
	scratch_store_b128 off, v[55:58], off
	s_wait_loadcnt 0x6
	v_mul_f64_e32 v[1:2], v[61:62], v[57:58]
	v_mul_f64_e32 v[20:21], v[61:62], v[55:56]
	s_delay_alu instid0(VALU_DEP_2) | instskip(NEXT) | instid1(VALU_DEP_2)
	v_fma_f64 v[1:2], v[59:60], v[55:56], v[1:2]
	v_fma_f64 v[20:21], v[59:60], v[57:58], -v[20:21]
	s_delay_alu instid0(VALU_DEP_2) | instskip(NEXT) | instid1(VALU_DEP_2)
	v_add_f64_e32 v[1:2], 0, v[1:2]
	v_add_f64_e32 v[20:21], 0, v[20:21]
	s_wait_loadcnt 0x4
	v_mul_f64_e32 v[59:60], v[65:66], v[10:11]
	v_mul_f64_e32 v[61:62], v[65:66], v[8:9]
	s_wait_loadcnt 0x2
	v_mul_f64_e32 v[65:66], v[69:70], v[39:40]
	v_mul_f64_e32 v[69:70], v[69:70], v[37:38]
	s_delay_alu instid0(VALU_DEP_4) | instskip(NEXT) | instid1(VALU_DEP_4)
	v_fma_f64 v[8:9], v[63:64], v[8:9], v[59:60]
	v_fma_f64 v[10:11], v[63:64], v[10:11], -v[61:62]
	s_wait_loadcnt 0x0
	v_mul_f64_e32 v[59:60], v[73:74], v[43:44]
	v_mul_f64_e32 v[61:62], v[73:74], v[41:42]
	v_fma_f64 v[37:38], v[67:68], v[37:38], v[65:66]
	v_fma_f64 v[39:40], v[67:68], v[39:40], -v[69:70]
	v_add_f64_e32 v[1:2], v[1:2], v[8:9]
	v_add_f64_e32 v[8:9], v[20:21], v[10:11]
	v_fma_f64 v[10:11], v[71:72], v[41:42], v[59:60]
	v_fma_f64 v[20:21], v[71:72], v[43:44], -v[61:62]
	s_delay_alu instid0(VALU_DEP_4) | instskip(NEXT) | instid1(VALU_DEP_4)
	v_add_f64_e32 v[1:2], v[1:2], v[37:38]
	v_add_f64_e32 v[37:38], v[8:9], v[39:40]
	s_delay_alu instid0(VALU_DEP_2) | instskip(NEXT) | instid1(VALU_DEP_2)
	v_add_f64_e32 v[8:9], v[1:2], v[10:11]
	v_add_f64_e32 v[10:11], v[37:38], v[20:21]
	s_and_not1_saveexec_b32 s29, s9
	s_cbranch_execz .LBB180_63
.LBB180_71:                             ;   in Loop: Header=BB180_61 Depth=2
	s_wait_dscnt 0x0
	v_mov_b32_e32 v8, 0
	v_dual_mov_b32 v9, 0 :: v_dual_mov_b32 v10, 0
	v_mov_b32_e32 v11, 0
	s_and_saveexec_b32 s50, s65
	s_cbranch_execz .LBB180_76
; %bb.72:                               ;   in Loop: Header=BB180_61 Depth=2
	v_mov_b32_e32 v1, v24
	s_mov_b32 s9, 0
	s_mov_b32 s51, s60
.LBB180_73:                             ;   Parent Loop BB180_3 Depth=1
                                        ;     Parent Loop BB180_61 Depth=2
                                        ; =>    This Inner Loop Header: Depth=3
	s_delay_alu instid0(VALU_DEP_1) | instskip(SKIP_2) | instid1(VALU_DEP_1)
	v_ashrrev_i32_e32 v2, 31, v1
	s_wait_alu 0xfffe
	s_add_co_i32 s51, s51, -1
	v_lshlrev_b64_e32 v[2:3], 4, v[1:2]
	v_add_nc_u32_e32 v1, s10, v1
	s_delay_alu instid0(VALU_DEP_2) | instskip(SKIP_1) | instid1(VALU_DEP_3)
	v_add_co_u32 v2, vcc_lo, s48, v2
	s_wait_alu 0xfffd
	v_add_co_ci_u32_e64 v3, null, s49, v3, vcc_lo
	global_load_b128 v[8:11], v[2:3], off
	s_wait_loadcnt 0x0
	scratch_store_b128 off, v[8:11], s9
	s_add_co_i32 s9, s9, 16
	s_wait_alu 0xfffe
	s_cmp_eq_u32 s51, 0
	s_cbranch_scc0 .LBB180_73
; %bb.74:                               ;   in Loop: Header=BB180_61 Depth=2
	s_ashr_i32 s9, s8, 31
	v_mov_b32_e32 v8, 0
	s_wait_alu 0xfffe
	s_lshl_b64 s[52:53], s[8:9], 4
	v_dual_mov_b32 v9, 0 :: v_dual_mov_b32 v10, 0
	s_wait_alu 0xfffe
	v_add_co_u32 v1, vcc_lo, v35, s52
	v_mov_b32_e32 v11, 0
	s_wait_alu 0xfffd
	v_add_co_ci_u32_e64 v2, null, s53, v36, vcc_lo
	s_mov_b32 s9, s31
	s_mov_b32 s51, s60
.LBB180_75:                             ;   Parent Loop BB180_3 Depth=1
                                        ;     Parent Loop BB180_61 Depth=2
                                        ; =>    This Inner Loop Header: Depth=3
	global_load_b128 v[37:40], v[1:2], off offset:-8
	scratch_load_b128 v[41:44], off, s9 offset:-8
	v_add_co_u32 v1, vcc_lo, v1, 16
	s_wait_alu 0xfffd
	v_add_co_ci_u32_e64 v2, null, 0, v2, vcc_lo
	s_wait_alu 0xfffe
	s_add_co_i32 s51, s51, -1
	s_add_co_i32 s9, s9, 16
	s_wait_alu 0xfffe
	s_cmp_lg_u32 s51, 0
	s_wait_loadcnt 0x0
	v_mul_f64_e32 v[20:21], v[39:40], v[43:44]
	v_mul_f64_e32 v[39:40], v[39:40], v[41:42]
	s_delay_alu instid0(VALU_DEP_2) | instskip(NEXT) | instid1(VALU_DEP_2)
	v_fma_f64 v[20:21], v[37:38], v[41:42], v[20:21]
	v_fma_f64 v[37:38], v[37:38], v[43:44], -v[39:40]
	s_delay_alu instid0(VALU_DEP_2) | instskip(NEXT) | instid1(VALU_DEP_2)
	v_add_f64_e32 v[8:9], v[8:9], v[20:21]
	v_add_f64_e32 v[10:11], v[10:11], v[37:38]
	s_cbranch_scc1 .LBB180_75
.LBB180_76:                             ;   in Loop: Header=BB180_61 Depth=2
	s_wait_alu 0xfffe
	s_or_b32 exec_lo, exec_lo, s50
	s_delay_alu instid0(SALU_CYCLE_1)
	s_or_b32 exec_lo, exec_lo, s29
	s_and_saveexec_b32 s9, s3
	s_cbranch_execnz .LBB180_64
	s_branch .LBB180_65
.LBB180_77:                             ;   in Loop: Header=BB180_61 Depth=2
	ds_load_b128 v[8:11], v47
	s_wait_alu 0xfffe
	s_or_b32 exec_lo, exec_lo, s9
	s_and_saveexec_b32 s9, s3
	s_cbranch_execz .LBB180_69
.LBB180_78:                             ;   in Loop: Header=BB180_61 Depth=2
	s_wait_dscnt 0x0
	ds_bpermute_b32 v1, v23, v8
	ds_bpermute_b32 v2, v23, v9
	ds_bpermute_b32 v20, v23, v10
	ds_bpermute_b32 v21, v23, v11
	s_wait_dscnt 0x2
	v_add_f64_e32 v[1:2], v[8:9], v[1:2]
	s_wait_dscnt 0x0
	v_add_f64_e32 v[8:9], v[10:11], v[20:21]
	ds_bpermute_b32 v10, v33, v1
	ds_bpermute_b32 v11, v33, v2
	ds_bpermute_b32 v20, v33, v8
	ds_bpermute_b32 v21, v33, v9
	s_wait_dscnt 0x2
	v_add_f64_e32 v[1:2], v[1:2], v[10:11]
	s_wait_dscnt 0x0
	v_add_f64_e32 v[10:11], v[8:9], v[20:21]
	;; [unrolled: 8-line block ×3, first 2 shown]
	s_wait_alu 0xfffe
	s_or_b32 exec_lo, exec_lo, s9
	s_and_saveexec_b32 s9, s0
	s_cbranch_execz .LBB180_60
.LBB180_79:                             ;   in Loop: Header=BB180_61 Depth=2
	s_wait_dscnt 0x0
	s_delay_alu instid0(VALU_DEP_1)
	v_mul_f64_e32 v[1:2], v[6:7], v[10:11]
	v_mul_f64_e32 v[10:11], v[4:5], v[10:11]
	s_mul_u64 s[50:51], s[38:39], s[36:37]
	s_wait_alu 0xfffe
	s_lshl_b64 s[50:51], s[50:51], 4
	s_wait_alu 0xfffe
	s_add_nc_u64 s[50:51], s[6:7], s[50:51]
	s_delay_alu instid0(VALU_DEP_2) | instskip(NEXT) | instid1(VALU_DEP_2)
	v_fma_f64 v[37:38], v[4:5], v[8:9], -v[1:2]
	v_fma_f64 v[39:40], v[6:7], v[8:9], v[10:11]
	global_store_b128 v0, v[37:40], s[50:51]
	s_branch .LBB180_60
.LBB180_80:
	s_nop 0
	s_sendmsg sendmsg(MSG_DEALLOC_VGPRS)
	s_endpgm
	.section	.rodata,"a",@progbits
	.p2align	6, 0x0
	.amdhsa_kernel _ZL23rocblas_gemvt_sn_kernelILb1ELi256ELi4Ei19rocblas_complex_numIdEPKS1_S1_EviiT4_lPKT3_lilS7_lilPT5_i
		.amdhsa_group_segment_fixed_size 512
		.amdhsa_private_segment_fixed_size 80
		.amdhsa_kernarg_size 360
		.amdhsa_user_sgpr_count 2
		.amdhsa_user_sgpr_dispatch_ptr 0
		.amdhsa_user_sgpr_queue_ptr 0
		.amdhsa_user_sgpr_kernarg_segment_ptr 1
		.amdhsa_user_sgpr_dispatch_id 0
		.amdhsa_user_sgpr_private_segment_size 0
		.amdhsa_wavefront_size32 1
		.amdhsa_uses_dynamic_stack 0
		.amdhsa_enable_private_segment 1
		.amdhsa_system_sgpr_workgroup_id_x 1
		.amdhsa_system_sgpr_workgroup_id_y 0
		.amdhsa_system_sgpr_workgroup_id_z 1
		.amdhsa_system_sgpr_workgroup_info 0
		.amdhsa_system_vgpr_workitem_id 0
		.amdhsa_next_free_vgpr 113
		.amdhsa_next_free_sgpr 80
		.amdhsa_reserve_vcc 1
		.amdhsa_float_round_mode_32 0
		.amdhsa_float_round_mode_16_64 0
		.amdhsa_float_denorm_mode_32 3
		.amdhsa_float_denorm_mode_16_64 3
		.amdhsa_fp16_overflow 0
		.amdhsa_workgroup_processor_mode 1
		.amdhsa_memory_ordered 1
		.amdhsa_forward_progress 1
		.amdhsa_inst_pref_size 57
		.amdhsa_round_robin_scheduling 0
		.amdhsa_exception_fp_ieee_invalid_op 0
		.amdhsa_exception_fp_denorm_src 0
		.amdhsa_exception_fp_ieee_div_zero 0
		.amdhsa_exception_fp_ieee_overflow 0
		.amdhsa_exception_fp_ieee_underflow 0
		.amdhsa_exception_fp_ieee_inexact 0
		.amdhsa_exception_int_div_zero 0
	.end_amdhsa_kernel
	.section	.text._ZL23rocblas_gemvt_sn_kernelILb1ELi256ELi4Ei19rocblas_complex_numIdEPKS1_S1_EviiT4_lPKT3_lilS7_lilPT5_i,"axG",@progbits,_ZL23rocblas_gemvt_sn_kernelILb1ELi256ELi4Ei19rocblas_complex_numIdEPKS1_S1_EviiT4_lPKT3_lilS7_lilPT5_i,comdat
.Lfunc_end180:
	.size	_ZL23rocblas_gemvt_sn_kernelILb1ELi256ELi4Ei19rocblas_complex_numIdEPKS1_S1_EviiT4_lPKT3_lilS7_lilPT5_i, .Lfunc_end180-_ZL23rocblas_gemvt_sn_kernelILb1ELi256ELi4Ei19rocblas_complex_numIdEPKS1_S1_EviiT4_lPKT3_lilS7_lilPT5_i
                                        ; -- End function
	.set _ZL23rocblas_gemvt_sn_kernelILb1ELi256ELi4Ei19rocblas_complex_numIdEPKS1_S1_EviiT4_lPKT3_lilS7_lilPT5_i.num_vgpr, 113
	.set _ZL23rocblas_gemvt_sn_kernelILb1ELi256ELi4Ei19rocblas_complex_numIdEPKS1_S1_EviiT4_lPKT3_lilS7_lilPT5_i.num_agpr, 0
	.set _ZL23rocblas_gemvt_sn_kernelILb1ELi256ELi4Ei19rocblas_complex_numIdEPKS1_S1_EviiT4_lPKT3_lilS7_lilPT5_i.numbered_sgpr, 80
	.set _ZL23rocblas_gemvt_sn_kernelILb1ELi256ELi4Ei19rocblas_complex_numIdEPKS1_S1_EviiT4_lPKT3_lilS7_lilPT5_i.num_named_barrier, 0
	.set _ZL23rocblas_gemvt_sn_kernelILb1ELi256ELi4Ei19rocblas_complex_numIdEPKS1_S1_EviiT4_lPKT3_lilS7_lilPT5_i.private_seg_size, 80
	.set _ZL23rocblas_gemvt_sn_kernelILb1ELi256ELi4Ei19rocblas_complex_numIdEPKS1_S1_EviiT4_lPKT3_lilS7_lilPT5_i.uses_vcc, 1
	.set _ZL23rocblas_gemvt_sn_kernelILb1ELi256ELi4Ei19rocblas_complex_numIdEPKS1_S1_EviiT4_lPKT3_lilS7_lilPT5_i.uses_flat_scratch, 1
	.set _ZL23rocblas_gemvt_sn_kernelILb1ELi256ELi4Ei19rocblas_complex_numIdEPKS1_S1_EviiT4_lPKT3_lilS7_lilPT5_i.has_dyn_sized_stack, 0
	.set _ZL23rocblas_gemvt_sn_kernelILb1ELi256ELi4Ei19rocblas_complex_numIdEPKS1_S1_EviiT4_lPKT3_lilS7_lilPT5_i.has_recursion, 0
	.set _ZL23rocblas_gemvt_sn_kernelILb1ELi256ELi4Ei19rocblas_complex_numIdEPKS1_S1_EviiT4_lPKT3_lilS7_lilPT5_i.has_indirect_call, 0
	.section	.AMDGPU.csdata,"",@progbits
; Kernel info:
; codeLenInByte = 7184
; TotalNumSgprs: 82
; NumVgprs: 113
; ScratchSize: 80
; MemoryBound: 0
; FloatMode: 240
; IeeeMode: 1
; LDSByteSize: 512 bytes/workgroup (compile time only)
; SGPRBlocks: 0
; VGPRBlocks: 14
; NumSGPRsForWavesPerEU: 82
; NumVGPRsForWavesPerEU: 113
; Occupancy: 12
; WaveLimiterHint : 0
; COMPUTE_PGM_RSRC2:SCRATCH_EN: 1
; COMPUTE_PGM_RSRC2:USER_SGPR: 2
; COMPUTE_PGM_RSRC2:TRAP_HANDLER: 0
; COMPUTE_PGM_RSRC2:TGID_X_EN: 1
; COMPUTE_PGM_RSRC2:TGID_Y_EN: 0
; COMPUTE_PGM_RSRC2:TGID_Z_EN: 1
; COMPUTE_PGM_RSRC2:TIDIG_COMP_CNT: 0
	.section	.text._ZL23rocblas_gemvt_sn_kernelILb1ELi256ELi4El19rocblas_complex_numIdEPKS1_S1_EviiT4_lPKT3_lilS7_lilPT5_i,"axG",@progbits,_ZL23rocblas_gemvt_sn_kernelILb1ELi256ELi4El19rocblas_complex_numIdEPKS1_S1_EviiT4_lPKT3_lilS7_lilPT5_i,comdat
	.globl	_ZL23rocblas_gemvt_sn_kernelILb1ELi256ELi4El19rocblas_complex_numIdEPKS1_S1_EviiT4_lPKT3_lilS7_lilPT5_i ; -- Begin function _ZL23rocblas_gemvt_sn_kernelILb1ELi256ELi4El19rocblas_complex_numIdEPKS1_S1_EviiT4_lPKT3_lilS7_lilPT5_i
	.p2align	8
	.type	_ZL23rocblas_gemvt_sn_kernelILb1ELi256ELi4El19rocblas_complex_numIdEPKS1_S1_EviiT4_lPKT3_lilS7_lilPT5_i,@function
_ZL23rocblas_gemvt_sn_kernelILb1ELi256ELi4El19rocblas_complex_numIdEPKS1_S1_EviiT4_lPKT3_lilS7_lilPT5_i: ; @_ZL23rocblas_gemvt_sn_kernelILb1ELi256ELi4El19rocblas_complex_numIdEPKS1_S1_EviiT4_lPKT3_lilS7_lilPT5_i
; %bb.0:
	s_load_b32 s33, s[0:1], 0x60
	s_lshr_b32 s10, ttmp7, 16
	s_wait_kmcnt 0x0
	s_cmp_ge_u32 s10, s33
	s_cbranch_scc1 .LBB181_80
; %bb.1:
	s_clause 0x6
	s_load_b32 s30, s[0:1], 0x28
	s_load_b96 s[4:6], s[0:1], 0x40
	s_load_b256 s[12:19], s[0:1], 0x8
	s_load_b64 s[34:35], s[0:1], 0x0
	s_load_b128 s[20:23], s[0:1], 0x30
	s_load_b32 s36, s[0:1], 0x68
	s_load_b128 s[24:27], s[0:1], 0x50
	v_cmp_eq_u32_e64 s0, 0, v0
	v_mbcnt_lo_u32_b32 v56, -1, 0
	s_mov_b32 s28, ttmp9
	s_mov_b32 s29, 0
	s_mov_b32 s64, 16
	;; [unrolled: 1-line block ×3, first 2 shown]
	v_lshl_or_b32 v57, v56, 2, 64
	s_mov_b32 s65, 32
	s_mov_b32 s66, 48
	s_wait_kmcnt 0x0
	s_ashr_i32 s31, s30, 31
	s_ashr_i32 s9, s6, 31
	s_lshl_b64 s[2:3], s[4:5], 4
	s_lshl_b64 s[4:5], s[18:19], 4
	s_ashr_i32 s39, s35, 31
	s_cmp_gt_i32 s35, 0
	s_add_nc_u64 s[18:19], s[22:23], s[2:3]
	s_cselect_b32 s1, -1, 0
	s_lshl_b32 s7, ttmp9, 10
	s_add_nc_u64 s[2:3], s[16:17], s[4:5]
	v_lshl_or_b32 v1, v0, 2, s7
	s_lshr_b32 s4, s39, 30
	s_ashr_i32 s5, s34, 31
	s_and_b32 s60, s0, s1
	s_add_co_i32 s1, s35, s4
	v_ashrrev_i32_e32 v2, 31, v1
	s_lshr_b32 s4, s5, 30
	s_and_b32 s61, s1, -4
	s_add_co_i32 s1, s34, s4
	v_add_nc_u32_e32 v4, 4, v1
	v_lshlrev_b64_e32 v[2:3], 4, v[1:2]
	s_and_b32 s1, s1, -4
	v_cmp_gt_u32_e64 s5, 8, v0
	s_sub_co_i32 s62, s34, s1
	v_cmp_ge_i32_e64 s1, s34, v4
	v_or_b32_e32 v6, 2, v1
	v_add_co_u32 v50, vcc_lo, s2, v2
	v_add_nc_u32_e32 v2, s62, v1
	v_add_co_ci_u32_e64 v51, null, s3, v3, vcc_lo
	v_and_b32_e32 v3, 31, v0
	v_cmp_gt_u32_e64 s3, 32, v0
	s_delay_alu instid0(VALU_DEP_4)
	v_cmp_ge_i32_e64 s2, s34, v2
	v_lshrrev_b32_e32 v2, 1, v0
	v_or_b32_e32 v0, 1, v1
	v_mad_co_i64_i32 v[6:7], null, s6, v6, 0
	s_cmp_gt_i32 s61, 0
	v_and_b32_e32 v53, 0x70, v2
	v_mad_co_i64_i32 v[4:5], null, s6, v0, 0
	v_or_b32_e32 v0, 3, v1
	s_cselect_b32 s63, -1, 0
	s_cmp_gt_i32 s62, 0
	s_mov_b32 s38, s35
	s_cselect_b32 s34, -1, 0
	v_mad_co_i64_i32 v[8:9], null, s6, v0, 0
	v_mov_b32_e32 v0, 0
	v_cmp_eq_u32_e64 s4, 0, v3
	v_lshlrev_b32_e32 v52, 4, v3
	v_mad_co_i64_i32 v[2:3], null, s6, v1, 0
	s_lshl_b64 s[22:23], s[28:29], 4
	v_lshlrev_b64_e32 v[28:29], 4, v[4:5]
	v_lshlrev_b64_e32 v[30:31], 4, v[6:7]
	;; [unrolled: 1-line block ×3, first 2 shown]
	s_mov_b32 s8, s6
	s_mul_u64 s[16:17], s[38:39], s[36:37]
	v_lshlrev_b64_e32 v[24:25], 4, v[2:3]
	s_add_nc_u64 s[6:7], s[26:27], s[22:23]
	s_or_b32 s67, 0, 8
	s_wait_alu 0xfffe
	s_and_b32 s68, s34, s2
	s_add_nc_u64 s[38:39], s[6:7], 8
	s_lshl_b64 s[40:41], s[16:17], 4
	v_add_co_u32 v26, vcc_lo, s18, v24
	s_wait_alu 0xfffd
	v_add_co_ci_u32_e64 v27, null, s19, v25, vcc_lo
	v_add_co_u32 v54, vcc_lo, v50, 8
	s_wait_alu 0xfffd
	v_add_co_ci_u32_e64 v55, null, 0, v51, vcc_lo
	s_lshl_b64 s[42:43], s[36:37], 4
	s_lshl_b64 s[44:45], s[24:25], 4
	;; [unrolled: 1-line block ×6, first 2 shown]
	s_branch .LBB181_3
.LBB181_2:                              ;   in Loop: Header=BB181_3 Depth=1
	s_add_co_i32 s10, s10, 0x10000
	s_wait_alu 0xfffe
	s_cmp_lt_u32 s10, s33
	s_cbranch_scc0 .LBB181_80
.LBB181_3:                              ; =>This Loop Header: Depth=1
                                        ;     Child Loop BB181_6 Depth 2
                                        ;     Child Loop BB181_12 Depth 2
                                        ;       Child Loop BB181_43 Depth 3
                                        ;       Child Loop BB181_45 Depth 3
                                        ;     Child Loop BB181_61 Depth 2
                                        ;       Child Loop BB181_73 Depth 3
                                        ;       Child Loop BB181_75 Depth 3
	s_mov_b32 s11, s29
	s_wait_alu 0xfffe
	s_mul_u64 s[6:7], s[14:15], s[10:11]
	s_wait_alu 0xfffe
	s_lshl_b64 s[6:7], s[6:7], 4
	s_wait_alu 0xfffe
	s_add_nc_u64 s[6:7], s[12:13], s[6:7]
	global_load_b128 v[4:7], v0, s[6:7]
	s_wait_loadcnt 0x0
	v_cmp_neq_f64_e32 vcc_lo, 0, v[4:5]
	v_cmp_neq_f64_e64 s6, 0, v[6:7]
	s_wait_alu 0xfffe
	s_or_b32 s6, vcc_lo, s6
	s_wait_alu 0xfffe
	s_and_b32 vcc_lo, exec_lo, s6
	s_mov_b32 s6, -1
	s_wait_alu 0xfffe
	s_cbranch_vccnz .LBB181_8
; %bb.4:                                ;   in Loop: Header=BB181_3 Depth=1
	s_and_saveexec_b32 s8, s60
	s_cbranch_execz .LBB181_7
; %bb.5:                                ;   in Loop: Header=BB181_3 Depth=1
	s_mul_u64 s[6:7], s[40:41], s[10:11]
	s_mov_b32 s9, s35
	s_wait_alu 0xfffe
	s_add_nc_u64 s[6:7], s[38:39], s[6:7]
.LBB181_6:                              ;   Parent Loop BB181_3 Depth=1
                                        ; =>  This Inner Loop Header: Depth=2
	v_dual_mov_b32 v1, v0 :: v_dual_mov_b32 v2, v0
	v_mov_b32_e32 v3, v0
	s_add_co_i32 s9, s9, -1
	s_wait_alu 0xfffe
	s_cmp_eq_u32 s9, 0
	global_store_b128 v0, v[0:3], s[6:7] offset:-8
	s_add_nc_u64 s[6:7], s[6:7], s[42:43]
	s_cbranch_scc0 .LBB181_6
.LBB181_7:                              ;   in Loop: Header=BB181_3 Depth=1
	s_wait_alu 0xfffe
	s_or_b32 exec_lo, exec_lo, s8
	s_mov_b32 s6, 0
.LBB181_8:                              ;   in Loop: Header=BB181_3 Depth=1
	s_wait_alu 0xfffe
	s_and_not1_b32 vcc_lo, exec_lo, s6
	s_wait_alu 0xfffe
	s_cbranch_vccnz .LBB181_2
; %bb.9:                                ;   in Loop: Header=BB181_3 Depth=1
	v_mad_co_u64_u32 v[34:35], null, s44, s10, v[26:27]
	s_mul_u64 s[70:71], s[20:21], s[10:11]
	s_mul_u64 s[54:55], s[24:25], s[10:11]
	s_wait_alu 0xfffe
	s_lshl_b64 s[70:71], s[70:71], 4
	s_mul_u64 s[58:59], s[16:17], s[10:11]
	s_wait_alu 0xfffe
	v_add_co_u32 v58, vcc_lo, v50, s70
	v_mov_b32_e32 v1, v35
	s_lshl_b64 s[54:55], s[54:55], 4
	s_lshl_b64 s[72:73], s[58:59], 4
	v_cmp_gt_u32_e64 s7, 24, v56
	v_cmp_gt_u32_e64 s8, 28, v56
	v_mad_co_u64_u32 v[1:2], null, s45, s10, v[1:2]
	v_cmp_gt_u32_e64 s6, 30, v56
	s_wait_alu 0xfffd
	v_add_co_ci_u32_e64 v59, null, s71, v51, vcc_lo
	v_cmp_ne_u32_e64 s9, 31, v56
	s_add_nc_u64 s[58:59], s[18:19], s[54:55]
	s_wait_alu 0xfffe
	s_add_nc_u64 s[54:55], s[26:27], s[72:73]
	v_mov_b32_e32 v35, v1
	s_mul_u64 s[56:57], s[48:49], s[10:11]
	s_and_not1_b32 vcc_lo, exec_lo, s63
	s_add_nc_u64 s[54:55], s[54:55], s[22:23]
	s_wait_alu 0xfffe
	s_cbranch_vccnz .LBB181_57
; %bb.10:                               ;   in Loop: Header=BB181_3 Depth=1
	v_add_co_u32 v36, vcc_lo, v50, s56
	s_wait_alu 0xfffd
	v_add_co_ci_u32_e64 v37, null, s57, v51, vcc_lo
	v_add_co_u32 v38, vcc_lo, s58, v24
	s_wait_alu 0xfffd
	v_add_co_ci_u32_e64 v39, null, s59, v25, vcc_lo
	v_add_co_u32 v40, vcc_lo, s58, v28
	v_cndmask_b32_e64 v1, 0, 8, s7
	v_cndmask_b32_e64 v2, 0, 4, s8
	;; [unrolled: 1-line block ×3, first 2 shown]
	s_wait_dscnt 0x0
	v_add_co_ci_u32_e64 v8, null, 0, v56, s9
	s_wait_alu 0xfffd
	v_add_co_ci_u32_e64 v41, null, s59, v29, vcc_lo
	v_add_co_u32 v42, vcc_lo, s58, v30
	s_wait_alu 0xfffd
	v_add_co_ci_u32_e64 v43, null, s59, v31, vcc_lo
	v_add_co_u32 v44, vcc_lo, s58, v32
	v_add_lshl_u32 v60, v1, v56, 2
	v_add_lshl_u32 v61, v2, v56, 2
	;; [unrolled: 1-line block ×3, first 2 shown]
	v_lshlrev_b32_e32 v63, 2, v8
	s_wait_alu 0xfffd
	v_add_co_ci_u32_e64 v45, null, s59, v33, vcc_lo
	s_mov_b32 s28, 0
	s_branch .LBB181_12
.LBB181_11:                             ;   in Loop: Header=BB181_12 Depth=2
	s_wait_alu 0xfffe
	s_or_b32 exec_lo, exec_lo, s6
	v_add_co_u32 v36, vcc_lo, v36, s50
	s_wait_alu 0xfffd
	v_add_co_ci_u32_e64 v37, null, s51, v37, vcc_lo
	s_add_co_i32 s28, s28, 4
	s_delay_alu instid0(SALU_CYCLE_1)
	s_cmp_ge_i32 s28, s61
	s_cbranch_scc1 .LBB181_58
.LBB181_12:                             ;   Parent Loop BB181_3 Depth=1
                                        ; =>  This Loop Header: Depth=2
                                        ;       Child Loop BB181_43 Depth 3
                                        ;       Child Loop BB181_45 Depth 3
                                        ; implicit-def: $vgpr20_vgpr21
                                        ; implicit-def: $vgpr22_vgpr23
                                        ; implicit-def: $vgpr16_vgpr17
                                        ; implicit-def: $vgpr18_vgpr19
                                        ; implicit-def: $vgpr12_vgpr13
                                        ; implicit-def: $vgpr14_vgpr15
                                        ; implicit-def: $vgpr48_vgpr49
                                        ; implicit-def: $vgpr46_vgpr47
	s_and_saveexec_b32 s6, s1
	s_wait_alu 0xfffe
	s_xor_b32 s7, exec_lo, s6
	s_cbranch_execnz .LBB181_39
; %bb.13:                               ;   in Loop: Header=BB181_12 Depth=2
	s_wait_alu 0xfffe
	s_and_not1_saveexec_b32 s6, s7
	s_cbranch_execnz .LBB181_40
.LBB181_14:                             ;   in Loop: Header=BB181_12 Depth=2
	s_wait_alu 0xfffe
	s_or_b32 exec_lo, exec_lo, s6
	s_and_saveexec_b32 s6, s3
.LBB181_15:                             ;   in Loop: Header=BB181_12 Depth=2
	v_dual_mov_b32 v1, v0 :: v_dual_mov_b32 v2, v0
	v_mov_b32_e32 v3, v0
	ds_store_b128 v52, v[0:3]
.LBB181_16:                             ;   in Loop: Header=BB181_12 Depth=2
	s_wait_alu 0xfffe
	s_or_b32 exec_lo, exec_lo, s6
	ds_bpermute_b32 v1, v57, v48
	ds_bpermute_b32 v2, v57, v49
	;; [unrolled: 1-line block ×4, first 2 shown]
	s_wait_storecnt_dscnt 0x0
	s_barrier_signal -1
	s_barrier_wait -1
	global_inv scope:SCOPE_SE
	v_add_f64_e32 v[1:2], v[48:49], v[1:2]
	v_add_f64_e32 v[8:9], v[46:47], v[8:9]
	ds_bpermute_b32 v10, v60, v1
	ds_bpermute_b32 v11, v60, v2
	ds_bpermute_b32 v46, v60, v8
	ds_bpermute_b32 v47, v60, v9
	s_wait_dscnt 0x2
	v_add_f64_e32 v[1:2], v[1:2], v[10:11]
	s_wait_dscnt 0x0
	v_add_f64_e32 v[8:9], v[8:9], v[46:47]
	ds_bpermute_b32 v10, v61, v1
	ds_bpermute_b32 v11, v61, v2
	ds_bpermute_b32 v46, v61, v8
	ds_bpermute_b32 v47, v61, v9
	s_wait_dscnt 0x2
	v_add_f64_e32 v[1:2], v[1:2], v[10:11]
	s_wait_dscnt 0x0
	;; [unrolled: 8-line block ×3, first 2 shown]
	v_add_f64_e32 v[10:11], v[8:9], v[46:47]
	ds_bpermute_b32 v8, v63, v1
	ds_bpermute_b32 v9, v63, v2
	;; [unrolled: 1-line block ×4, first 2 shown]
	s_and_saveexec_b32 s6, s4
	s_cbranch_execz .LBB181_18
; %bb.17:                               ;   in Loop: Header=BB181_12 Depth=2
	s_wait_dscnt 0x0
	v_add_f64_e32 v[10:11], v[10:11], v[46:47]
	v_add_f64_e32 v[8:9], v[1:2], v[8:9]
	ds_store_b128 v53, v[8:11]
.LBB181_18:                             ;   in Loop: Header=BB181_12 Depth=2
	s_wait_alu 0xfffe
	s_or_b32 exec_lo, exec_lo, s6
	v_mov_b32_e32 v10, 0
	s_wait_dscnt 0x2
	v_dual_mov_b32 v11, 0 :: v_dual_mov_b32 v8, 0
	v_mov_b32_e32 v9, 0
	s_wait_loadcnt_dscnt 0x0
	s_barrier_signal -1
	s_barrier_wait -1
	global_inv scope:SCOPE_SE
	s_and_saveexec_b32 s6, s5
	s_cbranch_execnz .LBB181_46
; %bb.19:                               ;   in Loop: Header=BB181_12 Depth=2
	s_wait_alu 0xfffe
	s_or_b32 exec_lo, exec_lo, s6
	s_and_saveexec_b32 s6, s3
	s_cbranch_execnz .LBB181_47
.LBB181_20:                             ;   in Loop: Header=BB181_12 Depth=2
	s_wait_alu 0xfffe
	s_or_b32 exec_lo, exec_lo, s6
	s_and_saveexec_b32 s6, s3
.LBB181_21:                             ;   in Loop: Header=BB181_12 Depth=2
	v_dual_mov_b32 v1, v0 :: v_dual_mov_b32 v2, v0
	v_mov_b32_e32 v3, v0
	ds_store_b128 v52, v[0:3]
.LBB181_22:                             ;   in Loop: Header=BB181_12 Depth=2
	s_wait_alu 0xfffe
	s_or_b32 exec_lo, exec_lo, s6
	ds_bpermute_b32 v1, v57, v12
	ds_bpermute_b32 v2, v57, v13
	;; [unrolled: 1-line block ×4, first 2 shown]
	s_wait_loadcnt_dscnt 0x0
	s_barrier_signal -1
	s_barrier_wait -1
	global_inv scope:SCOPE_SE
	v_add_f64_e32 v[1:2], v[12:13], v[1:2]
	v_add_f64_e32 v[12:13], v[14:15], v[46:47]
	ds_bpermute_b32 v14, v60, v1
	ds_bpermute_b32 v15, v60, v2
	ds_bpermute_b32 v46, v60, v12
	ds_bpermute_b32 v47, v60, v13
	s_wait_dscnt 0x2
	v_add_f64_e32 v[1:2], v[1:2], v[14:15]
	s_wait_dscnt 0x0
	v_add_f64_e32 v[12:13], v[12:13], v[46:47]
	ds_bpermute_b32 v14, v61, v1
	ds_bpermute_b32 v15, v61, v2
	ds_bpermute_b32 v46, v61, v12
	ds_bpermute_b32 v47, v61, v13
	s_wait_dscnt 0x2
	v_add_f64_e32 v[1:2], v[1:2], v[14:15]
	s_wait_dscnt 0x0
	;; [unrolled: 8-line block ×3, first 2 shown]
	v_add_f64_e32 v[14:15], v[12:13], v[46:47]
	ds_bpermute_b32 v12, v63, v1
	ds_bpermute_b32 v13, v63, v2
	;; [unrolled: 1-line block ×4, first 2 shown]
	s_and_saveexec_b32 s6, s4
	s_cbranch_execz .LBB181_24
; %bb.23:                               ;   in Loop: Header=BB181_12 Depth=2
	s_wait_dscnt 0x0
	v_add_f64_e32 v[14:15], v[14:15], v[46:47]
	v_add_f64_e32 v[12:13], v[1:2], v[12:13]
	ds_store_b128 v53, v[12:15]
.LBB181_24:                             ;   in Loop: Header=BB181_12 Depth=2
	s_wait_alu 0xfffe
	s_or_b32 exec_lo, exec_lo, s6
	v_mov_b32_e32 v14, 0
	s_wait_dscnt 0x2
	v_dual_mov_b32 v15, 0 :: v_dual_mov_b32 v12, 0
	v_mov_b32_e32 v13, 0
	s_wait_loadcnt_dscnt 0x0
	s_barrier_signal -1
	s_barrier_wait -1
	global_inv scope:SCOPE_SE
	s_and_saveexec_b32 s6, s5
	s_cbranch_execnz .LBB181_48
; %bb.25:                               ;   in Loop: Header=BB181_12 Depth=2
	s_wait_alu 0xfffe
	s_or_b32 exec_lo, exec_lo, s6
	s_and_saveexec_b32 s6, s3
	s_cbranch_execnz .LBB181_49
.LBB181_26:                             ;   in Loop: Header=BB181_12 Depth=2
	s_wait_alu 0xfffe
	s_or_b32 exec_lo, exec_lo, s6
	s_and_saveexec_b32 s6, s3
.LBB181_27:                             ;   in Loop: Header=BB181_12 Depth=2
	v_dual_mov_b32 v1, v0 :: v_dual_mov_b32 v2, v0
	v_mov_b32_e32 v3, v0
	ds_store_b128 v52, v[0:3]
.LBB181_28:                             ;   in Loop: Header=BB181_12 Depth=2
	s_wait_alu 0xfffe
	s_or_b32 exec_lo, exec_lo, s6
	ds_bpermute_b32 v1, v57, v16
	ds_bpermute_b32 v2, v57, v17
	;; [unrolled: 1-line block ×4, first 2 shown]
	s_wait_loadcnt_dscnt 0x0
	s_barrier_signal -1
	s_barrier_wait -1
	global_inv scope:SCOPE_SE
	v_add_f64_e32 v[1:2], v[16:17], v[1:2]
	v_add_f64_e32 v[16:17], v[18:19], v[46:47]
	ds_bpermute_b32 v18, v60, v1
	ds_bpermute_b32 v19, v60, v2
	ds_bpermute_b32 v46, v60, v16
	ds_bpermute_b32 v47, v60, v17
	s_wait_dscnt 0x2
	v_add_f64_e32 v[1:2], v[1:2], v[18:19]
	s_wait_dscnt 0x0
	v_add_f64_e32 v[16:17], v[16:17], v[46:47]
	ds_bpermute_b32 v18, v61, v1
	ds_bpermute_b32 v19, v61, v2
	ds_bpermute_b32 v46, v61, v16
	ds_bpermute_b32 v47, v61, v17
	s_wait_dscnt 0x2
	v_add_f64_e32 v[1:2], v[1:2], v[18:19]
	s_wait_dscnt 0x0
	;; [unrolled: 8-line block ×3, first 2 shown]
	v_add_f64_e32 v[18:19], v[16:17], v[46:47]
	ds_bpermute_b32 v16, v63, v1
	ds_bpermute_b32 v17, v63, v2
	;; [unrolled: 1-line block ×4, first 2 shown]
	s_and_saveexec_b32 s6, s4
	s_cbranch_execz .LBB181_30
; %bb.29:                               ;   in Loop: Header=BB181_12 Depth=2
	s_wait_dscnt 0x0
	v_add_f64_e32 v[18:19], v[18:19], v[46:47]
	v_add_f64_e32 v[16:17], v[1:2], v[16:17]
	ds_store_b128 v53, v[16:19]
.LBB181_30:                             ;   in Loop: Header=BB181_12 Depth=2
	s_wait_alu 0xfffe
	s_or_b32 exec_lo, exec_lo, s6
	v_mov_b32_e32 v18, 0
	s_wait_dscnt 0x2
	v_dual_mov_b32 v19, 0 :: v_dual_mov_b32 v16, 0
	v_mov_b32_e32 v17, 0
	s_wait_loadcnt_dscnt 0x0
	s_barrier_signal -1
	s_barrier_wait -1
	global_inv scope:SCOPE_SE
	s_and_saveexec_b32 s6, s5
	s_cbranch_execnz .LBB181_50
; %bb.31:                               ;   in Loop: Header=BB181_12 Depth=2
	s_wait_alu 0xfffe
	s_or_b32 exec_lo, exec_lo, s6
	s_and_saveexec_b32 s6, s3
	s_cbranch_execnz .LBB181_51
.LBB181_32:                             ;   in Loop: Header=BB181_12 Depth=2
	s_wait_alu 0xfffe
	s_or_b32 exec_lo, exec_lo, s6
	s_and_saveexec_b32 s6, s3
.LBB181_33:                             ;   in Loop: Header=BB181_12 Depth=2
	v_dual_mov_b32 v1, v0 :: v_dual_mov_b32 v2, v0
	v_mov_b32_e32 v3, v0
	ds_store_b128 v52, v[0:3]
.LBB181_34:                             ;   in Loop: Header=BB181_12 Depth=2
	s_wait_alu 0xfffe
	s_or_b32 exec_lo, exec_lo, s6
	ds_bpermute_b32 v1, v57, v20
	ds_bpermute_b32 v2, v57, v21
	ds_bpermute_b32 v46, v57, v22
	ds_bpermute_b32 v47, v57, v23
	s_wait_loadcnt_dscnt 0x0
	s_barrier_signal -1
	s_barrier_wait -1
	global_inv scope:SCOPE_SE
	v_add_f64_e32 v[1:2], v[20:21], v[1:2]
	v_add_f64_e32 v[20:21], v[22:23], v[46:47]
	ds_bpermute_b32 v22, v60, v1
	ds_bpermute_b32 v23, v60, v2
	ds_bpermute_b32 v46, v60, v20
	ds_bpermute_b32 v47, v60, v21
	s_wait_dscnt 0x2
	v_add_f64_e32 v[1:2], v[1:2], v[22:23]
	s_wait_dscnt 0x0
	v_add_f64_e32 v[20:21], v[20:21], v[46:47]
	ds_bpermute_b32 v22, v61, v1
	ds_bpermute_b32 v23, v61, v2
	ds_bpermute_b32 v46, v61, v20
	ds_bpermute_b32 v47, v61, v21
	s_wait_dscnt 0x2
	v_add_f64_e32 v[1:2], v[1:2], v[22:23]
	s_wait_dscnt 0x0
	;; [unrolled: 8-line block ×3, first 2 shown]
	v_add_f64_e32 v[22:23], v[20:21], v[46:47]
	ds_bpermute_b32 v20, v63, v1
	ds_bpermute_b32 v21, v63, v2
	;; [unrolled: 1-line block ×4, first 2 shown]
	s_and_saveexec_b32 s6, s4
	s_cbranch_execz .LBB181_36
; %bb.35:                               ;   in Loop: Header=BB181_12 Depth=2
	s_wait_dscnt 0x0
	v_add_f64_e32 v[22:23], v[22:23], v[46:47]
	v_add_f64_e32 v[20:21], v[1:2], v[20:21]
	ds_store_b128 v53, v[20:23]
.LBB181_36:                             ;   in Loop: Header=BB181_12 Depth=2
	s_wait_alu 0xfffe
	s_or_b32 exec_lo, exec_lo, s6
	v_mov_b32_e32 v22, 0
	s_wait_dscnt 0x2
	v_dual_mov_b32 v23, 0 :: v_dual_mov_b32 v20, 0
	v_mov_b32_e32 v21, 0
	s_wait_loadcnt_dscnt 0x0
	s_barrier_signal -1
	s_barrier_wait -1
	global_inv scope:SCOPE_SE
	s_and_saveexec_b32 s6, s5
	s_cbranch_execnz .LBB181_52
; %bb.37:                               ;   in Loop: Header=BB181_12 Depth=2
	s_wait_alu 0xfffe
	s_or_b32 exec_lo, exec_lo, s6
	s_and_saveexec_b32 s6, s3
	s_cbranch_execnz .LBB181_53
.LBB181_38:                             ;   in Loop: Header=BB181_12 Depth=2
	s_wait_alu 0xfffe
	s_or_b32 exec_lo, exec_lo, s6
	s_and_saveexec_b32 s6, s0
	s_cbranch_execz .LBB181_11
	s_branch .LBB181_54
.LBB181_39:                             ;   in Loop: Header=BB181_12 Depth=2
	s_clause 0x1
	global_load_b128 v[8:11], v[40:41], off
	global_load_b128 v[12:15], v[42:43], off
	s_mul_u64 s[8:9], s[28:29], s[30:31]
	s_or_b32 s70, s28, 1
	s_mov_b32 s71, s29
	s_or_b32 s72, s28, 2
	s_mov_b32 s73, s29
	;; [unrolled: 2-line block ×3, first 2 shown]
	s_wait_alu 0xfffe
	s_lshl_b64 s[8:9], s[8:9], 4
	s_mul_u64 s[70:71], s[70:71], s[30:31]
	s_mul_u64 s[72:73], s[72:73], s[30:31]
	;; [unrolled: 1-line block ×3, first 2 shown]
	s_wait_alu 0xfffe
	v_add_co_u32 v104, vcc_lo, v58, s8
	s_lshl_b64 s[70:71], s[70:71], 4
	s_lshl_b64 s[72:73], s[72:73], 4
	s_wait_alu 0xfffd
	v_add_co_ci_u32_e64 v105, null, s9, v59, vcc_lo
	s_wait_alu 0xfffe
	v_add_co_u32 v18, vcc_lo, v58, s70
	s_lshl_b64 s[8:9], s[74:75], 4
	s_wait_dscnt 0x0
	v_add_co_u32 v20, s6, v58, s72
	s_wait_alu 0xfffd
	v_add_co_ci_u32_e64 v19, null, s71, v59, vcc_lo
	s_wait_alu 0xfffe
	v_add_co_u32 v22, vcc_lo, v58, s8
	s_wait_alu 0xf1ff
	v_add_co_ci_u32_e64 v21, null, s73, v59, s6
	s_wait_alu 0xfffd
	v_add_co_ci_u32_e64 v23, null, s9, v59, vcc_lo
	s_clause 0x2
	global_load_b128 v[46:49], v[104:105], off offset:16
	global_load_b128 v[68:71], v[18:19], off offset:16
	;; [unrolled: 1-line block ×3, first 2 shown]
	s_wait_loadcnt 0x4
	scratch_store_b128 off, v[8:11], s64
	scratch_load_b128 v[64:67], off, off offset:16
	s_clause 0x1
	global_load_b128 v[76:79], v[22:23], off offset:16
	global_load_b128 v[80:83], v[104:105], off offset:32
	s_wait_loadcnt 0x6
	scratch_store_b128 off, v[12:15], s65
	scratch_load_b128 v[84:87], off, off offset:32
	s_clause 0x2
	global_load_b128 v[88:91], v[18:19], off offset:32
	global_load_b128 v[92:95], v[20:21], off offset:32
	;; [unrolled: 1-line block ×3, first 2 shown]
	global_load_b128 v[8:11], v[38:39], off
	global_load_b128 v[100:103], v[104:105], off
	s_wait_loadcnt 0x8
	v_mul_f64_e32 v[1:2], v[66:67], v[48:49]
	v_mul_f64_e32 v[12:13], v[64:65], v[48:49]
	;; [unrolled: 1-line block ×6, first 2 shown]
	s_wait_loadcnt 0x7
	v_mul_f64_e32 v[110:111], v[66:67], v[78:79]
	v_mul_f64_e32 v[78:79], v[64:65], v[78:79]
	s_wait_loadcnt 0x4
	v_mul_f64_e32 v[112:113], v[86:87], v[90:91]
	v_fma_f64 v[16:17], v[64:65], v[46:47], v[1:2]
	v_fma_f64 v[14:15], v[66:67], v[46:47], -v[12:13]
	global_load_b128 v[46:49], v[18:19], off
	v_fma_f64 v[12:13], v[64:65], v[68:69], v[106:107]
	v_fma_f64 v[1:2], v[66:67], v[68:69], -v[70:71]
	global_load_b128 v[68:71], v[44:45], off
	;; [unrolled: 3-line block ×4, first 2 shown]
	v_mul_f64_e32 v[76:77], v[86:87], v[82:83]
	v_mul_f64_e32 v[82:83], v[84:85], v[82:83]
	s_delay_alu instid0(VALU_DEP_2) | instskip(SKIP_1) | instid1(VALU_DEP_3)
	v_fma_f64 v[114:115], v[84:85], v[80:81], v[76:77]
	v_mul_f64_e32 v[76:77], v[84:85], v[90:91]
	v_fma_f64 v[80:81], v[86:87], v[80:81], -v[82:83]
	s_wait_loadcnt 0x7
	v_mul_f64_e32 v[82:83], v[86:87], v[94:95]
	v_fma_f64 v[90:91], v[84:85], v[88:89], v[112:113]
	s_delay_alu instid0(VALU_DEP_4) | instskip(SKIP_1) | instid1(VALU_DEP_4)
	v_fma_f64 v[88:89], v[86:87], v[88:89], -v[76:77]
	v_mul_f64_e32 v[76:77], v[84:85], v[94:95]
	v_fma_f64 v[82:83], v[84:85], v[92:93], v[82:83]
	s_wait_loadcnt 0x6
	v_mul_f64_e32 v[94:95], v[86:87], v[98:99]
	s_delay_alu instid0(VALU_DEP_3) | instskip(SKIP_3) | instid1(VALU_DEP_4)
	v_fma_f64 v[92:93], v[86:87], v[92:93], -v[76:77]
	v_mul_f64_e32 v[76:77], v[84:85], v[98:99]
	s_wait_loadcnt 0x4
	v_mul_f64_e32 v[98:99], v[10:11], v[102:103]
	v_fma_f64 v[84:85], v[84:85], v[96:97], v[94:95]
	s_delay_alu instid0(VALU_DEP_3) | instskip(SKIP_1) | instid1(VALU_DEP_4)
	v_fma_f64 v[86:87], v[86:87], v[96:97], -v[76:77]
	v_mul_f64_e32 v[76:77], v[8:9], v[102:103]
	v_fma_f64 v[98:99], v[8:9], v[100:101], v[98:99]
	s_delay_alu instid0(VALU_DEP_2)
	v_fma_f64 v[100:101], v[10:11], v[100:101], -v[76:77]
	s_wait_loadcnt 0x3
	v_mul_f64_e32 v[94:95], v[10:11], v[48:49]
	v_mul_f64_e32 v[48:49], v[8:9], v[48:49]
	s_wait_loadcnt 0x2
	scratch_store_b128 off, v[68:71], s66
	s_wait_loadcnt 0x1
	v_mul_f64_e32 v[70:71], v[10:11], v[74:75]
	v_mul_f64_e32 v[74:75], v[8:9], v[74:75]
	s_wait_loadcnt 0x0
	v_mul_f64_e32 v[96:97], v[10:11], v[66:67]
	v_mul_f64_e32 v[76:77], v[8:9], v[66:67]
	global_load_b128 v[66:69], v[104:105], off offset:48
	v_fma_f64 v[94:95], v[8:9], v[46:47], v[94:95]
	v_fma_f64 v[102:103], v[10:11], v[46:47], -v[48:49]
	scratch_load_b128 v[46:49], off, off offset:48
	v_fma_f64 v[104:105], v[8:9], v[72:73], v[70:71]
	v_fma_f64 v[112:113], v[10:11], v[72:73], -v[74:75]
	s_clause 0x1
	global_load_b128 v[70:73], v[18:19], off offset:48
	global_load_b128 v[18:21], v[20:21], off offset:48
	v_fma_f64 v[96:97], v[8:9], v[64:65], v[96:97]
	v_fma_f64 v[64:65], v[10:11], v[64:65], -v[76:77]
	global_load_b128 v[74:77], v[22:23], off offset:48
	v_add_f64_e32 v[22:23], 0, v[98:99]
	v_add_f64_e32 v[98:99], 0, v[100:101]
	scratch_store_b128 off, v[8:11], off
	v_add_f64_e32 v[94:95], 0, v[94:95]
	v_add_f64_e32 v[100:101], 0, v[102:103]
	;; [unrolled: 1-line block ×20, first 2 shown]
	s_wait_loadcnt 0x3
	v_mul_f64_e32 v[112:113], v[48:49], v[68:69]
	v_mul_f64_e32 v[22:23], v[46:47], v[68:69]
	s_wait_loadcnt 0x2
	v_mul_f64_e32 v[68:69], v[48:49], v[72:73]
	v_mul_f64_e32 v[72:73], v[46:47], v[72:73]
	;; [unrolled: 3-line block ×4, first 2 shown]
	v_fma_f64 v[78:79], v[46:47], v[66:67], v[112:113]
	v_fma_f64 v[22:23], v[48:49], v[66:67], -v[22:23]
	v_fma_f64 v[66:67], v[46:47], v[70:71], v[68:69]
	v_fma_f64 v[68:69], v[48:49], v[70:71], -v[72:73]
	;; [unrolled: 2-line block ×4, first 2 shown]
	v_add_f64_e32 v[74:75], v[98:99], v[82:83]
	v_add_f64_e32 v[76:77], v[100:101], v[92:93]
	;; [unrolled: 1-line block ×10, first 2 shown]
	s_and_not1_saveexec_b32 s6, s7
	s_cbranch_execz .LBB181_14
.LBB181_40:                             ;   in Loop: Header=BB181_12 Depth=2
	s_wait_dscnt 0x0
	v_mov_b32_e32 v20, 0
	v_mov_b32_e32 v16, 0
	v_mov_b32_e32 v12, 0
	v_dual_mov_b32 v48, 0 :: v_dual_mov_b32 v21, 0
	v_dual_mov_b32 v22, 0 :: v_dual_mov_b32 v17, 0
	;; [unrolled: 1-line block ×5, first 2 shown]
	v_mov_b32_e32 v19, 0
	v_mov_b32_e32 v15, 0
	;; [unrolled: 1-line block ×3, first 2 shown]
	s_and_saveexec_b32 s7, s2
	s_cbranch_execz .LBB181_56
; %bb.41:                               ;   in Loop: Header=BB181_12 Depth=2
	s_and_not1_b32 vcc_lo, exec_lo, s34
	s_wait_alu 0xfffe
	s_cbranch_vccnz .LBB181_55
; %bb.42:                               ;   in Loop: Header=BB181_12 Depth=2
	v_dual_mov_b32 v1, v34 :: v_dual_mov_b32 v2, v35
	s_mov_b32 s8, 0
	s_mov_b32 s9, s62
.LBB181_43:                             ;   Parent Loop BB181_3 Depth=1
                                        ;     Parent Loop BB181_12 Depth=2
                                        ; =>    This Inner Loop Header: Depth=3
	global_load_b128 v[8:11], v[1:2], off
	v_add_co_u32 v1, vcc_lo, v1, s46
	s_wait_alu 0xfffd
	v_add_co_ci_u32_e64 v2, null, s47, v2, vcc_lo
	s_wait_alu 0xfffe
	s_add_co_i32 s9, s9, -1
	s_wait_loadcnt 0x0
	scratch_store_b128 off, v[8:11], s8
	s_add_co_i32 s8, s8, 16
	s_wait_alu 0xfffe
	s_cmp_eq_u32 s9, 0
	s_cbranch_scc0 .LBB181_43
; %bb.44:                               ;   in Loop: Header=BB181_12 Depth=2
	v_mov_b32_e32 v46, 0
	v_mov_b32_e32 v14, 0
	;; [unrolled: 1-line block ×3, first 2 shown]
	v_dual_mov_b32 v22, 0 :: v_dual_mov_b32 v47, 0
	v_dual_mov_b32 v48, 0 :: v_dual_mov_b32 v15, 0
	v_dual_mov_b32 v12, 0 :: v_dual_mov_b32 v19, 0
	v_dual_mov_b32 v16, 0 :: v_dual_mov_b32 v23, 0
	v_dual_mov_b32 v20, 0 :: v_dual_mov_b32 v49, 0
	v_mov_b32_e32 v13, 0
	v_mov_b32_e32 v17, 0
	;; [unrolled: 1-line block ×3, first 2 shown]
	v_dual_mov_b32 v1, v36 :: v_dual_mov_b32 v2, v37
	s_mov_b32 s8, s67
	s_mov_b32 s9, s62
.LBB181_45:                             ;   Parent Loop BB181_3 Depth=1
                                        ;     Parent Loop BB181_12 Depth=2
                                        ; =>    This Inner Loop Header: Depth=3
	s_delay_alu instid0(VALU_DEP_1)
	v_add_co_u32 v68, vcc_lo, v1, s52
	s_wait_alu 0xfffd
	v_add_co_ci_u32_e64 v69, null, s53, v2, vcc_lo
	scratch_load_b128 v[8:11], off, s8 offset:-8
	v_add_co_u32 v72, vcc_lo, v68, s52
	s_wait_alu 0xfffd
	v_add_co_ci_u32_e64 v73, null, s53, v69, vcc_lo
	global_load_b128 v[64:67], v[1:2], off
	v_add_co_u32 v76, vcc_lo, v72, s52
	s_wait_alu 0xfffd
	v_add_co_ci_u32_e64 v77, null, s53, v73, vcc_lo
	v_add_co_u32 v1, vcc_lo, v1, 16
	s_clause 0x2
	global_load_b128 v[68:71], v[68:69], off
	global_load_b128 v[72:75], v[72:73], off
	;; [unrolled: 1-line block ×3, first 2 shown]
	s_wait_alu 0xfffd
	v_add_co_ci_u32_e64 v2, null, 0, v2, vcc_lo
	s_wait_alu 0xfffe
	s_add_co_i32 s9, s9, -1
	s_add_co_i32 s8, s8, 16
	s_wait_alu 0xfffe
	s_cmp_lg_u32 s9, 0
	s_wait_loadcnt 0x3
	v_mul_f64_e32 v[80:81], v[10:11], v[66:67]
	v_mul_f64_e32 v[66:67], v[8:9], v[66:67]
	s_wait_loadcnt 0x2
	v_mul_f64_e32 v[82:83], v[10:11], v[70:71]
	v_mul_f64_e32 v[70:71], v[8:9], v[70:71]
	;; [unrolled: 3-line block ×4, first 2 shown]
	v_fma_f64 v[80:81], v[8:9], v[64:65], v[80:81]
	v_fma_f64 v[64:65], v[10:11], v[64:65], -v[66:67]
	v_fma_f64 v[66:67], v[8:9], v[68:69], v[82:83]
	v_fma_f64 v[68:69], v[10:11], v[68:69], -v[70:71]
	;; [unrolled: 2-line block ×4, first 2 shown]
	v_add_f64_e32 v[48:49], v[48:49], v[80:81]
	v_add_f64_e32 v[46:47], v[46:47], v[64:65]
	;; [unrolled: 1-line block ×8, first 2 shown]
	s_cbranch_scc1 .LBB181_45
	s_branch .LBB181_56
.LBB181_46:                             ;   in Loop: Header=BB181_12 Depth=2
	ds_load_b128 v[8:11], v52
	s_wait_alu 0xfffe
	s_or_b32 exec_lo, exec_lo, s6
	s_and_saveexec_b32 s6, s3
	s_cbranch_execz .LBB181_20
.LBB181_47:                             ;   in Loop: Header=BB181_12 Depth=2
	s_wait_dscnt 0x0
	ds_bpermute_b32 v1, v61, v8
	ds_bpermute_b32 v2, v61, v9
	ds_bpermute_b32 v46, v61, v10
	ds_bpermute_b32 v47, v61, v11
	s_wait_dscnt 0x2
	v_add_f64_e32 v[1:2], v[8:9], v[1:2]
	s_wait_dscnt 0x0
	v_add_f64_e32 v[8:9], v[10:11], v[46:47]
	ds_bpermute_b32 v10, v62, v1
	ds_bpermute_b32 v11, v62, v2
	ds_bpermute_b32 v46, v62, v8
	ds_bpermute_b32 v47, v62, v9
	s_wait_dscnt 0x2
	v_add_f64_e32 v[1:2], v[1:2], v[10:11]
	s_wait_dscnt 0x0
	v_add_f64_e32 v[10:11], v[8:9], v[46:47]
	;; [unrolled: 8-line block ×3, first 2 shown]
	s_wait_alu 0xfffe
	s_or_b32 exec_lo, exec_lo, s6
	s_and_saveexec_b32 s6, s3
	s_cbranch_execnz .LBB181_21
	s_branch .LBB181_22
.LBB181_48:                             ;   in Loop: Header=BB181_12 Depth=2
	ds_load_b128 v[12:15], v52
	s_wait_alu 0xfffe
	s_or_b32 exec_lo, exec_lo, s6
	s_and_saveexec_b32 s6, s3
	s_cbranch_execz .LBB181_26
.LBB181_49:                             ;   in Loop: Header=BB181_12 Depth=2
	s_wait_dscnt 0x0
	ds_bpermute_b32 v1, v61, v12
	ds_bpermute_b32 v2, v61, v13
	ds_bpermute_b32 v46, v61, v14
	ds_bpermute_b32 v47, v61, v15
	s_wait_dscnt 0x2
	v_add_f64_e32 v[1:2], v[12:13], v[1:2]
	s_wait_dscnt 0x0
	v_add_f64_e32 v[12:13], v[14:15], v[46:47]
	ds_bpermute_b32 v14, v62, v1
	ds_bpermute_b32 v15, v62, v2
	ds_bpermute_b32 v46, v62, v12
	ds_bpermute_b32 v47, v62, v13
	s_wait_dscnt 0x2
	v_add_f64_e32 v[1:2], v[1:2], v[14:15]
	s_wait_dscnt 0x0
	v_add_f64_e32 v[14:15], v[12:13], v[46:47]
	;; [unrolled: 8-line block ×3, first 2 shown]
	s_wait_alu 0xfffe
	s_or_b32 exec_lo, exec_lo, s6
	s_and_saveexec_b32 s6, s3
	s_cbranch_execnz .LBB181_27
	s_branch .LBB181_28
.LBB181_50:                             ;   in Loop: Header=BB181_12 Depth=2
	ds_load_b128 v[16:19], v52
	s_wait_alu 0xfffe
	s_or_b32 exec_lo, exec_lo, s6
	s_and_saveexec_b32 s6, s3
	s_cbranch_execz .LBB181_32
.LBB181_51:                             ;   in Loop: Header=BB181_12 Depth=2
	s_wait_dscnt 0x0
	ds_bpermute_b32 v1, v61, v16
	ds_bpermute_b32 v2, v61, v17
	ds_bpermute_b32 v46, v61, v18
	ds_bpermute_b32 v47, v61, v19
	s_wait_dscnt 0x2
	v_add_f64_e32 v[1:2], v[16:17], v[1:2]
	s_wait_dscnt 0x0
	v_add_f64_e32 v[16:17], v[18:19], v[46:47]
	ds_bpermute_b32 v18, v62, v1
	ds_bpermute_b32 v19, v62, v2
	ds_bpermute_b32 v46, v62, v16
	ds_bpermute_b32 v47, v62, v17
	s_wait_dscnt 0x2
	v_add_f64_e32 v[1:2], v[1:2], v[18:19]
	s_wait_dscnt 0x0
	v_add_f64_e32 v[18:19], v[16:17], v[46:47]
	;; [unrolled: 8-line block ×3, first 2 shown]
	s_wait_alu 0xfffe
	s_or_b32 exec_lo, exec_lo, s6
	s_and_saveexec_b32 s6, s3
	s_cbranch_execnz .LBB181_33
	s_branch .LBB181_34
.LBB181_52:                             ;   in Loop: Header=BB181_12 Depth=2
	ds_load_b128 v[20:23], v52
	s_wait_alu 0xfffe
	s_or_b32 exec_lo, exec_lo, s6
	s_and_saveexec_b32 s6, s3
	s_cbranch_execz .LBB181_38
.LBB181_53:                             ;   in Loop: Header=BB181_12 Depth=2
	s_wait_dscnt 0x0
	ds_bpermute_b32 v1, v61, v20
	ds_bpermute_b32 v2, v61, v21
	ds_bpermute_b32 v46, v61, v22
	ds_bpermute_b32 v47, v61, v23
	s_wait_dscnt 0x2
	v_add_f64_e32 v[1:2], v[20:21], v[1:2]
	s_wait_dscnt 0x0
	v_add_f64_e32 v[20:21], v[22:23], v[46:47]
	ds_bpermute_b32 v22, v62, v1
	ds_bpermute_b32 v23, v62, v2
	ds_bpermute_b32 v46, v62, v20
	ds_bpermute_b32 v47, v62, v21
	s_wait_dscnt 0x2
	v_add_f64_e32 v[1:2], v[1:2], v[22:23]
	s_wait_dscnt 0x0
	v_add_f64_e32 v[22:23], v[20:21], v[46:47]
	;; [unrolled: 8-line block ×3, first 2 shown]
	s_wait_alu 0xfffe
	s_or_b32 exec_lo, exec_lo, s6
	s_and_saveexec_b32 s6, s0
	s_cbranch_execz .LBB181_11
.LBB181_54:                             ;   in Loop: Header=BB181_12 Depth=2
	v_mul_f64_e32 v[1:2], v[6:7], v[10:11]
	v_mul_f64_e32 v[10:11], v[4:5], v[10:11]
	;; [unrolled: 1-line block ×6, first 2 shown]
	s_wait_dscnt 0x0
	v_mul_f64_e32 v[68:69], v[6:7], v[22:23]
	v_mul_f64_e32 v[22:23], v[4:5], v[22:23]
	s_or_b32 s70, s28, 1
	s_mov_b32 s71, s29
	s_mul_u64 s[8:9], s[28:29], s[36:37]
	s_or_b32 s72, s28, 2
	s_mov_b32 s73, s29
	s_or_b32 s74, s28, 3
	s_mov_b32 s75, s29
	s_wait_alu 0xfffe
	s_mul_u64 s[70:71], s[70:71], s[36:37]
	s_mul_u64 s[72:73], s[72:73], s[36:37]
	;; [unrolled: 1-line block ×3, first 2 shown]
	s_lshl_b64 s[8:9], s[8:9], 4
	s_wait_alu 0xfffe
	s_lshl_b64 s[70:71], s[70:71], 4
	s_add_nc_u64 s[8:9], s[54:55], s[8:9]
	s_lshl_b64 s[72:73], s[72:73], 4
	s_lshl_b64 s[74:75], s[74:75], 4
	s_wait_alu 0xfffe
	s_add_nc_u64 s[70:71], s[54:55], s[70:71]
	s_add_nc_u64 s[72:73], s[54:55], s[72:73]
	s_add_nc_u64 s[74:75], s[54:55], s[74:75]
	v_fma_f64 v[46:47], v[4:5], v[8:9], -v[1:2]
	v_fma_f64 v[48:49], v[6:7], v[8:9], v[10:11]
	v_fma_f64 v[8:9], v[4:5], v[12:13], -v[64:65]
	v_fma_f64 v[10:11], v[6:7], v[12:13], v[14:15]
	;; [unrolled: 2-line block ×4, first 2 shown]
	s_clause 0x3
	global_store_b128 v0, v[46:49], s[8:9]
	global_store_b128 v0, v[8:11], s[70:71]
	;; [unrolled: 1-line block ×4, first 2 shown]
	s_branch .LBB181_11
.LBB181_55:                             ;   in Loop: Header=BB181_12 Depth=2
	v_mov_b32_e32 v20, 0
	v_mov_b32_e32 v16, 0
	;; [unrolled: 1-line block ×3, first 2 shown]
	v_dual_mov_b32 v48, 0 :: v_dual_mov_b32 v21, 0
	v_dual_mov_b32 v22, 0 :: v_dual_mov_b32 v17, 0
	;; [unrolled: 1-line block ×5, first 2 shown]
	v_mov_b32_e32 v19, 0
	v_mov_b32_e32 v15, 0
	;; [unrolled: 1-line block ×3, first 2 shown]
.LBB181_56:                             ;   in Loop: Header=BB181_12 Depth=2
	s_wait_alu 0xfffe
	s_or_b32 exec_lo, exec_lo, s7
	s_delay_alu instid0(SALU_CYCLE_1)
	s_or_b32 exec_lo, exec_lo, s6
	s_and_saveexec_b32 s6, s3
	s_cbranch_execnz .LBB181_15
	s_branch .LBB181_16
.LBB181_57:                             ;   in Loop: Header=BB181_3 Depth=1
	s_mov_b32 s28, 0
.LBB181_58:                             ;   in Loop: Header=BB181_3 Depth=1
	s_delay_alu instid0(SALU_CYCLE_1)
	s_cmp_ge_i32 s28, s35
	s_cbranch_scc1 .LBB181_2
; %bb.59:                               ;   in Loop: Header=BB181_3 Depth=1
	v_cmp_gt_u32_e32 vcc_lo, 24, v56
	s_mul_u64 s[6:7], s[52:53], s[28:29]
	s_wait_alu 0xfffe
	s_add_nc_u64 s[6:7], s[6:7], s[56:57]
	s_wait_alu 0xfffd
	v_cndmask_b32_e64 v1, 0, 8, vcc_lo
	v_cmp_gt_u32_e32 vcc_lo, 28, v56
	s_delay_alu instid0(VALU_DEP_2) | instskip(SKIP_3) | instid1(VALU_DEP_2)
	v_add_lshl_u32 v36, v1, v56, 2
	s_wait_alu 0xfffd
	v_cndmask_b32_e64 v2, 0, 4, vcc_lo
	v_cmp_gt_u32_e32 vcc_lo, 30, v56
	v_add_lshl_u32 v37, v2, v56, 2
	s_wait_alu 0xfffd
	v_cndmask_b32_e64 v3, 0, 2, vcc_lo
	v_cmp_ne_u32_e32 vcc_lo, 31, v56
	s_delay_alu instid0(VALU_DEP_2)
	v_add_lshl_u32 v38, v3, v56, 2
	s_wait_dscnt 0x0
	s_wait_alu 0xfffd
	v_add_co_ci_u32_e64 v8, null, 0, v56, vcc_lo
	v_add_co_u32 v12, vcc_lo, s58, v24
	s_wait_alu 0xfffd
	v_add_co_ci_u32_e64 v13, null, s59, v25, vcc_lo
	v_add_co_u32 v14, vcc_lo, s58, v28
	;; [unrolled: 3-line block ×4, first 2 shown]
	s_wait_alu 0xfffd
	v_add_co_ci_u32_e64 v19, null, s59, v33, vcc_lo
	s_wait_dscnt 0x0
	s_wait_alu 0xfffe
	v_add_co_u32 v20, vcc_lo, v54, s6
	v_lshlrev_b32_e32 v39, 2, v8
	s_wait_alu 0xfffd
	v_add_co_ci_u32_e64 v21, null, s7, v55, vcc_lo
	s_branch .LBB181_61
.LBB181_60:                             ;   in Loop: Header=BB181_61 Depth=2
	s_wait_alu 0xfffe
	s_or_b32 exec_lo, exec_lo, s6
	v_add_co_u32 v20, vcc_lo, v20, s52
	s_wait_alu 0xfffd
	v_add_co_ci_u32_e64 v21, null, s53, v21, vcc_lo
	s_add_co_i32 s28, s28, 1
	s_delay_alu instid0(SALU_CYCLE_1)
	s_cmp_lt_i32 s28, s35
	s_cbranch_scc0 .LBB181_2
.LBB181_61:                             ;   Parent Loop BB181_3 Depth=1
                                        ; =>  This Loop Header: Depth=2
                                        ;       Child Loop BB181_73 Depth 3
                                        ;       Child Loop BB181_75 Depth 3
                                        ; implicit-def: $vgpr8_vgpr9
                                        ; implicit-def: $vgpr10_vgpr11
	s_and_saveexec_b32 s6, s1
	s_wait_alu 0xfffe
	s_xor_b32 s6, exec_lo, s6
	s_cbranch_execnz .LBB181_70
; %bb.62:                               ;   in Loop: Header=BB181_61 Depth=2
	s_wait_alu 0xfffe
	s_and_not1_saveexec_b32 s6, s6
	s_cbranch_execnz .LBB181_71
.LBB181_63:                             ;   in Loop: Header=BB181_61 Depth=2
	s_wait_alu 0xfffe
	s_or_b32 exec_lo, exec_lo, s6
	s_and_saveexec_b32 s6, s3
.LBB181_64:                             ;   in Loop: Header=BB181_61 Depth=2
	v_dual_mov_b32 v1, v0 :: v_dual_mov_b32 v2, v0
	v_mov_b32_e32 v3, v0
	ds_store_b128 v52, v[0:3]
.LBB181_65:                             ;   in Loop: Header=BB181_61 Depth=2
	s_wait_alu 0xfffe
	s_or_b32 exec_lo, exec_lo, s6
	s_wait_dscnt 0x0
	ds_bpermute_b32 v1, v57, v8
	ds_bpermute_b32 v2, v57, v9
	;; [unrolled: 1-line block ×4, first 2 shown]
	s_wait_storecnt 0x0
	s_wait_loadcnt_dscnt 0x0
	s_barrier_signal -1
	s_barrier_wait -1
	global_inv scope:SCOPE_SE
	v_add_f64_e32 v[1:2], v[8:9], v[1:2]
	v_add_f64_e32 v[8:9], v[10:11], v[22:23]
	ds_bpermute_b32 v10, v36, v1
	ds_bpermute_b32 v11, v36, v2
	ds_bpermute_b32 v22, v36, v8
	ds_bpermute_b32 v23, v36, v9
	s_wait_dscnt 0x2
	v_add_f64_e32 v[1:2], v[1:2], v[10:11]
	s_wait_dscnt 0x0
	v_add_f64_e32 v[8:9], v[8:9], v[22:23]
	ds_bpermute_b32 v10, v37, v1
	ds_bpermute_b32 v11, v37, v2
	ds_bpermute_b32 v22, v37, v8
	ds_bpermute_b32 v23, v37, v9
	s_wait_dscnt 0x2
	v_add_f64_e32 v[1:2], v[1:2], v[10:11]
	s_wait_dscnt 0x0
	;; [unrolled: 8-line block ×3, first 2 shown]
	v_add_f64_e32 v[10:11], v[8:9], v[22:23]
	ds_bpermute_b32 v8, v39, v1
	ds_bpermute_b32 v9, v39, v2
	;; [unrolled: 1-line block ×4, first 2 shown]
	s_and_saveexec_b32 s6, s4
	s_cbranch_execz .LBB181_67
; %bb.66:                               ;   in Loop: Header=BB181_61 Depth=2
	s_wait_dscnt 0x0
	v_add_f64_e32 v[10:11], v[10:11], v[22:23]
	v_add_f64_e32 v[8:9], v[1:2], v[8:9]
	ds_store_b128 v53, v[8:11]
.LBB181_67:                             ;   in Loop: Header=BB181_61 Depth=2
	s_wait_alu 0xfffe
	s_or_b32 exec_lo, exec_lo, s6
	v_mov_b32_e32 v10, 0
	s_wait_dscnt 0x2
	v_dual_mov_b32 v11, 0 :: v_dual_mov_b32 v8, 0
	v_mov_b32_e32 v9, 0
	s_wait_loadcnt_dscnt 0x0
	s_barrier_signal -1
	s_barrier_wait -1
	global_inv scope:SCOPE_SE
	s_and_saveexec_b32 s6, s5
	s_cbranch_execnz .LBB181_77
; %bb.68:                               ;   in Loop: Header=BB181_61 Depth=2
	s_wait_alu 0xfffe
	s_or_b32 exec_lo, exec_lo, s6
	s_and_saveexec_b32 s6, s3
	s_cbranch_execnz .LBB181_78
.LBB181_69:                             ;   in Loop: Header=BB181_61 Depth=2
	s_wait_alu 0xfffe
	s_or_b32 exec_lo, exec_lo, s6
	s_and_saveexec_b32 s6, s0
	s_cbranch_execz .LBB181_60
	s_branch .LBB181_79
.LBB181_70:                             ;   in Loop: Header=BB181_61 Depth=2
	s_wait_dscnt 0x0
	s_clause 0x2
	global_load_b128 v[8:11], v[14:15], off
	global_load_b128 v[40:43], v[16:17], off
	;; [unrolled: 1-line block ×3, first 2 shown]
	s_mul_u64 s[8:9], s[28:29], s[30:31]
	s_wait_alu 0xfffe
	s_lshl_b64 s[8:9], s[8:9], 4
	s_wait_alu 0xfffe
	v_add_co_u32 v1, vcc_lo, v58, s8
	s_wait_alu 0xfffd
	v_add_co_ci_u32_e64 v2, null, s9, v59, vcc_lo
	global_load_b128 v[60:63], v[12:13], off
	s_clause 0x1
	global_load_b128 v[64:67], v[1:2], off
	global_load_b128 v[68:71], v[1:2], off offset:16
	s_wait_loadcnt 0x5
	scratch_store_b128 off, v[8:11], s64
	s_wait_loadcnt 0x4
	scratch_store_b128 off, v[40:43], s65
	s_clause 0x1
	scratch_load_b128 v[8:11], off, off offset:16
	scratch_load_b128 v[40:43], off, off offset:32
	s_clause 0x1
	global_load_b128 v[72:75], v[1:2], off offset:32
	global_load_b128 v[76:79], v[1:2], off offset:48
	s_wait_loadcnt 0x7
	scratch_store_b128 off, v[44:47], s66
	scratch_load_b128 v[44:47], off, off offset:48
	s_wait_loadcnt 0x7
	scratch_store_b128 off, v[60:63], off
	s_wait_loadcnt 0x6
	v_mul_f64_e32 v[1:2], v[66:67], v[62:63]
	v_mul_f64_e32 v[22:23], v[66:67], v[60:61]
	s_delay_alu instid0(VALU_DEP_2) | instskip(NEXT) | instid1(VALU_DEP_2)
	v_fma_f64 v[1:2], v[64:65], v[60:61], v[1:2]
	v_fma_f64 v[22:23], v[64:65], v[62:63], -v[22:23]
	s_delay_alu instid0(VALU_DEP_2) | instskip(NEXT) | instid1(VALU_DEP_2)
	v_add_f64_e32 v[1:2], 0, v[1:2]
	v_add_f64_e32 v[22:23], 0, v[22:23]
	s_wait_loadcnt 0x4
	v_mul_f64_e32 v[48:49], v[70:71], v[10:11]
	v_mul_f64_e32 v[64:65], v[70:71], v[8:9]
	s_wait_loadcnt 0x2
	v_mul_f64_e32 v[66:67], v[74:75], v[42:43]
	v_mul_f64_e32 v[70:71], v[74:75], v[40:41]
	s_delay_alu instid0(VALU_DEP_4) | instskip(NEXT) | instid1(VALU_DEP_4)
	v_fma_f64 v[8:9], v[68:69], v[8:9], v[48:49]
	v_fma_f64 v[10:11], v[68:69], v[10:11], -v[64:65]
	s_wait_loadcnt 0x0
	v_mul_f64_e32 v[48:49], v[78:79], v[46:47]
	v_mul_f64_e32 v[64:65], v[78:79], v[44:45]
	v_fma_f64 v[40:41], v[72:73], v[40:41], v[66:67]
	v_fma_f64 v[42:43], v[72:73], v[42:43], -v[70:71]
	v_add_f64_e32 v[1:2], v[1:2], v[8:9]
	v_add_f64_e32 v[8:9], v[22:23], v[10:11]
	v_fma_f64 v[10:11], v[76:77], v[44:45], v[48:49]
	v_fma_f64 v[22:23], v[76:77], v[46:47], -v[64:65]
	s_delay_alu instid0(VALU_DEP_4) | instskip(NEXT) | instid1(VALU_DEP_4)
	v_add_f64_e32 v[1:2], v[1:2], v[40:41]
	v_add_f64_e32 v[40:41], v[8:9], v[42:43]
	s_delay_alu instid0(VALU_DEP_2) | instskip(NEXT) | instid1(VALU_DEP_2)
	v_add_f64_e32 v[8:9], v[1:2], v[10:11]
	v_add_f64_e32 v[10:11], v[40:41], v[22:23]
	s_and_not1_saveexec_b32 s6, s6
	s_cbranch_execz .LBB181_63
.LBB181_71:                             ;   in Loop: Header=BB181_61 Depth=2
	s_wait_dscnt 0x0
	v_mov_b32_e32 v8, 0
	v_dual_mov_b32 v9, 0 :: v_dual_mov_b32 v10, 0
	v_mov_b32_e32 v11, 0
	s_and_saveexec_b32 s7, s68
	s_cbranch_execz .LBB181_76
; %bb.72:                               ;   in Loop: Header=BB181_61 Depth=2
	v_dual_mov_b32 v1, v34 :: v_dual_mov_b32 v2, v35
	s_mov_b32 s8, 0
	s_mov_b32 s9, s62
.LBB181_73:                             ;   Parent Loop BB181_3 Depth=1
                                        ;     Parent Loop BB181_61 Depth=2
                                        ; =>    This Inner Loop Header: Depth=3
	global_load_b128 v[8:11], v[1:2], off
	v_add_co_u32 v1, vcc_lo, v1, s46
	s_wait_alu 0xfffd
	v_add_co_ci_u32_e64 v2, null, s47, v2, vcc_lo
	s_wait_alu 0xfffe
	s_add_co_i32 s9, s9, -1
	s_wait_loadcnt 0x0
	scratch_store_b128 off, v[8:11], s8
	s_add_co_i32 s8, s8, 16
	s_wait_alu 0xfffe
	s_cmp_eq_u32 s9, 0
	s_cbranch_scc0 .LBB181_73
; %bb.74:                               ;   in Loop: Header=BB181_61 Depth=2
	v_mov_b32_e32 v8, 0
	v_dual_mov_b32 v9, 0 :: v_dual_mov_b32 v10, 0
	v_mov_b32_e32 v11, 0
	v_dual_mov_b32 v1, v20 :: v_dual_mov_b32 v2, v21
	s_mov_b32 s8, s67
	s_mov_b32 s9, s62
.LBB181_75:                             ;   Parent Loop BB181_3 Depth=1
                                        ;     Parent Loop BB181_61 Depth=2
                                        ; =>    This Inner Loop Header: Depth=3
	global_load_b128 v[40:43], v[1:2], off offset:-8
	scratch_load_b128 v[44:47], off, s8 offset:-8
	v_add_co_u32 v1, vcc_lo, v1, 16
	s_wait_alu 0xfffd
	v_add_co_ci_u32_e64 v2, null, 0, v2, vcc_lo
	s_wait_alu 0xfffe
	s_add_co_i32 s9, s9, -1
	s_add_co_i32 s8, s8, 16
	s_wait_alu 0xfffe
	s_cmp_lg_u32 s9, 0
	s_wait_loadcnt 0x0
	v_mul_f64_e32 v[22:23], v[42:43], v[46:47]
	v_mul_f64_e32 v[42:43], v[42:43], v[44:45]
	s_delay_alu instid0(VALU_DEP_2) | instskip(NEXT) | instid1(VALU_DEP_2)
	v_fma_f64 v[22:23], v[40:41], v[44:45], v[22:23]
	v_fma_f64 v[40:41], v[40:41], v[46:47], -v[42:43]
	s_delay_alu instid0(VALU_DEP_2) | instskip(NEXT) | instid1(VALU_DEP_2)
	v_add_f64_e32 v[8:9], v[8:9], v[22:23]
	v_add_f64_e32 v[10:11], v[10:11], v[40:41]
	s_cbranch_scc1 .LBB181_75
.LBB181_76:                             ;   in Loop: Header=BB181_61 Depth=2
	s_wait_alu 0xfffe
	s_or_b32 exec_lo, exec_lo, s7
	s_delay_alu instid0(SALU_CYCLE_1)
	s_or_b32 exec_lo, exec_lo, s6
	s_and_saveexec_b32 s6, s3
	s_cbranch_execnz .LBB181_64
	s_branch .LBB181_65
.LBB181_77:                             ;   in Loop: Header=BB181_61 Depth=2
	ds_load_b128 v[8:11], v52
	s_wait_alu 0xfffe
	s_or_b32 exec_lo, exec_lo, s6
	s_and_saveexec_b32 s6, s3
	s_cbranch_execz .LBB181_69
.LBB181_78:                             ;   in Loop: Header=BB181_61 Depth=2
	s_wait_dscnt 0x0
	ds_bpermute_b32 v1, v37, v8
	ds_bpermute_b32 v2, v37, v9
	ds_bpermute_b32 v22, v37, v10
	ds_bpermute_b32 v23, v37, v11
	s_wait_dscnt 0x2
	v_add_f64_e32 v[1:2], v[8:9], v[1:2]
	s_wait_dscnt 0x0
	v_add_f64_e32 v[8:9], v[10:11], v[22:23]
	ds_bpermute_b32 v10, v38, v1
	ds_bpermute_b32 v11, v38, v2
	ds_bpermute_b32 v22, v38, v8
	ds_bpermute_b32 v23, v38, v9
	s_wait_dscnt 0x2
	v_add_f64_e32 v[1:2], v[1:2], v[10:11]
	s_wait_dscnt 0x0
	v_add_f64_e32 v[10:11], v[8:9], v[22:23]
	;; [unrolled: 8-line block ×3, first 2 shown]
	s_wait_alu 0xfffe
	s_or_b32 exec_lo, exec_lo, s6
	s_and_saveexec_b32 s6, s0
	s_cbranch_execz .LBB181_60
.LBB181_79:                             ;   in Loop: Header=BB181_61 Depth=2
	s_wait_dscnt 0x0
	s_delay_alu instid0(VALU_DEP_1)
	v_mul_f64_e32 v[1:2], v[6:7], v[10:11]
	v_mul_f64_e32 v[10:11], v[4:5], v[10:11]
	s_mul_u64 s[8:9], s[28:29], s[36:37]
	s_wait_alu 0xfffe
	s_lshl_b64 s[8:9], s[8:9], 4
	s_wait_alu 0xfffe
	s_add_nc_u64 s[8:9], s[54:55], s[8:9]
	s_delay_alu instid0(VALU_DEP_2) | instskip(NEXT) | instid1(VALU_DEP_2)
	v_fma_f64 v[40:41], v[4:5], v[8:9], -v[1:2]
	v_fma_f64 v[42:43], v[6:7], v[8:9], v[10:11]
	global_store_b128 v0, v[40:43], s[8:9]
	s_branch .LBB181_60
.LBB181_80:
	s_nop 0
	s_sendmsg sendmsg(MSG_DEALLOC_VGPRS)
	s_endpgm
	.section	.rodata,"a",@progbits
	.p2align	6, 0x0
	.amdhsa_kernel _ZL23rocblas_gemvt_sn_kernelILb1ELi256ELi4El19rocblas_complex_numIdEPKS1_S1_EviiT4_lPKT3_lilS7_lilPT5_i
		.amdhsa_group_segment_fixed_size 512
		.amdhsa_private_segment_fixed_size 80
		.amdhsa_kernarg_size 360
		.amdhsa_user_sgpr_count 2
		.amdhsa_user_sgpr_dispatch_ptr 0
		.amdhsa_user_sgpr_queue_ptr 0
		.amdhsa_user_sgpr_kernarg_segment_ptr 1
		.amdhsa_user_sgpr_dispatch_id 0
		.amdhsa_user_sgpr_private_segment_size 0
		.amdhsa_wavefront_size32 1
		.amdhsa_uses_dynamic_stack 0
		.amdhsa_enable_private_segment 1
		.amdhsa_system_sgpr_workgroup_id_x 1
		.amdhsa_system_sgpr_workgroup_id_y 0
		.amdhsa_system_sgpr_workgroup_id_z 1
		.amdhsa_system_sgpr_workgroup_info 0
		.amdhsa_system_vgpr_workitem_id 0
		.amdhsa_next_free_vgpr 116
		.amdhsa_next_free_sgpr 76
		.amdhsa_reserve_vcc 1
		.amdhsa_float_round_mode_32 0
		.amdhsa_float_round_mode_16_64 0
		.amdhsa_float_denorm_mode_32 3
		.amdhsa_float_denorm_mode_16_64 3
		.amdhsa_fp16_overflow 0
		.amdhsa_workgroup_processor_mode 1
		.amdhsa_memory_ordered 1
		.amdhsa_forward_progress 1
		.amdhsa_inst_pref_size 56
		.amdhsa_round_robin_scheduling 0
		.amdhsa_exception_fp_ieee_invalid_op 0
		.amdhsa_exception_fp_denorm_src 0
		.amdhsa_exception_fp_ieee_div_zero 0
		.amdhsa_exception_fp_ieee_overflow 0
		.amdhsa_exception_fp_ieee_underflow 0
		.amdhsa_exception_fp_ieee_inexact 0
		.amdhsa_exception_int_div_zero 0
	.end_amdhsa_kernel
	.section	.text._ZL23rocblas_gemvt_sn_kernelILb1ELi256ELi4El19rocblas_complex_numIdEPKS1_S1_EviiT4_lPKT3_lilS7_lilPT5_i,"axG",@progbits,_ZL23rocblas_gemvt_sn_kernelILb1ELi256ELi4El19rocblas_complex_numIdEPKS1_S1_EviiT4_lPKT3_lilS7_lilPT5_i,comdat
.Lfunc_end181:
	.size	_ZL23rocblas_gemvt_sn_kernelILb1ELi256ELi4El19rocblas_complex_numIdEPKS1_S1_EviiT4_lPKT3_lilS7_lilPT5_i, .Lfunc_end181-_ZL23rocblas_gemvt_sn_kernelILb1ELi256ELi4El19rocblas_complex_numIdEPKS1_S1_EviiT4_lPKT3_lilS7_lilPT5_i
                                        ; -- End function
	.set _ZL23rocblas_gemvt_sn_kernelILb1ELi256ELi4El19rocblas_complex_numIdEPKS1_S1_EviiT4_lPKT3_lilS7_lilPT5_i.num_vgpr, 116
	.set _ZL23rocblas_gemvt_sn_kernelILb1ELi256ELi4El19rocblas_complex_numIdEPKS1_S1_EviiT4_lPKT3_lilS7_lilPT5_i.num_agpr, 0
	.set _ZL23rocblas_gemvt_sn_kernelILb1ELi256ELi4El19rocblas_complex_numIdEPKS1_S1_EviiT4_lPKT3_lilS7_lilPT5_i.numbered_sgpr, 76
	.set _ZL23rocblas_gemvt_sn_kernelILb1ELi256ELi4El19rocblas_complex_numIdEPKS1_S1_EviiT4_lPKT3_lilS7_lilPT5_i.num_named_barrier, 0
	.set _ZL23rocblas_gemvt_sn_kernelILb1ELi256ELi4El19rocblas_complex_numIdEPKS1_S1_EviiT4_lPKT3_lilS7_lilPT5_i.private_seg_size, 80
	.set _ZL23rocblas_gemvt_sn_kernelILb1ELi256ELi4El19rocblas_complex_numIdEPKS1_S1_EviiT4_lPKT3_lilS7_lilPT5_i.uses_vcc, 1
	.set _ZL23rocblas_gemvt_sn_kernelILb1ELi256ELi4El19rocblas_complex_numIdEPKS1_S1_EviiT4_lPKT3_lilS7_lilPT5_i.uses_flat_scratch, 1
	.set _ZL23rocblas_gemvt_sn_kernelILb1ELi256ELi4El19rocblas_complex_numIdEPKS1_S1_EviiT4_lPKT3_lilS7_lilPT5_i.has_dyn_sized_stack, 0
	.set _ZL23rocblas_gemvt_sn_kernelILb1ELi256ELi4El19rocblas_complex_numIdEPKS1_S1_EviiT4_lPKT3_lilS7_lilPT5_i.has_recursion, 0
	.set _ZL23rocblas_gemvt_sn_kernelILb1ELi256ELi4El19rocblas_complex_numIdEPKS1_S1_EviiT4_lPKT3_lilS7_lilPT5_i.has_indirect_call, 0
	.section	.AMDGPU.csdata,"",@progbits
; Kernel info:
; codeLenInByte = 7132
; TotalNumSgprs: 78
; NumVgprs: 116
; ScratchSize: 80
; MemoryBound: 0
; FloatMode: 240
; IeeeMode: 1
; LDSByteSize: 512 bytes/workgroup (compile time only)
; SGPRBlocks: 0
; VGPRBlocks: 14
; NumSGPRsForWavesPerEU: 78
; NumVGPRsForWavesPerEU: 116
; Occupancy: 12
; WaveLimiterHint : 0
; COMPUTE_PGM_RSRC2:SCRATCH_EN: 1
; COMPUTE_PGM_RSRC2:USER_SGPR: 2
; COMPUTE_PGM_RSRC2:TRAP_HANDLER: 0
; COMPUTE_PGM_RSRC2:TGID_X_EN: 1
; COMPUTE_PGM_RSRC2:TGID_Y_EN: 0
; COMPUTE_PGM_RSRC2:TGID_Z_EN: 1
; COMPUTE_PGM_RSRC2:TIDIG_COMP_CNT: 0
	.section	.text._ZL23rocblas_gemvt_sn_kernelILb1ELi256ELi4Ei19rocblas_complex_numIdES1_S1_EviiT4_lPKT3_lilS5_lilPT5_i,"axG",@progbits,_ZL23rocblas_gemvt_sn_kernelILb1ELi256ELi4Ei19rocblas_complex_numIdES1_S1_EviiT4_lPKT3_lilS5_lilPT5_i,comdat
	.globl	_ZL23rocblas_gemvt_sn_kernelILb1ELi256ELi4Ei19rocblas_complex_numIdES1_S1_EviiT4_lPKT3_lilS5_lilPT5_i ; -- Begin function _ZL23rocblas_gemvt_sn_kernelILb1ELi256ELi4Ei19rocblas_complex_numIdES1_S1_EviiT4_lPKT3_lilS5_lilPT5_i
	.p2align	8
	.type	_ZL23rocblas_gemvt_sn_kernelILb1ELi256ELi4Ei19rocblas_complex_numIdES1_S1_EviiT4_lPKT3_lilS5_lilPT5_i,@function
_ZL23rocblas_gemvt_sn_kernelILb1ELi256ELi4Ei19rocblas_complex_numIdES1_S1_EviiT4_lPKT3_lilS5_lilPT5_i: ; @_ZL23rocblas_gemvt_sn_kernelILb1ELi256ELi4Ei19rocblas_complex_numIdES1_S1_EviiT4_lPKT3_lilS5_lilPT5_i
; %bb.0:
	s_load_b32 s11, s[0:1], 0x68
	s_lshr_b32 s24, ttmp7, 16
	s_wait_kmcnt 0x0
	s_cmp_ge_u32 s24, s11
	s_cbranch_scc1 .LBB182_80
; %bb.1:
	s_clause 0x7
	s_load_b128 s[12:15], s[0:1], 0x8
	s_load_b96 s[8:10], s[0:1], 0x48
	s_load_b128 s[4:7], s[0:1], 0x20
	s_load_b64 s[28:29], s[0:1], 0x0
	s_load_b128 s[16:19], s[0:1], 0x38
	s_load_b128 s[20:23], s[0:1], 0x58
	s_load_b32 s30, s[0:1], 0x70
	s_load_b32 s33, s[0:1], 0x30
	v_dual_mov_b32 v1, 0 :: v_dual_and_b32 v2, 31, v0
	v_cmp_eq_u32_e64 s0, 0, v0
	v_lshrrev_b32_e32 v3, 1, v0
	v_cmp_gt_u32_e64 s1, 32, v0
	s_delay_alu instid0(VALU_DEP_4)
	v_cmp_eq_u32_e64 s3, 0, v2
	v_lshlrev_b32_e32 v40, 4, v2
	v_cmp_gt_u32_e64 s2, 8, v0
	v_and_b32_e32 v41, 0x70, v3
	s_mov_b32 s35, 0
	v_mbcnt_lo_u32_b32 v45, -1, 0
	s_mov_b32 s26, ttmp9
	s_mov_b32 s31, s35
	s_wait_kmcnt 0x0
	s_lshl_b64 s[8:9], s[8:9], 4
	s_lshl_b64 s[6:7], s[6:7], 4
	s_ashr_i32 s39, s29, 31
	s_add_nc_u64 s[6:7], s[4:5], s[6:7]
	s_add_nc_u64 s[18:19], s[18:19], s[8:9]
	v_cmp_eq_f64_e64 s25, s[12:13], 0
	v_cmp_eq_f64_e64 s34, s[14:15], 0
	s_mov_b32 s27, s35
	s_mov_b32 s38, s29
	v_lshl_or_b32 v46, v45, 2, 64
	s_mul_u64 s[36:37], s[38:39], s[30:31]
	s_mov_b32 s64, 16
	s_mov_b32 s65, 32
	;; [unrolled: 1-line block ×3, first 2 shown]
	s_mul_i32 s69, s33, 3
	s_and_b32 s58, s25, s34
	s_cmp_gt_i32 s29, 0
	s_cselect_b32 s4, -1, 0
	s_lshl_b32 s5, ttmp9, 10
	s_ashr_i32 s9, s28, 31
	v_lshl_or_b32 v2, v0, 2, s5
	s_and_b32 s59, s0, s4
	s_lshr_b32 s4, s9, 30
	s_lshr_b32 s8, s39, 30
	s_wait_alu 0xfffe
	s_add_co_i32 s4, s28, s4
	v_mul_lo_u32 v21, s10, v2
	v_ashrrev_i32_e32 v3, 31, v2
	s_wait_alu 0xfffe
	s_and_b32 s4, s4, -4
	v_add_nc_u32_e32 v0, 4, v2
	s_wait_alu 0xfffe
	s_sub_co_i32 s61, s28, s4
	s_add_co_i32 s5, s29, s8
	v_add_nc_u32_e32 v5, s61, v2
	v_lshlrev_b64_e32 v[2:3], 4, v[2:3]
	v_add_nc_u32_e32 v4, s10, v21
	v_cmp_ge_i32_e64 s4, s28, v0
	s_wait_alu 0xfffe
	s_and_b32 s60, s5, -4
	v_cmp_ge_i32_e64 s5, s28, v5
	v_ashrrev_i32_e32 v22, 31, v21
	v_add_nc_u32_e32 v6, s10, v4
	v_add_co_u32 v0, vcc_lo, s6, v2
	s_delay_alu instid0(VALU_DEP_1) | instskip(NEXT) | instid1(VALU_DEP_3)
	v_add_co_ci_u32_e64 v42, null, s7, v3, vcc_lo
	v_add_nc_u32_e32 v2, s10, v6
	v_ashrrev_i32_e32 v5, 31, v4
	v_ashrrev_i32_e32 v7, 31, v6
	s_wait_alu 0xfffe
	s_cmp_gt_i32 s60, 0
	v_add_co_u32 v43, vcc_lo, v0, 8
	v_ashrrev_i32_e32 v3, 31, v2
	s_cselect_b32 s62, -1, 0
	s_cmp_gt_i32 s61, 0
	v_lshlrev_b64_e32 v[22:23], 4, v[21:22]
	s_cselect_b32 s63, -1, 0
	s_lshl_b64 s[38:39], s[26:27], 4
	v_lshlrev_b64_e32 v[24:25], 4, v[4:5]
	v_lshlrev_b64_e32 v[26:27], 4, v[6:7]
	;; [unrolled: 1-line block ×3, first 2 shown]
	s_wait_alu 0xfffd
	v_add_co_ci_u32_e64 v44, null, 0, v42, vcc_lo
	s_add_nc_u64 s[8:9], s[22:23], s[38:39]
	s_or_b32 s67, 0, 8
	s_lshl_b64 s[40:41], s[36:37], 4
	s_lshl_b64 s[42:43], s[30:31], 4
	s_lshl_b32 s27, s33, 2
	s_add_nc_u64 s[44:45], s[8:9], 8
	s_and_b32 s28, s63, s5
	s_lshl_b32 s68, s33, 1
	s_lshl_b64 s[46:47], s[16:17], 4
	s_branch .LBB182_3
.LBB182_2:                              ;   in Loop: Header=BB182_3 Depth=1
	s_add_co_i32 s24, s24, 0x10000
	s_delay_alu instid0(SALU_CYCLE_1)
	s_cmp_lt_u32 s24, s11
	s_cbranch_scc0 .LBB182_80
.LBB182_3:                              ; =>This Loop Header: Depth=1
                                        ;     Child Loop BB182_6 Depth 2
                                        ;     Child Loop BB182_12 Depth 2
                                        ;       Child Loop BB182_43 Depth 3
                                        ;       Child Loop BB182_45 Depth 3
                                        ;     Child Loop BB182_61 Depth 2
                                        ;       Child Loop BB182_73 Depth 3
                                        ;       Child Loop BB182_75 Depth 3
	s_mov_b32 s25, s35
	s_and_not1_b32 vcc_lo, exec_lo, s58
	s_mov_b32 s6, -1
	s_wait_alu 0xfffe
	s_cbranch_vccnz .LBB182_8
; %bb.4:                                ;   in Loop: Header=BB182_3 Depth=1
	s_and_saveexec_b32 s8, s59
	s_cbranch_execz .LBB182_7
; %bb.5:                                ;   in Loop: Header=BB182_3 Depth=1
	s_mul_u64 s[6:7], s[40:41], s[24:25]
	s_mov_b32 s9, s29
	s_wait_alu 0xfffe
	s_add_nc_u64 s[6:7], s[44:45], s[6:7]
.LBB182_6:                              ;   Parent Loop BB182_3 Depth=1
                                        ; =>  This Inner Loop Header: Depth=2
	s_wait_dscnt 0x0
	v_dual_mov_b32 v2, v1 :: v_dual_mov_b32 v3, v1
	v_mov_b32_e32 v4, v1
	s_add_co_i32 s9, s9, -1
	s_wait_alu 0xfffe
	s_cmp_eq_u32 s9, 0
	global_store_b128 v1, v[1:4], s[6:7] offset:-8
	s_add_nc_u64 s[6:7], s[6:7], s[42:43]
	s_cbranch_scc0 .LBB182_6
.LBB182_7:                              ;   in Loop: Header=BB182_3 Depth=1
	s_wait_alu 0xfffe
	s_or_b32 exec_lo, exec_lo, s8
	s_mov_b32 s6, 0
.LBB182_8:                              ;   in Loop: Header=BB182_3 Depth=1
	s_wait_alu 0xfffe
	s_and_not1_b32 vcc_lo, exec_lo, s6
	s_wait_alu 0xfffe
	s_cbranch_vccnz .LBB182_2
; %bb.9:                                ;   in Loop: Header=BB182_3 Depth=1
	s_mul_u64 s[6:7], s[20:21], s[24:25]
	s_mul_u64 s[8:9], s[16:17], s[24:25]
	s_wait_alu 0xfffe
	s_lshl_b64 s[6:7], s[6:7], 4
	s_mul_u64 s[52:53], s[36:37], s[24:25]
	s_wait_alu 0xfffe
	s_add_nc_u64 s[48:49], s[18:19], s[6:7]
	s_lshl_b64 s[6:7], s[8:9], 4
	v_cmp_gt_u32_e64 s9, 24, v45
	s_wait_alu 0xfffe
	v_add_co_u32 v47, vcc_lo, v0, s6
	s_wait_alu 0xfffd
	v_add_co_ci_u32_e64 v48, null, s7, v42, vcc_lo
	v_cmp_gt_u32_e64 s8, 28, v45
	v_cmp_gt_u32_e64 s7, 30, v45
	v_cmp_ne_u32_e64 s6, 31, v45
	s_lshl_b64 s[52:53], s[52:53], 4
	s_mul_u64 s[50:51], s[46:47], s[24:25]
	s_and_not1_b32 vcc_lo, exec_lo, s62
	s_wait_alu 0xfffe
	s_add_nc_u64 s[52:53], s[22:23], s[52:53]
	s_cbranch_vccnz .LBB182_57
; %bb.10:                               ;   in Loop: Header=BB182_3 Depth=1
	v_add_co_u32 v30, vcc_lo, s48, v22
	s_wait_alu 0xfffd
	v_add_co_ci_u32_e64 v31, null, s49, v23, vcc_lo
	v_add_co_u32 v32, vcc_lo, s48, v24
	s_wait_alu 0xfffd
	v_add_co_ci_u32_e64 v33, null, s49, v25, vcc_lo
	v_add_co_u32 v34, vcc_lo, s48, v26
	s_wait_dscnt 0x0
	v_cndmask_b32_e64 v2, 0, 8, s9
	v_cndmask_b32_e64 v3, 0, 4, s8
	;; [unrolled: 1-line block ×3, first 2 shown]
	v_add_co_ci_u32_e64 v5, null, 0, v45, s6
	s_wait_alu 0xfffd
	v_add_co_ci_u32_e64 v35, null, s49, v27, vcc_lo
	v_add_co_u32 v36, vcc_lo, s48, v28
	s_wait_alu 0xfffd
	v_add_co_ci_u32_e64 v37, null, s49, v29, vcc_lo
	v_add_co_u32 v53, vcc_lo, v43, s50
	v_add_lshl_u32 v49, v2, v45, 2
	v_add_lshl_u32 v50, v3, v45, 2
	;; [unrolled: 1-line block ×3, first 2 shown]
	v_lshlrev_b32_e32 v52, 2, v5
	s_wait_alu 0xfffd
	v_add_co_ci_u32_e64 v54, null, s51, v44, vcc_lo
	s_mov_b32 s6, 0
	s_mov_b32 s70, s69
	;; [unrolled: 1-line block ×5, first 2 shown]
	s_branch .LBB182_12
.LBB182_11:                             ;   in Loop: Header=BB182_12 Depth=2
	s_wait_alu 0xfffe
	s_or_b32 exec_lo, exec_lo, s7
	s_add_co_i32 s25, s25, 4
	s_add_co_i32 s72, s72, s27
	;; [unrolled: 1-line block ×5, first 2 shown]
	s_cmp_ge_i32 s25, s60
	s_cbranch_scc1 .LBB182_58
.LBB182_12:                             ;   Parent Loop BB182_3 Depth=1
                                        ; =>  This Loop Header: Depth=2
                                        ;       Child Loop BB182_43 Depth 3
                                        ;       Child Loop BB182_45 Depth 3
                                        ; implicit-def: $vgpr17_vgpr18
                                        ; implicit-def: $vgpr19_vgpr20
                                        ; implicit-def: $vgpr13_vgpr14
                                        ; implicit-def: $vgpr15_vgpr16
                                        ; implicit-def: $vgpr9_vgpr10
                                        ; implicit-def: $vgpr11_vgpr12
                                        ; implicit-def: $vgpr7_vgpr8
                                        ; implicit-def: $vgpr5_vgpr6
	s_and_saveexec_b32 s7, s4
	s_wait_alu 0xfffe
	s_xor_b32 s7, exec_lo, s7
	s_cbranch_execnz .LBB182_39
; %bb.13:                               ;   in Loop: Header=BB182_12 Depth=2
	s_wait_alu 0xfffe
	s_and_not1_saveexec_b32 s34, s7
	s_cbranch_execnz .LBB182_40
.LBB182_14:                             ;   in Loop: Header=BB182_12 Depth=2
	s_or_b32 exec_lo, exec_lo, s34
	s_and_saveexec_b32 s7, s1
.LBB182_15:                             ;   in Loop: Header=BB182_12 Depth=2
	v_dual_mov_b32 v2, v1 :: v_dual_mov_b32 v3, v1
	v_mov_b32_e32 v4, v1
	ds_store_b128 v40, v[1:4]
.LBB182_16:                             ;   in Loop: Header=BB182_12 Depth=2
	s_wait_alu 0xfffe
	s_or_b32 exec_lo, exec_lo, s7
	ds_bpermute_b32 v2, v46, v7
	ds_bpermute_b32 v3, v46, v8
	;; [unrolled: 1-line block ×4, first 2 shown]
	s_wait_storecnt_dscnt 0x0
	s_barrier_signal -1
	s_barrier_wait -1
	global_inv scope:SCOPE_SE
	v_add_f64_e32 v[2:3], v[7:8], v[2:3]
	v_add_f64_e32 v[4:5], v[5:6], v[38:39]
	ds_bpermute_b32 v6, v49, v2
	ds_bpermute_b32 v7, v49, v3
	ds_bpermute_b32 v38, v49, v4
	ds_bpermute_b32 v39, v49, v5
	s_wait_dscnt 0x2
	v_add_f64_e32 v[2:3], v[2:3], v[6:7]
	s_wait_dscnt 0x0
	v_add_f64_e32 v[4:5], v[4:5], v[38:39]
	ds_bpermute_b32 v6, v50, v2
	ds_bpermute_b32 v7, v50, v3
	ds_bpermute_b32 v38, v50, v4
	ds_bpermute_b32 v39, v50, v5
	s_wait_dscnt 0x2
	v_add_f64_e32 v[2:3], v[2:3], v[6:7]
	s_wait_dscnt 0x0
	;; [unrolled: 8-line block ×3, first 2 shown]
	v_add_f64_e32 v[6:7], v[4:5], v[38:39]
	ds_bpermute_b32 v4, v52, v2
	ds_bpermute_b32 v5, v52, v3
	;; [unrolled: 1-line block ×4, first 2 shown]
	s_and_saveexec_b32 s7, s3
	s_cbranch_execz .LBB182_18
; %bb.17:                               ;   in Loop: Header=BB182_12 Depth=2
	s_wait_dscnt 0x0
	v_add_f64_e32 v[6:7], v[6:7], v[38:39]
	v_add_f64_e32 v[4:5], v[2:3], v[4:5]
	ds_store_b128 v41, v[4:7]
.LBB182_18:                             ;   in Loop: Header=BB182_12 Depth=2
	s_wait_alu 0xfffe
	s_or_b32 exec_lo, exec_lo, s7
	v_mov_b32_e32 v7, 0
	s_wait_dscnt 0x2
	v_dual_mov_b32 v8, 0 :: v_dual_mov_b32 v5, 0
	v_mov_b32_e32 v6, 0
	s_wait_loadcnt_dscnt 0x0
	s_barrier_signal -1
	s_barrier_wait -1
	global_inv scope:SCOPE_SE
	s_and_saveexec_b32 s7, s2
	s_cbranch_execnz .LBB182_46
; %bb.19:                               ;   in Loop: Header=BB182_12 Depth=2
	s_wait_alu 0xfffe
	s_or_b32 exec_lo, exec_lo, s7
	s_and_saveexec_b32 s7, s1
	s_cbranch_execnz .LBB182_47
.LBB182_20:                             ;   in Loop: Header=BB182_12 Depth=2
	s_wait_alu 0xfffe
	s_or_b32 exec_lo, exec_lo, s7
	s_and_saveexec_b32 s7, s1
.LBB182_21:                             ;   in Loop: Header=BB182_12 Depth=2
	v_dual_mov_b32 v2, v1 :: v_dual_mov_b32 v3, v1
	v_mov_b32_e32 v4, v1
	ds_store_b128 v40, v[1:4]
.LBB182_22:                             ;   in Loop: Header=BB182_12 Depth=2
	s_wait_alu 0xfffe
	s_or_b32 exec_lo, exec_lo, s7
	ds_bpermute_b32 v2, v46, v9
	ds_bpermute_b32 v3, v46, v10
	;; [unrolled: 1-line block ×4, first 2 shown]
	s_wait_loadcnt_dscnt 0x0
	s_barrier_signal -1
	s_barrier_wait -1
	global_inv scope:SCOPE_SE
	v_add_f64_e32 v[2:3], v[9:10], v[2:3]
	v_add_f64_e32 v[9:10], v[11:12], v[38:39]
	ds_bpermute_b32 v11, v49, v2
	ds_bpermute_b32 v12, v49, v3
	ds_bpermute_b32 v38, v49, v9
	ds_bpermute_b32 v39, v49, v10
	s_wait_dscnt 0x2
	v_add_f64_e32 v[2:3], v[2:3], v[11:12]
	s_wait_dscnt 0x0
	v_add_f64_e32 v[9:10], v[9:10], v[38:39]
	ds_bpermute_b32 v11, v50, v2
	ds_bpermute_b32 v12, v50, v3
	ds_bpermute_b32 v38, v50, v9
	ds_bpermute_b32 v39, v50, v10
	s_wait_dscnt 0x2
	v_add_f64_e32 v[2:3], v[2:3], v[11:12]
	s_wait_dscnt 0x0
	;; [unrolled: 8-line block ×3, first 2 shown]
	v_add_f64_e32 v[11:12], v[9:10], v[38:39]
	ds_bpermute_b32 v9, v52, v2
	ds_bpermute_b32 v10, v52, v3
	;; [unrolled: 1-line block ×4, first 2 shown]
	s_and_saveexec_b32 s7, s3
	s_cbranch_execz .LBB182_24
; %bb.23:                               ;   in Loop: Header=BB182_12 Depth=2
	s_wait_dscnt 0x0
	v_add_f64_e32 v[11:12], v[11:12], v[38:39]
	v_add_f64_e32 v[9:10], v[2:3], v[9:10]
	ds_store_b128 v41, v[9:12]
.LBB182_24:                             ;   in Loop: Header=BB182_12 Depth=2
	s_wait_alu 0xfffe
	s_or_b32 exec_lo, exec_lo, s7
	v_mov_b32_e32 v11, 0
	s_wait_dscnt 0x2
	v_dual_mov_b32 v12, 0 :: v_dual_mov_b32 v9, 0
	v_mov_b32_e32 v10, 0
	s_wait_loadcnt_dscnt 0x0
	s_barrier_signal -1
	s_barrier_wait -1
	global_inv scope:SCOPE_SE
	s_and_saveexec_b32 s7, s2
	s_cbranch_execnz .LBB182_48
; %bb.25:                               ;   in Loop: Header=BB182_12 Depth=2
	s_wait_alu 0xfffe
	s_or_b32 exec_lo, exec_lo, s7
	s_and_saveexec_b32 s7, s1
	s_cbranch_execnz .LBB182_49
.LBB182_26:                             ;   in Loop: Header=BB182_12 Depth=2
	s_wait_alu 0xfffe
	s_or_b32 exec_lo, exec_lo, s7
	s_and_saveexec_b32 s7, s1
.LBB182_27:                             ;   in Loop: Header=BB182_12 Depth=2
	v_dual_mov_b32 v2, v1 :: v_dual_mov_b32 v3, v1
	v_mov_b32_e32 v4, v1
	ds_store_b128 v40, v[1:4]
.LBB182_28:                             ;   in Loop: Header=BB182_12 Depth=2
	s_wait_alu 0xfffe
	s_or_b32 exec_lo, exec_lo, s7
	ds_bpermute_b32 v2, v46, v13
	ds_bpermute_b32 v3, v46, v14
	;; [unrolled: 1-line block ×4, first 2 shown]
	s_wait_loadcnt_dscnt 0x0
	s_barrier_signal -1
	s_barrier_wait -1
	global_inv scope:SCOPE_SE
	v_add_f64_e32 v[2:3], v[13:14], v[2:3]
	v_add_f64_e32 v[13:14], v[15:16], v[38:39]
	ds_bpermute_b32 v15, v49, v2
	ds_bpermute_b32 v16, v49, v3
	ds_bpermute_b32 v38, v49, v13
	ds_bpermute_b32 v39, v49, v14
	s_wait_dscnt 0x2
	v_add_f64_e32 v[2:3], v[2:3], v[15:16]
	s_wait_dscnt 0x0
	v_add_f64_e32 v[13:14], v[13:14], v[38:39]
	ds_bpermute_b32 v15, v50, v2
	ds_bpermute_b32 v16, v50, v3
	ds_bpermute_b32 v38, v50, v13
	ds_bpermute_b32 v39, v50, v14
	s_wait_dscnt 0x2
	v_add_f64_e32 v[2:3], v[2:3], v[15:16]
	s_wait_dscnt 0x0
	;; [unrolled: 8-line block ×3, first 2 shown]
	v_add_f64_e32 v[15:16], v[13:14], v[38:39]
	ds_bpermute_b32 v13, v52, v2
	ds_bpermute_b32 v14, v52, v3
	;; [unrolled: 1-line block ×4, first 2 shown]
	s_and_saveexec_b32 s7, s3
	s_cbranch_execz .LBB182_30
; %bb.29:                               ;   in Loop: Header=BB182_12 Depth=2
	s_wait_dscnt 0x0
	v_add_f64_e32 v[15:16], v[15:16], v[38:39]
	v_add_f64_e32 v[13:14], v[2:3], v[13:14]
	ds_store_b128 v41, v[13:16]
.LBB182_30:                             ;   in Loop: Header=BB182_12 Depth=2
	s_wait_alu 0xfffe
	s_or_b32 exec_lo, exec_lo, s7
	v_mov_b32_e32 v15, 0
	s_wait_dscnt 0x2
	v_dual_mov_b32 v16, 0 :: v_dual_mov_b32 v13, 0
	v_mov_b32_e32 v14, 0
	s_wait_loadcnt_dscnt 0x0
	s_barrier_signal -1
	s_barrier_wait -1
	global_inv scope:SCOPE_SE
	s_and_saveexec_b32 s7, s2
	s_cbranch_execnz .LBB182_50
; %bb.31:                               ;   in Loop: Header=BB182_12 Depth=2
	s_wait_alu 0xfffe
	s_or_b32 exec_lo, exec_lo, s7
	s_and_saveexec_b32 s7, s1
	s_cbranch_execnz .LBB182_51
.LBB182_32:                             ;   in Loop: Header=BB182_12 Depth=2
	s_wait_alu 0xfffe
	s_or_b32 exec_lo, exec_lo, s7
	s_and_saveexec_b32 s7, s1
.LBB182_33:                             ;   in Loop: Header=BB182_12 Depth=2
	v_dual_mov_b32 v2, v1 :: v_dual_mov_b32 v3, v1
	v_mov_b32_e32 v4, v1
	ds_store_b128 v40, v[1:4]
.LBB182_34:                             ;   in Loop: Header=BB182_12 Depth=2
	s_wait_alu 0xfffe
	s_or_b32 exec_lo, exec_lo, s7
	ds_bpermute_b32 v2, v46, v17
	ds_bpermute_b32 v3, v46, v18
	;; [unrolled: 1-line block ×4, first 2 shown]
	s_wait_loadcnt_dscnt 0x0
	s_barrier_signal -1
	s_barrier_wait -1
	global_inv scope:SCOPE_SE
	v_add_f64_e32 v[2:3], v[17:18], v[2:3]
	v_add_f64_e32 v[17:18], v[19:20], v[38:39]
	ds_bpermute_b32 v19, v49, v2
	ds_bpermute_b32 v20, v49, v3
	ds_bpermute_b32 v38, v49, v17
	ds_bpermute_b32 v39, v49, v18
	s_wait_dscnt 0x2
	v_add_f64_e32 v[2:3], v[2:3], v[19:20]
	s_wait_dscnt 0x0
	v_add_f64_e32 v[17:18], v[17:18], v[38:39]
	ds_bpermute_b32 v19, v50, v2
	ds_bpermute_b32 v20, v50, v3
	ds_bpermute_b32 v38, v50, v17
	ds_bpermute_b32 v39, v50, v18
	s_wait_dscnt 0x2
	v_add_f64_e32 v[2:3], v[2:3], v[19:20]
	s_wait_dscnt 0x0
	;; [unrolled: 8-line block ×3, first 2 shown]
	v_add_f64_e32 v[19:20], v[17:18], v[38:39]
	ds_bpermute_b32 v17, v52, v2
	ds_bpermute_b32 v18, v52, v3
	ds_bpermute_b32 v38, v52, v19
	ds_bpermute_b32 v39, v52, v20
	s_and_saveexec_b32 s7, s3
	s_cbranch_execz .LBB182_36
; %bb.35:                               ;   in Loop: Header=BB182_12 Depth=2
	s_wait_dscnt 0x0
	v_add_f64_e32 v[19:20], v[19:20], v[38:39]
	v_add_f64_e32 v[17:18], v[2:3], v[17:18]
	ds_store_b128 v41, v[17:20]
.LBB182_36:                             ;   in Loop: Header=BB182_12 Depth=2
	s_wait_alu 0xfffe
	s_or_b32 exec_lo, exec_lo, s7
	v_mov_b32_e32 v19, 0
	s_wait_dscnt 0x2
	v_dual_mov_b32 v20, 0 :: v_dual_mov_b32 v17, 0
	v_mov_b32_e32 v18, 0
	s_wait_loadcnt_dscnt 0x0
	s_barrier_signal -1
	s_barrier_wait -1
	global_inv scope:SCOPE_SE
	s_and_saveexec_b32 s7, s2
	s_cbranch_execnz .LBB182_52
; %bb.37:                               ;   in Loop: Header=BB182_12 Depth=2
	s_wait_alu 0xfffe
	s_or_b32 exec_lo, exec_lo, s7
	s_and_saveexec_b32 s7, s1
	s_cbranch_execnz .LBB182_53
.LBB182_38:                             ;   in Loop: Header=BB182_12 Depth=2
	s_wait_alu 0xfffe
	s_or_b32 exec_lo, exec_lo, s7
	s_and_saveexec_b32 s7, s0
	s_cbranch_execz .LBB182_11
	s_branch .LBB182_54
.LBB182_39:                             ;   in Loop: Header=BB182_12 Depth=2
	s_clause 0x2
	global_load_b128 v[2:5], v[32:33], off
	global_load_b128 v[6:9], v[34:35], off
	;; [unrolled: 1-line block ×3, first 2 shown]
	s_mul_i32 s8, s25, s33
	global_load_b128 v[55:58], v[30:31], off
	s_wait_alu 0xfffe
	s_ashr_i32 s9, s8, 31
	s_add_co_i32 s54, s8, s33
	s_wait_alu 0xfffe
	s_lshl_b64 s[8:9], s[8:9], 4
	s_ashr_i32 s55, s54, 31
	s_add_co_i32 s56, s54, s33
	s_wait_alu 0xfffe
	s_lshl_b64 s[54:55], s[54:55], 4
	s_wait_dscnt 0x0
	v_add_co_u32 v18, vcc_lo, v47, s8
	s_wait_alu 0xfffd
	v_add_co_ci_u32_e64 v19, null, s9, v48, vcc_lo
	s_wait_alu 0xfffe
	v_add_co_u32 v38, vcc_lo, v47, s54
	s_ashr_i32 s57, s56, 31
	s_add_co_i32 s8, s56, s33
	s_wait_alu 0xfffd
	v_add_co_ci_u32_e64 v39, null, s55, v48, vcc_lo
	s_lshl_b64 s[54:55], s[56:57], 4
	s_wait_alu 0xfffe
	s_ashr_i32 s9, s8, 31
	v_add_co_u32 v111, vcc_lo, v47, s54
	s_wait_alu 0xfffe
	s_lshl_b64 s[8:9], s[8:9], 4
	s_wait_alu 0xfffd
	v_add_co_ci_u32_e64 v112, null, s55, v48, vcc_lo
	s_wait_alu 0xfffe
	v_add_co_u32 v115, vcc_lo, v47, s8
	s_wait_alu 0xfffd
	v_add_co_ci_u32_e64 v116, null, s9, v48, vcc_lo
	s_clause 0x4
	global_load_b128 v[14:17], v[18:19], off
	global_load_b128 v[59:62], v[38:39], off
	global_load_b128 v[63:66], v[111:112], off
	global_load_b128 v[67:70], v[115:116], off
	global_load_b128 v[71:74], v[18:19], off offset:16
	s_wait_loadcnt 0x8
	scratch_store_b128 off, v[2:5], s64
	scratch_load_b128 v[2:5], off, off offset:16
	s_clause 0x3
	global_load_b128 v[75:78], v[38:39], off offset:16
	global_load_b128 v[79:82], v[111:112], off offset:16
	global_load_b128 v[83:86], v[115:116], off offset:16
	global_load_b128 v[87:90], v[18:19], off offset:32
	s_wait_loadcnt 0xc
	scratch_store_b128 off, v[6:9], s65
	scratch_load_b128 v[6:9], off, off offset:32
	s_clause 0x3
	global_load_b128 v[91:94], v[38:39], off offset:32
	global_load_b128 v[95:98], v[111:112], off offset:32
	global_load_b128 v[99:102], v[115:116], off offset:32
	;; [unrolled: 8-line block ×3, first 2 shown]
	s_wait_loadcnt 0x13
	scratch_store_b128 off, v[55:58], off
	s_wait_loadcnt 0x12
	v_mul_f64_e32 v[18:19], v[57:58], v[16:17]
	v_mul_f64_e32 v[16:17], v[55:56], v[16:17]
	s_wait_loadcnt 0x11
	v_mul_f64_e32 v[38:39], v[57:58], v[61:62]
	v_mul_f64_e32 v[61:62], v[55:56], v[61:62]
	;; [unrolled: 3-line block ×4, first 2 shown]
	v_fma_f64 v[18:19], v[55:56], v[14:15], v[18:19]
	v_fma_f64 v[14:15], v[57:58], v[14:15], -v[16:17]
	v_fma_f64 v[16:17], v[55:56], v[59:60], v[38:39]
	v_fma_f64 v[38:39], v[57:58], v[59:60], -v[61:62]
	;; [unrolled: 2-line block ×4, first 2 shown]
	v_add_f64_e32 v[18:19], 0, v[18:19]
	v_add_f64_e32 v[14:15], 0, v[14:15]
	;; [unrolled: 1-line block ×7, first 2 shown]
	s_wait_loadcnt 0xd
	v_mul_f64_e32 v[59:60], v[4:5], v[73:74]
	v_mul_f64_e32 v[61:62], v[2:3], v[73:74]
	s_wait_loadcnt 0xc
	v_mul_f64_e32 v[73:74], v[4:5], v[77:78]
	v_mul_f64_e32 v[77:78], v[2:3], v[77:78]
	s_wait_loadcnt 0xb
	v_mul_f64_e32 v[69:70], v[4:5], v[81:82]
	v_mul_f64_e32 v[81:82], v[2:3], v[81:82]
	s_wait_loadcnt 0xa
	v_mul_f64_e32 v[121:122], v[4:5], v[85:86]
	v_mul_f64_e32 v[85:86], v[2:3], v[85:86]
	s_wait_loadcnt 0x8
	v_mul_f64_e32 v[123:124], v[8:9], v[89:90]
	v_mul_f64_e32 v[89:90], v[6:7], v[89:90]
	s_wait_loadcnt 0x7
	v_mul_f64_e32 v[125:126], v[8:9], v[93:94]
	v_mul_f64_e32 v[93:94], v[6:7], v[93:94]
	s_wait_loadcnt 0x6
	v_mul_f64_e32 v[127:128], v[8:9], v[97:98]
	v_fma_f64 v[59:60], v[2:3], v[71:72], v[59:60]
	v_fma_f64 v[61:62], v[4:5], v[71:72], -v[61:62]
	v_mul_f64_e32 v[71:72], v[6:7], v[97:98]
	s_wait_loadcnt 0x5
	v_mul_f64_e32 v[97:98], v[8:9], v[101:102]
	v_fma_f64 v[73:74], v[2:3], v[75:76], v[73:74]
	v_fma_f64 v[75:76], v[4:5], v[75:76], -v[77:78]
	v_mul_f64_e32 v[77:78], v[6:7], v[101:102]
	v_add_f64_e32 v[101:102], 0, v[119:120]
	v_fma_f64 v[69:70], v[2:3], v[79:80], v[69:70]
	v_fma_f64 v[79:80], v[4:5], v[79:80], -v[81:82]
	v_fma_f64 v[2:3], v[2:3], v[83:84], v[121:122]
	v_fma_f64 v[4:5], v[4:5], v[83:84], -v[85:86]
	s_wait_loadcnt 0x3
	v_mul_f64_e32 v[81:82], v[12:13], v[105:106]
	v_mul_f64_e32 v[83:84], v[10:11], v[105:106]
	s_wait_loadcnt 0x2
	v_mul_f64_e32 v[85:86], v[12:13], v[109:110]
	v_mul_f64_e32 v[105:106], v[10:11], v[109:110]
	;; [unrolled: 3-line block ×3, first 2 shown]
	s_wait_loadcnt 0x0
	v_mul_f64_e32 v[119:120], v[12:13], v[117:118]
	v_fma_f64 v[121:122], v[6:7], v[87:88], v[123:124]
	v_fma_f64 v[87:88], v[8:9], v[87:88], -v[89:90]
	v_mul_f64_e32 v[89:90], v[10:11], v[117:118]
	v_fma_f64 v[117:118], v[6:7], v[91:92], v[125:126]
	v_fma_f64 v[91:92], v[8:9], v[91:92], -v[93:94]
	v_fma_f64 v[93:94], v[6:7], v[95:96], v[127:128]
	v_add_f64_e32 v[18:19], v[18:19], v[59:60]
	v_add_f64_e32 v[14:15], v[14:15], v[61:62]
	v_fma_f64 v[71:72], v[8:9], v[95:96], -v[71:72]
	v_fma_f64 v[6:7], v[6:7], v[99:100], v[97:98]
	v_add_f64_e32 v[16:17], v[16:17], v[73:74]
	v_add_f64_e32 v[38:39], v[38:39], v[75:76]
	v_fma_f64 v[8:9], v[8:9], v[99:100], -v[77:78]
	v_add_f64_e32 v[59:60], v[101:102], v[69:70]
	v_add_f64_e32 v[61:62], v[63:64], v[79:80]
	;; [unrolled: 1-line block ×4, first 2 shown]
	v_fma_f64 v[63:64], v[10:11], v[103:104], v[81:82]
	v_fma_f64 v[65:66], v[12:13], v[103:104], -v[83:84]
	v_fma_f64 v[67:68], v[10:11], v[107:108], v[85:86]
	v_fma_f64 v[69:70], v[12:13], v[107:108], -v[105:106]
	;; [unrolled: 2-line block ×4, first 2 shown]
	v_add_f64_e32 v[10:11], v[18:19], v[121:122]
	v_add_f64_e32 v[12:13], v[14:15], v[87:88]
	;; [unrolled: 1-line block ×16, first 2 shown]
	s_and_not1_saveexec_b32 s34, s7
	s_cbranch_execz .LBB182_14
.LBB182_40:                             ;   in Loop: Header=BB182_12 Depth=2
	s_wait_dscnt 0x0
	v_mov_b32_e32 v17, 0
	v_mov_b32_e32 v13, 0
	;; [unrolled: 1-line block ×3, first 2 shown]
	v_dual_mov_b32 v7, 0 :: v_dual_mov_b32 v18, 0
	v_dual_mov_b32 v19, 0 :: v_dual_mov_b32 v14, 0
	;; [unrolled: 1-line block ×5, first 2 shown]
	v_mov_b32_e32 v16, 0
	v_mov_b32_e32 v12, 0
	;; [unrolled: 1-line block ×3, first 2 shown]
	s_and_saveexec_b32 s73, s5
	s_cbranch_execz .LBB182_56
; %bb.41:                               ;   in Loop: Header=BB182_12 Depth=2
	s_and_not1_b32 vcc_lo, exec_lo, s63
	s_wait_alu 0xfffe
	s_cbranch_vccnz .LBB182_55
; %bb.42:                               ;   in Loop: Header=BB182_12 Depth=2
	v_mov_b32_e32 v2, v21
	s_mov_b32 s7, 0
	s_mov_b32 s8, s61
.LBB182_43:                             ;   Parent Loop BB182_3 Depth=1
                                        ;     Parent Loop BB182_12 Depth=2
                                        ; =>    This Inner Loop Header: Depth=3
	s_delay_alu instid0(VALU_DEP_1) | instskip(SKIP_2) | instid1(VALU_DEP_1)
	v_ashrrev_i32_e32 v3, 31, v2
	s_wait_alu 0xfffe
	s_add_co_i32 s8, s8, -1
	v_lshlrev_b64_e32 v[3:4], 4, v[2:3]
	v_add_nc_u32_e32 v2, s10, v2
	s_delay_alu instid0(VALU_DEP_2) | instskip(SKIP_1) | instid1(VALU_DEP_3)
	v_add_co_u32 v3, vcc_lo, s48, v3
	s_wait_alu 0xfffd
	v_add_co_ci_u32_e64 v4, null, s49, v4, vcc_lo
	global_load_b128 v[3:6], v[3:4], off
	s_wait_loadcnt 0x0
	scratch_store_b128 off, v[3:6], s7
	s_add_co_i32 s7, s7, 16
	s_wait_alu 0xfffe
	s_cmp_eq_u32 s8, 0
	s_cbranch_scc0 .LBB182_43
; %bb.44:                               ;   in Loop: Header=BB182_12 Depth=2
	s_ashr_i32 s7, s6, 31
	v_mov_b32_e32 v5, 0
	s_wait_alu 0xfffe
	s_lshl_b64 s[8:9], s[6:7], 4
	v_mov_b32_e32 v11, 0
	s_wait_alu 0xfffe
	v_add_co_u32 v2, vcc_lo, v53, s8
	v_mov_b32_e32 v15, 0
	v_dual_mov_b32 v19, 0 :: v_dual_mov_b32 v6, 0
	v_dual_mov_b32 v7, 0 :: v_dual_mov_b32 v12, 0
	;; [unrolled: 1-line block ×4, first 2 shown]
	v_mov_b32_e32 v17, 0
	s_wait_alu 0xfffd
	v_add_co_ci_u32_e64 v3, null, s9, v54, vcc_lo
	v_mov_b32_e32 v8, 0
	v_mov_b32_e32 v10, 0
	v_mov_b32_e32 v14, 0
	v_mov_b32_e32 v18, 0
	s_mov_b32 s7, s67
	s_mov_b32 s8, s70
	;; [unrolled: 1-line block ×5, first 2 shown]
.LBB182_45:                             ;   Parent Loop BB182_3 Depth=1
                                        ;     Parent Loop BB182_12 Depth=2
                                        ; =>    This Inner Loop Header: Depth=3
	s_ashr_i32 s57, s56, 31
	s_wait_alu 0xfffe
	s_ashr_i32 s55, s54, 31
	s_lshl_b64 s[76:77], s[56:57], 4
	s_ashr_i32 s9, s8, 31
	s_wait_alu 0xfffe
	s_lshl_b64 s[78:79], s[54:55], 4
	v_add_co_u32 v38, vcc_lo, v47, s76
	s_lshl_b64 s[80:81], s[8:9], 4
	s_wait_alu 0xfffd
	v_add_co_ci_u32_e64 v39, null, s77, v48, vcc_lo
	s_wait_alu 0xfffe
	v_add_co_u32 v67, vcc_lo, v47, s78
	s_wait_alu 0xfffd
	v_add_co_ci_u32_e64 v68, null, s79, v48, vcc_lo
	v_add_co_u32 v71, vcc_lo, v47, s80
	s_wait_alu 0xfffd
	v_add_co_ci_u32_e64 v72, null, s81, v48, vcc_lo
	scratch_load_b128 v[55:58], off, s7 offset:-8
	global_load_b128 v[59:62], v[2:3], off offset:-8
	s_clause 0x2
	global_load_b128 v[63:66], v[38:39], off
	global_load_b128 v[67:70], v[67:68], off
	;; [unrolled: 1-line block ×3, first 2 shown]
	v_add_co_u32 v2, vcc_lo, v2, 16
	s_wait_alu 0xfffd
	v_add_co_ci_u32_e64 v3, null, 0, v3, vcc_lo
	s_add_co_i32 s74, s74, -1
	s_add_co_i32 s7, s7, 16
	s_add_co_i32 s56, s56, 1
	;; [unrolled: 1-line block ×4, first 2 shown]
	s_cmp_lg_u32 s74, 0
	s_wait_loadcnt 0x2
	v_mul_f64_e32 v[75:76], v[57:58], v[65:66]
	v_mul_f64_e32 v[38:39], v[57:58], v[61:62]
	;; [unrolled: 1-line block ×4, first 2 shown]
	s_wait_loadcnt 0x1
	v_mul_f64_e32 v[77:78], v[57:58], v[69:70]
	v_mul_f64_e32 v[69:70], v[55:56], v[69:70]
	s_wait_loadcnt 0x0
	v_mul_f64_e32 v[79:80], v[57:58], v[73:74]
	v_mul_f64_e32 v[73:74], v[55:56], v[73:74]
	v_fma_f64 v[38:39], v[55:56], v[59:60], v[38:39]
	v_fma_f64 v[59:60], v[57:58], v[59:60], -v[61:62]
	v_fma_f64 v[61:62], v[55:56], v[63:64], v[75:76]
	v_fma_f64 v[63:64], v[57:58], v[63:64], -v[65:66]
	;; [unrolled: 2-line block ×4, first 2 shown]
	v_add_f64_e32 v[7:8], v[7:8], v[38:39]
	v_add_f64_e32 v[5:6], v[5:6], v[59:60]
	v_add_f64_e32 v[9:10], v[9:10], v[61:62]
	v_add_f64_e32 v[11:12], v[11:12], v[63:64]
	v_add_f64_e32 v[13:14], v[13:14], v[65:66]
	v_add_f64_e32 v[15:16], v[15:16], v[67:68]
	v_add_f64_e32 v[17:18], v[17:18], v[55:56]
	v_add_f64_e32 v[19:20], v[19:20], v[57:58]
	s_cbranch_scc1 .LBB182_45
	s_branch .LBB182_56
.LBB182_46:                             ;   in Loop: Header=BB182_12 Depth=2
	ds_load_b128 v[5:8], v40
	s_wait_alu 0xfffe
	s_or_b32 exec_lo, exec_lo, s7
	s_and_saveexec_b32 s7, s1
	s_cbranch_execz .LBB182_20
.LBB182_47:                             ;   in Loop: Header=BB182_12 Depth=2
	s_wait_dscnt 0x0
	ds_bpermute_b32 v2, v50, v5
	ds_bpermute_b32 v3, v50, v6
	ds_bpermute_b32 v38, v50, v7
	ds_bpermute_b32 v39, v50, v8
	s_wait_dscnt 0x2
	v_add_f64_e32 v[2:3], v[5:6], v[2:3]
	s_wait_dscnt 0x0
	v_add_f64_e32 v[4:5], v[7:8], v[38:39]
	ds_bpermute_b32 v6, v51, v2
	ds_bpermute_b32 v7, v51, v3
	ds_bpermute_b32 v38, v51, v4
	ds_bpermute_b32 v39, v51, v5
	s_wait_dscnt 0x2
	v_add_f64_e32 v[2:3], v[2:3], v[6:7]
	s_wait_dscnt 0x0
	v_add_f64_e32 v[7:8], v[4:5], v[38:39]
	;; [unrolled: 8-line block ×3, first 2 shown]
	s_wait_alu 0xfffe
	s_or_b32 exec_lo, exec_lo, s7
	s_and_saveexec_b32 s7, s1
	s_cbranch_execnz .LBB182_21
	s_branch .LBB182_22
.LBB182_48:                             ;   in Loop: Header=BB182_12 Depth=2
	ds_load_b128 v[9:12], v40
	s_wait_alu 0xfffe
	s_or_b32 exec_lo, exec_lo, s7
	s_and_saveexec_b32 s7, s1
	s_cbranch_execz .LBB182_26
.LBB182_49:                             ;   in Loop: Header=BB182_12 Depth=2
	s_wait_dscnt 0x0
	ds_bpermute_b32 v2, v50, v9
	ds_bpermute_b32 v3, v50, v10
	ds_bpermute_b32 v38, v50, v11
	ds_bpermute_b32 v39, v50, v12
	s_wait_dscnt 0x2
	v_add_f64_e32 v[2:3], v[9:10], v[2:3]
	s_wait_dscnt 0x0
	v_add_f64_e32 v[9:10], v[11:12], v[38:39]
	ds_bpermute_b32 v11, v51, v2
	ds_bpermute_b32 v12, v51, v3
	ds_bpermute_b32 v38, v51, v9
	ds_bpermute_b32 v39, v51, v10
	s_wait_dscnt 0x2
	v_add_f64_e32 v[2:3], v[2:3], v[11:12]
	s_wait_dscnt 0x0
	v_add_f64_e32 v[11:12], v[9:10], v[38:39]
	;; [unrolled: 8-line block ×3, first 2 shown]
	s_wait_alu 0xfffe
	s_or_b32 exec_lo, exec_lo, s7
	s_and_saveexec_b32 s7, s1
	s_cbranch_execnz .LBB182_27
	s_branch .LBB182_28
.LBB182_50:                             ;   in Loop: Header=BB182_12 Depth=2
	ds_load_b128 v[13:16], v40
	s_wait_alu 0xfffe
	s_or_b32 exec_lo, exec_lo, s7
	s_and_saveexec_b32 s7, s1
	s_cbranch_execz .LBB182_32
.LBB182_51:                             ;   in Loop: Header=BB182_12 Depth=2
	s_wait_dscnt 0x0
	ds_bpermute_b32 v2, v50, v13
	ds_bpermute_b32 v3, v50, v14
	ds_bpermute_b32 v38, v50, v15
	ds_bpermute_b32 v39, v50, v16
	s_wait_dscnt 0x2
	v_add_f64_e32 v[2:3], v[13:14], v[2:3]
	s_wait_dscnt 0x0
	v_add_f64_e32 v[13:14], v[15:16], v[38:39]
	ds_bpermute_b32 v15, v51, v2
	ds_bpermute_b32 v16, v51, v3
	ds_bpermute_b32 v38, v51, v13
	ds_bpermute_b32 v39, v51, v14
	s_wait_dscnt 0x2
	v_add_f64_e32 v[2:3], v[2:3], v[15:16]
	s_wait_dscnt 0x0
	v_add_f64_e32 v[15:16], v[13:14], v[38:39]
	;; [unrolled: 8-line block ×3, first 2 shown]
	s_wait_alu 0xfffe
	s_or_b32 exec_lo, exec_lo, s7
	s_and_saveexec_b32 s7, s1
	s_cbranch_execnz .LBB182_33
	s_branch .LBB182_34
.LBB182_52:                             ;   in Loop: Header=BB182_12 Depth=2
	ds_load_b128 v[17:20], v40
	s_wait_alu 0xfffe
	s_or_b32 exec_lo, exec_lo, s7
	s_and_saveexec_b32 s7, s1
	s_cbranch_execz .LBB182_38
.LBB182_53:                             ;   in Loop: Header=BB182_12 Depth=2
	s_wait_dscnt 0x0
	ds_bpermute_b32 v2, v50, v17
	ds_bpermute_b32 v3, v50, v18
	ds_bpermute_b32 v38, v50, v19
	ds_bpermute_b32 v39, v50, v20
	s_wait_dscnt 0x2
	v_add_f64_e32 v[2:3], v[17:18], v[2:3]
	s_wait_dscnt 0x0
	v_add_f64_e32 v[17:18], v[19:20], v[38:39]
	ds_bpermute_b32 v19, v51, v2
	ds_bpermute_b32 v20, v51, v3
	ds_bpermute_b32 v38, v51, v17
	ds_bpermute_b32 v39, v51, v18
	s_wait_dscnt 0x2
	v_add_f64_e32 v[2:3], v[2:3], v[19:20]
	s_wait_dscnt 0x0
	v_add_f64_e32 v[19:20], v[17:18], v[38:39]
	;; [unrolled: 8-line block ×3, first 2 shown]
	s_wait_alu 0xfffe
	s_or_b32 exec_lo, exec_lo, s7
	s_and_saveexec_b32 s7, s0
	s_cbranch_execz .LBB182_11
.LBB182_54:                             ;   in Loop: Header=BB182_12 Depth=2
	v_mul_f64_e32 v[2:3], s[14:15], v[7:8]
	v_mul_f64_e32 v[7:8], s[12:13], v[7:8]
	;; [unrolled: 1-line block ×6, first 2 shown]
	s_wait_dscnt 0x0
	v_mul_f64_e32 v[57:58], s[14:15], v[19:20]
	v_mul_f64_e32 v[19:20], s[12:13], v[19:20]
	s_mul_i32 s8, s25, s30
	s_wait_alu 0xfffe
	s_add_co_i32 s34, s8, s26
	s_delay_alu instid0(SALU_CYCLE_1)
	s_lshl_b64 s[8:9], s[34:35], 4
	s_add_co_i32 s34, s34, s30
	s_wait_alu 0xfffe
	s_add_nc_u64 s[8:9], s[52:53], s[8:9]
	s_lshl_b64 s[54:55], s[34:35], 4
	s_add_co_i32 s34, s34, s30
	s_wait_alu 0xfffe
	s_add_nc_u64 s[54:55], s[52:53], s[54:55]
	s_lshl_b64 s[56:57], s[34:35], 4
	s_add_co_i32 s34, s34, s30
	s_add_nc_u64 s[56:57], s[52:53], s[56:57]
	s_lshl_b64 s[74:75], s[34:35], 4
	s_delay_alu instid0(SALU_CYCLE_1)
	s_add_nc_u64 s[74:75], s[52:53], s[74:75]
	v_fma_f64 v[2:3], s[12:13], v[5:6], -v[2:3]
	v_fma_f64 v[4:5], s[14:15], v[5:6], v[7:8]
	v_fma_f64 v[6:7], s[12:13], v[9:10], -v[38:39]
	v_fma_f64 v[8:9], s[14:15], v[9:10], v[11:12]
	v_fma_f64 v[10:11], s[12:13], v[13:14], -v[55:56]
	v_fma_f64 v[12:13], s[14:15], v[13:14], v[15:16]
	v_fma_f64 v[14:15], s[12:13], v[17:18], -v[57:58]
	v_fma_f64 v[16:17], s[14:15], v[17:18], v[19:20]
	s_clause 0x3
	global_store_b128 v1, v[2:5], s[8:9]
	global_store_b128 v1, v[6:9], s[54:55]
	;; [unrolled: 1-line block ×4, first 2 shown]
	s_branch .LBB182_11
.LBB182_55:                             ;   in Loop: Header=BB182_12 Depth=2
	v_mov_b32_e32 v17, 0
	v_mov_b32_e32 v13, 0
	;; [unrolled: 1-line block ×3, first 2 shown]
	v_dual_mov_b32 v7, 0 :: v_dual_mov_b32 v18, 0
	v_dual_mov_b32 v19, 0 :: v_dual_mov_b32 v14, 0
	;; [unrolled: 1-line block ×5, first 2 shown]
	v_mov_b32_e32 v16, 0
	v_mov_b32_e32 v12, 0
	;; [unrolled: 1-line block ×3, first 2 shown]
.LBB182_56:                             ;   in Loop: Header=BB182_12 Depth=2
	s_or_b32 exec_lo, exec_lo, s73
	s_delay_alu instid0(SALU_CYCLE_1)
	s_or_b32 exec_lo, exec_lo, s34
	s_and_saveexec_b32 s7, s1
	s_cbranch_execnz .LBB182_15
	s_branch .LBB182_16
.LBB182_57:                             ;   in Loop: Header=BB182_3 Depth=1
	s_mov_b32 s25, 0
.LBB182_58:                             ;   in Loop: Header=BB182_3 Depth=1
	s_delay_alu instid0(SALU_CYCLE_1)
	s_cmp_ge_i32 s25, s29
	s_cbranch_scc1 .LBB182_2
; %bb.59:                               ;   in Loop: Header=BB182_3 Depth=1
	v_cmp_gt_u32_e32 vcc_lo, 24, v45
	s_wait_alu 0xfffe
	s_add_nc_u64 s[6:7], s[52:53], s[38:39]
	s_mul_i32 s8, s33, s25
	s_mov_b32 s34, s25
	s_wait_dscnt 0x0
	s_wait_alu 0xfffd
	v_cndmask_b32_e64 v2, 0, 8, vcc_lo
	v_cmp_gt_u32_e32 vcc_lo, 28, v45
	s_wait_dscnt 0x0
	s_delay_alu instid0(VALU_DEP_2) | instskip(SKIP_3) | instid1(VALU_DEP_2)
	v_add_lshl_u32 v18, v2, v45, 2
	s_wait_alu 0xfffd
	v_cndmask_b32_e64 v3, 0, 4, vcc_lo
	v_cmp_gt_u32_e32 vcc_lo, 30, v45
	v_add_lshl_u32 v19, v3, v45, 2
	s_wait_alu 0xfffd
	v_cndmask_b32_e64 v4, 0, 2, vcc_lo
	v_cmp_ne_u32_e32 vcc_lo, 31, v45
	s_delay_alu instid0(VALU_DEP_2)
	v_add_lshl_u32 v20, v4, v45, 2
	s_wait_alu 0xfffd
	v_add_co_ci_u32_e64 v5, null, 0, v45, vcc_lo
	v_add_co_u32 v6, vcc_lo, s48, v22
	s_wait_alu 0xfffd
	v_add_co_ci_u32_e64 v7, null, s49, v23, vcc_lo
	v_add_co_u32 v8, vcc_lo, s48, v24
	;; [unrolled: 3-line block ×5, first 2 shown]
	v_lshlrev_b32_e32 v30, 2, v5
	s_wait_alu 0xfffd
	v_add_co_ci_u32_e64 v32, null, s51, v44, vcc_lo
	s_branch .LBB182_61
.LBB182_60:                             ;   in Loop: Header=BB182_61 Depth=2
	s_wait_alu 0xfffe
	s_or_b32 exec_lo, exec_lo, s9
	s_add_co_i32 s34, s34, 1
	s_add_co_i32 s8, s8, s33
	s_cmp_lt_i32 s34, s29
	s_cbranch_scc0 .LBB182_2
.LBB182_61:                             ;   Parent Loop BB182_3 Depth=1
                                        ; =>  This Loop Header: Depth=2
                                        ;       Child Loop BB182_73 Depth 3
                                        ;       Child Loop BB182_75 Depth 3
                                        ; implicit-def: $vgpr14_vgpr15
                                        ; implicit-def: $vgpr16_vgpr17
	s_and_saveexec_b32 s9, s4
	s_wait_alu 0xfffe
	s_xor_b32 s9, exec_lo, s9
	s_cbranch_execnz .LBB182_70
; %bb.62:                               ;   in Loop: Header=BB182_61 Depth=2
	s_wait_alu 0xfffe
	s_and_not1_saveexec_b32 s25, s9
	s_cbranch_execnz .LBB182_71
.LBB182_63:                             ;   in Loop: Header=BB182_61 Depth=2
	s_or_b32 exec_lo, exec_lo, s25
	s_and_saveexec_b32 s9, s1
	s_cbranch_execz .LBB182_65
.LBB182_64:                             ;   in Loop: Header=BB182_61 Depth=2
	s_wait_dscnt 0x0
	v_dual_mov_b32 v2, v1 :: v_dual_mov_b32 v3, v1
	v_mov_b32_e32 v4, v1
	ds_store_b128 v40, v[1:4]
.LBB182_65:                             ;   in Loop: Header=BB182_61 Depth=2
	s_wait_alu 0xfffe
	s_or_b32 exec_lo, exec_lo, s9
	s_wait_dscnt 0x0
	ds_bpermute_b32 v2, v46, v14
	ds_bpermute_b32 v3, v46, v15
	;; [unrolled: 1-line block ×4, first 2 shown]
	s_wait_storecnt 0x0
	s_wait_loadcnt_dscnt 0x0
	s_barrier_signal -1
	s_barrier_wait -1
	global_inv scope:SCOPE_SE
	v_add_f64_e32 v[2:3], v[14:15], v[2:3]
	v_add_f64_e32 v[4:5], v[16:17], v[4:5]
	ds_bpermute_b32 v14, v18, v2
	ds_bpermute_b32 v15, v18, v3
	ds_bpermute_b32 v16, v18, v4
	ds_bpermute_b32 v17, v18, v5
	s_wait_dscnt 0x2
	v_add_f64_e32 v[2:3], v[2:3], v[14:15]
	s_wait_dscnt 0x0
	v_add_f64_e32 v[4:5], v[4:5], v[16:17]
	ds_bpermute_b32 v14, v19, v2
	ds_bpermute_b32 v15, v19, v3
	ds_bpermute_b32 v16, v19, v4
	ds_bpermute_b32 v17, v19, v5
	s_wait_dscnt 0x2
	v_add_f64_e32 v[2:3], v[2:3], v[14:15]
	s_wait_dscnt 0x0
	;; [unrolled: 8-line block ×3, first 2 shown]
	v_add_f64_e32 v[14:15], v[4:5], v[16:17]
	ds_bpermute_b32 v4, v30, v2
	ds_bpermute_b32 v5, v30, v3
	;; [unrolled: 1-line block ×4, first 2 shown]
	s_and_saveexec_b32 s9, s3
	s_cbranch_execz .LBB182_67
; %bb.66:                               ;   in Loop: Header=BB182_61 Depth=2
	s_wait_dscnt 0x0
	v_add_f64_e32 v[16:17], v[14:15], v[16:17]
	v_add_f64_e32 v[14:15], v[2:3], v[4:5]
	ds_store_b128 v41, v[14:17]
.LBB182_67:                             ;   in Loop: Header=BB182_61 Depth=2
	s_wait_alu 0xfffe
	s_or_b32 exec_lo, exec_lo, s9
	s_wait_dscnt 0x2
	v_mov_b32_e32 v4, 0
	v_dual_mov_b32 v5, 0 :: v_dual_mov_b32 v2, 0
	v_mov_b32_e32 v3, 0
	s_wait_loadcnt_dscnt 0x0
	s_barrier_signal -1
	s_barrier_wait -1
	global_inv scope:SCOPE_SE
	s_and_saveexec_b32 s9, s2
	s_cbranch_execnz .LBB182_77
; %bb.68:                               ;   in Loop: Header=BB182_61 Depth=2
	s_wait_alu 0xfffe
	s_or_b32 exec_lo, exec_lo, s9
	s_and_saveexec_b32 s9, s1
	s_cbranch_execnz .LBB182_78
.LBB182_69:                             ;   in Loop: Header=BB182_61 Depth=2
	s_wait_alu 0xfffe
	s_or_b32 exec_lo, exec_lo, s9
	s_and_saveexec_b32 s9, s0
	s_cbranch_execz .LBB182_60
	s_branch .LBB182_79
.LBB182_70:                             ;   in Loop: Header=BB182_61 Depth=2
	s_wait_dscnt 0x0
	s_clause 0x2
	global_load_b128 v[2:5], v[8:9], off
	global_load_b128 v[14:17], v[10:11], off
	;; [unrolled: 1-line block ×3, first 2 shown]
	s_mul_i32 s50, s34, s33
	s_wait_alu 0xfffe
	s_ashr_i32 s51, s50, 31
	s_wait_alu 0xfffe
	s_lshl_b64 s[50:51], s[50:51], 4
	s_wait_alu 0xfffe
	v_add_co_u32 v37, vcc_lo, v47, s50
	s_wait_alu 0xfffd
	v_add_co_ci_u32_e64 v38, null, s51, v48, vcc_lo
	global_load_b128 v[49:52], v[6:7], off
	s_clause 0x1
	global_load_b128 v[53:56], v[37:38], off
	global_load_b128 v[57:60], v[37:38], off offset:16
	s_wait_loadcnt 0x5
	scratch_store_b128 off, v[2:5], s64
	s_wait_loadcnt 0x4
	scratch_store_b128 off, v[14:17], s65
	s_clause 0x1
	scratch_load_b128 v[2:5], off, off offset:16
	scratch_load_b128 v[14:17], off, off offset:32
	s_clause 0x1
	global_load_b128 v[61:64], v[37:38], off offset:32
	global_load_b128 v[65:68], v[37:38], off offset:48
	s_wait_loadcnt 0x7
	scratch_store_b128 off, v[33:36], s66
	scratch_load_b128 v[33:36], off, off offset:48
	s_wait_loadcnt 0x7
	scratch_store_b128 off, v[49:52], off
	s_wait_loadcnt 0x6
	v_mul_f64_e32 v[37:38], v[55:56], v[51:52]
	v_mul_f64_e32 v[55:56], v[55:56], v[49:50]
	s_delay_alu instid0(VALU_DEP_2) | instskip(NEXT) | instid1(VALU_DEP_2)
	v_fma_f64 v[37:38], v[53:54], v[49:50], v[37:38]
	v_fma_f64 v[53:54], v[53:54], v[51:52], -v[55:56]
	s_delay_alu instid0(VALU_DEP_2) | instskip(NEXT) | instid1(VALU_DEP_2)
	v_add_f64_e32 v[37:38], 0, v[37:38]
	v_add_f64_e32 v[53:54], 0, v[53:54]
	s_wait_loadcnt 0x4
	v_mul_f64_e32 v[55:56], v[59:60], v[4:5]
	v_mul_f64_e32 v[59:60], v[59:60], v[2:3]
	s_wait_loadcnt 0x2
	v_mul_f64_e32 v[69:70], v[63:64], v[16:17]
	v_mul_f64_e32 v[63:64], v[63:64], v[14:15]
	s_delay_alu instid0(VALU_DEP_4) | instskip(NEXT) | instid1(VALU_DEP_4)
	v_fma_f64 v[2:3], v[57:58], v[2:3], v[55:56]
	v_fma_f64 v[4:5], v[57:58], v[4:5], -v[59:60]
	s_wait_loadcnt 0x0
	v_mul_f64_e32 v[55:56], v[67:68], v[35:36]
	v_mul_f64_e32 v[57:58], v[67:68], v[33:34]
	v_fma_f64 v[14:15], v[61:62], v[14:15], v[69:70]
	v_fma_f64 v[16:17], v[61:62], v[16:17], -v[63:64]
	v_add_f64_e32 v[2:3], v[37:38], v[2:3]
	v_add_f64_e32 v[4:5], v[53:54], v[4:5]
	v_fma_f64 v[33:34], v[65:66], v[33:34], v[55:56]
	v_fma_f64 v[35:36], v[65:66], v[35:36], -v[57:58]
	s_delay_alu instid0(VALU_DEP_4) | instskip(NEXT) | instid1(VALU_DEP_4)
	v_add_f64_e32 v[2:3], v[2:3], v[14:15]
	v_add_f64_e32 v[4:5], v[4:5], v[16:17]
	s_delay_alu instid0(VALU_DEP_2) | instskip(NEXT) | instid1(VALU_DEP_2)
	v_add_f64_e32 v[14:15], v[2:3], v[33:34]
	v_add_f64_e32 v[16:17], v[4:5], v[35:36]
	s_and_not1_saveexec_b32 s25, s9
	s_cbranch_execz .LBB182_63
.LBB182_71:                             ;   in Loop: Header=BB182_61 Depth=2
	v_mov_b32_e32 v14, 0
	v_dual_mov_b32 v15, 0 :: v_dual_mov_b32 v16, 0
	v_mov_b32_e32 v17, 0
	s_and_saveexec_b32 s50, s28
	s_cbranch_execz .LBB182_76
; %bb.72:                               ;   in Loop: Header=BB182_61 Depth=2
	s_wait_dscnt 0x0
	v_mov_b32_e32 v2, v21
	s_mov_b32 s9, 0
	s_mov_b32 s51, s61
.LBB182_73:                             ;   Parent Loop BB182_3 Depth=1
                                        ;     Parent Loop BB182_61 Depth=2
                                        ; =>    This Inner Loop Header: Depth=3
	s_delay_alu instid0(VALU_DEP_1) | instskip(SKIP_2) | instid1(VALU_DEP_1)
	v_ashrrev_i32_e32 v3, 31, v2
	s_wait_alu 0xfffe
	s_add_co_i32 s51, s51, -1
	v_lshlrev_b64_e32 v[3:4], 4, v[2:3]
	v_add_nc_u32_e32 v2, s10, v2
	s_delay_alu instid0(VALU_DEP_2) | instskip(SKIP_1) | instid1(VALU_DEP_3)
	v_add_co_u32 v3, vcc_lo, s48, v3
	s_wait_alu 0xfffd
	v_add_co_ci_u32_e64 v4, null, s49, v4, vcc_lo
	global_load_b128 v[14:17], v[3:4], off
	s_wait_loadcnt 0x0
	scratch_store_b128 off, v[14:17], s9
	s_add_co_i32 s9, s9, 16
	s_wait_alu 0xfffe
	s_cmp_eq_u32 s51, 0
	s_cbranch_scc0 .LBB182_73
; %bb.74:                               ;   in Loop: Header=BB182_61 Depth=2
	s_ashr_i32 s9, s8, 31
	v_mov_b32_e32 v14, 0
	s_wait_alu 0xfffe
	s_lshl_b64 s[52:53], s[8:9], 4
	v_dual_mov_b32 v15, 0 :: v_dual_mov_b32 v16, 0
	s_wait_alu 0xfffe
	v_add_co_u32 v2, vcc_lo, v31, s52
	v_mov_b32_e32 v17, 0
	s_wait_alu 0xfffd
	v_add_co_ci_u32_e64 v3, null, s53, v32, vcc_lo
	s_mov_b32 s9, s67
	s_mov_b32 s51, s61
.LBB182_75:                             ;   Parent Loop BB182_3 Depth=1
                                        ;     Parent Loop BB182_61 Depth=2
                                        ; =>    This Inner Loop Header: Depth=3
	global_load_b128 v[33:36], v[2:3], off offset:-8
	scratch_load_b128 v[49:52], off, s9 offset:-8
	v_add_co_u32 v2, vcc_lo, v2, 16
	s_wait_alu 0xfffd
	v_add_co_ci_u32_e64 v3, null, 0, v3, vcc_lo
	s_wait_alu 0xfffe
	s_add_co_i32 s51, s51, -1
	s_add_co_i32 s9, s9, 16
	s_wait_alu 0xfffe
	s_cmp_lg_u32 s51, 0
	s_wait_loadcnt 0x0
	v_mul_f64_e32 v[4:5], v[35:36], v[51:52]
	v_mul_f64_e32 v[35:36], v[35:36], v[49:50]
	s_delay_alu instid0(VALU_DEP_2) | instskip(NEXT) | instid1(VALU_DEP_2)
	v_fma_f64 v[4:5], v[33:34], v[49:50], v[4:5]
	v_fma_f64 v[33:34], v[33:34], v[51:52], -v[35:36]
	s_delay_alu instid0(VALU_DEP_2) | instskip(NEXT) | instid1(VALU_DEP_2)
	v_add_f64_e32 v[14:15], v[14:15], v[4:5]
	v_add_f64_e32 v[16:17], v[16:17], v[33:34]
	s_cbranch_scc1 .LBB182_75
.LBB182_76:                             ;   in Loop: Header=BB182_61 Depth=2
	s_wait_alu 0xfffe
	s_or_b32 exec_lo, exec_lo, s50
	s_delay_alu instid0(SALU_CYCLE_1)
	s_or_b32 exec_lo, exec_lo, s25
	s_and_saveexec_b32 s9, s1
	s_cbranch_execnz .LBB182_64
	s_branch .LBB182_65
.LBB182_77:                             ;   in Loop: Header=BB182_61 Depth=2
	ds_load_b128 v[2:5], v40
	s_wait_alu 0xfffe
	s_or_b32 exec_lo, exec_lo, s9
	s_and_saveexec_b32 s9, s1
	s_cbranch_execz .LBB182_69
.LBB182_78:                             ;   in Loop: Header=BB182_61 Depth=2
	s_wait_dscnt 0x0
	ds_bpermute_b32 v14, v19, v2
	ds_bpermute_b32 v15, v19, v3
	ds_bpermute_b32 v16, v19, v4
	ds_bpermute_b32 v17, v19, v5
	s_wait_dscnt 0x2
	v_add_f64_e32 v[2:3], v[2:3], v[14:15]
	s_wait_dscnt 0x0
	v_add_f64_e32 v[4:5], v[4:5], v[16:17]
	ds_bpermute_b32 v14, v20, v2
	ds_bpermute_b32 v15, v20, v3
	ds_bpermute_b32 v16, v20, v4
	ds_bpermute_b32 v17, v20, v5
	s_wait_dscnt 0x2
	v_add_f64_e32 v[2:3], v[2:3], v[14:15]
	s_wait_dscnt 0x0
	v_add_f64_e32 v[4:5], v[4:5], v[16:17]
	;; [unrolled: 8-line block ×3, first 2 shown]
	s_wait_alu 0xfffe
	s_or_b32 exec_lo, exec_lo, s9
	s_and_saveexec_b32 s9, s0
	s_cbranch_execz .LBB182_60
.LBB182_79:                             ;   in Loop: Header=BB182_61 Depth=2
	s_wait_dscnt 0x0
	s_delay_alu instid0(VALU_DEP_1)
	v_mul_f64_e32 v[14:15], s[14:15], v[4:5]
	v_mul_f64_e32 v[4:5], s[12:13], v[4:5]
	s_mul_u64 s[50:51], s[34:35], s[30:31]
	s_wait_alu 0xfffe
	s_lshl_b64 s[50:51], s[50:51], 4
	s_wait_alu 0xfffe
	s_add_nc_u64 s[50:51], s[6:7], s[50:51]
	s_delay_alu instid0(VALU_DEP_2) | instskip(NEXT) | instid1(VALU_DEP_2)
	v_fma_f64 v[14:15], s[12:13], v[2:3], -v[14:15]
	v_fma_f64 v[16:17], s[14:15], v[2:3], v[4:5]
	global_store_b128 v1, v[14:17], s[50:51]
	s_branch .LBB182_60
.LBB182_80:
	s_nop 0
	s_sendmsg sendmsg(MSG_DEALLOC_VGPRS)
	s_endpgm
	.section	.rodata,"a",@progbits
	.p2align	6, 0x0
	.amdhsa_kernel _ZL23rocblas_gemvt_sn_kernelILb1ELi256ELi4Ei19rocblas_complex_numIdES1_S1_EviiT4_lPKT3_lilS5_lilPT5_i
		.amdhsa_group_segment_fixed_size 512
		.amdhsa_private_segment_fixed_size 80
		.amdhsa_kernarg_size 368
		.amdhsa_user_sgpr_count 2
		.amdhsa_user_sgpr_dispatch_ptr 0
		.amdhsa_user_sgpr_queue_ptr 0
		.amdhsa_user_sgpr_kernarg_segment_ptr 1
		.amdhsa_user_sgpr_dispatch_id 0
		.amdhsa_user_sgpr_private_segment_size 0
		.amdhsa_wavefront_size32 1
		.amdhsa_uses_dynamic_stack 0
		.amdhsa_enable_private_segment 1
		.amdhsa_system_sgpr_workgroup_id_x 1
		.amdhsa_system_sgpr_workgroup_id_y 0
		.amdhsa_system_sgpr_workgroup_id_z 1
		.amdhsa_system_sgpr_workgroup_info 0
		.amdhsa_system_vgpr_workitem_id 0
		.amdhsa_next_free_vgpr 129
		.amdhsa_next_free_sgpr 82
		.amdhsa_reserve_vcc 1
		.amdhsa_float_round_mode_32 0
		.amdhsa_float_round_mode_16_64 0
		.amdhsa_float_denorm_mode_32 3
		.amdhsa_float_denorm_mode_16_64 3
		.amdhsa_fp16_overflow 0
		.amdhsa_workgroup_processor_mode 1
		.amdhsa_memory_ordered 1
		.amdhsa_forward_progress 1
		.amdhsa_inst_pref_size 56
		.amdhsa_round_robin_scheduling 0
		.amdhsa_exception_fp_ieee_invalid_op 0
		.amdhsa_exception_fp_denorm_src 0
		.amdhsa_exception_fp_ieee_div_zero 0
		.amdhsa_exception_fp_ieee_overflow 0
		.amdhsa_exception_fp_ieee_underflow 0
		.amdhsa_exception_fp_ieee_inexact 0
		.amdhsa_exception_int_div_zero 0
	.end_amdhsa_kernel
	.section	.text._ZL23rocblas_gemvt_sn_kernelILb1ELi256ELi4Ei19rocblas_complex_numIdES1_S1_EviiT4_lPKT3_lilS5_lilPT5_i,"axG",@progbits,_ZL23rocblas_gemvt_sn_kernelILb1ELi256ELi4Ei19rocblas_complex_numIdES1_S1_EviiT4_lPKT3_lilS5_lilPT5_i,comdat
.Lfunc_end182:
	.size	_ZL23rocblas_gemvt_sn_kernelILb1ELi256ELi4Ei19rocblas_complex_numIdES1_S1_EviiT4_lPKT3_lilS5_lilPT5_i, .Lfunc_end182-_ZL23rocblas_gemvt_sn_kernelILb1ELi256ELi4Ei19rocblas_complex_numIdES1_S1_EviiT4_lPKT3_lilS5_lilPT5_i
                                        ; -- End function
	.set _ZL23rocblas_gemvt_sn_kernelILb1ELi256ELi4Ei19rocblas_complex_numIdES1_S1_EviiT4_lPKT3_lilS5_lilPT5_i.num_vgpr, 129
	.set _ZL23rocblas_gemvt_sn_kernelILb1ELi256ELi4Ei19rocblas_complex_numIdES1_S1_EviiT4_lPKT3_lilS5_lilPT5_i.num_agpr, 0
	.set _ZL23rocblas_gemvt_sn_kernelILb1ELi256ELi4Ei19rocblas_complex_numIdES1_S1_EviiT4_lPKT3_lilS5_lilPT5_i.numbered_sgpr, 82
	.set _ZL23rocblas_gemvt_sn_kernelILb1ELi256ELi4Ei19rocblas_complex_numIdES1_S1_EviiT4_lPKT3_lilS5_lilPT5_i.num_named_barrier, 0
	.set _ZL23rocblas_gemvt_sn_kernelILb1ELi256ELi4Ei19rocblas_complex_numIdES1_S1_EviiT4_lPKT3_lilS5_lilPT5_i.private_seg_size, 80
	.set _ZL23rocblas_gemvt_sn_kernelILb1ELi256ELi4Ei19rocblas_complex_numIdES1_S1_EviiT4_lPKT3_lilS5_lilPT5_i.uses_vcc, 1
	.set _ZL23rocblas_gemvt_sn_kernelILb1ELi256ELi4Ei19rocblas_complex_numIdES1_S1_EviiT4_lPKT3_lilS5_lilPT5_i.uses_flat_scratch, 1
	.set _ZL23rocblas_gemvt_sn_kernelILb1ELi256ELi4Ei19rocblas_complex_numIdES1_S1_EviiT4_lPKT3_lilS5_lilPT5_i.has_dyn_sized_stack, 0
	.set _ZL23rocblas_gemvt_sn_kernelILb1ELi256ELi4Ei19rocblas_complex_numIdES1_S1_EviiT4_lPKT3_lilS5_lilPT5_i.has_recursion, 0
	.set _ZL23rocblas_gemvt_sn_kernelILb1ELi256ELi4Ei19rocblas_complex_numIdES1_S1_EviiT4_lPKT3_lilS5_lilPT5_i.has_indirect_call, 0
	.section	.AMDGPU.csdata,"",@progbits
; Kernel info:
; codeLenInByte = 7164
; TotalNumSgprs: 84
; NumVgprs: 129
; ScratchSize: 80
; MemoryBound: 0
; FloatMode: 240
; IeeeMode: 1
; LDSByteSize: 512 bytes/workgroup (compile time only)
; SGPRBlocks: 0
; VGPRBlocks: 16
; NumSGPRsForWavesPerEU: 84
; NumVGPRsForWavesPerEU: 129
; Occupancy: 10
; WaveLimiterHint : 1
; COMPUTE_PGM_RSRC2:SCRATCH_EN: 1
; COMPUTE_PGM_RSRC2:USER_SGPR: 2
; COMPUTE_PGM_RSRC2:TRAP_HANDLER: 0
; COMPUTE_PGM_RSRC2:TGID_X_EN: 1
; COMPUTE_PGM_RSRC2:TGID_Y_EN: 0
; COMPUTE_PGM_RSRC2:TGID_Z_EN: 1
; COMPUTE_PGM_RSRC2:TIDIG_COMP_CNT: 0
	.section	.text._ZL23rocblas_gemvt_sn_kernelILb1ELi256ELi4El19rocblas_complex_numIdES1_S1_EviiT4_lPKT3_lilS5_lilPT5_i,"axG",@progbits,_ZL23rocblas_gemvt_sn_kernelILb1ELi256ELi4El19rocblas_complex_numIdES1_S1_EviiT4_lPKT3_lilS5_lilPT5_i,comdat
	.globl	_ZL23rocblas_gemvt_sn_kernelILb1ELi256ELi4El19rocblas_complex_numIdES1_S1_EviiT4_lPKT3_lilS5_lilPT5_i ; -- Begin function _ZL23rocblas_gemvt_sn_kernelILb1ELi256ELi4El19rocblas_complex_numIdES1_S1_EviiT4_lPKT3_lilS5_lilPT5_i
	.p2align	8
	.type	_ZL23rocblas_gemvt_sn_kernelILb1ELi256ELi4El19rocblas_complex_numIdES1_S1_EviiT4_lPKT3_lilS5_lilPT5_i,@function
_ZL23rocblas_gemvt_sn_kernelILb1ELi256ELi4El19rocblas_complex_numIdES1_S1_EviiT4_lPKT3_lilS5_lilPT5_i: ; @_ZL23rocblas_gemvt_sn_kernelILb1ELi256ELi4El19rocblas_complex_numIdES1_S1_EviiT4_lPKT3_lilS5_lilPT5_i
; %bb.0:
	s_load_b32 s33, s[0:1], 0x68
	s_lshr_b32 s24, ttmp7, 16
	s_wait_kmcnt 0x0
	s_cmp_ge_u32 s24, s33
	s_cbranch_scc1 .LBB183_80
; %bb.1:
	s_clause 0x7
	s_load_b128 s[12:15], s[0:1], 0x8
	s_load_b32 s28, s[0:1], 0x30
	s_load_b96 s[8:10], s[0:1], 0x48
	s_load_b128 s[4:7], s[0:1], 0x20
	s_load_b64 s[30:31], s[0:1], 0x0
	s_load_b128 s[16:19], s[0:1], 0x38
	s_load_b128 s[20:23], s[0:1], 0x58
	s_load_b32 s34, s[0:1], 0x70
	v_cmp_eq_u32_e64 s0, 0, v0
	v_and_b32_e32 v1, 31, v0
	v_cmp_gt_u32_e64 s1, 32, v0
	v_lshrrev_b32_e32 v2, 1, v0
	v_cmp_gt_u32_e64 s2, 8, v0
	v_mbcnt_lo_u32_b32 v50, -1, 0
	v_cmp_eq_u32_e64 s3, 0, v1
	v_lshlrev_b32_e32 v44, 4, v1
	v_and_b32_e32 v45, 0x70, v2
	s_mov_b32 s26, ttmp9
	s_mov_b32 s27, 0
	v_lshl_or_b32 v51, v50, 2, 64
	s_mov_b32 s35, s27
	s_wait_kmcnt 0x0
	s_ashr_i32 s29, s28, 31
	s_ashr_i32 s47, s10, 31
	s_lshl_b64 s[8:9], s[8:9], 4
	s_lshl_b64 s[6:7], s[6:7], 4
	s_ashr_i32 s39, s31, 31
	v_cmp_eq_f64_e64 s11, s[12:13], 0
	v_cmp_eq_f64_e64 s25, s[14:15], 0
	s_add_nc_u64 s[6:7], s[4:5], s[6:7]
	s_add_nc_u64 s[18:19], s[18:19], s[8:9]
	s_mov_b32 s46, s10
	s_mov_b32 s38, s31
	s_mov_b32 s66, 16
	s_mul_u64 s[36:37], s[38:39], s[34:35]
	s_mov_b32 s67, 32
	s_mov_b32 s68, 48
	s_and_b32 s60, s11, s25
	s_cmp_gt_i32 s31, 0
	s_cselect_b32 s4, -1, 0
	s_lshl_b32 s5, ttmp9, 10
	s_ashr_i32 s9, s30, 31
	v_lshl_or_b32 v0, v0, 2, s5
	s_and_b32 s61, s0, s4
	s_lshr_b32 s4, s9, 30
	s_lshr_b32 s8, s39, 30
	s_wait_alu 0xfffe
	s_add_co_i32 s4, s30, s4
	v_ashrrev_i32_e32 v1, 31, v0
	v_mad_co_i64_i32 v[2:3], null, s10, v0, 0
	s_wait_alu 0xfffe
	s_and_b32 s4, s4, -4
	v_add_nc_u32_e32 v4, 4, v0
	s_wait_alu 0xfffe
	s_sub_co_i32 s63, s30, s4
	v_or_b32_e32 v5, 1, v0
	v_or_b32_e32 v6, 2, v0
	v_or_b32_e32 v8, 3, v0
	v_add_nc_u32_e32 v10, s63, v0
	v_lshlrev_b64_e32 v[0:1], 4, v[0:1]
	v_lshlrev_b64_e32 v[20:21], 4, v[2:3]
	s_add_co_i32 s5, s31, s8
	v_cmp_ge_i32_e64 s4, s30, v4
	v_mad_co_i64_i32 v[4:5], null, s10, v5, 0
	v_mad_co_i64_i32 v[6:7], null, s10, v6, 0
	v_mad_co_i64_i32 v[8:9], null, s10, v8, 0
	s_wait_alu 0xfffe
	s_and_b32 s62, s5, -4
	v_add_co_u32 v46, vcc_lo, s6, v0
	s_wait_alu 0xfffe
	s_cmp_gt_i32 s62, 0
	v_add_co_ci_u32_e64 v47, null, s7, v1, vcc_lo
	v_add_co_u32 v22, vcc_lo, s18, v20
	s_cselect_b32 s64, -1, 0
	s_cmp_gt_i32 s63, 0
	v_cmp_ge_i32_e64 s5, s30, v10
	s_wait_alu 0xfffd
	v_add_co_ci_u32_e64 v23, null, s19, v21, vcc_lo
	v_add_co_u32 v48, vcc_lo, v46, 8
	s_cselect_b32 s65, -1, 0
	s_lshl_b64 s[10:11], s[26:27], 4
	v_lshlrev_b64_e32 v[24:25], 4, v[4:5]
	v_lshlrev_b64_e32 v[26:27], 4, v[6:7]
	;; [unrolled: 1-line block ×3, first 2 shown]
	s_wait_alu 0xfffd
	v_add_co_ci_u32_e64 v49, null, 0, v47, vcc_lo
	v_mov_b32_e32 v0, 0
	s_wait_alu 0xfffe
	s_add_nc_u64 s[8:9], s[22:23], s[10:11]
	s_or_b32 s69, 0, 8
	s_lshl_b64 s[38:39], s[36:37], 4
	s_lshl_b64 s[40:41], s[34:35], 4
	s_add_nc_u64 s[42:43], s[8:9], 8
	s_and_b32 s30, s65, s5
	s_lshl_b64 s[44:45], s[20:21], 4
	s_lshl_b64 s[46:47], s[46:47], 4
	;; [unrolled: 1-line block ×5, first 2 shown]
	s_branch .LBB183_3
.LBB183_2:                              ;   in Loop: Header=BB183_3 Depth=1
	s_add_co_i32 s24, s24, 0x10000
	s_wait_alu 0xfffe
	s_cmp_lt_u32 s24, s33
	s_cbranch_scc0 .LBB183_80
.LBB183_3:                              ; =>This Loop Header: Depth=1
                                        ;     Child Loop BB183_6 Depth 2
                                        ;     Child Loop BB183_12 Depth 2
                                        ;       Child Loop BB183_43 Depth 3
                                        ;       Child Loop BB183_45 Depth 3
                                        ;     Child Loop BB183_61 Depth 2
                                        ;       Child Loop BB183_73 Depth 3
                                        ;       Child Loop BB183_75 Depth 3
	s_mov_b32 s25, s27
	s_and_not1_b32 vcc_lo, exec_lo, s60
	s_mov_b32 s6, -1
	s_wait_alu 0xfffe
	s_cbranch_vccnz .LBB183_8
; %bb.4:                                ;   in Loop: Header=BB183_3 Depth=1
	s_and_saveexec_b32 s8, s61
	s_cbranch_execz .LBB183_7
; %bb.5:                                ;   in Loop: Header=BB183_3 Depth=1
	s_mul_u64 s[6:7], s[38:39], s[24:25]
	s_mov_b32 s9, s31
	s_wait_alu 0xfffe
	s_add_nc_u64 s[6:7], s[42:43], s[6:7]
.LBB183_6:                              ;   Parent Loop BB183_3 Depth=1
                                        ; =>  This Inner Loop Header: Depth=2
	s_wait_dscnt 0x0
	v_dual_mov_b32 v1, v0 :: v_dual_mov_b32 v2, v0
	v_mov_b32_e32 v3, v0
	s_add_co_i32 s9, s9, -1
	s_wait_alu 0xfffe
	s_cmp_eq_u32 s9, 0
	global_store_b128 v0, v[0:3], s[6:7] offset:-8
	s_add_nc_u64 s[6:7], s[6:7], s[40:41]
	s_cbranch_scc0 .LBB183_6
.LBB183_7:                              ;   in Loop: Header=BB183_3 Depth=1
	s_wait_alu 0xfffe
	s_or_b32 exec_lo, exec_lo, s8
	s_mov_b32 s6, 0
.LBB183_8:                              ;   in Loop: Header=BB183_3 Depth=1
	s_wait_alu 0xfffe
	s_and_not1_b32 vcc_lo, exec_lo, s6
	s_wait_alu 0xfffe
	s_cbranch_vccnz .LBB183_2
; %bb.9:                                ;   in Loop: Header=BB183_3 Depth=1
	v_mad_co_u64_u32 v[30:31], null, s44, s24, v[22:23]
	s_mul_u64 s[70:71], s[16:17], s[24:25]
	s_mul_u64 s[54:55], s[20:21], s[24:25]
	s_wait_alu 0xfffe
	s_lshl_b64 s[70:71], s[70:71], 4
	s_mul_u64 s[58:59], s[36:37], s[24:25]
	s_wait_alu 0xfffe
	v_add_co_u32 v52, vcc_lo, v46, s70
	s_wait_dscnt 0x0
	v_mov_b32_e32 v1, v31
	s_lshl_b64 s[54:55], s[54:55], 4
	s_lshl_b64 s[72:73], s[58:59], 4
	v_cmp_gt_u32_e64 s7, 24, v50
	v_cmp_gt_u32_e64 s8, 28, v50
	v_mad_co_u64_u32 v[1:2], null, s45, s24, v[1:2]
	v_cmp_gt_u32_e64 s6, 30, v50
	s_wait_alu 0xfffd
	v_add_co_ci_u32_e64 v53, null, s71, v47, vcc_lo
	v_cmp_ne_u32_e64 s9, 31, v50
	s_add_nc_u64 s[58:59], s[18:19], s[54:55]
	s_wait_alu 0xfffe
	s_add_nc_u64 s[54:55], s[22:23], s[72:73]
	v_mov_b32_e32 v31, v1
	s_mul_u64 s[56:57], s[48:49], s[24:25]
	s_and_not1_b32 vcc_lo, exec_lo, s64
	s_add_nc_u64 s[54:55], s[54:55], s[10:11]
	s_wait_alu 0xfffe
	s_cbranch_vccnz .LBB183_57
; %bb.10:                               ;   in Loop: Header=BB183_3 Depth=1
	v_add_co_u32 v32, vcc_lo, v46, s56
	s_wait_alu 0xfffd
	v_add_co_ci_u32_e64 v33, null, s57, v47, vcc_lo
	v_add_co_u32 v34, vcc_lo, s58, v20
	s_wait_alu 0xfffd
	v_add_co_ci_u32_e64 v35, null, s59, v21, vcc_lo
	v_add_co_u32 v36, vcc_lo, s58, v24
	v_cndmask_b32_e64 v1, 0, 8, s7
	v_cndmask_b32_e64 v2, 0, 4, s8
	;; [unrolled: 1-line block ×3, first 2 shown]
	v_add_co_ci_u32_e64 v4, null, 0, v50, s9
	s_wait_alu 0xfffd
	v_add_co_ci_u32_e64 v37, null, s59, v25, vcc_lo
	v_add_co_u32 v38, vcc_lo, s58, v26
	s_wait_alu 0xfffd
	v_add_co_ci_u32_e64 v39, null, s59, v27, vcc_lo
	v_add_co_u32 v40, vcc_lo, s58, v28
	v_add_lshl_u32 v54, v1, v50, 2
	v_add_lshl_u32 v55, v2, v50, 2
	;; [unrolled: 1-line block ×3, first 2 shown]
	v_lshlrev_b32_e32 v57, 2, v4
	s_wait_alu 0xfffd
	v_add_co_ci_u32_e64 v41, null, s59, v29, vcc_lo
	s_mov_b32 s26, 0
	s_branch .LBB183_12
.LBB183_11:                             ;   in Loop: Header=BB183_12 Depth=2
	s_wait_alu 0xfffe
	s_or_b32 exec_lo, exec_lo, s6
	v_add_co_u32 v32, vcc_lo, v32, s50
	s_wait_alu 0xfffd
	v_add_co_ci_u32_e64 v33, null, s51, v33, vcc_lo
	s_add_co_i32 s26, s26, 4
	s_delay_alu instid0(SALU_CYCLE_1)
	s_cmp_ge_i32 s26, s62
	s_cbranch_scc1 .LBB183_58
.LBB183_12:                             ;   Parent Loop BB183_3 Depth=1
                                        ; =>  This Loop Header: Depth=2
                                        ;       Child Loop BB183_43 Depth 3
                                        ;       Child Loop BB183_45 Depth 3
                                        ; implicit-def: $vgpr16_vgpr17
                                        ; implicit-def: $vgpr18_vgpr19
                                        ; implicit-def: $vgpr12_vgpr13
                                        ; implicit-def: $vgpr14_vgpr15
                                        ; implicit-def: $vgpr8_vgpr9
                                        ; implicit-def: $vgpr10_vgpr11
                                        ; implicit-def: $vgpr6_vgpr7
                                        ; implicit-def: $vgpr4_vgpr5
	s_and_saveexec_b32 s6, s4
	s_wait_alu 0xfffe
	s_xor_b32 s8, exec_lo, s6
	s_cbranch_execnz .LBB183_39
; %bb.13:                               ;   in Loop: Header=BB183_12 Depth=2
	s_wait_alu 0xfffe
	s_and_not1_saveexec_b32 s6, s8
	s_cbranch_execnz .LBB183_40
.LBB183_14:                             ;   in Loop: Header=BB183_12 Depth=2
	s_wait_alu 0xfffe
	s_or_b32 exec_lo, exec_lo, s6
	s_and_saveexec_b32 s6, s1
.LBB183_15:                             ;   in Loop: Header=BB183_12 Depth=2
	v_dual_mov_b32 v1, v0 :: v_dual_mov_b32 v2, v0
	v_mov_b32_e32 v3, v0
	ds_store_b128 v44, v[0:3]
.LBB183_16:                             ;   in Loop: Header=BB183_12 Depth=2
	s_wait_alu 0xfffe
	s_or_b32 exec_lo, exec_lo, s6
	ds_bpermute_b32 v1, v51, v6
	ds_bpermute_b32 v2, v51, v7
	;; [unrolled: 1-line block ×4, first 2 shown]
	s_wait_storecnt_dscnt 0x0
	s_barrier_signal -1
	s_barrier_wait -1
	global_inv scope:SCOPE_SE
	v_add_f64_e32 v[1:2], v[6:7], v[1:2]
	v_add_f64_e32 v[3:4], v[4:5], v[42:43]
	ds_bpermute_b32 v5, v54, v1
	ds_bpermute_b32 v6, v54, v2
	ds_bpermute_b32 v42, v54, v3
	ds_bpermute_b32 v43, v54, v4
	s_wait_dscnt 0x2
	v_add_f64_e32 v[1:2], v[1:2], v[5:6]
	s_wait_dscnt 0x0
	v_add_f64_e32 v[3:4], v[3:4], v[42:43]
	ds_bpermute_b32 v5, v55, v1
	ds_bpermute_b32 v6, v55, v2
	ds_bpermute_b32 v42, v55, v3
	ds_bpermute_b32 v43, v55, v4
	s_wait_dscnt 0x2
	v_add_f64_e32 v[1:2], v[1:2], v[5:6]
	s_wait_dscnt 0x0
	;; [unrolled: 8-line block ×3, first 2 shown]
	v_add_f64_e32 v[5:6], v[3:4], v[42:43]
	ds_bpermute_b32 v3, v57, v1
	ds_bpermute_b32 v4, v57, v2
	;; [unrolled: 1-line block ×4, first 2 shown]
	s_and_saveexec_b32 s6, s3
	s_cbranch_execz .LBB183_18
; %bb.17:                               ;   in Loop: Header=BB183_12 Depth=2
	s_wait_dscnt 0x0
	v_add_f64_e32 v[5:6], v[5:6], v[42:43]
	v_add_f64_e32 v[3:4], v[1:2], v[3:4]
	ds_store_b128 v45, v[3:6]
.LBB183_18:                             ;   in Loop: Header=BB183_12 Depth=2
	s_wait_alu 0xfffe
	s_or_b32 exec_lo, exec_lo, s6
	v_mov_b32_e32 v6, 0
	s_wait_dscnt 0x2
	v_dual_mov_b32 v7, 0 :: v_dual_mov_b32 v4, 0
	v_mov_b32_e32 v5, 0
	s_wait_loadcnt_dscnt 0x0
	s_barrier_signal -1
	s_barrier_wait -1
	global_inv scope:SCOPE_SE
	s_and_saveexec_b32 s6, s2
	s_cbranch_execnz .LBB183_46
; %bb.19:                               ;   in Loop: Header=BB183_12 Depth=2
	s_wait_alu 0xfffe
	s_or_b32 exec_lo, exec_lo, s6
	s_and_saveexec_b32 s6, s1
	s_cbranch_execnz .LBB183_47
.LBB183_20:                             ;   in Loop: Header=BB183_12 Depth=2
	s_wait_alu 0xfffe
	s_or_b32 exec_lo, exec_lo, s6
	s_and_saveexec_b32 s6, s1
.LBB183_21:                             ;   in Loop: Header=BB183_12 Depth=2
	v_dual_mov_b32 v1, v0 :: v_dual_mov_b32 v2, v0
	v_mov_b32_e32 v3, v0
	ds_store_b128 v44, v[0:3]
.LBB183_22:                             ;   in Loop: Header=BB183_12 Depth=2
	s_wait_alu 0xfffe
	s_or_b32 exec_lo, exec_lo, s6
	ds_bpermute_b32 v1, v51, v8
	ds_bpermute_b32 v2, v51, v9
	;; [unrolled: 1-line block ×4, first 2 shown]
	s_wait_loadcnt_dscnt 0x0
	s_barrier_signal -1
	s_barrier_wait -1
	global_inv scope:SCOPE_SE
	v_add_f64_e32 v[1:2], v[8:9], v[1:2]
	v_add_f64_e32 v[8:9], v[10:11], v[42:43]
	ds_bpermute_b32 v10, v54, v1
	ds_bpermute_b32 v11, v54, v2
	ds_bpermute_b32 v42, v54, v8
	ds_bpermute_b32 v43, v54, v9
	s_wait_dscnt 0x2
	v_add_f64_e32 v[1:2], v[1:2], v[10:11]
	s_wait_dscnt 0x0
	v_add_f64_e32 v[8:9], v[8:9], v[42:43]
	ds_bpermute_b32 v10, v55, v1
	ds_bpermute_b32 v11, v55, v2
	ds_bpermute_b32 v42, v55, v8
	ds_bpermute_b32 v43, v55, v9
	s_wait_dscnt 0x2
	v_add_f64_e32 v[1:2], v[1:2], v[10:11]
	s_wait_dscnt 0x0
	;; [unrolled: 8-line block ×3, first 2 shown]
	v_add_f64_e32 v[10:11], v[8:9], v[42:43]
	ds_bpermute_b32 v8, v57, v1
	ds_bpermute_b32 v9, v57, v2
	ds_bpermute_b32 v42, v57, v10
	ds_bpermute_b32 v43, v57, v11
	s_and_saveexec_b32 s6, s3
	s_cbranch_execz .LBB183_24
; %bb.23:                               ;   in Loop: Header=BB183_12 Depth=2
	s_wait_dscnt 0x0
	v_add_f64_e32 v[10:11], v[10:11], v[42:43]
	v_add_f64_e32 v[8:9], v[1:2], v[8:9]
	ds_store_b128 v45, v[8:11]
.LBB183_24:                             ;   in Loop: Header=BB183_12 Depth=2
	s_wait_alu 0xfffe
	s_or_b32 exec_lo, exec_lo, s6
	v_mov_b32_e32 v10, 0
	s_wait_dscnt 0x2
	v_dual_mov_b32 v11, 0 :: v_dual_mov_b32 v8, 0
	v_mov_b32_e32 v9, 0
	s_wait_loadcnt_dscnt 0x0
	s_barrier_signal -1
	s_barrier_wait -1
	global_inv scope:SCOPE_SE
	s_and_saveexec_b32 s6, s2
	s_cbranch_execnz .LBB183_48
; %bb.25:                               ;   in Loop: Header=BB183_12 Depth=2
	s_wait_alu 0xfffe
	s_or_b32 exec_lo, exec_lo, s6
	s_and_saveexec_b32 s6, s1
	s_cbranch_execnz .LBB183_49
.LBB183_26:                             ;   in Loop: Header=BB183_12 Depth=2
	s_wait_alu 0xfffe
	s_or_b32 exec_lo, exec_lo, s6
	s_and_saveexec_b32 s6, s1
.LBB183_27:                             ;   in Loop: Header=BB183_12 Depth=2
	v_dual_mov_b32 v1, v0 :: v_dual_mov_b32 v2, v0
	v_mov_b32_e32 v3, v0
	ds_store_b128 v44, v[0:3]
.LBB183_28:                             ;   in Loop: Header=BB183_12 Depth=2
	s_wait_alu 0xfffe
	s_or_b32 exec_lo, exec_lo, s6
	ds_bpermute_b32 v1, v51, v12
	ds_bpermute_b32 v2, v51, v13
	;; [unrolled: 1-line block ×4, first 2 shown]
	s_wait_loadcnt_dscnt 0x0
	s_barrier_signal -1
	s_barrier_wait -1
	global_inv scope:SCOPE_SE
	v_add_f64_e32 v[1:2], v[12:13], v[1:2]
	v_add_f64_e32 v[12:13], v[14:15], v[42:43]
	ds_bpermute_b32 v14, v54, v1
	ds_bpermute_b32 v15, v54, v2
	ds_bpermute_b32 v42, v54, v12
	ds_bpermute_b32 v43, v54, v13
	s_wait_dscnt 0x2
	v_add_f64_e32 v[1:2], v[1:2], v[14:15]
	s_wait_dscnt 0x0
	v_add_f64_e32 v[12:13], v[12:13], v[42:43]
	ds_bpermute_b32 v14, v55, v1
	ds_bpermute_b32 v15, v55, v2
	ds_bpermute_b32 v42, v55, v12
	ds_bpermute_b32 v43, v55, v13
	s_wait_dscnt 0x2
	v_add_f64_e32 v[1:2], v[1:2], v[14:15]
	s_wait_dscnt 0x0
	;; [unrolled: 8-line block ×3, first 2 shown]
	v_add_f64_e32 v[14:15], v[12:13], v[42:43]
	ds_bpermute_b32 v12, v57, v1
	ds_bpermute_b32 v13, v57, v2
	ds_bpermute_b32 v42, v57, v14
	ds_bpermute_b32 v43, v57, v15
	s_and_saveexec_b32 s6, s3
	s_cbranch_execz .LBB183_30
; %bb.29:                               ;   in Loop: Header=BB183_12 Depth=2
	s_wait_dscnt 0x0
	v_add_f64_e32 v[14:15], v[14:15], v[42:43]
	v_add_f64_e32 v[12:13], v[1:2], v[12:13]
	ds_store_b128 v45, v[12:15]
.LBB183_30:                             ;   in Loop: Header=BB183_12 Depth=2
	s_wait_alu 0xfffe
	s_or_b32 exec_lo, exec_lo, s6
	v_mov_b32_e32 v14, 0
	s_wait_dscnt 0x2
	v_dual_mov_b32 v15, 0 :: v_dual_mov_b32 v12, 0
	v_mov_b32_e32 v13, 0
	s_wait_loadcnt_dscnt 0x0
	s_barrier_signal -1
	s_barrier_wait -1
	global_inv scope:SCOPE_SE
	s_and_saveexec_b32 s6, s2
	s_cbranch_execnz .LBB183_50
; %bb.31:                               ;   in Loop: Header=BB183_12 Depth=2
	s_wait_alu 0xfffe
	s_or_b32 exec_lo, exec_lo, s6
	s_and_saveexec_b32 s6, s1
	s_cbranch_execnz .LBB183_51
.LBB183_32:                             ;   in Loop: Header=BB183_12 Depth=2
	s_wait_alu 0xfffe
	s_or_b32 exec_lo, exec_lo, s6
	s_and_saveexec_b32 s6, s1
.LBB183_33:                             ;   in Loop: Header=BB183_12 Depth=2
	v_dual_mov_b32 v1, v0 :: v_dual_mov_b32 v2, v0
	v_mov_b32_e32 v3, v0
	ds_store_b128 v44, v[0:3]
.LBB183_34:                             ;   in Loop: Header=BB183_12 Depth=2
	s_wait_alu 0xfffe
	s_or_b32 exec_lo, exec_lo, s6
	ds_bpermute_b32 v1, v51, v16
	ds_bpermute_b32 v2, v51, v17
	;; [unrolled: 1-line block ×4, first 2 shown]
	s_wait_loadcnt_dscnt 0x0
	s_barrier_signal -1
	s_barrier_wait -1
	global_inv scope:SCOPE_SE
	v_add_f64_e32 v[1:2], v[16:17], v[1:2]
	v_add_f64_e32 v[16:17], v[18:19], v[42:43]
	ds_bpermute_b32 v18, v54, v1
	ds_bpermute_b32 v19, v54, v2
	ds_bpermute_b32 v42, v54, v16
	ds_bpermute_b32 v43, v54, v17
	s_wait_dscnt 0x2
	v_add_f64_e32 v[1:2], v[1:2], v[18:19]
	s_wait_dscnt 0x0
	v_add_f64_e32 v[16:17], v[16:17], v[42:43]
	ds_bpermute_b32 v18, v55, v1
	ds_bpermute_b32 v19, v55, v2
	ds_bpermute_b32 v42, v55, v16
	ds_bpermute_b32 v43, v55, v17
	s_wait_dscnt 0x2
	v_add_f64_e32 v[1:2], v[1:2], v[18:19]
	s_wait_dscnt 0x0
	;; [unrolled: 8-line block ×3, first 2 shown]
	v_add_f64_e32 v[18:19], v[16:17], v[42:43]
	ds_bpermute_b32 v16, v57, v1
	ds_bpermute_b32 v17, v57, v2
	ds_bpermute_b32 v42, v57, v18
	ds_bpermute_b32 v43, v57, v19
	s_and_saveexec_b32 s6, s3
	s_cbranch_execz .LBB183_36
; %bb.35:                               ;   in Loop: Header=BB183_12 Depth=2
	s_wait_dscnt 0x0
	v_add_f64_e32 v[18:19], v[18:19], v[42:43]
	v_add_f64_e32 v[16:17], v[1:2], v[16:17]
	ds_store_b128 v45, v[16:19]
.LBB183_36:                             ;   in Loop: Header=BB183_12 Depth=2
	s_wait_alu 0xfffe
	s_or_b32 exec_lo, exec_lo, s6
	v_mov_b32_e32 v18, 0
	s_wait_dscnt 0x2
	v_dual_mov_b32 v19, 0 :: v_dual_mov_b32 v16, 0
	v_mov_b32_e32 v17, 0
	s_wait_loadcnt_dscnt 0x0
	s_barrier_signal -1
	s_barrier_wait -1
	global_inv scope:SCOPE_SE
	s_and_saveexec_b32 s6, s2
	s_cbranch_execnz .LBB183_52
; %bb.37:                               ;   in Loop: Header=BB183_12 Depth=2
	s_wait_alu 0xfffe
	s_or_b32 exec_lo, exec_lo, s6
	s_and_saveexec_b32 s6, s1
	s_cbranch_execnz .LBB183_53
.LBB183_38:                             ;   in Loop: Header=BB183_12 Depth=2
	s_wait_alu 0xfffe
	s_or_b32 exec_lo, exec_lo, s6
	s_and_saveexec_b32 s6, s0
	s_cbranch_execz .LBB183_11
	s_branch .LBB183_54
.LBB183_39:                             ;   in Loop: Header=BB183_12 Depth=2
	s_clause 0x2
	global_load_b128 v[1:4], v[36:37], off
	global_load_b128 v[5:8], v[38:39], off
	;; [unrolled: 1-line block ×3, first 2 shown]
	s_mul_u64 s[6:7], s[26:27], s[28:29]
	s_or_b32 s70, s26, 1
	s_mov_b32 s71, s27
	s_or_b32 s72, s26, 2
	s_mov_b32 s73, s27
	s_wait_alu 0xfffe
	s_lshl_b64 s[6:7], s[6:7], 4
	s_mul_u64 s[70:71], s[70:71], s[28:29]
	s_or_b32 s74, s26, 3
	s_mov_b32 s75, s27
	s_mul_u64 s[72:73], s[72:73], s[28:29]
	s_wait_alu 0xfffe
	s_lshl_b64 s[70:71], s[70:71], 4
	s_wait_dscnt 0x0
	v_add_co_u32 v17, vcc_lo, v52, s6
	s_mul_u64 s[74:75], s[74:75], s[28:29]
	s_lshl_b64 s[72:73], s[72:73], 4
	s_wait_alu 0xfffd
	v_add_co_ci_u32_e64 v18, null, s7, v53, vcc_lo
	s_wait_alu 0xfffe
	v_add_co_u32 v42, vcc_lo, v52, s70
	s_lshl_b64 s[74:75], s[74:75], 4
	s_wait_alu 0xfffd
	v_add_co_ci_u32_e64 v43, null, s71, v53, vcc_lo
	v_add_co_u32 v114, vcc_lo, v52, s72
	s_wait_alu 0xfffd
	v_add_co_ci_u32_e64 v115, null, s73, v53, vcc_lo
	s_wait_alu 0xfffe
	v_add_co_u32 v118, vcc_lo, v52, s74
	s_wait_alu 0xfffd
	v_add_co_ci_u32_e64 v119, null, s75, v53, vcc_lo
	global_load_b128 v[58:61], v[34:35], off
	s_clause 0x4
	global_load_b128 v[13:16], v[17:18], off
	global_load_b128 v[62:65], v[42:43], off
	;; [unrolled: 1-line block ×4, first 2 shown]
	global_load_b128 v[74:77], v[17:18], off offset:16
	s_wait_loadcnt 0x8
	scratch_store_b128 off, v[1:4], s66
	scratch_load_b128 v[1:4], off, off offset:16
	s_clause 0x3
	global_load_b128 v[78:81], v[42:43], off offset:16
	global_load_b128 v[82:85], v[114:115], off offset:16
	global_load_b128 v[86:89], v[118:119], off offset:16
	global_load_b128 v[90:93], v[17:18], off offset:32
	s_wait_loadcnt 0xc
	scratch_store_b128 off, v[5:8], s67
	scratch_load_b128 v[5:8], off, off offset:32
	s_clause 0x3
	global_load_b128 v[94:97], v[42:43], off offset:32
	global_load_b128 v[98:101], v[114:115], off offset:32
	global_load_b128 v[102:105], v[118:119], off offset:32
	;; [unrolled: 8-line block ×3, first 2 shown]
	s_wait_loadcnt 0x13
	scratch_store_b128 off, v[58:61], off
	s_wait_loadcnt 0x12
	v_mul_f64_e32 v[17:18], v[60:61], v[15:16]
	v_mul_f64_e32 v[15:16], v[58:59], v[15:16]
	s_wait_loadcnt 0x11
	v_mul_f64_e32 v[42:43], v[60:61], v[64:65]
	v_mul_f64_e32 v[64:65], v[58:59], v[64:65]
	;; [unrolled: 3-line block ×4, first 2 shown]
	v_fma_f64 v[17:18], v[58:59], v[13:14], v[17:18]
	v_fma_f64 v[13:14], v[60:61], v[13:14], -v[15:16]
	v_fma_f64 v[15:16], v[58:59], v[62:63], v[42:43]
	v_fma_f64 v[42:43], v[60:61], v[62:63], -v[64:65]
	;; [unrolled: 2-line block ×4, first 2 shown]
	v_add_f64_e32 v[17:18], 0, v[17:18]
	v_add_f64_e32 v[13:14], 0, v[13:14]
	;; [unrolled: 1-line block ×8, first 2 shown]
	s_wait_loadcnt 0xd
	v_mul_f64_e32 v[70:71], v[3:4], v[76:77]
	v_mul_f64_e32 v[72:73], v[1:2], v[76:77]
	s_wait_loadcnt 0xc
	v_mul_f64_e32 v[76:77], v[3:4], v[80:81]
	v_mul_f64_e32 v[80:81], v[1:2], v[80:81]
	;; [unrolled: 3-line block ×8, first 2 shown]
	v_fma_f64 v[70:71], v[1:2], v[74:75], v[70:71]
	v_fma_f64 v[72:73], v[3:4], v[74:75], -v[72:73]
	v_fma_f64 v[74:75], v[1:2], v[78:79], v[76:77]
	v_fma_f64 v[76:77], v[3:4], v[78:79], -v[80:81]
	;; [unrolled: 2-line block ×4, first 2 shown]
	s_wait_loadcnt 0x3
	v_mul_f64_e32 v[82:83], v[11:12], v[108:109]
	v_mul_f64_e32 v[84:85], v[9:10], v[108:109]
	s_wait_loadcnt 0x2
	v_mul_f64_e32 v[86:87], v[11:12], v[112:113]
	v_mul_f64_e32 v[88:89], v[9:10], v[112:113]
	;; [unrolled: 3-line block ×4, first 2 shown]
	v_fma_f64 v[122:123], v[5:6], v[90:91], v[126:127]
	v_fma_f64 v[90:91], v[7:8], v[90:91], -v[92:93]
	v_fma_f64 v[92:93], v[5:6], v[94:95], v[128:129]
	v_fma_f64 v[94:95], v[7:8], v[94:95], -v[96:97]
	;; [unrolled: 2-line block ×4, first 2 shown]
	v_add_f64_e32 v[17:18], v[17:18], v[70:71]
	v_add_f64_e32 v[13:14], v[13:14], v[72:73]
	;; [unrolled: 1-line block ×8, first 2 shown]
	v_fma_f64 v[66:67], v[9:10], v[106:107], v[82:83]
	v_fma_f64 v[68:69], v[11:12], v[106:107], -v[84:85]
	v_fma_f64 v[70:71], v[9:10], v[110:111], v[86:87]
	v_fma_f64 v[72:73], v[11:12], v[110:111], -v[88:89]
	v_fma_f64 v[74:75], v[9:10], v[114:115], v[108:109]
	v_fma_f64 v[76:77], v[11:12], v[114:115], -v[112:113]
	v_fma_f64 v[78:79], v[9:10], v[118:119], v[116:117]
	v_fma_f64 v[80:81], v[11:12], v[118:119], -v[120:121]
	v_add_f64_e32 v[9:10], v[17:18], v[122:123]
	v_add_f64_e32 v[11:12], v[13:14], v[90:91]
	;; [unrolled: 1-line block ×16, first 2 shown]
	s_and_not1_saveexec_b32 s6, s8
	s_cbranch_execz .LBB183_14
.LBB183_40:                             ;   in Loop: Header=BB183_12 Depth=2
	s_wait_dscnt 0x0
	v_mov_b32_e32 v16, 0
	v_mov_b32_e32 v12, 0
	;; [unrolled: 1-line block ×3, first 2 shown]
	v_dual_mov_b32 v6, 0 :: v_dual_mov_b32 v17, 0
	v_dual_mov_b32 v18, 0 :: v_dual_mov_b32 v13, 0
	;; [unrolled: 1-line block ×5, first 2 shown]
	v_mov_b32_e32 v15, 0
	v_mov_b32_e32 v11, 0
	;; [unrolled: 1-line block ×3, first 2 shown]
	s_and_saveexec_b32 s7, s5
	s_cbranch_execz .LBB183_56
; %bb.41:                               ;   in Loop: Header=BB183_12 Depth=2
	s_and_not1_b32 vcc_lo, exec_lo, s65
	s_wait_alu 0xfffe
	s_cbranch_vccnz .LBB183_55
; %bb.42:                               ;   in Loop: Header=BB183_12 Depth=2
	v_dual_mov_b32 v1, v30 :: v_dual_mov_b32 v2, v31
	s_mov_b32 s8, 0
	s_mov_b32 s9, s63
.LBB183_43:                             ;   Parent Loop BB183_3 Depth=1
                                        ;     Parent Loop BB183_12 Depth=2
                                        ; =>    This Inner Loop Header: Depth=3
	global_load_b128 v[3:6], v[1:2], off
	v_add_co_u32 v1, vcc_lo, v1, s46
	s_wait_alu 0xfffd
	v_add_co_ci_u32_e64 v2, null, s47, v2, vcc_lo
	s_wait_alu 0xfffe
	s_add_co_i32 s9, s9, -1
	s_wait_loadcnt 0x0
	scratch_store_b128 off, v[3:6], s8
	s_add_co_i32 s8, s8, 16
	s_wait_alu 0xfffe
	s_cmp_eq_u32 s9, 0
	s_cbranch_scc0 .LBB183_43
; %bb.44:                               ;   in Loop: Header=BB183_12 Depth=2
	v_mov_b32_e32 v4, 0
	v_mov_b32_e32 v10, 0
	;; [unrolled: 1-line block ×3, first 2 shown]
	v_dual_mov_b32 v18, 0 :: v_dual_mov_b32 v5, 0
	v_dual_mov_b32 v6, 0 :: v_dual_mov_b32 v11, 0
	;; [unrolled: 1-line block ×5, first 2 shown]
	v_mov_b32_e32 v9, 0
	v_mov_b32_e32 v13, 0
	;; [unrolled: 1-line block ×3, first 2 shown]
	v_dual_mov_b32 v1, v32 :: v_dual_mov_b32 v2, v33
	s_mov_b32 s8, s69
	s_mov_b32 s9, s63
.LBB183_45:                             ;   Parent Loop BB183_3 Depth=1
                                        ;     Parent Loop BB183_12 Depth=2
                                        ; =>    This Inner Loop Header: Depth=3
	s_delay_alu instid0(VALU_DEP_1)
	v_add_co_u32 v42, vcc_lo, v1, s52
	s_wait_alu 0xfffd
	v_add_co_ci_u32_e64 v43, null, s53, v2, vcc_lo
	scratch_load_b128 v[58:61], off, s8 offset:-8
	v_add_co_u32 v70, vcc_lo, v42, s52
	s_wait_alu 0xfffd
	v_add_co_ci_u32_e64 v71, null, s53, v43, vcc_lo
	global_load_b128 v[62:65], v[1:2], off
	v_add_co_u32 v74, vcc_lo, v70, s52
	s_wait_alu 0xfffd
	v_add_co_ci_u32_e64 v75, null, s53, v71, vcc_lo
	v_add_co_u32 v1, vcc_lo, v1, 16
	s_clause 0x2
	global_load_b128 v[66:69], v[42:43], off
	global_load_b128 v[70:73], v[70:71], off
	;; [unrolled: 1-line block ×3, first 2 shown]
	s_wait_alu 0xfffd
	v_add_co_ci_u32_e64 v2, null, 0, v2, vcc_lo
	s_wait_alu 0xfffe
	s_add_co_i32 s9, s9, -1
	s_add_co_i32 s8, s8, 16
	s_wait_alu 0xfffe
	s_cmp_lg_u32 s9, 0
	s_wait_loadcnt 0x3
	v_mul_f64_e32 v[42:43], v[60:61], v[64:65]
	v_mul_f64_e32 v[64:65], v[58:59], v[64:65]
	s_wait_loadcnt 0x2
	v_mul_f64_e32 v[78:79], v[60:61], v[68:69]
	v_mul_f64_e32 v[68:69], v[58:59], v[68:69]
	;; [unrolled: 3-line block ×4, first 2 shown]
	v_fma_f64 v[42:43], v[58:59], v[62:63], v[42:43]
	v_fma_f64 v[62:63], v[60:61], v[62:63], -v[64:65]
	v_fma_f64 v[64:65], v[58:59], v[66:67], v[78:79]
	v_fma_f64 v[66:67], v[60:61], v[66:67], -v[68:69]
	;; [unrolled: 2-line block ×4, first 2 shown]
	v_add_f64_e32 v[6:7], v[6:7], v[42:43]
	v_add_f64_e32 v[4:5], v[4:5], v[62:63]
	;; [unrolled: 1-line block ×8, first 2 shown]
	s_cbranch_scc1 .LBB183_45
	s_branch .LBB183_56
.LBB183_46:                             ;   in Loop: Header=BB183_12 Depth=2
	ds_load_b128 v[4:7], v44
	s_wait_alu 0xfffe
	s_or_b32 exec_lo, exec_lo, s6
	s_and_saveexec_b32 s6, s1
	s_cbranch_execz .LBB183_20
.LBB183_47:                             ;   in Loop: Header=BB183_12 Depth=2
	s_wait_dscnt 0x0
	ds_bpermute_b32 v1, v55, v4
	ds_bpermute_b32 v2, v55, v5
	ds_bpermute_b32 v42, v55, v6
	ds_bpermute_b32 v43, v55, v7
	s_wait_dscnt 0x2
	v_add_f64_e32 v[1:2], v[4:5], v[1:2]
	s_wait_dscnt 0x0
	v_add_f64_e32 v[3:4], v[6:7], v[42:43]
	ds_bpermute_b32 v5, v56, v1
	ds_bpermute_b32 v6, v56, v2
	ds_bpermute_b32 v42, v56, v3
	ds_bpermute_b32 v43, v56, v4
	s_wait_dscnt 0x2
	v_add_f64_e32 v[1:2], v[1:2], v[5:6]
	s_wait_dscnt 0x0
	v_add_f64_e32 v[6:7], v[3:4], v[42:43]
	;; [unrolled: 8-line block ×3, first 2 shown]
	s_wait_alu 0xfffe
	s_or_b32 exec_lo, exec_lo, s6
	s_and_saveexec_b32 s6, s1
	s_cbranch_execnz .LBB183_21
	s_branch .LBB183_22
.LBB183_48:                             ;   in Loop: Header=BB183_12 Depth=2
	ds_load_b128 v[8:11], v44
	s_wait_alu 0xfffe
	s_or_b32 exec_lo, exec_lo, s6
	s_and_saveexec_b32 s6, s1
	s_cbranch_execz .LBB183_26
.LBB183_49:                             ;   in Loop: Header=BB183_12 Depth=2
	s_wait_dscnt 0x0
	ds_bpermute_b32 v1, v55, v8
	ds_bpermute_b32 v2, v55, v9
	ds_bpermute_b32 v42, v55, v10
	ds_bpermute_b32 v43, v55, v11
	s_wait_dscnt 0x2
	v_add_f64_e32 v[1:2], v[8:9], v[1:2]
	s_wait_dscnt 0x0
	v_add_f64_e32 v[8:9], v[10:11], v[42:43]
	ds_bpermute_b32 v10, v56, v1
	ds_bpermute_b32 v11, v56, v2
	ds_bpermute_b32 v42, v56, v8
	ds_bpermute_b32 v43, v56, v9
	s_wait_dscnt 0x2
	v_add_f64_e32 v[1:2], v[1:2], v[10:11]
	s_wait_dscnt 0x0
	v_add_f64_e32 v[10:11], v[8:9], v[42:43]
	;; [unrolled: 8-line block ×3, first 2 shown]
	s_wait_alu 0xfffe
	s_or_b32 exec_lo, exec_lo, s6
	s_and_saveexec_b32 s6, s1
	s_cbranch_execnz .LBB183_27
	s_branch .LBB183_28
.LBB183_50:                             ;   in Loop: Header=BB183_12 Depth=2
	ds_load_b128 v[12:15], v44
	s_wait_alu 0xfffe
	s_or_b32 exec_lo, exec_lo, s6
	s_and_saveexec_b32 s6, s1
	s_cbranch_execz .LBB183_32
.LBB183_51:                             ;   in Loop: Header=BB183_12 Depth=2
	s_wait_dscnt 0x0
	ds_bpermute_b32 v1, v55, v12
	ds_bpermute_b32 v2, v55, v13
	ds_bpermute_b32 v42, v55, v14
	ds_bpermute_b32 v43, v55, v15
	s_wait_dscnt 0x2
	v_add_f64_e32 v[1:2], v[12:13], v[1:2]
	s_wait_dscnt 0x0
	v_add_f64_e32 v[12:13], v[14:15], v[42:43]
	ds_bpermute_b32 v14, v56, v1
	ds_bpermute_b32 v15, v56, v2
	ds_bpermute_b32 v42, v56, v12
	ds_bpermute_b32 v43, v56, v13
	s_wait_dscnt 0x2
	v_add_f64_e32 v[1:2], v[1:2], v[14:15]
	s_wait_dscnt 0x0
	v_add_f64_e32 v[14:15], v[12:13], v[42:43]
	;; [unrolled: 8-line block ×3, first 2 shown]
	s_wait_alu 0xfffe
	s_or_b32 exec_lo, exec_lo, s6
	s_and_saveexec_b32 s6, s1
	s_cbranch_execnz .LBB183_33
	s_branch .LBB183_34
.LBB183_52:                             ;   in Loop: Header=BB183_12 Depth=2
	ds_load_b128 v[16:19], v44
	s_wait_alu 0xfffe
	s_or_b32 exec_lo, exec_lo, s6
	s_and_saveexec_b32 s6, s1
	s_cbranch_execz .LBB183_38
.LBB183_53:                             ;   in Loop: Header=BB183_12 Depth=2
	s_wait_dscnt 0x0
	ds_bpermute_b32 v1, v55, v16
	ds_bpermute_b32 v2, v55, v17
	ds_bpermute_b32 v42, v55, v18
	ds_bpermute_b32 v43, v55, v19
	s_wait_dscnt 0x2
	v_add_f64_e32 v[1:2], v[16:17], v[1:2]
	s_wait_dscnt 0x0
	v_add_f64_e32 v[16:17], v[18:19], v[42:43]
	ds_bpermute_b32 v18, v56, v1
	ds_bpermute_b32 v19, v56, v2
	ds_bpermute_b32 v42, v56, v16
	ds_bpermute_b32 v43, v56, v17
	s_wait_dscnt 0x2
	v_add_f64_e32 v[1:2], v[1:2], v[18:19]
	s_wait_dscnt 0x0
	v_add_f64_e32 v[18:19], v[16:17], v[42:43]
	;; [unrolled: 8-line block ×3, first 2 shown]
	s_wait_alu 0xfffe
	s_or_b32 exec_lo, exec_lo, s6
	s_and_saveexec_b32 s6, s0
	s_cbranch_execz .LBB183_11
.LBB183_54:                             ;   in Loop: Header=BB183_12 Depth=2
	v_mul_f64_e32 v[1:2], s[14:15], v[6:7]
	v_mul_f64_e32 v[6:7], s[12:13], v[6:7]
	;; [unrolled: 1-line block ×6, first 2 shown]
	s_wait_dscnt 0x0
	v_mul_f64_e32 v[60:61], s[14:15], v[18:19]
	v_mul_f64_e32 v[18:19], s[12:13], v[18:19]
	s_or_b32 s70, s26, 1
	s_mov_b32 s71, s27
	s_mul_u64 s[8:9], s[26:27], s[34:35]
	s_or_b32 s72, s26, 2
	s_mov_b32 s73, s27
	s_or_b32 s74, s26, 3
	s_mov_b32 s75, s27
	s_wait_alu 0xfffe
	s_mul_u64 s[70:71], s[70:71], s[34:35]
	s_mul_u64 s[72:73], s[72:73], s[34:35]
	;; [unrolled: 1-line block ×3, first 2 shown]
	s_lshl_b64 s[8:9], s[8:9], 4
	s_wait_alu 0xfffe
	s_lshl_b64 s[70:71], s[70:71], 4
	s_add_nc_u64 s[8:9], s[54:55], s[8:9]
	s_lshl_b64 s[72:73], s[72:73], 4
	s_lshl_b64 s[74:75], s[74:75], 4
	s_wait_alu 0xfffe
	s_add_nc_u64 s[70:71], s[54:55], s[70:71]
	s_add_nc_u64 s[72:73], s[54:55], s[72:73]
	;; [unrolled: 1-line block ×3, first 2 shown]
	v_fma_f64 v[1:2], s[12:13], v[4:5], -v[1:2]
	v_fma_f64 v[3:4], s[14:15], v[4:5], v[6:7]
	v_fma_f64 v[5:6], s[12:13], v[8:9], -v[42:43]
	v_fma_f64 v[7:8], s[14:15], v[8:9], v[10:11]
	;; [unrolled: 2-line block ×4, first 2 shown]
	s_clause 0x3
	global_store_b128 v0, v[1:4], s[8:9]
	global_store_b128 v0, v[5:8], s[70:71]
	;; [unrolled: 1-line block ×4, first 2 shown]
	s_branch .LBB183_11
.LBB183_55:                             ;   in Loop: Header=BB183_12 Depth=2
	v_mov_b32_e32 v16, 0
	v_mov_b32_e32 v12, 0
	;; [unrolled: 1-line block ×3, first 2 shown]
	v_dual_mov_b32 v6, 0 :: v_dual_mov_b32 v17, 0
	v_dual_mov_b32 v18, 0 :: v_dual_mov_b32 v13, 0
	;; [unrolled: 1-line block ×5, first 2 shown]
	v_mov_b32_e32 v15, 0
	v_mov_b32_e32 v11, 0
	;; [unrolled: 1-line block ×3, first 2 shown]
.LBB183_56:                             ;   in Loop: Header=BB183_12 Depth=2
	s_wait_alu 0xfffe
	s_or_b32 exec_lo, exec_lo, s7
	s_delay_alu instid0(SALU_CYCLE_1)
	s_or_b32 exec_lo, exec_lo, s6
	s_and_saveexec_b32 s6, s1
	s_cbranch_execnz .LBB183_15
	s_branch .LBB183_16
.LBB183_57:                             ;   in Loop: Header=BB183_3 Depth=1
	s_mov_b32 s26, 0
.LBB183_58:                             ;   in Loop: Header=BB183_3 Depth=1
	s_delay_alu instid0(SALU_CYCLE_1)
	s_cmp_ge_i32 s26, s31
	s_cbranch_scc1 .LBB183_2
; %bb.59:                               ;   in Loop: Header=BB183_3 Depth=1
	v_cmp_gt_u32_e32 vcc_lo, 24, v50
	s_mul_u64 s[6:7], s[52:53], s[26:27]
	s_wait_alu 0xfffe
	s_add_nc_u64 s[6:7], s[6:7], s[56:57]
	s_wait_alu 0xfffd
	v_cndmask_b32_e64 v1, 0, 8, vcc_lo
	v_cmp_gt_u32_e32 vcc_lo, 28, v50
	s_wait_dscnt 0x0
	s_delay_alu instid0(VALU_DEP_2) | instskip(SKIP_3) | instid1(VALU_DEP_2)
	v_add_lshl_u32 v19, v1, v50, 2
	s_wait_alu 0xfffd
	v_cndmask_b32_e64 v2, 0, 4, vcc_lo
	v_cmp_gt_u32_e32 vcc_lo, 30, v50
	v_add_lshl_u32 v32, v2, v50, 2
	s_wait_alu 0xfffd
	v_cndmask_b32_e64 v3, 0, 2, vcc_lo
	v_cmp_ne_u32_e32 vcc_lo, 31, v50
	s_delay_alu instid0(VALU_DEP_2)
	v_add_lshl_u32 v33, v3, v50, 2
	s_wait_alu 0xfffd
	v_add_co_ci_u32_e64 v4, null, 0, v50, vcc_lo
	v_add_co_u32 v5, vcc_lo, s58, v20
	s_wait_alu 0xfffd
	v_add_co_ci_u32_e64 v6, null, s59, v21, vcc_lo
	v_add_co_u32 v7, vcc_lo, s58, v24
	s_wait_alu 0xfffd
	v_add_co_ci_u32_e64 v8, null, s59, v25, vcc_lo
	v_add_co_u32 v9, vcc_lo, s58, v26
	s_wait_alu 0xfffd
	v_add_co_ci_u32_e64 v10, null, s59, v27, vcc_lo
	v_add_co_u32 v11, vcc_lo, s58, v28
	s_wait_alu 0xfffd
	v_add_co_ci_u32_e64 v12, null, s59, v29, vcc_lo
	s_wait_alu 0xfffe
	v_add_co_u32 v13, vcc_lo, v48, s6
	v_lshlrev_b32_e32 v34, 2, v4
	s_wait_alu 0xfffd
	v_add_co_ci_u32_e64 v14, null, s7, v49, vcc_lo
	s_branch .LBB183_61
.LBB183_60:                             ;   in Loop: Header=BB183_61 Depth=2
	s_wait_alu 0xfffe
	s_or_b32 exec_lo, exec_lo, s6
	v_add_co_u32 v13, vcc_lo, v13, s52
	s_wait_alu 0xfffd
	v_add_co_ci_u32_e64 v14, null, s53, v14, vcc_lo
	s_add_co_i32 s26, s26, 1
	s_delay_alu instid0(SALU_CYCLE_1)
	s_cmp_lt_i32 s26, s31
	s_cbranch_scc0 .LBB183_2
.LBB183_61:                             ;   Parent Loop BB183_3 Depth=1
                                        ; =>  This Loop Header: Depth=2
                                        ;       Child Loop BB183_73 Depth 3
                                        ;       Child Loop BB183_75 Depth 3
                                        ; implicit-def: $vgpr15_vgpr16
                                        ; implicit-def: $vgpr17_vgpr18
	s_and_saveexec_b32 s6, s4
	s_wait_alu 0xfffe
	s_xor_b32 s6, exec_lo, s6
	s_cbranch_execnz .LBB183_70
; %bb.62:                               ;   in Loop: Header=BB183_61 Depth=2
	s_wait_alu 0xfffe
	s_and_not1_saveexec_b32 s6, s6
	s_cbranch_execnz .LBB183_71
.LBB183_63:                             ;   in Loop: Header=BB183_61 Depth=2
	s_wait_alu 0xfffe
	s_or_b32 exec_lo, exec_lo, s6
	s_and_saveexec_b32 s6, s1
	s_cbranch_execz .LBB183_65
.LBB183_64:                             ;   in Loop: Header=BB183_61 Depth=2
	s_wait_dscnt 0x0
	v_dual_mov_b32 v1, v0 :: v_dual_mov_b32 v2, v0
	v_mov_b32_e32 v3, v0
	ds_store_b128 v44, v[0:3]
.LBB183_65:                             ;   in Loop: Header=BB183_61 Depth=2
	s_wait_alu 0xfffe
	s_or_b32 exec_lo, exec_lo, s6
	s_wait_dscnt 0x0
	ds_bpermute_b32 v1, v51, v15
	ds_bpermute_b32 v2, v51, v16
	;; [unrolled: 1-line block ×4, first 2 shown]
	s_wait_storecnt 0x0
	s_wait_loadcnt_dscnt 0x0
	s_barrier_signal -1
	s_barrier_wait -1
	global_inv scope:SCOPE_SE
	v_add_f64_e32 v[1:2], v[15:16], v[1:2]
	v_add_f64_e32 v[3:4], v[17:18], v[3:4]
	ds_bpermute_b32 v15, v19, v1
	ds_bpermute_b32 v16, v19, v2
	ds_bpermute_b32 v17, v19, v3
	ds_bpermute_b32 v18, v19, v4
	s_wait_dscnt 0x2
	v_add_f64_e32 v[1:2], v[1:2], v[15:16]
	s_wait_dscnt 0x0
	v_add_f64_e32 v[3:4], v[3:4], v[17:18]
	ds_bpermute_b32 v15, v32, v1
	ds_bpermute_b32 v16, v32, v2
	ds_bpermute_b32 v17, v32, v3
	ds_bpermute_b32 v18, v32, v4
	s_wait_dscnt 0x2
	v_add_f64_e32 v[1:2], v[1:2], v[15:16]
	s_wait_dscnt 0x0
	;; [unrolled: 8-line block ×3, first 2 shown]
	v_add_f64_e32 v[15:16], v[3:4], v[17:18]
	ds_bpermute_b32 v3, v34, v1
	ds_bpermute_b32 v4, v34, v2
	;; [unrolled: 1-line block ×4, first 2 shown]
	s_and_saveexec_b32 s6, s3
	s_cbranch_execz .LBB183_67
; %bb.66:                               ;   in Loop: Header=BB183_61 Depth=2
	s_wait_dscnt 0x0
	v_add_f64_e32 v[17:18], v[15:16], v[17:18]
	v_add_f64_e32 v[15:16], v[1:2], v[3:4]
	ds_store_b128 v45, v[15:18]
.LBB183_67:                             ;   in Loop: Header=BB183_61 Depth=2
	s_wait_alu 0xfffe
	s_or_b32 exec_lo, exec_lo, s6
	s_wait_dscnt 0x2
	v_mov_b32_e32 v3, 0
	v_dual_mov_b32 v4, 0 :: v_dual_mov_b32 v1, 0
	v_mov_b32_e32 v2, 0
	s_wait_loadcnt_dscnt 0x0
	s_barrier_signal -1
	s_barrier_wait -1
	global_inv scope:SCOPE_SE
	s_and_saveexec_b32 s6, s2
	s_cbranch_execnz .LBB183_77
; %bb.68:                               ;   in Loop: Header=BB183_61 Depth=2
	s_wait_alu 0xfffe
	s_or_b32 exec_lo, exec_lo, s6
	s_and_saveexec_b32 s6, s1
	s_cbranch_execnz .LBB183_78
.LBB183_69:                             ;   in Loop: Header=BB183_61 Depth=2
	s_wait_alu 0xfffe
	s_or_b32 exec_lo, exec_lo, s6
	s_and_saveexec_b32 s6, s0
	s_cbranch_execz .LBB183_60
	s_branch .LBB183_79
.LBB183_70:                             ;   in Loop: Header=BB183_61 Depth=2
	s_wait_dscnt 0x0
	s_clause 0x2
	global_load_b128 v[1:4], v[7:8], off
	global_load_b128 v[15:18], v[9:10], off
	;; [unrolled: 1-line block ×3, first 2 shown]
	s_mul_u64 s[8:9], s[26:27], s[28:29]
	s_wait_alu 0xfffe
	s_lshl_b64 s[8:9], s[8:9], 4
	s_wait_alu 0xfffe
	v_add_co_u32 v66, vcc_lo, v52, s8
	s_wait_alu 0xfffd
	v_add_co_ci_u32_e64 v67, null, s9, v53, vcc_lo
	global_load_b128 v[39:42], v[5:6], off
	s_clause 0x1
	global_load_b128 v[54:57], v[66:67], off
	global_load_b128 v[58:61], v[66:67], off offset:16
	s_wait_loadcnt 0x5
	scratch_store_b128 off, v[1:4], s66
	s_wait_loadcnt 0x4
	scratch_store_b128 off, v[15:18], s67
	s_clause 0x1
	scratch_load_b128 v[1:4], off, off offset:16
	scratch_load_b128 v[15:18], off, off offset:32
	s_clause 0x1
	global_load_b128 v[62:65], v[66:67], off offset:32
	global_load_b128 v[66:69], v[66:67], off offset:48
	s_wait_loadcnt 0x7
	scratch_store_b128 off, v[35:38], s68
	scratch_load_b128 v[35:38], off, off offset:48
	s_wait_loadcnt 0x7
	scratch_store_b128 off, v[39:42], off
	s_wait_loadcnt 0x6
	v_mul_f64_e32 v[70:71], v[56:57], v[41:42]
	v_mul_f64_e32 v[56:57], v[56:57], v[39:40]
	s_delay_alu instid0(VALU_DEP_2) | instskip(NEXT) | instid1(VALU_DEP_2)
	v_fma_f64 v[70:71], v[54:55], v[39:40], v[70:71]
	v_fma_f64 v[54:55], v[54:55], v[41:42], -v[56:57]
	s_delay_alu instid0(VALU_DEP_2) | instskip(NEXT) | instid1(VALU_DEP_2)
	v_add_f64_e32 v[70:71], 0, v[70:71]
	v_add_f64_e32 v[54:55], 0, v[54:55]
	s_wait_loadcnt 0x4
	v_mul_f64_e32 v[56:57], v[60:61], v[3:4]
	v_mul_f64_e32 v[60:61], v[60:61], v[1:2]
	s_wait_loadcnt 0x2
	v_mul_f64_e32 v[72:73], v[64:65], v[17:18]
	v_mul_f64_e32 v[64:65], v[64:65], v[15:16]
	s_delay_alu instid0(VALU_DEP_4) | instskip(NEXT) | instid1(VALU_DEP_4)
	v_fma_f64 v[1:2], v[58:59], v[1:2], v[56:57]
	v_fma_f64 v[3:4], v[58:59], v[3:4], -v[60:61]
	s_wait_loadcnt 0x0
	v_mul_f64_e32 v[56:57], v[68:69], v[37:38]
	v_mul_f64_e32 v[58:59], v[68:69], v[35:36]
	v_fma_f64 v[15:16], v[62:63], v[15:16], v[72:73]
	v_fma_f64 v[17:18], v[62:63], v[17:18], -v[64:65]
	v_add_f64_e32 v[1:2], v[70:71], v[1:2]
	v_add_f64_e32 v[3:4], v[54:55], v[3:4]
	v_fma_f64 v[35:36], v[66:67], v[35:36], v[56:57]
	v_fma_f64 v[37:38], v[66:67], v[37:38], -v[58:59]
	s_delay_alu instid0(VALU_DEP_4) | instskip(NEXT) | instid1(VALU_DEP_4)
	v_add_f64_e32 v[1:2], v[1:2], v[15:16]
	v_add_f64_e32 v[3:4], v[3:4], v[17:18]
	s_delay_alu instid0(VALU_DEP_2) | instskip(NEXT) | instid1(VALU_DEP_2)
	v_add_f64_e32 v[15:16], v[1:2], v[35:36]
	v_add_f64_e32 v[17:18], v[3:4], v[37:38]
	s_and_not1_saveexec_b32 s6, s6
	s_cbranch_execz .LBB183_63
.LBB183_71:                             ;   in Loop: Header=BB183_61 Depth=2
	v_mov_b32_e32 v15, 0
	v_dual_mov_b32 v16, 0 :: v_dual_mov_b32 v17, 0
	v_mov_b32_e32 v18, 0
	s_and_saveexec_b32 s7, s30
	s_cbranch_execz .LBB183_76
; %bb.72:                               ;   in Loop: Header=BB183_61 Depth=2
	s_wait_dscnt 0x0
	v_dual_mov_b32 v1, v30 :: v_dual_mov_b32 v2, v31
	s_mov_b32 s8, 0
	s_mov_b32 s9, s63
.LBB183_73:                             ;   Parent Loop BB183_3 Depth=1
                                        ;     Parent Loop BB183_61 Depth=2
                                        ; =>    This Inner Loop Header: Depth=3
	global_load_b128 v[15:18], v[1:2], off
	v_add_co_u32 v1, vcc_lo, v1, s46
	s_wait_alu 0xfffd
	v_add_co_ci_u32_e64 v2, null, s47, v2, vcc_lo
	s_wait_alu 0xfffe
	s_add_co_i32 s9, s9, -1
	s_wait_loadcnt 0x0
	scratch_store_b128 off, v[15:18], s8
	s_add_co_i32 s8, s8, 16
	s_wait_alu 0xfffe
	s_cmp_eq_u32 s9, 0
	s_cbranch_scc0 .LBB183_73
; %bb.74:                               ;   in Loop: Header=BB183_61 Depth=2
	v_mov_b32_e32 v15, 0
	v_dual_mov_b32 v16, 0 :: v_dual_mov_b32 v17, 0
	v_dual_mov_b32 v18, 0 :: v_dual_mov_b32 v1, v13
	v_mov_b32_e32 v2, v14
	s_mov_b32 s8, s69
	s_mov_b32 s9, s63
.LBB183_75:                             ;   Parent Loop BB183_3 Depth=1
                                        ;     Parent Loop BB183_61 Depth=2
                                        ; =>    This Inner Loop Header: Depth=3
	global_load_b128 v[35:38], v[1:2], off offset:-8
	scratch_load_b128 v[39:42], off, s8 offset:-8
	v_add_co_u32 v1, vcc_lo, v1, 16
	s_wait_alu 0xfffd
	v_add_co_ci_u32_e64 v2, null, 0, v2, vcc_lo
	s_wait_alu 0xfffe
	s_add_co_i32 s9, s9, -1
	s_add_co_i32 s8, s8, 16
	s_wait_alu 0xfffe
	s_cmp_lg_u32 s9, 0
	s_wait_loadcnt 0x0
	v_mul_f64_e32 v[3:4], v[37:38], v[41:42]
	v_mul_f64_e32 v[37:38], v[37:38], v[39:40]
	s_delay_alu instid0(VALU_DEP_2) | instskip(NEXT) | instid1(VALU_DEP_2)
	v_fma_f64 v[3:4], v[35:36], v[39:40], v[3:4]
	v_fma_f64 v[35:36], v[35:36], v[41:42], -v[37:38]
	s_delay_alu instid0(VALU_DEP_2) | instskip(NEXT) | instid1(VALU_DEP_2)
	v_add_f64_e32 v[15:16], v[15:16], v[3:4]
	v_add_f64_e32 v[17:18], v[17:18], v[35:36]
	s_cbranch_scc1 .LBB183_75
.LBB183_76:                             ;   in Loop: Header=BB183_61 Depth=2
	s_wait_alu 0xfffe
	s_or_b32 exec_lo, exec_lo, s7
	s_delay_alu instid0(SALU_CYCLE_1)
	s_or_b32 exec_lo, exec_lo, s6
	s_and_saveexec_b32 s6, s1
	s_cbranch_execnz .LBB183_64
	s_branch .LBB183_65
.LBB183_77:                             ;   in Loop: Header=BB183_61 Depth=2
	ds_load_b128 v[1:4], v44
	s_wait_alu 0xfffe
	s_or_b32 exec_lo, exec_lo, s6
	s_and_saveexec_b32 s6, s1
	s_cbranch_execz .LBB183_69
.LBB183_78:                             ;   in Loop: Header=BB183_61 Depth=2
	s_wait_dscnt 0x0
	ds_bpermute_b32 v15, v32, v1
	ds_bpermute_b32 v16, v32, v2
	ds_bpermute_b32 v17, v32, v3
	ds_bpermute_b32 v18, v32, v4
	s_wait_dscnt 0x2
	v_add_f64_e32 v[1:2], v[1:2], v[15:16]
	s_wait_dscnt 0x0
	v_add_f64_e32 v[3:4], v[3:4], v[17:18]
	ds_bpermute_b32 v15, v33, v1
	ds_bpermute_b32 v16, v33, v2
	ds_bpermute_b32 v17, v33, v3
	ds_bpermute_b32 v18, v33, v4
	s_wait_dscnt 0x2
	v_add_f64_e32 v[1:2], v[1:2], v[15:16]
	s_wait_dscnt 0x0
	v_add_f64_e32 v[3:4], v[3:4], v[17:18]
	;; [unrolled: 8-line block ×3, first 2 shown]
	s_wait_alu 0xfffe
	s_or_b32 exec_lo, exec_lo, s6
	s_and_saveexec_b32 s6, s0
	s_cbranch_execz .LBB183_60
.LBB183_79:                             ;   in Loop: Header=BB183_61 Depth=2
	s_wait_dscnt 0x0
	s_delay_alu instid0(VALU_DEP_1)
	v_mul_f64_e32 v[15:16], s[14:15], v[3:4]
	v_mul_f64_e32 v[3:4], s[12:13], v[3:4]
	s_mul_u64 s[8:9], s[26:27], s[34:35]
	s_wait_alu 0xfffe
	s_lshl_b64 s[8:9], s[8:9], 4
	s_wait_alu 0xfffe
	s_add_nc_u64 s[8:9], s[54:55], s[8:9]
	s_delay_alu instid0(VALU_DEP_2) | instskip(NEXT) | instid1(VALU_DEP_2)
	v_fma_f64 v[15:16], s[12:13], v[1:2], -v[15:16]
	v_fma_f64 v[17:18], s[14:15], v[1:2], v[3:4]
	global_store_b128 v0, v[15:18], s[8:9]
	s_branch .LBB183_60
.LBB183_80:
	s_nop 0
	s_sendmsg sendmsg(MSG_DEALLOC_VGPRS)
	s_endpgm
	.section	.rodata,"a",@progbits
	.p2align	6, 0x0
	.amdhsa_kernel _ZL23rocblas_gemvt_sn_kernelILb1ELi256ELi4El19rocblas_complex_numIdES1_S1_EviiT4_lPKT3_lilS5_lilPT5_i
		.amdhsa_group_segment_fixed_size 512
		.amdhsa_private_segment_fixed_size 80
		.amdhsa_kernarg_size 368
		.amdhsa_user_sgpr_count 2
		.amdhsa_user_sgpr_dispatch_ptr 0
		.amdhsa_user_sgpr_queue_ptr 0
		.amdhsa_user_sgpr_kernarg_segment_ptr 1
		.amdhsa_user_sgpr_dispatch_id 0
		.amdhsa_user_sgpr_private_segment_size 0
		.amdhsa_wavefront_size32 1
		.amdhsa_uses_dynamic_stack 0
		.amdhsa_enable_private_segment 1
		.amdhsa_system_sgpr_workgroup_id_x 1
		.amdhsa_system_sgpr_workgroup_id_y 0
		.amdhsa_system_sgpr_workgroup_id_z 1
		.amdhsa_system_sgpr_workgroup_info 0
		.amdhsa_system_vgpr_workitem_id 0
		.amdhsa_next_free_vgpr 134
		.amdhsa_next_free_sgpr 76
		.amdhsa_reserve_vcc 1
		.amdhsa_float_round_mode_32 0
		.amdhsa_float_round_mode_16_64 0
		.amdhsa_float_denorm_mode_32 3
		.amdhsa_float_denorm_mode_16_64 3
		.amdhsa_fp16_overflow 0
		.amdhsa_workgroup_processor_mode 1
		.amdhsa_memory_ordered 1
		.amdhsa_forward_progress 1
		.amdhsa_inst_pref_size 56
		.amdhsa_round_robin_scheduling 0
		.amdhsa_exception_fp_ieee_invalid_op 0
		.amdhsa_exception_fp_denorm_src 0
		.amdhsa_exception_fp_ieee_div_zero 0
		.amdhsa_exception_fp_ieee_overflow 0
		.amdhsa_exception_fp_ieee_underflow 0
		.amdhsa_exception_fp_ieee_inexact 0
		.amdhsa_exception_int_div_zero 0
	.end_amdhsa_kernel
	.section	.text._ZL23rocblas_gemvt_sn_kernelILb1ELi256ELi4El19rocblas_complex_numIdES1_S1_EviiT4_lPKT3_lilS5_lilPT5_i,"axG",@progbits,_ZL23rocblas_gemvt_sn_kernelILb1ELi256ELi4El19rocblas_complex_numIdES1_S1_EviiT4_lPKT3_lilS5_lilPT5_i,comdat
.Lfunc_end183:
	.size	_ZL23rocblas_gemvt_sn_kernelILb1ELi256ELi4El19rocblas_complex_numIdES1_S1_EviiT4_lPKT3_lilS5_lilPT5_i, .Lfunc_end183-_ZL23rocblas_gemvt_sn_kernelILb1ELi256ELi4El19rocblas_complex_numIdES1_S1_EviiT4_lPKT3_lilS5_lilPT5_i
                                        ; -- End function
	.set _ZL23rocblas_gemvt_sn_kernelILb1ELi256ELi4El19rocblas_complex_numIdES1_S1_EviiT4_lPKT3_lilS5_lilPT5_i.num_vgpr, 134
	.set _ZL23rocblas_gemvt_sn_kernelILb1ELi256ELi4El19rocblas_complex_numIdES1_S1_EviiT4_lPKT3_lilS5_lilPT5_i.num_agpr, 0
	.set _ZL23rocblas_gemvt_sn_kernelILb1ELi256ELi4El19rocblas_complex_numIdES1_S1_EviiT4_lPKT3_lilS5_lilPT5_i.numbered_sgpr, 76
	.set _ZL23rocblas_gemvt_sn_kernelILb1ELi256ELi4El19rocblas_complex_numIdES1_S1_EviiT4_lPKT3_lilS5_lilPT5_i.num_named_barrier, 0
	.set _ZL23rocblas_gemvt_sn_kernelILb1ELi256ELi4El19rocblas_complex_numIdES1_S1_EviiT4_lPKT3_lilS5_lilPT5_i.private_seg_size, 80
	.set _ZL23rocblas_gemvt_sn_kernelILb1ELi256ELi4El19rocblas_complex_numIdES1_S1_EviiT4_lPKT3_lilS5_lilPT5_i.uses_vcc, 1
	.set _ZL23rocblas_gemvt_sn_kernelILb1ELi256ELi4El19rocblas_complex_numIdES1_S1_EviiT4_lPKT3_lilS5_lilPT5_i.uses_flat_scratch, 1
	.set _ZL23rocblas_gemvt_sn_kernelILb1ELi256ELi4El19rocblas_complex_numIdES1_S1_EviiT4_lPKT3_lilS5_lilPT5_i.has_dyn_sized_stack, 0
	.set _ZL23rocblas_gemvt_sn_kernelILb1ELi256ELi4El19rocblas_complex_numIdES1_S1_EviiT4_lPKT3_lilS5_lilPT5_i.has_recursion, 0
	.set _ZL23rocblas_gemvt_sn_kernelILb1ELi256ELi4El19rocblas_complex_numIdES1_S1_EviiT4_lPKT3_lilS5_lilPT5_i.has_indirect_call, 0
	.section	.AMDGPU.csdata,"",@progbits
; Kernel info:
; codeLenInByte = 7116
; TotalNumSgprs: 78
; NumVgprs: 134
; ScratchSize: 80
; MemoryBound: 0
; FloatMode: 240
; IeeeMode: 1
; LDSByteSize: 512 bytes/workgroup (compile time only)
; SGPRBlocks: 0
; VGPRBlocks: 16
; NumSGPRsForWavesPerEU: 78
; NumVGPRsForWavesPerEU: 134
; Occupancy: 10
; WaveLimiterHint : 1
; COMPUTE_PGM_RSRC2:SCRATCH_EN: 1
; COMPUTE_PGM_RSRC2:USER_SGPR: 2
; COMPUTE_PGM_RSRC2:TRAP_HANDLER: 0
; COMPUTE_PGM_RSRC2:TGID_X_EN: 1
; COMPUTE_PGM_RSRC2:TGID_Y_EN: 0
; COMPUTE_PGM_RSRC2:TGID_Z_EN: 1
; COMPUTE_PGM_RSRC2:TIDIG_COMP_CNT: 0
	.section	.text._ZL20rocblas_gemvt_kernelILb1ELi256E19rocblas_complex_numIdEPKS1_S1_EviiT2_lPKT1_lilS7_lilS4_lPT3_lili,"axG",@progbits,_ZL20rocblas_gemvt_kernelILb1ELi256E19rocblas_complex_numIdEPKS1_S1_EviiT2_lPKT1_lilS7_lilS4_lPT3_lili,comdat
	.globl	_ZL20rocblas_gemvt_kernelILb1ELi256E19rocblas_complex_numIdEPKS1_S1_EviiT2_lPKT1_lilS7_lilS4_lPT3_lili ; -- Begin function _ZL20rocblas_gemvt_kernelILb1ELi256E19rocblas_complex_numIdEPKS1_S1_EviiT2_lPKT1_lilS7_lilS4_lPT3_lili
	.p2align	8
	.type	_ZL20rocblas_gemvt_kernelILb1ELi256E19rocblas_complex_numIdEPKS1_S1_EviiT2_lPKT1_lilS7_lilS4_lPT3_lili,@function
_ZL20rocblas_gemvt_kernelILb1ELi256E19rocblas_complex_numIdEPKS1_S1_EviiT2_lPKT1_lilS7_lilS4_lPT3_lili: ; @_ZL20rocblas_gemvt_kernelILb1ELi256E19rocblas_complex_numIdEPKS1_S1_EviiT2_lPKT1_lilS7_lilS4_lPT3_lili
; %bb.0:
	s_load_b32 s33, s[0:1], 0x88
	s_lshr_b32 s34, ttmp7, 16
	s_wait_kmcnt 0x0
	s_cmp_ge_u32 s34, s33
	s_cbranch_scc1 .LBB184_43
; %bb.1:
	s_clause 0x7
	s_load_b32 s38, s[0:1], 0x28
	s_load_b96 s[8:10], s[0:1], 0x40
	s_load_b96 s[4:6], s[0:1], 0x70
	s_load_b256 s[12:19], s[0:1], 0x8
	s_load_b32 s11, s[0:1], 0x0
	s_load_b128 s[28:31], s[0:1], 0x30
	s_load_b256 s[20:27], s[0:1], 0x50
	s_load_b64 s[36:37], s[0:1], 0x80
	s_mov_b32 s2, ttmp9
	s_ashr_i32 s3, ttmp9, 31
	v_lshlrev_b32_e32 v25, 4, v0
	s_mov_b32 s35, 0
	v_mov_b32_e32 v22, 0
	s_wait_kmcnt 0x0
	s_ashr_i32 s39, s38, 31
	s_lshl_b64 s[0:1], s[8:9], 4
	s_lshl_b64 s[4:5], s[4:5], 4
	;; [unrolled: 1-line block ×3, first 2 shown]
	v_cmp_gt_i32_e32 vcc_lo, s11, v0
	s_add_nc_u64 s[18:19], s[30:31], s[0:1]
	s_ashr_i32 s1, s11, 31
	s_add_nc_u64 s[26:27], s[26:27], s[4:5]
	s_lshr_b32 s1, s1, 24
	v_cndmask_b32_e32 v1, 0, v0, vcc_lo
	s_add_nc_u64 s[4:5], s[16:17], s[8:9]
	s_add_co_i32 s1, s11, s1
	s_ashr_i32 s7, s6, 31
	s_and_b32 s30, s1, 0xffffff00
	v_lshlrev_b32_e32 v5, 4, v1
	s_mul_u64 s[42:43], s[6:7], s[2:3]
	s_mul_u64 s[2:3], s[38:39], s[2:3]
	v_or_b32_e32 v3, s30, v0
	s_lshl_b64 s[38:39], s[2:3], 4
	v_add_co_u32 v1, s4, s4, v5
	s_wait_alu 0xf1ff
	v_add_co_ci_u32_e64 v2, null, s5, 0, s4
	v_cmp_gt_i32_e64 s1, s11, v3
	s_delay_alu instid0(VALU_DEP_3) | instskip(SKIP_1) | instid1(VALU_DEP_3)
	v_add_co_u32 v23, vcc_lo, v1, s38
	s_wait_alu 0xfffd
	v_add_co_ci_u32_e64 v24, null, s39, v2, vcc_lo
	v_mad_co_i64_i32 v[1:2], null, s10, v3, 0
	v_mad_co_i64_i32 v[3:4], null, s10, v0, 0
	s_ashr_i32 s41, s10, 31
	s_mov_b32 s40, s10
	s_cmp_gt_i32 s11, 0xff
	s_add_nc_u64 s[10:11], s[38:39], s[8:9]
	v_cmp_eq_u32_e64 s0, 0, v0
	s_wait_alu 0xfffe
	s_add_nc_u64 s[10:11], s[16:17], s[10:11]
	v_cmp_gt_u32_e64 s2, 0x80, v0
	v_cmp_gt_u32_e64 s3, 64, v0
	;; [unrolled: 1-line block ×7, first 2 shown]
	s_wait_alu 0xfffe
	v_add_co_u32 v0, s9, s10, v5
	v_lshlrev_b64_e32 v[3:4], 4, v[3:4]
	v_add_co_ci_u32_e64 v5, null, s11, 0, s9
	s_delay_alu instid0(VALU_DEP_3) | instskip(SKIP_2) | instid1(VALU_DEP_3)
	v_add_co_u32 v12, vcc_lo, v0, 8
	v_lshlrev_b64_e32 v[16:17], 4, v[1:2]
	s_wait_alu 0xfffd
	v_add_co_ci_u32_e64 v13, null, 0, v5, vcc_lo
	v_add_co_u32 v0, vcc_lo, s18, v3
	s_wait_alu 0xfffd
	v_add_co_ci_u32_e64 v3, null, s19, v4, vcc_lo
	s_cselect_b32 s44, -1, 0
	v_add_co_u32 v14, vcc_lo, v0, 8
	s_wait_alu 0xfffd
	v_add_co_ci_u32_e64 v15, null, 0, v3, vcc_lo
	s_ashr_i32 s31, s30, 31
	s_lshl_b64 s[10:11], s[28:29], 4
	s_lshl_b64 s[16:17], s[20:21], 4
	;; [unrolled: 1-line block ×4, first 2 shown]
	s_branch .LBB184_4
.LBB184_2:                              ;   in Loop: Header=BB184_4 Depth=1
	s_wait_alu 0xfffe
	s_or_b32 exec_lo, exec_lo, s9
.LBB184_3:                              ;   in Loop: Header=BB184_4 Depth=1
	s_add_co_i32 s34, s34, 0x10000
	s_wait_alu 0xfffe
	s_cmp_lt_u32 s34, s33
	s_cbranch_scc0 .LBB184_43
.LBB184_4:                              ; =>This Loop Header: Depth=1
                                        ;     Child Loop BB184_17 Depth 2
	s_mul_u64 s[42:43], s[14:15], s[34:35]
	s_delay_alu instid0(SALU_CYCLE_1) | instskip(NEXT) | instid1(SALU_CYCLE_1)
	s_lshl_b64 s[42:43], s[42:43], 4
	s_add_nc_u64 s[42:43], s[12:13], s[42:43]
	global_load_b128 v[4:7], v22, s[42:43]
	s_mul_u64 s[42:43], s[24:25], s[34:35]
	s_delay_alu instid0(SALU_CYCLE_1) | instskip(NEXT) | instid1(SALU_CYCLE_1)
	s_lshl_b64 s[42:43], s[42:43], 4
	s_add_nc_u64 s[42:43], s[22:23], s[42:43]
	s_wait_loadcnt 0x1
	global_load_b128 v[0:3], v22, s[42:43]
	s_wait_loadcnt 0x1
	v_cmp_neq_f64_e32 vcc_lo, 0, v[4:5]
	v_cmp_neq_f64_e64 s9, 0, v[6:7]
	s_or_b32 s42, vcc_lo, s9
	s_mov_b32 s9, -1
	s_and_b32 vcc_lo, exec_lo, s42
	s_wait_alu 0xfffe
	s_cbranch_vccz .LBB184_6
; %bb.5:                                ;   in Loop: Header=BB184_4 Depth=1
	s_and_not1_b32 vcc_lo, exec_lo, s9
	s_wait_alu 0xfffe
	s_cbranch_vccnz .LBB184_3
	s_branch .LBB184_7
.LBB184_6:                              ;   in Loop: Header=BB184_4 Depth=1
	s_wait_loadcnt 0x0
	v_cmp_neq_f64_e32 vcc_lo, 1.0, v[0:1]
	v_cmp_neq_f64_e64 s9, 0, v[2:3]
	s_or_b32 s9, vcc_lo, s9
	s_wait_alu 0xfffe
	s_and_not1_b32 vcc_lo, exec_lo, s9
	s_wait_alu 0xfffe
	s_cbranch_vccnz .LBB184_3
.LBB184_7:                              ;   in Loop: Header=BB184_4 Depth=1
	s_xor_b32 s9, s42, -1
	s_mul_u64 s[42:43], s[36:37], s[34:35]
	s_wait_alu 0xfffe
	s_and_not1_b32 vcc_lo, exec_lo, s9
	s_lshl_b64 s[42:43], s[42:43], 4
	s_delay_alu instid0(SALU_CYCLE_1)
	s_add_nc_u64 s[42:43], s[26:27], s[42:43]
	s_wait_alu 0xfffe
	s_cbranch_vccnz .LBB184_11
; %bb.8:                                ;   in Loop: Header=BB184_4 Depth=1
	s_mov_b32 s46, 0
	s_mov_b32 s45, 0
                                        ; implicit-def: $vgpr10_vgpr11
	s_and_saveexec_b32 s47, s0
	s_cbranch_execz .LBB184_12
; %bb.9:                                ;   in Loop: Header=BB184_4 Depth=1
	s_wait_loadcnt 0x0
	v_cmp_neq_f64_e32 vcc_lo, 0, v[0:1]
	v_cmp_neq_f64_e64 s9, 0, v[2:3]
	s_or_b32 s9, vcc_lo, s9
	s_wait_alu 0xfffe
	s_and_not1_b32 vcc_lo, exec_lo, s9
	s_wait_alu 0xfffe
	s_cbranch_vccnz .LBB184_13
; %bb.10:                               ;   in Loop: Header=BB184_4 Depth=1
	s_add_nc_u64 s[48:49], s[42:43], s[40:41]
	global_load_b128 v[18:21], v22, s[48:49]
	s_wait_loadcnt 0x0
	v_mul_f64_e32 v[8:9], v[2:3], v[20:21]
	v_mul_f64_e32 v[10:11], v[0:1], v[20:21]
	s_delay_alu instid0(VALU_DEP_2) | instskip(NEXT) | instid1(VALU_DEP_2)
	v_fma_f64 v[8:9], v[0:1], v[18:19], -v[8:9]
	v_fma_f64 v[10:11], v[2:3], v[18:19], v[10:11]
	s_branch .LBB184_14
.LBB184_11:                             ;   in Loop: Header=BB184_4 Depth=1
	s_mov_b32 s45, 0
                                        ; implicit-def: $vgpr10_vgpr11
	s_cbranch_execnz .LBB184_15
	s_branch .LBB184_41
.LBB184_12:                             ;   in Loop: Header=BB184_4 Depth=1
	s_wait_alu 0xfffe
	s_or_b32 exec_lo, exec_lo, s47
	s_delay_alu instid0(SALU_CYCLE_1)
	s_and_b32 vcc_lo, exec_lo, s46
	s_wait_alu 0xfffe
	s_cbranch_vccnz .LBB184_15
	s_branch .LBB184_41
.LBB184_13:                             ;   in Loop: Header=BB184_4 Depth=1
	v_mov_b32_e32 v10, 0
	v_dual_mov_b32 v11, 0 :: v_dual_mov_b32 v8, 0
	v_mov_b32_e32 v9, 0
.LBB184_14:                             ;   in Loop: Header=BB184_4 Depth=1
	s_mov_b32 s45, exec_lo
	s_or_b32 exec_lo, exec_lo, s47
	s_delay_alu instid0(SALU_CYCLE_1)
	s_and_b32 vcc_lo, exec_lo, s46
	s_wait_alu 0xfffe
	s_cbranch_vccz .LBB184_41
.LBB184_15:                             ;   in Loop: Header=BB184_4 Depth=1
	v_mov_b32_e32 v10, 0
	v_mov_b32_e32 v11, 0
	s_delay_alu instid0(VALU_DEP_2) | instskip(SKIP_1) | instid1(VALU_DEP_2)
	v_mov_b32_e32 v8, v10
	s_and_not1_b32 vcc_lo, exec_lo, s44
	v_mov_b32_e32 v9, v11
	s_wait_alu 0xfffe
	s_cbranch_vccnz .LBB184_18
; %bb.16:                               ;   in Loop: Header=BB184_4 Depth=1
	v_mad_co_u64_u32 v[18:19], null, s10, s34, v[12:13]
	v_mad_co_u64_u32 v[20:21], null, s16, s34, v[14:15]
	s_mov_b32 s9, 0
	v_dual_mov_b32 v8, v19 :: v_dual_mov_b32 v9, v21
	s_delay_alu instid0(VALU_DEP_1) | instskip(SKIP_3) | instid1(VALU_DEP_4)
	v_mad_co_u64_u32 v[26:27], null, s11, s34, v[8:9]
	v_mad_co_u64_u32 v[8:9], null, s17, s34, v[9:10]
	v_mov_b32_e32 v10, 0
	v_mov_b32_e32 v11, 0
	;; [unrolled: 1-line block ×3, first 2 shown]
	s_delay_alu instid0(VALU_DEP_3) | instskip(NEXT) | instid1(VALU_DEP_3)
	v_dual_mov_b32 v21, v8 :: v_dual_mov_b32 v8, v10
	v_mov_b32_e32 v9, v11
.LBB184_17:                             ;   Parent Loop BB184_4 Depth=1
                                        ; =>  This Inner Loop Header: Depth=2
	global_load_b128 v[26:29], v[18:19], off offset:-8
	global_load_b128 v[30:33], v[20:21], off offset:-8
	v_add_co_u32 v18, vcc_lo, 0x1000, v18
	s_wait_alu 0xfffd
	v_add_co_ci_u32_e64 v19, null, 0, v19, vcc_lo
	v_add_co_u32 v20, vcc_lo, v20, s38
	s_wait_alu 0xfffd
	v_add_co_ci_u32_e64 v21, null, s39, v21, vcc_lo
	s_wait_alu 0xfffe
	s_addk_co_i32 s9, 0x100
	s_wait_alu 0xfffe
	s_cmp_ge_i32 s9, s30
	s_wait_loadcnt 0x0
	v_mul_f64_e32 v[34:35], v[28:29], v[32:33]
	v_mul_f64_e32 v[28:29], v[28:29], v[30:31]
	s_delay_alu instid0(VALU_DEP_2) | instskip(NEXT) | instid1(VALU_DEP_2)
	v_fma_f64 v[30:31], v[26:27], v[30:31], v[34:35]
	v_fma_f64 v[26:27], v[26:27], v[32:33], -v[28:29]
	s_delay_alu instid0(VALU_DEP_2) | instskip(NEXT) | instid1(VALU_DEP_2)
	v_add_f64_e32 v[8:9], v[8:9], v[30:31]
	v_add_f64_e32 v[10:11], v[10:11], v[26:27]
	s_cbranch_scc0 .LBB184_17
.LBB184_18:                             ;   in Loop: Header=BB184_4 Depth=1
	s_and_saveexec_b32 s9, s1
	s_cbranch_execz .LBB184_20
; %bb.19:                               ;   in Loop: Header=BB184_4 Depth=1
	s_mul_u64 s[46:47], s[28:29], s[34:35]
	s_mul_u64 s[48:49], s[20:21], s[34:35]
	s_wait_alu 0xfffe
	s_lshl_b64 s[46:47], s[46:47], 4
	s_lshl_b64 s[48:49], s[48:49], 4
	s_wait_alu 0xfffe
	v_add_co_u32 v20, vcc_lo, v23, s46
	s_wait_alu 0xfffd
	v_add_co_ci_u32_e64 v21, null, s47, v24, vcc_lo
	s_add_nc_u64 s[46:47], s[18:19], s[48:49]
	s_lshl_b64 s[48:49], s[30:31], 4
	s_wait_alu 0xfffe
	v_add_co_u32 v18, vcc_lo, s46, v16
	s_wait_alu 0xfffd
	v_add_co_ci_u32_e64 v19, null, s47, v17, vcc_lo
	v_add_co_u32 v26, vcc_lo, v20, s48
	s_wait_alu 0xfffd
	v_add_co_ci_u32_e64 v27, null, s49, v21, vcc_lo
	global_load_b128 v[18:21], v[18:19], off
	global_load_b128 v[26:29], v[26:27], off
	s_wait_loadcnt 0x0
	v_mul_f64_e32 v[30:31], v[28:29], v[20:21]
	v_mul_f64_e32 v[28:29], v[28:29], v[18:19]
	s_delay_alu instid0(VALU_DEP_2) | instskip(NEXT) | instid1(VALU_DEP_2)
	v_fma_f64 v[18:19], v[26:27], v[18:19], v[30:31]
	v_fma_f64 v[20:21], v[26:27], v[20:21], -v[28:29]
	s_delay_alu instid0(VALU_DEP_2) | instskip(NEXT) | instid1(VALU_DEP_2)
	v_add_f64_e32 v[8:9], v[8:9], v[18:19]
	v_add_f64_e32 v[10:11], v[10:11], v[20:21]
.LBB184_20:                             ;   in Loop: Header=BB184_4 Depth=1
	s_wait_alu 0xfffe
	s_or_b32 exec_lo, exec_lo, s9
	ds_store_b128 v25, v[8:11]
	s_wait_loadcnt_dscnt 0x0
	s_barrier_signal -1
	s_barrier_wait -1
	global_inv scope:SCOPE_SE
	s_and_saveexec_b32 s9, s2
	s_cbranch_execz .LBB184_22
; %bb.21:                               ;   in Loop: Header=BB184_4 Depth=1
	ds_load_b128 v[8:11], v25 offset:2048
	ds_load_b128 v[18:21], v25
	s_wait_dscnt 0x0
	v_add_f64_e32 v[8:9], v[8:9], v[18:19]
	v_add_f64_e32 v[10:11], v[10:11], v[20:21]
	ds_store_b128 v25, v[8:11]
.LBB184_22:                             ;   in Loop: Header=BB184_4 Depth=1
	s_wait_alu 0xfffe
	s_or_b32 exec_lo, exec_lo, s9
	s_wait_loadcnt_dscnt 0x0
	s_barrier_signal -1
	s_barrier_wait -1
	global_inv scope:SCOPE_SE
	s_and_saveexec_b32 s9, s3
	s_cbranch_execz .LBB184_24
; %bb.23:                               ;   in Loop: Header=BB184_4 Depth=1
	ds_load_b128 v[8:11], v25 offset:1024
	ds_load_b128 v[18:21], v25
	s_wait_dscnt 0x0
	v_add_f64_e32 v[8:9], v[8:9], v[18:19]
	v_add_f64_e32 v[10:11], v[10:11], v[20:21]
	ds_store_b128 v25, v[8:11]
.LBB184_24:                             ;   in Loop: Header=BB184_4 Depth=1
	s_wait_alu 0xfffe
	s_or_b32 exec_lo, exec_lo, s9
	;; [unrolled: 16-line block ×6, first 2 shown]
	s_wait_loadcnt_dscnt 0x0
	s_barrier_signal -1
	s_barrier_wait -1
	global_inv scope:SCOPE_SE
	s_and_saveexec_b32 s9, s8
	s_cbranch_execz .LBB184_34
; %bb.33:                               ;   in Loop: Header=BB184_4 Depth=1
	ds_load_b128 v[8:11], v25
	ds_load_b128 v[18:21], v25 offset:32
	s_wait_dscnt 0x0
	v_add_f64_e32 v[8:9], v[18:19], v[8:9]
	v_add_f64_e32 v[10:11], v[20:21], v[10:11]
	ds_store_b128 v25, v[8:11]
.LBB184_34:                             ;   in Loop: Header=BB184_4 Depth=1
	s_wait_alu 0xfffe
	s_or_b32 exec_lo, exec_lo, s9
	s_wait_loadcnt_dscnt 0x0
	s_barrier_signal -1
	s_barrier_wait -1
	global_inv scope:SCOPE_SE
	s_and_saveexec_b32 s9, s0
	s_cbranch_execz .LBB184_36
; %bb.35:                               ;   in Loop: Header=BB184_4 Depth=1
	ds_load_b128 v[8:11], v22
	ds_load_b128 v[18:21], v22 offset:16
	s_wait_dscnt 0x0
	v_add_f64_e32 v[8:9], v[18:19], v[8:9]
	v_add_f64_e32 v[10:11], v[20:21], v[10:11]
	ds_store_b128 v22, v[8:11]
.LBB184_36:                             ;   in Loop: Header=BB184_4 Depth=1
	s_wait_alu 0xfffe
	s_or_b32 exec_lo, exec_lo, s9
	s_wait_loadcnt_dscnt 0x0
	s_barrier_signal -1
	s_barrier_wait -1
	global_inv scope:SCOPE_SE
                                        ; implicit-def: $vgpr10_vgpr11
	s_and_saveexec_b32 s46, s0
	s_cbranch_execz .LBB184_40
; %bb.37:                               ;   in Loop: Header=BB184_4 Depth=1
	ds_load_b128 v[18:21], v22
	v_cmp_neq_f64_e32 vcc_lo, 0, v[0:1]
	v_cmp_neq_f64_e64 s9, 0, v[2:3]
	s_wait_dscnt 0x0
	v_mul_f64_e32 v[8:9], v[6:7], v[20:21]
	v_mul_f64_e32 v[10:11], v[4:5], v[20:21]
	s_or_b32 s9, vcc_lo, s9
	s_wait_alu 0xfffe
	s_and_not1_b32 vcc_lo, exec_lo, s9
	s_delay_alu instid0(VALU_DEP_2) | instskip(NEXT) | instid1(VALU_DEP_2)
	v_fma_f64 v[8:9], v[4:5], v[18:19], -v[8:9]
	v_fma_f64 v[10:11], v[6:7], v[18:19], v[10:11]
	s_wait_alu 0xfffe
	s_cbranch_vccnz .LBB184_39
; %bb.38:                               ;   in Loop: Header=BB184_4 Depth=1
	s_add_nc_u64 s[48:49], s[42:43], s[40:41]
	global_load_b128 v[4:7], v22, s[48:49]
	s_wait_loadcnt 0x0
	v_mul_f64_e32 v[18:19], v[2:3], v[6:7]
	v_mul_f64_e32 v[6:7], v[0:1], v[6:7]
	s_delay_alu instid0(VALU_DEP_2) | instskip(NEXT) | instid1(VALU_DEP_2)
	v_fma_f64 v[0:1], v[0:1], v[4:5], -v[18:19]
	v_fma_f64 v[2:3], v[2:3], v[4:5], v[6:7]
	s_delay_alu instid0(VALU_DEP_2) | instskip(NEXT) | instid1(VALU_DEP_2)
	v_add_f64_e32 v[8:9], v[8:9], v[0:1]
	v_add_f64_e32 v[10:11], v[10:11], v[2:3]
.LBB184_39:                             ;   in Loop: Header=BB184_4 Depth=1
	s_or_b32 s45, s45, exec_lo
.LBB184_40:                             ;   in Loop: Header=BB184_4 Depth=1
	s_wait_alu 0xfffe
	s_or_b32 exec_lo, exec_lo, s46
.LBB184_41:                             ;   in Loop: Header=BB184_4 Depth=1
	s_and_saveexec_b32 s9, s45
	s_cbranch_execz .LBB184_2
; %bb.42:                               ;   in Loop: Header=BB184_4 Depth=1
	s_add_nc_u64 s[42:43], s[42:43], s[40:41]
	global_store_b128 v22, v[8:11], s[42:43]
	s_branch .LBB184_2
.LBB184_43:
	s_endpgm
	.section	.rodata,"a",@progbits
	.p2align	6, 0x0
	.amdhsa_kernel _ZL20rocblas_gemvt_kernelILb1ELi256E19rocblas_complex_numIdEPKS1_S1_EviiT2_lPKT1_lilS7_lilS4_lPT3_lili
		.amdhsa_group_segment_fixed_size 4096
		.amdhsa_private_segment_fixed_size 0
		.amdhsa_kernarg_size 140
		.amdhsa_user_sgpr_count 2
		.amdhsa_user_sgpr_dispatch_ptr 0
		.amdhsa_user_sgpr_queue_ptr 0
		.amdhsa_user_sgpr_kernarg_segment_ptr 1
		.amdhsa_user_sgpr_dispatch_id 0
		.amdhsa_user_sgpr_private_segment_size 0
		.amdhsa_wavefront_size32 1
		.amdhsa_uses_dynamic_stack 0
		.amdhsa_enable_private_segment 0
		.amdhsa_system_sgpr_workgroup_id_x 1
		.amdhsa_system_sgpr_workgroup_id_y 0
		.amdhsa_system_sgpr_workgroup_id_z 1
		.amdhsa_system_sgpr_workgroup_info 0
		.amdhsa_system_vgpr_workitem_id 0
		.amdhsa_next_free_vgpr 36
		.amdhsa_next_free_sgpr 50
		.amdhsa_reserve_vcc 1
		.amdhsa_float_round_mode_32 0
		.amdhsa_float_round_mode_16_64 0
		.amdhsa_float_denorm_mode_32 3
		.amdhsa_float_denorm_mode_16_64 3
		.amdhsa_fp16_overflow 0
		.amdhsa_workgroup_processor_mode 1
		.amdhsa_memory_ordered 1
		.amdhsa_forward_progress 1
		.amdhsa_inst_pref_size 17
		.amdhsa_round_robin_scheduling 0
		.amdhsa_exception_fp_ieee_invalid_op 0
		.amdhsa_exception_fp_denorm_src 0
		.amdhsa_exception_fp_ieee_div_zero 0
		.amdhsa_exception_fp_ieee_overflow 0
		.amdhsa_exception_fp_ieee_underflow 0
		.amdhsa_exception_fp_ieee_inexact 0
		.amdhsa_exception_int_div_zero 0
	.end_amdhsa_kernel
	.section	.text._ZL20rocblas_gemvt_kernelILb1ELi256E19rocblas_complex_numIdEPKS1_S1_EviiT2_lPKT1_lilS7_lilS4_lPT3_lili,"axG",@progbits,_ZL20rocblas_gemvt_kernelILb1ELi256E19rocblas_complex_numIdEPKS1_S1_EviiT2_lPKT1_lilS7_lilS4_lPT3_lili,comdat
.Lfunc_end184:
	.size	_ZL20rocblas_gemvt_kernelILb1ELi256E19rocblas_complex_numIdEPKS1_S1_EviiT2_lPKT1_lilS7_lilS4_lPT3_lili, .Lfunc_end184-_ZL20rocblas_gemvt_kernelILb1ELi256E19rocblas_complex_numIdEPKS1_S1_EviiT2_lPKT1_lilS7_lilS4_lPT3_lili
                                        ; -- End function
	.set _ZL20rocblas_gemvt_kernelILb1ELi256E19rocblas_complex_numIdEPKS1_S1_EviiT2_lPKT1_lilS7_lilS4_lPT3_lili.num_vgpr, 36
	.set _ZL20rocblas_gemvt_kernelILb1ELi256E19rocblas_complex_numIdEPKS1_S1_EviiT2_lPKT1_lilS7_lilS4_lPT3_lili.num_agpr, 0
	.set _ZL20rocblas_gemvt_kernelILb1ELi256E19rocblas_complex_numIdEPKS1_S1_EviiT2_lPKT1_lilS7_lilS4_lPT3_lili.numbered_sgpr, 50
	.set _ZL20rocblas_gemvt_kernelILb1ELi256E19rocblas_complex_numIdEPKS1_S1_EviiT2_lPKT1_lilS7_lilS4_lPT3_lili.num_named_barrier, 0
	.set _ZL20rocblas_gemvt_kernelILb1ELi256E19rocblas_complex_numIdEPKS1_S1_EviiT2_lPKT1_lilS7_lilS4_lPT3_lili.private_seg_size, 0
	.set _ZL20rocblas_gemvt_kernelILb1ELi256E19rocblas_complex_numIdEPKS1_S1_EviiT2_lPKT1_lilS7_lilS4_lPT3_lili.uses_vcc, 1
	.set _ZL20rocblas_gemvt_kernelILb1ELi256E19rocblas_complex_numIdEPKS1_S1_EviiT2_lPKT1_lilS7_lilS4_lPT3_lili.uses_flat_scratch, 0
	.set _ZL20rocblas_gemvt_kernelILb1ELi256E19rocblas_complex_numIdEPKS1_S1_EviiT2_lPKT1_lilS7_lilS4_lPT3_lili.has_dyn_sized_stack, 0
	.set _ZL20rocblas_gemvt_kernelILb1ELi256E19rocblas_complex_numIdEPKS1_S1_EviiT2_lPKT1_lilS7_lilS4_lPT3_lili.has_recursion, 0
	.set _ZL20rocblas_gemvt_kernelILb1ELi256E19rocblas_complex_numIdEPKS1_S1_EviiT2_lPKT1_lilS7_lilS4_lPT3_lili.has_indirect_call, 0
	.section	.AMDGPU.csdata,"",@progbits
; Kernel info:
; codeLenInByte = 2120
; TotalNumSgprs: 52
; NumVgprs: 36
; ScratchSize: 0
; MemoryBound: 0
; FloatMode: 240
; IeeeMode: 1
; LDSByteSize: 4096 bytes/workgroup (compile time only)
; SGPRBlocks: 0
; VGPRBlocks: 4
; NumSGPRsForWavesPerEU: 52
; NumVGPRsForWavesPerEU: 36
; Occupancy: 16
; WaveLimiterHint : 0
; COMPUTE_PGM_RSRC2:SCRATCH_EN: 0
; COMPUTE_PGM_RSRC2:USER_SGPR: 2
; COMPUTE_PGM_RSRC2:TRAP_HANDLER: 0
; COMPUTE_PGM_RSRC2:TGID_X_EN: 1
; COMPUTE_PGM_RSRC2:TGID_Y_EN: 0
; COMPUTE_PGM_RSRC2:TGID_Z_EN: 1
; COMPUTE_PGM_RSRC2:TIDIG_COMP_CNT: 0
	.section	.text._ZL20rocblas_gemvt_kernelILb1ELi256E19rocblas_complex_numIdES1_S1_EviiT2_lPKT1_lilS5_lilS2_lPT3_lili,"axG",@progbits,_ZL20rocblas_gemvt_kernelILb1ELi256E19rocblas_complex_numIdES1_S1_EviiT2_lPKT1_lilS5_lilS2_lPT3_lili,comdat
	.globl	_ZL20rocblas_gemvt_kernelILb1ELi256E19rocblas_complex_numIdES1_S1_EviiT2_lPKT1_lilS5_lilS2_lPT3_lili ; -- Begin function _ZL20rocblas_gemvt_kernelILb1ELi256E19rocblas_complex_numIdES1_S1_EviiT2_lPKT1_lilS5_lilS2_lPT3_lili
	.p2align	8
	.type	_ZL20rocblas_gemvt_kernelILb1ELi256E19rocblas_complex_numIdES1_S1_EviiT2_lPKT1_lilS5_lilS2_lPT3_lili,@function
_ZL20rocblas_gemvt_kernelILb1ELi256E19rocblas_complex_numIdES1_S1_EviiT2_lPKT1_lilS5_lilS2_lPT3_lili: ; @_ZL20rocblas_gemvt_kernelILb1ELi256E19rocblas_complex_numIdES1_S1_EviiT2_lPKT1_lilS5_lilS2_lPT3_lili
; %bb.0:
	s_load_b32 s33, s[0:1], 0x98
	s_lshr_b32 s34, ttmp7, 16
	s_wait_kmcnt 0x0
	s_cmp_ge_u32 s34, s33
	s_cbranch_scc1 .LBB185_41
; %bb.1:
	s_clause 0xa
	s_load_b128 s[12:15], s[0:1], 0x8
	s_load_b64 s[36:37], s[0:1], 0x68
	s_load_b128 s[16:19], s[0:1], 0x58
	s_load_b32 s31, s[0:1], 0x0
	s_load_b32 s40, s[0:1], 0x30
	s_load_b96 s[28:30], s[0:1], 0x48
	s_load_b128 s[24:27], s[0:1], 0x20
	s_load_b32 s42, s[0:1], 0x88
	s_load_b128 s[20:23], s[0:1], 0x38
	s_load_b128 s[8:11], s[0:1], 0x78
	s_load_b64 s[38:39], s[0:1], 0x90
	s_mov_b32 s6, ttmp9
	s_ashr_i32 s7, ttmp9, 31
	v_cmp_eq_u32_e64 s0, 0, v0
	v_dual_mov_b32 v14, 0 :: v_dual_lshlrev_b32 v15, 4, v0
	v_cmp_gt_u32_e64 s1, 0x80, v0
	v_cmp_gt_u32_e64 s2, 64, v0
	;; [unrolled: 1-line block ×4, first 2 shown]
	s_wait_kmcnt 0x0
	v_cmp_neq_f64_e64 s50, s[12:13], 0
	v_cmp_neq_f64_e64 s51, s[14:15], 0
	;; [unrolled: 1-line block ×3, first 2 shown]
	v_cmp_gt_i32_e32 vcc_lo, s31, v0
	v_cmp_neq_f64_e64 s53, s[18:19], 0
	v_cmp_neq_f64_e64 s54, s[18:19], 1.0
	s_ashr_i32 s5, s31, 31
	s_lshl_b64 s[28:29], s[28:29], 4
	v_cndmask_b32_e32 v1, 0, v0, vcc_lo
	s_lshl_b64 s[44:45], s[10:11], 4
	s_lshl_b64 s[46:47], s[26:27], 4
	s_lshr_b32 s5, s5, 24
	s_add_nc_u64 s[10:11], s[22:23], s[28:29]
	v_lshlrev_b32_e32 v5, 4, v1
	s_add_nc_u64 s[22:23], s[8:9], s[44:45]
	s_add_nc_u64 s[8:9], s[24:25], s[46:47]
	s_add_co_i32 s5, s31, s5
	s_ashr_i32 s41, s40, 31
	s_and_b32 s26, s5, 0xffffff00
	v_add_co_u32 v3, s5, s8, v5
	s_mul_u64 s[28:29], s[40:41], s[6:7]
	v_add_co_ci_u32_e64 v4, null, s9, 0, s5
	s_lshl_b64 s[28:29], s[28:29], 4
	s_ashr_i32 s43, s42, 31
	v_add_co_u32 v16, vcc_lo, v3, s28
	s_wait_alu 0xfffd
	v_add_co_ci_u32_e64 v17, null, s29, v4, vcc_lo
	v_mad_co_i64_i32 v[3:4], null, s30, v0, 0
	s_add_nc_u64 s[28:29], s[28:29], s[46:47]
	s_mul_u64 s[40:41], s[42:43], s[6:7]
	s_wait_alu 0xfffe
	s_add_nc_u64 s[24:25], s[24:25], s[28:29]
	v_or_b32_e32 v1, s26, v0
	v_cmp_gt_u32_e64 s6, 8, v0
	v_cmp_gt_u32_e64 s7, 4, v0
	;; [unrolled: 1-line block ×3, first 2 shown]
	v_add_co_u32 v0, s24, s24, v5
	v_lshlrev_b64_e32 v[6:7], 4, v[3:4]
	s_wait_alu 0xf1ff
	v_add_co_ci_u32_e64 v5, null, s25, 0, s24
	v_cmp_gt_i32_e64 s5, s31, v1
	v_mad_co_i64_i32 v[1:2], null, s30, v1, 0
	v_add_co_u32 v4, vcc_lo, v0, 8
	s_wait_alu 0xfffd
	v_add_co_ci_u32_e64 v5, null, 0, v5, vcc_lo
	v_add_co_u32 v0, vcc_lo, s10, v6
	s_wait_alu 0xfffd
	v_add_co_ci_u32_e64 v3, null, s11, v7, vcc_lo
	s_or_b32 s42, s50, s51
	s_ashr_i32 s49, s30, 31
	s_or_b32 s9, s53, s52
	s_xor_b32 s44, s42, -1
	v_add_co_u32 v6, vcc_lo, v0, 8
	s_cmp_gt_i32 s31, 0xff
	v_lshlrev_b64_e32 v[8:9], 4, v[1:2]
	s_wait_alu 0xfffd
	v_add_co_ci_u32_e64 v7, null, 0, v3, vcc_lo
	s_mov_b32 s48, s30
	s_cselect_b32 s45, -1, 0
	s_or_b32 s30, s42, s54
	s_mov_b32 s35, 0
	s_ashr_i32 s27, s26, 31
	s_lshl_b64 s[24:25], s[20:21], 4
	s_wait_alu 0xfffe
	s_or_b32 s46, s30, s52
	s_lshl_b64 s[28:29], s[16:17], 4
	s_lshl_b64 s[30:31], s[48:49], 12
	s_lshl_b64 s[40:41], s[40:41], 4
	s_branch .LBB185_4
.LBB185_2:                              ;   in Loop: Header=BB185_4 Depth=1
	s_or_b32 exec_lo, exec_lo, s48
.LBB185_3:                              ;   in Loop: Header=BB185_4 Depth=1
	s_add_co_i32 s34, s34, 0x10000
	s_wait_alu 0xfffe
	s_cmp_lt_u32 s34, s33
	s_cbranch_scc0 .LBB185_41
.LBB185_4:                              ; =>This Loop Header: Depth=1
                                        ;     Child Loop BB185_15 Depth 2
	s_and_not1_b32 vcc_lo, exec_lo, s46
	s_wait_alu 0xfffe
	s_cbranch_vccnz .LBB185_3
; %bb.5:                                ;   in Loop: Header=BB185_4 Depth=1
	s_mul_u64 s[42:43], s[38:39], s[34:35]
	s_and_not1_b32 vcc_lo, exec_lo, s44
	s_lshl_b64 s[42:43], s[42:43], 4
	s_delay_alu instid0(SALU_CYCLE_1)
	s_add_nc_u64 s[42:43], s[22:23], s[42:43]
	s_wait_alu 0xfffe
	s_cbranch_vccnz .LBB185_9
; %bb.6:                                ;   in Loop: Header=BB185_4 Depth=1
	s_mov_b32 s48, 0
	s_mov_b32 s47, 0
                                        ; implicit-def: $vgpr2_vgpr3
	s_and_saveexec_b32 s49, s0
	s_cbranch_execz .LBB185_10
; %bb.7:                                ;   in Loop: Header=BB185_4 Depth=1
	s_and_not1_b32 vcc_lo, exec_lo, s9
	s_wait_alu 0xfffe
	s_cbranch_vccnz .LBB185_11
; %bb.8:                                ;   in Loop: Header=BB185_4 Depth=1
	s_add_nc_u64 s[50:51], s[42:43], s[40:41]
	global_load_b128 v[10:13], v14, s[50:51]
	s_wait_loadcnt 0x0
	v_mul_f64_e32 v[0:1], s[36:37], v[12:13]
	v_mul_f64_e32 v[2:3], s[18:19], v[12:13]
	s_delay_alu instid0(VALU_DEP_2) | instskip(NEXT) | instid1(VALU_DEP_2)
	v_fma_f64 v[0:1], s[18:19], v[10:11], -v[0:1]
	v_fma_f64 v[2:3], s[36:37], v[10:11], v[2:3]
	s_branch .LBB185_12
.LBB185_9:                              ;   in Loop: Header=BB185_4 Depth=1
	s_mov_b32 s47, 0
                                        ; implicit-def: $vgpr2_vgpr3
	s_cbranch_execnz .LBB185_13
	s_branch .LBB185_39
.LBB185_10:                             ;   in Loop: Header=BB185_4 Depth=1
	s_or_b32 exec_lo, exec_lo, s49
	s_delay_alu instid0(SALU_CYCLE_1)
	s_and_b32 vcc_lo, exec_lo, s48
	s_wait_alu 0xfffe
	s_cbranch_vccnz .LBB185_13
	s_branch .LBB185_39
.LBB185_11:                             ;   in Loop: Header=BB185_4 Depth=1
	v_mov_b32_e32 v2, 0
	v_dual_mov_b32 v3, 0 :: v_dual_mov_b32 v0, 0
	v_mov_b32_e32 v1, 0
.LBB185_12:                             ;   in Loop: Header=BB185_4 Depth=1
	s_mov_b32 s47, exec_lo
	s_or_b32 exec_lo, exec_lo, s49
	s_delay_alu instid0(SALU_CYCLE_1)
	s_and_b32 vcc_lo, exec_lo, s48
	s_wait_alu 0xfffe
	s_cbranch_vccz .LBB185_39
.LBB185_13:                             ;   in Loop: Header=BB185_4 Depth=1
	v_mov_b32_e32 v2, 0
	v_mov_b32_e32 v3, 0
	s_delay_alu instid0(VALU_DEP_2) | instskip(SKIP_1) | instid1(VALU_DEP_2)
	v_mov_b32_e32 v0, v2
	s_and_not1_b32 vcc_lo, exec_lo, s45
	v_mov_b32_e32 v1, v3
	s_wait_alu 0xfffe
	s_cbranch_vccnz .LBB185_16
; %bb.14:                               ;   in Loop: Header=BB185_4 Depth=1
	v_mad_co_u64_u32 v[10:11], null, s24, s34, v[4:5]
	v_mad_co_u64_u32 v[12:13], null, s28, s34, v[6:7]
	s_mov_b32 s48, 0
	v_dual_mov_b32 v0, v11 :: v_dual_mov_b32 v1, v13
	s_delay_alu instid0(VALU_DEP_1) | instskip(SKIP_3) | instid1(VALU_DEP_4)
	v_mad_co_u64_u32 v[18:19], null, s25, s34, v[0:1]
	v_mad_co_u64_u32 v[0:1], null, s29, s34, v[1:2]
	v_mov_b32_e32 v2, 0
	v_mov_b32_e32 v3, 0
	;; [unrolled: 1-line block ×3, first 2 shown]
	s_delay_alu instid0(VALU_DEP_3) | instskip(NEXT) | instid1(VALU_DEP_3)
	v_dual_mov_b32 v13, v0 :: v_dual_mov_b32 v0, v2
	v_mov_b32_e32 v1, v3
.LBB185_15:                             ;   Parent Loop BB185_4 Depth=1
                                        ; =>  This Inner Loop Header: Depth=2
	global_load_b128 v[18:21], v[10:11], off offset:-8
	global_load_b128 v[22:25], v[12:13], off offset:-8
	v_add_co_u32 v10, vcc_lo, 0x1000, v10
	s_wait_alu 0xfffd
	v_add_co_ci_u32_e64 v11, null, 0, v11, vcc_lo
	v_add_co_u32 v12, vcc_lo, v12, s30
	s_wait_alu 0xfffd
	v_add_co_ci_u32_e64 v13, null, s31, v13, vcc_lo
	s_addk_co_i32 s48, 0x100
	s_delay_alu instid0(SALU_CYCLE_1) | instskip(SKIP_3) | instid1(VALU_DEP_2)
	s_cmp_ge_i32 s48, s26
	s_wait_loadcnt 0x0
	v_mul_f64_e32 v[26:27], v[20:21], v[24:25]
	v_mul_f64_e32 v[20:21], v[20:21], v[22:23]
	v_fma_f64 v[22:23], v[18:19], v[22:23], v[26:27]
	s_delay_alu instid0(VALU_DEP_2) | instskip(NEXT) | instid1(VALU_DEP_2)
	v_fma_f64 v[18:19], v[18:19], v[24:25], -v[20:21]
	v_add_f64_e32 v[0:1], v[0:1], v[22:23]
	s_delay_alu instid0(VALU_DEP_2)
	v_add_f64_e32 v[2:3], v[2:3], v[18:19]
	s_cbranch_scc0 .LBB185_15
.LBB185_16:                             ;   in Loop: Header=BB185_4 Depth=1
	s_and_saveexec_b32 s48, s5
	s_cbranch_execz .LBB185_18
; %bb.17:                               ;   in Loop: Header=BB185_4 Depth=1
	s_mul_u64 s[50:51], s[20:21], s[34:35]
	s_mul_u64 s[52:53], s[16:17], s[34:35]
	s_wait_alu 0xfffe
	s_lshl_b64 s[50:51], s[50:51], 4
	s_lshl_b64 s[52:53], s[52:53], 4
	s_wait_alu 0xfffe
	v_add_co_u32 v12, vcc_lo, v16, s50
	s_wait_alu 0xfffd
	v_add_co_ci_u32_e64 v13, null, s51, v17, vcc_lo
	s_add_nc_u64 s[50:51], s[10:11], s[52:53]
	s_lshl_b64 s[52:53], s[26:27], 4
	s_wait_alu 0xfffe
	v_add_co_u32 v10, vcc_lo, s50, v8
	s_wait_alu 0xfffd
	v_add_co_ci_u32_e64 v11, null, s51, v9, vcc_lo
	v_add_co_u32 v18, vcc_lo, v12, s52
	s_wait_alu 0xfffd
	v_add_co_ci_u32_e64 v19, null, s53, v13, vcc_lo
	global_load_b128 v[10:13], v[10:11], off
	global_load_b128 v[18:21], v[18:19], off
	s_wait_loadcnt 0x0
	v_mul_f64_e32 v[22:23], v[20:21], v[12:13]
	v_mul_f64_e32 v[20:21], v[20:21], v[10:11]
	s_delay_alu instid0(VALU_DEP_2) | instskip(NEXT) | instid1(VALU_DEP_2)
	v_fma_f64 v[10:11], v[18:19], v[10:11], v[22:23]
	v_fma_f64 v[12:13], v[18:19], v[12:13], -v[20:21]
	s_delay_alu instid0(VALU_DEP_2) | instskip(NEXT) | instid1(VALU_DEP_2)
	v_add_f64_e32 v[0:1], v[0:1], v[10:11]
	v_add_f64_e32 v[2:3], v[2:3], v[12:13]
.LBB185_18:                             ;   in Loop: Header=BB185_4 Depth=1
	s_or_b32 exec_lo, exec_lo, s48
	ds_store_b128 v15, v[0:3]
	s_wait_dscnt 0x0
	s_barrier_signal -1
	s_barrier_wait -1
	global_inv scope:SCOPE_SE
	s_and_saveexec_b32 s48, s1
	s_cbranch_execz .LBB185_20
; %bb.19:                               ;   in Loop: Header=BB185_4 Depth=1
	ds_load_b128 v[0:3], v15 offset:2048
	ds_load_b128 v[10:13], v15
	s_wait_dscnt 0x0
	v_add_f64_e32 v[0:1], v[0:1], v[10:11]
	v_add_f64_e32 v[2:3], v[2:3], v[12:13]
	ds_store_b128 v15, v[0:3]
.LBB185_20:                             ;   in Loop: Header=BB185_4 Depth=1
	s_or_b32 exec_lo, exec_lo, s48
	s_wait_loadcnt_dscnt 0x0
	s_barrier_signal -1
	s_barrier_wait -1
	global_inv scope:SCOPE_SE
	s_and_saveexec_b32 s48, s2
	s_cbranch_execz .LBB185_22
; %bb.21:                               ;   in Loop: Header=BB185_4 Depth=1
	ds_load_b128 v[0:3], v15 offset:1024
	ds_load_b128 v[10:13], v15
	s_wait_dscnt 0x0
	v_add_f64_e32 v[0:1], v[0:1], v[10:11]
	v_add_f64_e32 v[2:3], v[2:3], v[12:13]
	ds_store_b128 v15, v[0:3]
.LBB185_22:                             ;   in Loop: Header=BB185_4 Depth=1
	s_or_b32 exec_lo, exec_lo, s48
	s_wait_loadcnt_dscnt 0x0
	;; [unrolled: 15-line block ×6, first 2 shown]
	s_barrier_signal -1
	s_barrier_wait -1
	global_inv scope:SCOPE_SE
	s_and_saveexec_b32 s48, s8
	s_cbranch_execz .LBB185_32
; %bb.31:                               ;   in Loop: Header=BB185_4 Depth=1
	ds_load_b128 v[0:3], v15
	ds_load_b128 v[10:13], v15 offset:32
	s_wait_dscnt 0x0
	v_add_f64_e32 v[0:1], v[10:11], v[0:1]
	v_add_f64_e32 v[2:3], v[12:13], v[2:3]
	ds_store_b128 v15, v[0:3]
.LBB185_32:                             ;   in Loop: Header=BB185_4 Depth=1
	s_or_b32 exec_lo, exec_lo, s48
	s_wait_loadcnt_dscnt 0x0
	s_barrier_signal -1
	s_barrier_wait -1
	global_inv scope:SCOPE_SE
	s_and_saveexec_b32 s48, s0
	s_cbranch_execz .LBB185_34
; %bb.33:                               ;   in Loop: Header=BB185_4 Depth=1
	ds_load_b128 v[0:3], v14
	ds_load_b128 v[10:13], v14 offset:16
	s_wait_dscnt 0x0
	v_add_f64_e32 v[0:1], v[10:11], v[0:1]
	v_add_f64_e32 v[2:3], v[12:13], v[2:3]
	ds_store_b128 v14, v[0:3]
.LBB185_34:                             ;   in Loop: Header=BB185_4 Depth=1
	s_or_b32 exec_lo, exec_lo, s48
	s_wait_loadcnt_dscnt 0x0
	s_barrier_signal -1
	s_barrier_wait -1
	global_inv scope:SCOPE_SE
                                        ; implicit-def: $vgpr2_vgpr3
	s_and_saveexec_b32 s48, s0
	s_cbranch_execz .LBB185_38
; %bb.35:                               ;   in Loop: Header=BB185_4 Depth=1
	ds_load_b128 v[10:13], v14
	s_and_not1_b32 vcc_lo, exec_lo, s9
	s_wait_dscnt 0x0
	v_mul_f64_e32 v[0:1], s[14:15], v[12:13]
	v_mul_f64_e32 v[2:3], s[12:13], v[12:13]
	s_delay_alu instid0(VALU_DEP_2) | instskip(NEXT) | instid1(VALU_DEP_2)
	v_fma_f64 v[0:1], s[12:13], v[10:11], -v[0:1]
	v_fma_f64 v[2:3], s[14:15], v[10:11], v[2:3]
	s_wait_alu 0xfffe
	s_cbranch_vccnz .LBB185_37
; %bb.36:                               ;   in Loop: Header=BB185_4 Depth=1
	s_add_nc_u64 s[50:51], s[42:43], s[40:41]
	global_load_b128 v[10:13], v14, s[50:51]
	s_wait_loadcnt 0x0
	v_mul_f64_e32 v[18:19], s[36:37], v[12:13]
	v_mul_f64_e32 v[12:13], s[18:19], v[12:13]
	s_delay_alu instid0(VALU_DEP_2) | instskip(NEXT) | instid1(VALU_DEP_2)
	v_fma_f64 v[18:19], s[18:19], v[10:11], -v[18:19]
	v_fma_f64 v[10:11], s[36:37], v[10:11], v[12:13]
	s_delay_alu instid0(VALU_DEP_2) | instskip(NEXT) | instid1(VALU_DEP_2)
	v_add_f64_e32 v[0:1], v[0:1], v[18:19]
	v_add_f64_e32 v[2:3], v[2:3], v[10:11]
.LBB185_37:                             ;   in Loop: Header=BB185_4 Depth=1
	s_or_b32 s47, s47, exec_lo
.LBB185_38:                             ;   in Loop: Header=BB185_4 Depth=1
	s_or_b32 exec_lo, exec_lo, s48
.LBB185_39:                             ;   in Loop: Header=BB185_4 Depth=1
	s_and_saveexec_b32 s48, s47
	s_cbranch_execz .LBB185_2
; %bb.40:                               ;   in Loop: Header=BB185_4 Depth=1
	s_add_nc_u64 s[42:43], s[42:43], s[40:41]
	global_store_b128 v14, v[0:3], s[42:43]
	s_branch .LBB185_2
.LBB185_41:
	s_endpgm
	.section	.rodata,"a",@progbits
	.p2align	6, 0x0
	.amdhsa_kernel _ZL20rocblas_gemvt_kernelILb1ELi256E19rocblas_complex_numIdES1_S1_EviiT2_lPKT1_lilS5_lilS2_lPT3_lili
		.amdhsa_group_segment_fixed_size 4096
		.amdhsa_private_segment_fixed_size 0
		.amdhsa_kernarg_size 156
		.amdhsa_user_sgpr_count 2
		.amdhsa_user_sgpr_dispatch_ptr 0
		.amdhsa_user_sgpr_queue_ptr 0
		.amdhsa_user_sgpr_kernarg_segment_ptr 1
		.amdhsa_user_sgpr_dispatch_id 0
		.amdhsa_user_sgpr_private_segment_size 0
		.amdhsa_wavefront_size32 1
		.amdhsa_uses_dynamic_stack 0
		.amdhsa_enable_private_segment 0
		.amdhsa_system_sgpr_workgroup_id_x 1
		.amdhsa_system_sgpr_workgroup_id_y 0
		.amdhsa_system_sgpr_workgroup_id_z 1
		.amdhsa_system_sgpr_workgroup_info 0
		.amdhsa_system_vgpr_workitem_id 0
		.amdhsa_next_free_vgpr 28
		.amdhsa_next_free_sgpr 55
		.amdhsa_reserve_vcc 1
		.amdhsa_float_round_mode_32 0
		.amdhsa_float_round_mode_16_64 0
		.amdhsa_float_denorm_mode_32 3
		.amdhsa_float_denorm_mode_16_64 3
		.amdhsa_fp16_overflow 0
		.amdhsa_workgroup_processor_mode 1
		.amdhsa_memory_ordered 1
		.amdhsa_forward_progress 1
		.amdhsa_inst_pref_size 16
		.amdhsa_round_robin_scheduling 0
		.amdhsa_exception_fp_ieee_invalid_op 0
		.amdhsa_exception_fp_denorm_src 0
		.amdhsa_exception_fp_ieee_div_zero 0
		.amdhsa_exception_fp_ieee_overflow 0
		.amdhsa_exception_fp_ieee_underflow 0
		.amdhsa_exception_fp_ieee_inexact 0
		.amdhsa_exception_int_div_zero 0
	.end_amdhsa_kernel
	.section	.text._ZL20rocblas_gemvt_kernelILb1ELi256E19rocblas_complex_numIdES1_S1_EviiT2_lPKT1_lilS5_lilS2_lPT3_lili,"axG",@progbits,_ZL20rocblas_gemvt_kernelILb1ELi256E19rocblas_complex_numIdES1_S1_EviiT2_lPKT1_lilS5_lilS2_lPT3_lili,comdat
.Lfunc_end185:
	.size	_ZL20rocblas_gemvt_kernelILb1ELi256E19rocblas_complex_numIdES1_S1_EviiT2_lPKT1_lilS5_lilS2_lPT3_lili, .Lfunc_end185-_ZL20rocblas_gemvt_kernelILb1ELi256E19rocblas_complex_numIdES1_S1_EviiT2_lPKT1_lilS5_lilS2_lPT3_lili
                                        ; -- End function
	.set _ZL20rocblas_gemvt_kernelILb1ELi256E19rocblas_complex_numIdES1_S1_EviiT2_lPKT1_lilS5_lilS2_lPT3_lili.num_vgpr, 28
	.set _ZL20rocblas_gemvt_kernelILb1ELi256E19rocblas_complex_numIdES1_S1_EviiT2_lPKT1_lilS5_lilS2_lPT3_lili.num_agpr, 0
	.set _ZL20rocblas_gemvt_kernelILb1ELi256E19rocblas_complex_numIdES1_S1_EviiT2_lPKT1_lilS5_lilS2_lPT3_lili.numbered_sgpr, 55
	.set _ZL20rocblas_gemvt_kernelILb1ELi256E19rocblas_complex_numIdES1_S1_EviiT2_lPKT1_lilS5_lilS2_lPT3_lili.num_named_barrier, 0
	.set _ZL20rocblas_gemvt_kernelILb1ELi256E19rocblas_complex_numIdES1_S1_EviiT2_lPKT1_lilS5_lilS2_lPT3_lili.private_seg_size, 0
	.set _ZL20rocblas_gemvt_kernelILb1ELi256E19rocblas_complex_numIdES1_S1_EviiT2_lPKT1_lilS5_lilS2_lPT3_lili.uses_vcc, 1
	.set _ZL20rocblas_gemvt_kernelILb1ELi256E19rocblas_complex_numIdES1_S1_EviiT2_lPKT1_lilS5_lilS2_lPT3_lili.uses_flat_scratch, 0
	.set _ZL20rocblas_gemvt_kernelILb1ELi256E19rocblas_complex_numIdES1_S1_EviiT2_lPKT1_lilS5_lilS2_lPT3_lili.has_dyn_sized_stack, 0
	.set _ZL20rocblas_gemvt_kernelILb1ELi256E19rocblas_complex_numIdES1_S1_EviiT2_lPKT1_lilS5_lilS2_lPT3_lili.has_recursion, 0
	.set _ZL20rocblas_gemvt_kernelILb1ELi256E19rocblas_complex_numIdES1_S1_EviiT2_lPKT1_lilS5_lilS2_lPT3_lili.has_indirect_call, 0
	.section	.AMDGPU.csdata,"",@progbits
; Kernel info:
; codeLenInByte = 1956
; TotalNumSgprs: 57
; NumVgprs: 28
; ScratchSize: 0
; MemoryBound: 0
; FloatMode: 240
; IeeeMode: 1
; LDSByteSize: 4096 bytes/workgroup (compile time only)
; SGPRBlocks: 0
; VGPRBlocks: 3
; NumSGPRsForWavesPerEU: 57
; NumVGPRsForWavesPerEU: 28
; Occupancy: 16
; WaveLimiterHint : 1
; COMPUTE_PGM_RSRC2:SCRATCH_EN: 0
; COMPUTE_PGM_RSRC2:USER_SGPR: 2
; COMPUTE_PGM_RSRC2:TRAP_HANDLER: 0
; COMPUTE_PGM_RSRC2:TGID_X_EN: 1
; COMPUTE_PGM_RSRC2:TGID_Y_EN: 0
; COMPUTE_PGM_RSRC2:TGID_Z_EN: 1
; COMPUTE_PGM_RSRC2:TIDIG_COMP_CNT: 0
	.section	.text._ZL32rocblas_gemvt_warp_reduce_kernelILb1ELi1024Ei19rocblas_complex_numIdEPKS1_S1_EviiT3_lPKT2_lT1_lS7_lS8_lS4_lPT4_lS8_li,"axG",@progbits,_ZL32rocblas_gemvt_warp_reduce_kernelILb1ELi1024Ei19rocblas_complex_numIdEPKS1_S1_EviiT3_lPKT2_lT1_lS7_lS8_lS4_lPT4_lS8_li,comdat
	.globl	_ZL32rocblas_gemvt_warp_reduce_kernelILb1ELi1024Ei19rocblas_complex_numIdEPKS1_S1_EviiT3_lPKT2_lT1_lS7_lS8_lS4_lPT4_lS8_li ; -- Begin function _ZL32rocblas_gemvt_warp_reduce_kernelILb1ELi1024Ei19rocblas_complex_numIdEPKS1_S1_EviiT3_lPKT2_lT1_lS7_lS8_lS4_lPT4_lS8_li
	.p2align	8
	.type	_ZL32rocblas_gemvt_warp_reduce_kernelILb1ELi1024Ei19rocblas_complex_numIdEPKS1_S1_EviiT3_lPKT2_lT1_lS7_lS8_lS4_lPT4_lS8_li,@function
_ZL32rocblas_gemvt_warp_reduce_kernelILb1ELi1024Ei19rocblas_complex_numIdEPKS1_S1_EviiT3_lPKT2_lT1_lS7_lS8_lS4_lPT4_lS8_li: ; @_ZL32rocblas_gemvt_warp_reduce_kernelILb1ELi1024Ei19rocblas_complex_numIdEPKS1_S1_EviiT3_lPKT2_lT1_lS7_lS8_lS4_lPT4_lS8_li
; %bb.0:
	s_load_b32 s33, s[0:1], 0x88
	s_lshr_b32 s28, ttmp7, 16
	s_wait_kmcnt 0x0
	s_cmp_ge_u32 s28, s33
	s_cbranch_scc1 .LBB186_36
; %bb.1:
	s_clause 0x7
	s_load_b96 s[4:6], s[0:1], 0x40
	s_load_b96 s[36:38], s[0:1], 0x70
	s_load_b256 s[8:15], s[0:1], 0x8
	s_load_b32 s7, s[0:1], 0x0
	s_load_b32 s39, s[0:1], 0x28
	s_load_b128 s[24:27], s[0:1], 0x30
	s_load_b256 s[16:23], s[0:1], 0x50
	s_load_b64 s[30:31], s[0:1], 0x80
	v_cmp_eq_u32_e64 s0, 0, v0
	v_mbcnt_lo_u32_b32 v30, -1, 0
	s_mov_b32 s29, 0
	s_wait_kmcnt 0x0
	s_lshl_b64 s[2:3], s[4:5], 4
	s_lshl_b64 s[4:5], s[36:37], 4
	;; [unrolled: 1-line block ×3, first 2 shown]
	v_cmp_gt_i32_e32 vcc_lo, s7, v0
	s_ashr_i32 s1, s7, 31
	v_mov_b32_e32 v1, 0
	s_lshr_b32 s1, s1, 22
	s_add_nc_u64 s[14:15], s[26:27], s[2:3]
	v_cndmask_b32_e32 v2, 0, v0, vcc_lo
	s_add_co_i32 s1, s7, s1
	s_mul_i32 s36, s38, ttmp9
	s_and_b32 s26, s1, 0xfffffc00
	s_mul_i32 s38, s39, ttmp9
	v_lshlrev_b32_e32 v4, 4, v2
	v_or_b32_e32 v3, s26, v0
	s_add_nc_u64 s[2:3], s[12:13], s[34:35]
	s_ashr_i32 s39, s38, 31
	s_add_nc_u64 s[22:23], s[22:23], s[4:5]
	v_add_co_u32 v5, s1, s2, v4
	v_mul_lo_u32 v2, s6, v3
	s_lshl_b64 s[38:39], s[38:39], 4
	v_add_co_ci_u32_e64 v6, null, s3, 0, s1
	s_add_nc_u64 s[34:35], s[34:35], s[38:39]
	v_add_co_u32 v25, vcc_lo, v5, s38
	v_and_b32_e32 v5, 31, v0
	s_add_nc_u64 s[12:13], s[12:13], s[34:35]
	v_cmp_gt_i32_e64 s2, s7, v3
	v_add_co_u32 v4, s5, s12, v4
	v_ashrrev_i32_e32 v3, 31, v2
	s_wait_alu 0xfffd
	v_add_co_ci_u32_e64 v26, null, s39, v6, vcc_lo
	v_lshrrev_b32_e32 v6, 1, v0
	v_lshlrev_b32_e32 v27, 4, v5
	v_cmp_eq_u32_e64 s4, 0, v5
	v_add_co_ci_u32_e64 v5, null, s13, 0, s5
	v_mul_lo_u32 v29, v0, s6
	v_add_co_u32 v21, vcc_lo, v4, 8
	v_lshlrev_b64_e32 v[23:24], 4, v[2:3]
	v_cmp_gt_i32_e64 s1, s26, v0
	v_cmp_gt_u32_e64 s3, 32, v0
	v_and_b32_e32 v28, 0x1f0, v6
	s_wait_alu 0xfffd
	v_add_co_ci_u32_e64 v22, null, 0, v5, vcc_lo
	s_ashr_i32 s37, s36, 31
	s_ashr_i32 s27, s26, 31
	s_lshl_b32 s40, s6, 10
	s_lshl_b64 s[6:7], s[24:25], 4
	s_lshl_b64 s[12:13], s[36:37], 4
	s_wait_alu 0xfffe
	s_lshl_b64 s[34:35], s[26:27], 4
	s_branch .LBB186_4
.LBB186_2:                              ;   in Loop: Header=BB186_4 Depth=1
	s_wait_alu 0xfffe
	s_or_b32 exec_lo, exec_lo, s5
.LBB186_3:                              ;   in Loop: Header=BB186_4 Depth=1
	s_add_co_i32 s28, s28, 0x10000
	s_wait_alu 0xfffe
	s_cmp_lt_u32 s28, s33
	s_cbranch_scc0 .LBB186_36
.LBB186_4:                              ; =>This Loop Header: Depth=1
                                        ;     Child Loop BB186_25 Depth 2
	s_mul_u64 s[36:37], s[10:11], s[28:29]
	s_delay_alu instid0(SALU_CYCLE_1) | instskip(NEXT) | instid1(SALU_CYCLE_1)
	s_lshl_b64 s[36:37], s[36:37], 4
	s_add_nc_u64 s[36:37], s[8:9], s[36:37]
	global_load_b128 v[9:12], v1, s[36:37]
	s_mul_u64 s[36:37], s[20:21], s[28:29]
	s_delay_alu instid0(SALU_CYCLE_1) | instskip(NEXT) | instid1(SALU_CYCLE_1)
	s_lshl_b64 s[36:37], s[36:37], 4
	s_add_nc_u64 s[36:37], s[18:19], s[36:37]
	s_wait_loadcnt 0x1
	global_load_b128 v[5:8], v1, s[36:37]
	s_wait_loadcnt 0x1
	v_cmp_neq_f64_e32 vcc_lo, 0, v[9:10]
	v_cmp_neq_f64_e64 s5, 0, v[11:12]
	s_or_b32 s27, vcc_lo, s5
	s_mov_b32 s5, -1
	s_wait_alu 0xfffe
	s_and_b32 vcc_lo, exec_lo, s27
	s_wait_alu 0xfffe
	s_cbranch_vccz .LBB186_6
; %bb.5:                                ;   in Loop: Header=BB186_4 Depth=1
	s_and_not1_b32 vcc_lo, exec_lo, s5
	s_wait_alu 0xfffe
	s_cbranch_vccnz .LBB186_3
	s_branch .LBB186_7
.LBB186_6:                              ;   in Loop: Header=BB186_4 Depth=1
	s_wait_loadcnt 0x0
	v_cmp_neq_f64_e32 vcc_lo, 1.0, v[5:6]
	v_cmp_neq_f64_e64 s5, 0, v[7:8]
	s_or_b32 s5, vcc_lo, s5
	s_wait_alu 0xfffe
	s_and_not1_b32 vcc_lo, exec_lo, s5
	s_wait_alu 0xfffe
	s_cbranch_vccnz .LBB186_3
.LBB186_7:                              ;   in Loop: Header=BB186_4 Depth=1
	s_mul_u64 s[36:37], s[30:31], s[28:29]
	s_xor_b32 s5, s27, -1
	s_lshl_b64 s[36:37], s[36:37], 4
	s_wait_alu 0xfffe
	s_and_not1_b32 vcc_lo, exec_lo, s5
	s_add_nc_u64 s[36:37], s[22:23], s[36:37]
	s_wait_alu 0xfffe
	s_cbranch_vccnz .LBB186_11
; %bb.8:                                ;   in Loop: Header=BB186_4 Depth=1
	s_mov_b32 s38, 0
	s_mov_b32 s27, 0
                                        ; implicit-def: $vgpr15_vgpr16
	s_and_saveexec_b32 s39, s0
	s_cbranch_execz .LBB186_12
; %bb.9:                                ;   in Loop: Header=BB186_4 Depth=1
	s_wait_loadcnt 0x0
	v_cmp_neq_f64_e32 vcc_lo, 0, v[5:6]
	v_cmp_neq_f64_e64 s5, 0, v[7:8]
	s_or_b32 s5, vcc_lo, s5
	s_wait_alu 0xfffe
	s_and_not1_b32 vcc_lo, exec_lo, s5
	s_wait_alu 0xfffe
	s_cbranch_vccnz .LBB186_13
; %bb.10:                               ;   in Loop: Header=BB186_4 Depth=1
	s_add_nc_u64 s[42:43], s[36:37], s[12:13]
	s_wait_dscnt 0x0
	global_load_b128 v[15:18], v1, s[42:43]
	s_wait_loadcnt 0x0
	v_mul_f64_e32 v[2:3], v[7:8], v[17:18]
	v_mul_f64_e32 v[17:18], v[5:6], v[17:18]
	s_delay_alu instid0(VALU_DEP_2) | instskip(NEXT) | instid1(VALU_DEP_2)
	v_fma_f64 v[13:14], v[5:6], v[15:16], -v[2:3]
	v_fma_f64 v[15:16], v[7:8], v[15:16], v[17:18]
	s_branch .LBB186_14
.LBB186_11:                             ;   in Loop: Header=BB186_4 Depth=1
	s_mov_b32 s27, 0
                                        ; implicit-def: $vgpr15_vgpr16
	s_cbranch_execnz .LBB186_15
	s_branch .LBB186_34
.LBB186_12:                             ;   in Loop: Header=BB186_4 Depth=1
	s_wait_alu 0xfffe
	s_or_b32 exec_lo, exec_lo, s39
	s_delay_alu instid0(SALU_CYCLE_1)
	s_and_b32 vcc_lo, exec_lo, s38
	s_wait_alu 0xfffe
	s_cbranch_vccnz .LBB186_15
	s_branch .LBB186_34
.LBB186_13:                             ;   in Loop: Header=BB186_4 Depth=1
	v_mov_b32_e32 v15, 0
	v_dual_mov_b32 v16, 0 :: v_dual_mov_b32 v13, 0
	v_mov_b32_e32 v14, 0
.LBB186_14:                             ;   in Loop: Header=BB186_4 Depth=1
	s_mov_b32 s27, exec_lo
	s_or_b32 exec_lo, exec_lo, s39
	s_delay_alu instid0(SALU_CYCLE_1)
	s_and_b32 vcc_lo, exec_lo, s38
	s_wait_alu 0xfffe
	s_cbranch_vccz .LBB186_34
.LBB186_15:                             ;   in Loop: Header=BB186_4 Depth=1
	v_mov_b32_e32 v13, 0
	s_mul_u64 s[38:39], s[16:17], s[28:29]
	v_dual_mov_b32 v14, 0 :: v_dual_mov_b32 v15, 0
	v_mov_b32_e32 v16, 0
	s_wait_alu 0xfffe
	s_lshl_b64 s[38:39], s[38:39], 4
	s_wait_alu 0xfffe
	s_add_nc_u64 s[38:39], s[14:15], s[38:39]
	s_and_saveexec_b32 s41, s1
	s_cbranch_execnz .LBB186_24
; %bb.16:                               ;   in Loop: Header=BB186_4 Depth=1
	s_wait_alu 0xfffe
	s_or_b32 exec_lo, exec_lo, s41
	s_and_saveexec_b32 s5, s2
	s_cbranch_execnz .LBB186_27
.LBB186_17:                             ;   in Loop: Header=BB186_4 Depth=1
	s_wait_alu 0xfffe
	s_or_b32 exec_lo, exec_lo, s5
	s_and_saveexec_b32 s5, s3
.LBB186_18:                             ;   in Loop: Header=BB186_4 Depth=1
	v_dual_mov_b32 v2, v1 :: v_dual_mov_b32 v3, v1
	v_mov_b32_e32 v4, v1
	ds_store_b128 v27, v[1:4]
.LBB186_19:                             ;   in Loop: Header=BB186_4 Depth=1
	s_wait_alu 0xfffe
	s_or_b32 exec_lo, exec_lo, s5
	v_lshl_or_b32 v4, v30, 2, 64
	v_cmp_gt_u32_e32 vcc_lo, 24, v30
	s_wait_loadcnt_dscnt 0x0
	s_barrier_signal -1
	s_barrier_wait -1
	ds_bpermute_b32 v2, v4, v15
	ds_bpermute_b32 v3, v4, v16
	;; [unrolled: 1-line block ×4, first 2 shown]
	s_wait_dscnt 0x0
	global_inv scope:SCOPE_SE
	v_add_f64_e32 v[2:3], v[15:16], v[2:3]
	s_wait_alu 0xfffd
	v_cndmask_b32_e64 v15, 0, 8, vcc_lo
	v_add_f64_e32 v[13:14], v[13:14], v[17:18]
	v_cmp_gt_u32_e32 vcc_lo, 28, v30
	s_delay_alu instid0(VALU_DEP_3)
	v_add_lshl_u32 v31, v15, v30, 2
	ds_bpermute_b32 v15, v31, v2
	ds_bpermute_b32 v16, v31, v3
	ds_bpermute_b32 v17, v31, v13
	ds_bpermute_b32 v18, v31, v14
	s_wait_dscnt 0x2
	v_add_f64_e32 v[2:3], v[2:3], v[15:16]
	s_wait_alu 0xfffd
	v_cndmask_b32_e64 v15, 0, 4, vcc_lo
	s_wait_dscnt 0x0
	v_add_f64_e32 v[13:14], v[13:14], v[17:18]
	v_cmp_gt_u32_e32 vcc_lo, 30, v30
	s_delay_alu instid0(VALU_DEP_3)
	v_add_lshl_u32 v32, v15, v30, 2
	ds_bpermute_b32 v15, v32, v2
	ds_bpermute_b32 v16, v32, v3
	;; [unrolled: 1-line block ×4, first 2 shown]
	s_wait_dscnt 0x2
	v_add_f64_e32 v[2:3], v[2:3], v[15:16]
	s_wait_alu 0xfffd
	v_cndmask_b32_e64 v15, 0, 2, vcc_lo
	s_wait_dscnt 0x0
	v_add_f64_e32 v[13:14], v[13:14], v[17:18]
	v_cmp_ne_u32_e32 vcc_lo, 31, v30
	s_delay_alu instid0(VALU_DEP_3)
	v_add_lshl_u32 v33, v15, v30, 2
	ds_bpermute_b32 v15, v33, v2
	ds_bpermute_b32 v16, v33, v3
	;; [unrolled: 1-line block ×4, first 2 shown]
	s_wait_dscnt 0x2
	v_add_f64_e32 v[2:3], v[2:3], v[15:16]
	s_wait_alu 0xfffd
	v_add_co_ci_u32_e64 v15, null, 0, v30, vcc_lo
	s_wait_dscnt 0x0
	v_add_f64_e32 v[13:14], v[13:14], v[17:18]
	s_delay_alu instid0(VALU_DEP_2)
	v_lshlrev_b32_e32 v34, 2, v15
	ds_bpermute_b32 v15, v34, v2
	ds_bpermute_b32 v16, v34, v3
	;; [unrolled: 1-line block ×4, first 2 shown]
	s_and_saveexec_b32 s5, s4
	s_cbranch_execz .LBB186_21
; %bb.20:                               ;   in Loop: Header=BB186_4 Depth=1
	s_wait_dscnt 0x0
	v_add_f64_e32 v[17:18], v[13:14], v[17:18]
	v_add_f64_e32 v[15:16], v[2:3], v[15:16]
	ds_store_b128 v28, v[15:18]
.LBB186_21:                             ;   in Loop: Header=BB186_4 Depth=1
	s_wait_alu 0xfffe
	s_or_b32 exec_lo, exec_lo, s5
	v_mov_b32_e32 v19, 0
	s_wait_dscnt 0x0
	v_dual_mov_b32 v20, 0 :: v_dual_mov_b32 v17, 0
	v_mov_b32_e32 v18, 0
	s_wait_loadcnt 0x0
	s_barrier_signal -1
	s_barrier_wait -1
	global_inv scope:SCOPE_SE
	s_and_saveexec_b32 s5, s3
	s_cbranch_execnz .LBB186_28
; %bb.22:                               ;   in Loop: Header=BB186_4 Depth=1
	s_wait_alu 0xfffe
	s_or_b32 exec_lo, exec_lo, s5
	s_and_saveexec_b32 s5, s3
	s_cbranch_execnz .LBB186_29
.LBB186_23:                             ;   in Loop: Header=BB186_4 Depth=1
	s_wait_alu 0xfffe
	s_or_b32 exec_lo, exec_lo, s5
                                        ; implicit-def: $vgpr15_vgpr16
	s_and_saveexec_b32 s38, s0
	s_cbranch_execnz .LBB186_30
	s_branch .LBB186_33
.LBB186_24:                             ;   in Loop: Header=BB186_4 Depth=1
	v_mad_co_u64_u32 v[2:3], null, s6, s28, v[21:22]
	v_mov_b32_e32 v13, 0
	v_dual_mov_b32 v14, 0 :: v_dual_mov_b32 v15, 0
	s_wait_dscnt 0x0
	v_dual_mov_b32 v16, 0 :: v_dual_mov_b32 v17, v29
	s_mov_b32 s42, 0
	s_delay_alu instid0(VALU_DEP_4)
	v_mad_co_u64_u32 v[3:4], null, s7, s28, v[3:4]
	v_mov_b32_e32 v4, v0
.LBB186_25:                             ;   Parent Loop BB186_4 Depth=1
                                        ; =>  This Inner Loop Header: Depth=2
	s_delay_alu instid0(VALU_DEP_3) | instskip(NEXT) | instid1(VALU_DEP_2)
	v_ashrrev_i32_e32 v18, 31, v17
	v_add_nc_u32_e32 v4, 0x400, v4
	s_delay_alu instid0(VALU_DEP_2) | instskip(NEXT) | instid1(VALU_DEP_2)
	v_lshlrev_b64_e32 v[18:19], 4, v[17:18]
	v_cmp_le_i32_e64 s5, s26, v4
	v_add_nc_u32_e32 v17, s40, v17
	s_wait_alu 0xfffe
	s_or_b32 s42, s5, s42
	v_add_co_u32 v18, vcc_lo, s38, v18
	s_wait_alu 0xfffd
	v_add_co_ci_u32_e64 v19, null, s39, v19, vcc_lo
	global_load_b128 v[31:34], v[2:3], off offset:-8
	global_load_b128 v[35:38], v[18:19], off
	v_add_co_u32 v2, vcc_lo, 0x4000, v2
	s_wait_alu 0xfffd
	v_add_co_ci_u32_e64 v3, null, 0, v3, vcc_lo
	s_wait_loadcnt 0x0
	v_mul_f64_e32 v[18:19], v[33:34], v[37:38]
	v_mul_f64_e32 v[33:34], v[33:34], v[35:36]
	s_delay_alu instid0(VALU_DEP_2) | instskip(NEXT) | instid1(VALU_DEP_2)
	v_fma_f64 v[18:19], v[31:32], v[35:36], v[18:19]
	v_fma_f64 v[31:32], v[31:32], v[37:38], -v[33:34]
	s_delay_alu instid0(VALU_DEP_2) | instskip(NEXT) | instid1(VALU_DEP_2)
	v_add_f64_e32 v[15:16], v[15:16], v[18:19]
	v_add_f64_e32 v[13:14], v[13:14], v[31:32]
	s_wait_alu 0xfffe
	s_and_not1_b32 exec_lo, exec_lo, s42
	s_cbranch_execnz .LBB186_25
; %bb.26:                               ;   in Loop: Header=BB186_4 Depth=1
	s_or_b32 exec_lo, exec_lo, s42
	s_delay_alu instid0(SALU_CYCLE_1)
	s_or_b32 exec_lo, exec_lo, s41
	s_and_saveexec_b32 s5, s2
	s_cbranch_execz .LBB186_17
.LBB186_27:                             ;   in Loop: Header=BB186_4 Depth=1
	s_mul_u64 s[42:43], s[24:25], s[28:29]
	s_wait_alu 0xfffe
	s_lshl_b64 s[42:43], s[42:43], 4
	s_wait_alu 0xfffe
	v_add_co_u32 v4, vcc_lo, v25, s42
	s_wait_dscnt 0x0
	s_wait_alu 0xfffd
	v_add_co_ci_u32_e64 v17, null, s43, v26, vcc_lo
	v_add_co_u32 v2, vcc_lo, s38, v23
	s_wait_alu 0xfffd
	v_add_co_ci_u32_e64 v3, null, s39, v24, vcc_lo
	v_add_co_u32 v31, vcc_lo, v4, s34
	s_wait_alu 0xfffd
	v_add_co_ci_u32_e64 v32, null, s35, v17, vcc_lo
	global_load_b128 v[17:20], v[2:3], off
	global_load_b128 v[31:34], v[31:32], off
	s_wait_loadcnt 0x0
	v_mul_f64_e32 v[2:3], v[33:34], v[19:20]
	v_mul_f64_e32 v[33:34], v[33:34], v[17:18]
	s_delay_alu instid0(VALU_DEP_2) | instskip(NEXT) | instid1(VALU_DEP_2)
	v_fma_f64 v[2:3], v[31:32], v[17:18], v[2:3]
	v_fma_f64 v[17:18], v[31:32], v[19:20], -v[33:34]
	s_delay_alu instid0(VALU_DEP_2) | instskip(NEXT) | instid1(VALU_DEP_2)
	v_add_f64_e32 v[15:16], v[15:16], v[2:3]
	v_add_f64_e32 v[13:14], v[13:14], v[17:18]
	s_or_b32 exec_lo, exec_lo, s5
	s_and_saveexec_b32 s5, s3
	s_cbranch_execnz .LBB186_18
	s_branch .LBB186_19
.LBB186_28:                             ;   in Loop: Header=BB186_4 Depth=1
	ds_load_b128 v[17:20], v27
	s_wait_alu 0xfffe
	s_or_b32 exec_lo, exec_lo, s5
	s_and_saveexec_b32 s5, s3
	s_cbranch_execz .LBB186_23
.LBB186_29:                             ;   in Loop: Header=BB186_4 Depth=1
	s_wait_dscnt 0x0
	ds_bpermute_b32 v2, v4, v17
	ds_bpermute_b32 v3, v4, v18
	ds_bpermute_b32 v13, v4, v19
	ds_bpermute_b32 v14, v4, v20
	s_wait_dscnt 0x2
	v_add_f64_e32 v[2:3], v[17:18], v[2:3]
	s_wait_dscnt 0x0
	v_add_f64_e32 v[13:14], v[19:20], v[13:14]
	ds_bpermute_b32 v15, v31, v2
	ds_bpermute_b32 v16, v31, v3
	ds_bpermute_b32 v17, v31, v13
	ds_bpermute_b32 v18, v31, v14
	s_wait_dscnt 0x2
	v_add_f64_e32 v[2:3], v[2:3], v[15:16]
	s_wait_dscnt 0x0
	v_add_f64_e32 v[13:14], v[13:14], v[17:18]
	;; [unrolled: 8-line block ×5, first 2 shown]
	s_wait_alu 0xfffe
	s_or_b32 exec_lo, exec_lo, s5
                                        ; implicit-def: $vgpr15_vgpr16
	s_and_saveexec_b32 s38, s0
	s_cbranch_execz .LBB186_33
.LBB186_30:                             ;   in Loop: Header=BB186_4 Depth=1
	s_wait_dscnt 0x0
	s_delay_alu instid0(VALU_DEP_1) | instskip(SKIP_3) | instid1(VALU_DEP_4)
	v_mul_f64_e32 v[2:3], v[11:12], v[19:20]
	v_mul_f64_e32 v[15:16], v[9:10], v[19:20]
	v_cmp_neq_f64_e32 vcc_lo, 0, v[5:6]
	v_cmp_neq_f64_e64 s5, 0, v[7:8]
	v_fma_f64 v[13:14], v[9:10], v[17:18], -v[2:3]
	s_delay_alu instid0(VALU_DEP_4)
	v_fma_f64 v[15:16], v[11:12], v[17:18], v[15:16]
	s_or_b32 s5, vcc_lo, s5
	s_wait_alu 0xfffe
	s_and_not1_b32 vcc_lo, exec_lo, s5
	s_wait_alu 0xfffe
	s_cbranch_vccnz .LBB186_32
; %bb.31:                               ;   in Loop: Header=BB186_4 Depth=1
	s_add_nc_u64 s[42:43], s[36:37], s[12:13]
	global_load_b128 v[9:12], v1, s[42:43]
	s_wait_loadcnt 0x0
	v_mul_f64_e32 v[2:3], v[7:8], v[11:12]
	v_mul_f64_e32 v[11:12], v[5:6], v[11:12]
	s_delay_alu instid0(VALU_DEP_2) | instskip(NEXT) | instid1(VALU_DEP_2)
	v_fma_f64 v[2:3], v[5:6], v[9:10], -v[2:3]
	v_fma_f64 v[4:5], v[7:8], v[9:10], v[11:12]
	s_delay_alu instid0(VALU_DEP_2) | instskip(NEXT) | instid1(VALU_DEP_2)
	v_add_f64_e32 v[13:14], v[13:14], v[2:3]
	v_add_f64_e32 v[15:16], v[15:16], v[4:5]
.LBB186_32:                             ;   in Loop: Header=BB186_4 Depth=1
	s_or_b32 s27, s27, exec_lo
.LBB186_33:                             ;   in Loop: Header=BB186_4 Depth=1
	s_wait_alu 0xfffe
	s_or_b32 exec_lo, exec_lo, s38
.LBB186_34:                             ;   in Loop: Header=BB186_4 Depth=1
	s_wait_alu 0xfffe
	s_and_saveexec_b32 s5, s27
	s_cbranch_execz .LBB186_2
; %bb.35:                               ;   in Loop: Header=BB186_4 Depth=1
	s_add_nc_u64 s[36:37], s[36:37], s[12:13]
	global_store_b128 v1, v[13:16], s[36:37]
	s_branch .LBB186_2
.LBB186_36:
	s_endpgm
	.section	.rodata,"a",@progbits
	.p2align	6, 0x0
	.amdhsa_kernel _ZL32rocblas_gemvt_warp_reduce_kernelILb1ELi1024Ei19rocblas_complex_numIdEPKS1_S1_EviiT3_lPKT2_lT1_lS7_lS8_lS4_lPT4_lS8_li
		.amdhsa_group_segment_fixed_size 512
		.amdhsa_private_segment_fixed_size 0
		.amdhsa_kernarg_size 140
		.amdhsa_user_sgpr_count 2
		.amdhsa_user_sgpr_dispatch_ptr 0
		.amdhsa_user_sgpr_queue_ptr 0
		.amdhsa_user_sgpr_kernarg_segment_ptr 1
		.amdhsa_user_sgpr_dispatch_id 0
		.amdhsa_user_sgpr_private_segment_size 0
		.amdhsa_wavefront_size32 1
		.amdhsa_uses_dynamic_stack 0
		.amdhsa_enable_private_segment 0
		.amdhsa_system_sgpr_workgroup_id_x 1
		.amdhsa_system_sgpr_workgroup_id_y 0
		.amdhsa_system_sgpr_workgroup_id_z 1
		.amdhsa_system_sgpr_workgroup_info 0
		.amdhsa_system_vgpr_workitem_id 0
		.amdhsa_next_free_vgpr 39
		.amdhsa_next_free_sgpr 44
		.amdhsa_reserve_vcc 1
		.amdhsa_float_round_mode_32 0
		.amdhsa_float_round_mode_16_64 0
		.amdhsa_float_denorm_mode_32 3
		.amdhsa_float_denorm_mode_16_64 3
		.amdhsa_fp16_overflow 0
		.amdhsa_workgroup_processor_mode 1
		.amdhsa_memory_ordered 1
		.amdhsa_forward_progress 1
		.amdhsa_inst_pref_size 18
		.amdhsa_round_robin_scheduling 0
		.amdhsa_exception_fp_ieee_invalid_op 0
		.amdhsa_exception_fp_denorm_src 0
		.amdhsa_exception_fp_ieee_div_zero 0
		.amdhsa_exception_fp_ieee_overflow 0
		.amdhsa_exception_fp_ieee_underflow 0
		.amdhsa_exception_fp_ieee_inexact 0
		.amdhsa_exception_int_div_zero 0
	.end_amdhsa_kernel
	.section	.text._ZL32rocblas_gemvt_warp_reduce_kernelILb1ELi1024Ei19rocblas_complex_numIdEPKS1_S1_EviiT3_lPKT2_lT1_lS7_lS8_lS4_lPT4_lS8_li,"axG",@progbits,_ZL32rocblas_gemvt_warp_reduce_kernelILb1ELi1024Ei19rocblas_complex_numIdEPKS1_S1_EviiT3_lPKT2_lT1_lS7_lS8_lS4_lPT4_lS8_li,comdat
.Lfunc_end186:
	.size	_ZL32rocblas_gemvt_warp_reduce_kernelILb1ELi1024Ei19rocblas_complex_numIdEPKS1_S1_EviiT3_lPKT2_lT1_lS7_lS8_lS4_lPT4_lS8_li, .Lfunc_end186-_ZL32rocblas_gemvt_warp_reduce_kernelILb1ELi1024Ei19rocblas_complex_numIdEPKS1_S1_EviiT3_lPKT2_lT1_lS7_lS8_lS4_lPT4_lS8_li
                                        ; -- End function
	.set _ZL32rocblas_gemvt_warp_reduce_kernelILb1ELi1024Ei19rocblas_complex_numIdEPKS1_S1_EviiT3_lPKT2_lT1_lS7_lS8_lS4_lPT4_lS8_li.num_vgpr, 39
	.set _ZL32rocblas_gemvt_warp_reduce_kernelILb1ELi1024Ei19rocblas_complex_numIdEPKS1_S1_EviiT3_lPKT2_lT1_lS7_lS8_lS4_lPT4_lS8_li.num_agpr, 0
	.set _ZL32rocblas_gemvt_warp_reduce_kernelILb1ELi1024Ei19rocblas_complex_numIdEPKS1_S1_EviiT3_lPKT2_lT1_lS7_lS8_lS4_lPT4_lS8_li.numbered_sgpr, 44
	.set _ZL32rocblas_gemvt_warp_reduce_kernelILb1ELi1024Ei19rocblas_complex_numIdEPKS1_S1_EviiT3_lPKT2_lT1_lS7_lS8_lS4_lPT4_lS8_li.num_named_barrier, 0
	.set _ZL32rocblas_gemvt_warp_reduce_kernelILb1ELi1024Ei19rocblas_complex_numIdEPKS1_S1_EviiT3_lPKT2_lT1_lS7_lS8_lS4_lPT4_lS8_li.private_seg_size, 0
	.set _ZL32rocblas_gemvt_warp_reduce_kernelILb1ELi1024Ei19rocblas_complex_numIdEPKS1_S1_EviiT3_lPKT2_lT1_lS7_lS8_lS4_lPT4_lS8_li.uses_vcc, 1
	.set _ZL32rocblas_gemvt_warp_reduce_kernelILb1ELi1024Ei19rocblas_complex_numIdEPKS1_S1_EviiT3_lPKT2_lT1_lS7_lS8_lS4_lPT4_lS8_li.uses_flat_scratch, 0
	.set _ZL32rocblas_gemvt_warp_reduce_kernelILb1ELi1024Ei19rocblas_complex_numIdEPKS1_S1_EviiT3_lPKT2_lT1_lS7_lS8_lS4_lPT4_lS8_li.has_dyn_sized_stack, 0
	.set _ZL32rocblas_gemvt_warp_reduce_kernelILb1ELi1024Ei19rocblas_complex_numIdEPKS1_S1_EviiT3_lPKT2_lT1_lS7_lS8_lS4_lPT4_lS8_li.has_recursion, 0
	.set _ZL32rocblas_gemvt_warp_reduce_kernelILb1ELi1024Ei19rocblas_complex_numIdEPKS1_S1_EviiT3_lPKT2_lT1_lS7_lS8_lS4_lPT4_lS8_li.has_indirect_call, 0
	.section	.AMDGPU.csdata,"",@progbits
; Kernel info:
; codeLenInByte = 2232
; TotalNumSgprs: 46
; NumVgprs: 39
; ScratchSize: 0
; MemoryBound: 0
; FloatMode: 240
; IeeeMode: 1
; LDSByteSize: 512 bytes/workgroup (compile time only)
; SGPRBlocks: 0
; VGPRBlocks: 4
; NumSGPRsForWavesPerEU: 46
; NumVGPRsForWavesPerEU: 39
; Occupancy: 16
; WaveLimiterHint : 0
; COMPUTE_PGM_RSRC2:SCRATCH_EN: 0
; COMPUTE_PGM_RSRC2:USER_SGPR: 2
; COMPUTE_PGM_RSRC2:TRAP_HANDLER: 0
; COMPUTE_PGM_RSRC2:TGID_X_EN: 1
; COMPUTE_PGM_RSRC2:TGID_Y_EN: 0
; COMPUTE_PGM_RSRC2:TGID_Z_EN: 1
; COMPUTE_PGM_RSRC2:TIDIG_COMP_CNT: 0
	.section	.text._ZL32rocblas_gemvt_warp_reduce_kernelILb1ELi1024El19rocblas_complex_numIdEPKS1_S1_EviiT3_lPKT2_lT1_lS7_lS8_lS4_lPT4_lS8_li,"axG",@progbits,_ZL32rocblas_gemvt_warp_reduce_kernelILb1ELi1024El19rocblas_complex_numIdEPKS1_S1_EviiT3_lPKT2_lT1_lS7_lS8_lS4_lPT4_lS8_li,comdat
	.globl	_ZL32rocblas_gemvt_warp_reduce_kernelILb1ELi1024El19rocblas_complex_numIdEPKS1_S1_EviiT3_lPKT2_lT1_lS7_lS8_lS4_lPT4_lS8_li ; -- Begin function _ZL32rocblas_gemvt_warp_reduce_kernelILb1ELi1024El19rocblas_complex_numIdEPKS1_S1_EviiT3_lPKT2_lT1_lS7_lS8_lS4_lPT4_lS8_li
	.p2align	8
	.type	_ZL32rocblas_gemvt_warp_reduce_kernelILb1ELi1024El19rocblas_complex_numIdEPKS1_S1_EviiT3_lPKT2_lT1_lS7_lS8_lS4_lPT4_lS8_li,@function
_ZL32rocblas_gemvt_warp_reduce_kernelILb1ELi1024El19rocblas_complex_numIdEPKS1_S1_EviiT3_lPKT2_lT1_lS7_lS8_lS4_lPT4_lS8_li: ; @_ZL32rocblas_gemvt_warp_reduce_kernelILb1ELi1024El19rocblas_complex_numIdEPKS1_S1_EviiT3_lPKT2_lT1_lS7_lS8_lS4_lPT4_lS8_li
; %bb.0:
	s_load_b32 s33, s[0:1], 0x88
	s_lshr_b32 s6, ttmp7, 16
	s_wait_kmcnt 0x0
	s_cmp_ge_u32 s6, s33
	s_cbranch_scc1 .LBB187_36
; %bb.1:
	s_clause 0x2
	s_load_b512 s[8:23], s[0:1], 0x8
	s_load_b512 s[36:51], s[0:1], 0x48
	s_load_b32 s28, s[0:1], 0x0
	s_mov_b32 s2, ttmp9
	s_ashr_i32 s3, ttmp9, 31
	v_cmp_eq_u32_e64 s0, 0, v0
	v_mbcnt_lo_u32_b32 v31, -1, 0
	s_mov_b32 s7, 0
	s_wait_kmcnt 0x0
	s_lshl_b64 s[4:5], s[22:23], 4
	v_mad_co_u64_u32 v[2:3], null, s36, v0, 0
	v_cmp_gt_i32_e32 vcc_lo, s28, v0
	v_mov_b32_e32 v1, 0
	s_ashr_i32 s1, s28, 31
	s_lshl_b64 s[24:25], s[14:15], 4
	s_lshr_b32 s1, s1, 22
	v_cndmask_b32_e32 v4, 0, v0, vcc_lo
	s_add_co_i32 s1, s28, s1
	s_add_nc_u64 s[14:15], s[20:21], s[4:5]
	s_add_nc_u64 s[4:5], s[12:13], s[24:25]
	s_and_b32 s20, s1, 0xfffffc00
	v_lshlrev_b32_e32 v6, 4, v4
	v_mad_co_u64_u32 v[3:4], null, s37, v0, v[3:4]
	v_or_b32_e32 v7, s20, v0
	s_lshl_b64 s[22:23], s[46:47], 4
	s_delay_alu instid0(VALU_DEP_3)
	v_add_co_u32 v8, s1, s4, v6
	s_mul_u64 s[26:27], s[48:49], s[2:3]
	s_mul_u64 s[2:3], s[16:17], s[2:3]
	v_lshlrev_b64_e32 v[2:3], 4, v[2:3]
	v_add_co_ci_u32_e64 v9, null, s5, 0, s1
	s_add_nc_u64 s[16:17], s[44:45], s[22:23]
	s_lshl_b64 s[22:23], s[2:3], 4
	v_mul_lo_u32 v10, s37, v7
	v_mad_co_u64_u32 v[4:5], null, s36, v7, 0
	v_add_co_u32 v27, vcc_lo, v8, s22
	s_wait_alu 0xfffd
	v_add_co_ci_u32_e64 v28, null, s23, v9, vcc_lo
	v_add_co_u32 v2, vcc_lo, s14, v2
	s_add_nc_u64 s[24:25], s[22:23], s[24:25]
	s_ashr_i32 s21, s20, 31
	s_wait_alu 0xfffd
	v_add_co_ci_u32_e64 v3, null, s15, v3, vcc_lo
	s_add_nc_u64 s[12:13], s[12:13], s[24:25]
	s_wait_alu 0xfffe
	s_mul_i32 s3, s36, s21
	v_add_co_u32 v21, vcc_lo, v2, 8
	v_add_co_u32 v2, s5, s12, v6
	v_add3_u32 v5, v5, s3, v10
	v_and_b32_e32 v8, 31, v0
	v_cmp_gt_i32_e64 s2, s28, v7
	v_lshrrev_b32_e32 v7, 1, v0
	s_wait_alu 0xfffd
	v_add_co_ci_u32_e64 v22, null, 0, v3, vcc_lo
	s_wait_alu 0xf1ff
	v_add_co_ci_u32_e64 v3, null, s13, 0, s5
	v_add_co_u32 v23, vcc_lo, v2, 8
	v_lshlrev_b64_e32 v[25:26], 4, v[4:5]
	v_cmp_gt_i32_e64 s1, s20, v0
	v_cmp_gt_u32_e64 s3, 32, v0
	v_lshlrev_b32_e32 v29, 4, v8
	v_cmp_eq_u32_e64 s4, 0, v8
	v_and_b32_e32 v30, 0x1f0, v7
	s_wait_alu 0xfffd
	v_add_co_ci_u32_e64 v24, null, 0, v3, vcc_lo
	s_lshl_b64 s[22:23], s[38:39], 4
	s_lshl_b64 s[12:13], s[36:37], 14
	;; [unrolled: 1-line block ×5, first 2 shown]
	s_branch .LBB187_4
.LBB187_2:                              ;   in Loop: Header=BB187_4 Depth=1
	s_wait_alu 0xfffe
	s_or_b32 exec_lo, exec_lo, s5
.LBB187_3:                              ;   in Loop: Header=BB187_4 Depth=1
	s_add_co_i32 s6, s6, 0x10000
	s_wait_alu 0xfffe
	s_cmp_lt_u32 s6, s33
	s_cbranch_scc0 .LBB187_36
.LBB187_4:                              ; =>This Loop Header: Depth=1
                                        ;     Child Loop BB187_25 Depth 2
	s_mul_u64 s[30:31], s[10:11], s[6:7]
	s_delay_alu instid0(SALU_CYCLE_1) | instskip(NEXT) | instid1(SALU_CYCLE_1)
	s_lshl_b64 s[30:31], s[30:31], 4
	s_add_nc_u64 s[30:31], s[8:9], s[30:31]
	global_load_b128 v[9:12], v1, s[30:31]
	s_mul_u64 s[30:31], s[42:43], s[6:7]
	s_delay_alu instid0(SALU_CYCLE_1) | instskip(NEXT) | instid1(SALU_CYCLE_1)
	s_lshl_b64 s[30:31], s[30:31], 4
	s_add_nc_u64 s[30:31], s[40:41], s[30:31]
	s_wait_loadcnt 0x1
	global_load_b128 v[5:8], v1, s[30:31]
	s_wait_loadcnt 0x1
	v_cmp_neq_f64_e32 vcc_lo, 0, v[9:10]
	v_cmp_neq_f64_e64 s5, 0, v[11:12]
	s_or_b32 s21, vcc_lo, s5
	s_mov_b32 s5, -1
	s_wait_alu 0xfffe
	s_and_b32 vcc_lo, exec_lo, s21
	s_wait_alu 0xfffe
	s_cbranch_vccz .LBB187_6
; %bb.5:                                ;   in Loop: Header=BB187_4 Depth=1
	s_and_not1_b32 vcc_lo, exec_lo, s5
	s_wait_alu 0xfffe
	s_cbranch_vccnz .LBB187_3
	s_branch .LBB187_7
.LBB187_6:                              ;   in Loop: Header=BB187_4 Depth=1
	s_wait_loadcnt 0x0
	v_cmp_neq_f64_e32 vcc_lo, 1.0, v[5:6]
	v_cmp_neq_f64_e64 s5, 0, v[7:8]
	s_or_b32 s5, vcc_lo, s5
	s_wait_alu 0xfffe
	s_and_not1_b32 vcc_lo, exec_lo, s5
	s_wait_alu 0xfffe
	s_cbranch_vccnz .LBB187_3
.LBB187_7:                              ;   in Loop: Header=BB187_4 Depth=1
	s_mul_u64 s[30:31], s[50:51], s[6:7]
	s_xor_b32 s5, s21, -1
	s_lshl_b64 s[30:31], s[30:31], 4
	s_wait_alu 0xfffe
	s_and_not1_b32 vcc_lo, exec_lo, s5
	s_add_nc_u64 s[30:31], s[16:17], s[30:31]
	s_wait_alu 0xfffe
	s_cbranch_vccnz .LBB187_11
; %bb.8:                                ;   in Loop: Header=BB187_4 Depth=1
	s_mov_b32 s34, 0
	s_mov_b32 s21, 0
                                        ; implicit-def: $vgpr15_vgpr16
	s_and_saveexec_b32 s35, s0
	s_cbranch_execz .LBB187_12
; %bb.9:                                ;   in Loop: Header=BB187_4 Depth=1
	s_wait_loadcnt 0x0
	v_cmp_neq_f64_e32 vcc_lo, 0, v[5:6]
	v_cmp_neq_f64_e64 s5, 0, v[7:8]
	s_or_b32 s5, vcc_lo, s5
	s_wait_alu 0xfffe
	s_and_not1_b32 vcc_lo, exec_lo, s5
	s_wait_alu 0xfffe
	s_cbranch_vccnz .LBB187_13
; %bb.10:                               ;   in Loop: Header=BB187_4 Depth=1
	s_add_nc_u64 s[36:37], s[30:31], s[26:27]
	s_wait_dscnt 0x0
	global_load_b128 v[15:18], v1, s[36:37]
	s_wait_loadcnt 0x0
	v_mul_f64_e32 v[2:3], v[7:8], v[17:18]
	v_mul_f64_e32 v[17:18], v[5:6], v[17:18]
	s_delay_alu instid0(VALU_DEP_2) | instskip(NEXT) | instid1(VALU_DEP_2)
	v_fma_f64 v[13:14], v[5:6], v[15:16], -v[2:3]
	v_fma_f64 v[15:16], v[7:8], v[15:16], v[17:18]
	s_branch .LBB187_14
.LBB187_11:                             ;   in Loop: Header=BB187_4 Depth=1
	s_mov_b32 s21, 0
                                        ; implicit-def: $vgpr15_vgpr16
	s_cbranch_execnz .LBB187_15
	s_branch .LBB187_34
.LBB187_12:                             ;   in Loop: Header=BB187_4 Depth=1
	s_wait_alu 0xfffe
	s_or_b32 exec_lo, exec_lo, s35
	s_delay_alu instid0(SALU_CYCLE_1)
	s_and_b32 vcc_lo, exec_lo, s34
	s_wait_alu 0xfffe
	s_cbranch_vccnz .LBB187_15
	s_branch .LBB187_34
.LBB187_13:                             ;   in Loop: Header=BB187_4 Depth=1
	v_mov_b32_e32 v15, 0
	v_dual_mov_b32 v16, 0 :: v_dual_mov_b32 v13, 0
	v_mov_b32_e32 v14, 0
.LBB187_14:                             ;   in Loop: Header=BB187_4 Depth=1
	s_mov_b32 s21, exec_lo
	s_or_b32 exec_lo, exec_lo, s35
	s_delay_alu instid0(SALU_CYCLE_1)
	s_and_b32 vcc_lo, exec_lo, s34
	s_wait_alu 0xfffe
	s_cbranch_vccz .LBB187_34
.LBB187_15:                             ;   in Loop: Header=BB187_4 Depth=1
	v_mov_b32_e32 v13, 0
	v_dual_mov_b32 v14, 0 :: v_dual_mov_b32 v15, 0
	v_mov_b32_e32 v16, 0
	s_and_saveexec_b32 s34, s1
	s_cbranch_execnz .LBB187_24
; %bb.16:                               ;   in Loop: Header=BB187_4 Depth=1
	s_wait_alu 0xfffe
	s_or_b32 exec_lo, exec_lo, s34
	s_and_saveexec_b32 s5, s2
	s_cbranch_execnz .LBB187_27
.LBB187_17:                             ;   in Loop: Header=BB187_4 Depth=1
	s_wait_alu 0xfffe
	s_or_b32 exec_lo, exec_lo, s5
	s_and_saveexec_b32 s5, s3
.LBB187_18:                             ;   in Loop: Header=BB187_4 Depth=1
	v_dual_mov_b32 v2, v1 :: v_dual_mov_b32 v3, v1
	v_mov_b32_e32 v4, v1
	ds_store_b128 v29, v[1:4]
.LBB187_19:                             ;   in Loop: Header=BB187_4 Depth=1
	s_wait_alu 0xfffe
	s_or_b32 exec_lo, exec_lo, s5
	v_lshl_or_b32 v4, v31, 2, 64
	v_cmp_gt_u32_e32 vcc_lo, 24, v31
	s_wait_loadcnt_dscnt 0x0
	s_barrier_signal -1
	s_barrier_wait -1
	ds_bpermute_b32 v2, v4, v15
	ds_bpermute_b32 v3, v4, v16
	;; [unrolled: 1-line block ×4, first 2 shown]
	s_wait_dscnt 0x0
	global_inv scope:SCOPE_SE
	v_add_f64_e32 v[2:3], v[15:16], v[2:3]
	s_wait_alu 0xfffd
	v_cndmask_b32_e64 v15, 0, 8, vcc_lo
	v_add_f64_e32 v[13:14], v[13:14], v[17:18]
	v_cmp_gt_u32_e32 vcc_lo, 28, v31
	s_delay_alu instid0(VALU_DEP_3)
	v_add_lshl_u32 v32, v15, v31, 2
	ds_bpermute_b32 v15, v32, v2
	ds_bpermute_b32 v16, v32, v3
	;; [unrolled: 1-line block ×4, first 2 shown]
	s_wait_dscnt 0x2
	v_add_f64_e32 v[2:3], v[2:3], v[15:16]
	s_wait_alu 0xfffd
	v_cndmask_b32_e64 v15, 0, 4, vcc_lo
	s_wait_dscnt 0x0
	v_add_f64_e32 v[13:14], v[13:14], v[17:18]
	v_cmp_gt_u32_e32 vcc_lo, 30, v31
	s_delay_alu instid0(VALU_DEP_3)
	v_add_lshl_u32 v33, v15, v31, 2
	ds_bpermute_b32 v15, v33, v2
	ds_bpermute_b32 v16, v33, v3
	ds_bpermute_b32 v17, v33, v13
	ds_bpermute_b32 v18, v33, v14
	s_wait_dscnt 0x2
	v_add_f64_e32 v[2:3], v[2:3], v[15:16]
	s_wait_alu 0xfffd
	v_cndmask_b32_e64 v15, 0, 2, vcc_lo
	s_wait_dscnt 0x0
	v_add_f64_e32 v[13:14], v[13:14], v[17:18]
	v_cmp_ne_u32_e32 vcc_lo, 31, v31
	s_delay_alu instid0(VALU_DEP_3)
	v_add_lshl_u32 v34, v15, v31, 2
	ds_bpermute_b32 v15, v34, v2
	ds_bpermute_b32 v16, v34, v3
	;; [unrolled: 1-line block ×4, first 2 shown]
	s_wait_dscnt 0x2
	v_add_f64_e32 v[2:3], v[2:3], v[15:16]
	s_wait_alu 0xfffd
	v_add_co_ci_u32_e64 v15, null, 0, v31, vcc_lo
	s_wait_dscnt 0x0
	v_add_f64_e32 v[13:14], v[13:14], v[17:18]
	s_delay_alu instid0(VALU_DEP_2)
	v_lshlrev_b32_e32 v35, 2, v15
	ds_bpermute_b32 v15, v35, v2
	ds_bpermute_b32 v16, v35, v3
	;; [unrolled: 1-line block ×4, first 2 shown]
	s_and_saveexec_b32 s5, s4
	s_cbranch_execz .LBB187_21
; %bb.20:                               ;   in Loop: Header=BB187_4 Depth=1
	s_wait_dscnt 0x0
	v_add_f64_e32 v[17:18], v[13:14], v[17:18]
	v_add_f64_e32 v[15:16], v[2:3], v[15:16]
	ds_store_b128 v30, v[15:18]
.LBB187_21:                             ;   in Loop: Header=BB187_4 Depth=1
	s_wait_alu 0xfffe
	s_or_b32 exec_lo, exec_lo, s5
	v_mov_b32_e32 v19, 0
	s_wait_dscnt 0x0
	v_dual_mov_b32 v20, 0 :: v_dual_mov_b32 v17, 0
	v_mov_b32_e32 v18, 0
	s_wait_loadcnt 0x0
	s_barrier_signal -1
	s_barrier_wait -1
	global_inv scope:SCOPE_SE
	s_and_saveexec_b32 s5, s3
	s_cbranch_execnz .LBB187_28
; %bb.22:                               ;   in Loop: Header=BB187_4 Depth=1
	s_wait_alu 0xfffe
	s_or_b32 exec_lo, exec_lo, s5
	s_and_saveexec_b32 s5, s3
	s_cbranch_execnz .LBB187_29
.LBB187_23:                             ;   in Loop: Header=BB187_4 Depth=1
	s_wait_alu 0xfffe
	s_or_b32 exec_lo, exec_lo, s5
                                        ; implicit-def: $vgpr15_vgpr16
	s_and_saveexec_b32 s34, s0
	s_cbranch_execnz .LBB187_30
	s_branch .LBB187_33
.LBB187_24:                             ;   in Loop: Header=BB187_4 Depth=1
	s_wait_dscnt 0x0
	v_mad_co_u64_u32 v[17:18], null, s24, s6, v[23:24]
	v_mad_co_u64_u32 v[2:3], null, s22, s6, v[21:22]
	s_mov_b32 s35, 0
	v_mov_b32_e32 v13, 0
	v_dual_mov_b32 v14, 0 :: v_dual_mov_b32 v15, 0
	v_mov_b32_e32 v4, v18
	s_delay_alu instid0(VALU_DEP_1) | instskip(SKIP_3) | instid1(VALU_DEP_3)
	v_mad_co_u64_u32 v[18:19], null, s23, s6, v[3:4]
	s_wait_loadcnt 0x0
	v_mad_co_u64_u32 v[19:20], null, s25, s6, v[4:5]
	v_mov_b32_e32 v16, 0
	v_dual_mov_b32 v4, v0 :: v_dual_mov_b32 v3, v18
	s_delay_alu instid0(VALU_DEP_3)
	v_mov_b32_e32 v18, v19
.LBB187_25:                             ;   Parent Loop BB187_4 Depth=1
                                        ; =>  This Inner Loop Header: Depth=2
	global_load_b128 v[32:35], v[17:18], off offset:-8
	global_load_b128 v[36:39], v[2:3], off offset:-8
	v_add_nc_u32_e32 v4, 0x400, v4
	v_add_co_u32 v2, vcc_lo, v2, s12
	s_wait_alu 0xfffd
	v_add_co_ci_u32_e64 v3, null, s13, v3, vcc_lo
	s_delay_alu instid0(VALU_DEP_3)
	v_cmp_le_i32_e32 vcc_lo, s20, v4
	v_add_co_u32 v17, s5, 0x4000, v17
	s_wait_alu 0xf1ff
	v_add_co_ci_u32_e64 v18, null, 0, v18, s5
	s_wait_alu 0xfffe
	s_or_b32 s35, vcc_lo, s35
	s_wait_loadcnt 0x0
	v_mul_f64_e32 v[19:20], v[34:35], v[38:39]
	v_mul_f64_e32 v[34:35], v[34:35], v[36:37]
	s_delay_alu instid0(VALU_DEP_2) | instskip(NEXT) | instid1(VALU_DEP_2)
	v_fma_f64 v[19:20], v[32:33], v[36:37], v[19:20]
	v_fma_f64 v[32:33], v[32:33], v[38:39], -v[34:35]
	s_delay_alu instid0(VALU_DEP_2) | instskip(NEXT) | instid1(VALU_DEP_2)
	v_add_f64_e32 v[15:16], v[15:16], v[19:20]
	v_add_f64_e32 v[13:14], v[13:14], v[32:33]
	s_wait_alu 0xfffe
	s_and_not1_b32 exec_lo, exec_lo, s35
	s_cbranch_execnz .LBB187_25
; %bb.26:                               ;   in Loop: Header=BB187_4 Depth=1
	s_or_b32 exec_lo, exec_lo, s35
	s_delay_alu instid0(SALU_CYCLE_1)
	s_or_b32 exec_lo, exec_lo, s34
	s_and_saveexec_b32 s5, s2
	s_cbranch_execz .LBB187_17
.LBB187_27:                             ;   in Loop: Header=BB187_4 Depth=1
	s_mul_u64 s[34:35], s[18:19], s[6:7]
	s_mul_u64 s[36:37], s[38:39], s[6:7]
	s_wait_alu 0xfffe
	s_lshl_b64 s[34:35], s[34:35], 4
	s_lshl_b64 s[36:37], s[36:37], 4
	s_wait_alu 0xfffe
	v_add_co_u32 v4, vcc_lo, v27, s34
	s_wait_dscnt 0x0
	s_wait_alu 0xfffd
	v_add_co_ci_u32_e64 v17, null, s35, v28, vcc_lo
	s_add_nc_u64 s[34:35], s[14:15], s[36:37]
	s_wait_alu 0xfffe
	v_add_co_u32 v2, vcc_lo, s34, v25
	s_wait_alu 0xfffd
	v_add_co_ci_u32_e64 v3, null, s35, v26, vcc_lo
	v_add_co_u32 v32, vcc_lo, v4, s28
	s_wait_alu 0xfffd
	v_add_co_ci_u32_e64 v33, null, s29, v17, vcc_lo
	global_load_b128 v[17:20], v[2:3], off
	global_load_b128 v[32:35], v[32:33], off
	s_wait_loadcnt 0x0
	v_mul_f64_e32 v[2:3], v[34:35], v[19:20]
	v_mul_f64_e32 v[34:35], v[34:35], v[17:18]
	s_delay_alu instid0(VALU_DEP_2) | instskip(NEXT) | instid1(VALU_DEP_2)
	v_fma_f64 v[2:3], v[32:33], v[17:18], v[2:3]
	v_fma_f64 v[17:18], v[32:33], v[19:20], -v[34:35]
	s_delay_alu instid0(VALU_DEP_2) | instskip(NEXT) | instid1(VALU_DEP_2)
	v_add_f64_e32 v[15:16], v[15:16], v[2:3]
	v_add_f64_e32 v[13:14], v[13:14], v[17:18]
	s_or_b32 exec_lo, exec_lo, s5
	s_and_saveexec_b32 s5, s3
	s_cbranch_execnz .LBB187_18
	s_branch .LBB187_19
.LBB187_28:                             ;   in Loop: Header=BB187_4 Depth=1
	ds_load_b128 v[17:20], v29
	s_wait_alu 0xfffe
	s_or_b32 exec_lo, exec_lo, s5
	s_and_saveexec_b32 s5, s3
	s_cbranch_execz .LBB187_23
.LBB187_29:                             ;   in Loop: Header=BB187_4 Depth=1
	s_wait_dscnt 0x0
	ds_bpermute_b32 v2, v4, v17
	ds_bpermute_b32 v3, v4, v18
	ds_bpermute_b32 v13, v4, v19
	ds_bpermute_b32 v14, v4, v20
	s_wait_dscnt 0x2
	v_add_f64_e32 v[2:3], v[17:18], v[2:3]
	s_wait_dscnt 0x0
	v_add_f64_e32 v[13:14], v[19:20], v[13:14]
	ds_bpermute_b32 v15, v32, v2
	ds_bpermute_b32 v16, v32, v3
	ds_bpermute_b32 v17, v32, v13
	ds_bpermute_b32 v18, v32, v14
	s_wait_dscnt 0x2
	v_add_f64_e32 v[2:3], v[2:3], v[15:16]
	s_wait_dscnt 0x0
	v_add_f64_e32 v[13:14], v[13:14], v[17:18]
	;; [unrolled: 8-line block ×5, first 2 shown]
	s_wait_alu 0xfffe
	s_or_b32 exec_lo, exec_lo, s5
                                        ; implicit-def: $vgpr15_vgpr16
	s_and_saveexec_b32 s34, s0
	s_cbranch_execz .LBB187_33
.LBB187_30:                             ;   in Loop: Header=BB187_4 Depth=1
	s_wait_dscnt 0x0
	s_delay_alu instid0(VALU_DEP_1) | instskip(SKIP_3) | instid1(VALU_DEP_4)
	v_mul_f64_e32 v[2:3], v[11:12], v[19:20]
	v_mul_f64_e32 v[15:16], v[9:10], v[19:20]
	v_cmp_neq_f64_e32 vcc_lo, 0, v[5:6]
	v_cmp_neq_f64_e64 s5, 0, v[7:8]
	v_fma_f64 v[13:14], v[9:10], v[17:18], -v[2:3]
	s_delay_alu instid0(VALU_DEP_4)
	v_fma_f64 v[15:16], v[11:12], v[17:18], v[15:16]
	s_or_b32 s5, vcc_lo, s5
	s_wait_alu 0xfffe
	s_and_not1_b32 vcc_lo, exec_lo, s5
	s_wait_alu 0xfffe
	s_cbranch_vccnz .LBB187_32
; %bb.31:                               ;   in Loop: Header=BB187_4 Depth=1
	s_add_nc_u64 s[36:37], s[30:31], s[26:27]
	global_load_b128 v[9:12], v1, s[36:37]
	s_wait_loadcnt 0x0
	v_mul_f64_e32 v[2:3], v[7:8], v[11:12]
	v_mul_f64_e32 v[11:12], v[5:6], v[11:12]
	s_delay_alu instid0(VALU_DEP_2) | instskip(NEXT) | instid1(VALU_DEP_2)
	v_fma_f64 v[2:3], v[5:6], v[9:10], -v[2:3]
	v_fma_f64 v[4:5], v[7:8], v[9:10], v[11:12]
	s_delay_alu instid0(VALU_DEP_2) | instskip(NEXT) | instid1(VALU_DEP_2)
	v_add_f64_e32 v[13:14], v[13:14], v[2:3]
	v_add_f64_e32 v[15:16], v[15:16], v[4:5]
.LBB187_32:                             ;   in Loop: Header=BB187_4 Depth=1
	s_or_b32 s21, s21, exec_lo
.LBB187_33:                             ;   in Loop: Header=BB187_4 Depth=1
	s_wait_alu 0xfffe
	s_or_b32 exec_lo, exec_lo, s34
.LBB187_34:                             ;   in Loop: Header=BB187_4 Depth=1
	s_wait_alu 0xfffe
	s_and_saveexec_b32 s5, s21
	s_cbranch_execz .LBB187_2
; %bb.35:                               ;   in Loop: Header=BB187_4 Depth=1
	s_add_nc_u64 s[30:31], s[30:31], s[26:27]
	global_store_b128 v1, v[13:16], s[30:31]
	s_branch .LBB187_2
.LBB187_36:
	s_endpgm
	.section	.rodata,"a",@progbits
	.p2align	6, 0x0
	.amdhsa_kernel _ZL32rocblas_gemvt_warp_reduce_kernelILb1ELi1024El19rocblas_complex_numIdEPKS1_S1_EviiT3_lPKT2_lT1_lS7_lS8_lS4_lPT4_lS8_li
		.amdhsa_group_segment_fixed_size 512
		.amdhsa_private_segment_fixed_size 0
		.amdhsa_kernarg_size 140
		.amdhsa_user_sgpr_count 2
		.amdhsa_user_sgpr_dispatch_ptr 0
		.amdhsa_user_sgpr_queue_ptr 0
		.amdhsa_user_sgpr_kernarg_segment_ptr 1
		.amdhsa_user_sgpr_dispatch_id 0
		.amdhsa_user_sgpr_private_segment_size 0
		.amdhsa_wavefront_size32 1
		.amdhsa_uses_dynamic_stack 0
		.amdhsa_enable_private_segment 0
		.amdhsa_system_sgpr_workgroup_id_x 1
		.amdhsa_system_sgpr_workgroup_id_y 0
		.amdhsa_system_sgpr_workgroup_id_z 1
		.amdhsa_system_sgpr_workgroup_info 0
		.amdhsa_system_vgpr_workitem_id 0
		.amdhsa_next_free_vgpr 40
		.amdhsa_next_free_sgpr 52
		.amdhsa_reserve_vcc 1
		.amdhsa_float_round_mode_32 0
		.amdhsa_float_round_mode_16_64 0
		.amdhsa_float_denorm_mode_32 3
		.amdhsa_float_denorm_mode_16_64 3
		.amdhsa_fp16_overflow 0
		.amdhsa_workgroup_processor_mode 1
		.amdhsa_memory_ordered 1
		.amdhsa_forward_progress 1
		.amdhsa_inst_pref_size 18
		.amdhsa_round_robin_scheduling 0
		.amdhsa_exception_fp_ieee_invalid_op 0
		.amdhsa_exception_fp_denorm_src 0
		.amdhsa_exception_fp_ieee_div_zero 0
		.amdhsa_exception_fp_ieee_overflow 0
		.amdhsa_exception_fp_ieee_underflow 0
		.amdhsa_exception_fp_ieee_inexact 0
		.amdhsa_exception_int_div_zero 0
	.end_amdhsa_kernel
	.section	.text._ZL32rocblas_gemvt_warp_reduce_kernelILb1ELi1024El19rocblas_complex_numIdEPKS1_S1_EviiT3_lPKT2_lT1_lS7_lS8_lS4_lPT4_lS8_li,"axG",@progbits,_ZL32rocblas_gemvt_warp_reduce_kernelILb1ELi1024El19rocblas_complex_numIdEPKS1_S1_EviiT3_lPKT2_lT1_lS7_lS8_lS4_lPT4_lS8_li,comdat
.Lfunc_end187:
	.size	_ZL32rocblas_gemvt_warp_reduce_kernelILb1ELi1024El19rocblas_complex_numIdEPKS1_S1_EviiT3_lPKT2_lT1_lS7_lS8_lS4_lPT4_lS8_li, .Lfunc_end187-_ZL32rocblas_gemvt_warp_reduce_kernelILb1ELi1024El19rocblas_complex_numIdEPKS1_S1_EviiT3_lPKT2_lT1_lS7_lS8_lS4_lPT4_lS8_li
                                        ; -- End function
	.set _ZL32rocblas_gemvt_warp_reduce_kernelILb1ELi1024El19rocblas_complex_numIdEPKS1_S1_EviiT3_lPKT2_lT1_lS7_lS8_lS4_lPT4_lS8_li.num_vgpr, 40
	.set _ZL32rocblas_gemvt_warp_reduce_kernelILb1ELi1024El19rocblas_complex_numIdEPKS1_S1_EviiT3_lPKT2_lT1_lS7_lS8_lS4_lPT4_lS8_li.num_agpr, 0
	.set _ZL32rocblas_gemvt_warp_reduce_kernelILb1ELi1024El19rocblas_complex_numIdEPKS1_S1_EviiT3_lPKT2_lT1_lS7_lS8_lS4_lPT4_lS8_li.numbered_sgpr, 52
	.set _ZL32rocblas_gemvt_warp_reduce_kernelILb1ELi1024El19rocblas_complex_numIdEPKS1_S1_EviiT3_lPKT2_lT1_lS7_lS8_lS4_lPT4_lS8_li.num_named_barrier, 0
	.set _ZL32rocblas_gemvt_warp_reduce_kernelILb1ELi1024El19rocblas_complex_numIdEPKS1_S1_EviiT3_lPKT2_lT1_lS7_lS8_lS4_lPT4_lS8_li.private_seg_size, 0
	.set _ZL32rocblas_gemvt_warp_reduce_kernelILb1ELi1024El19rocblas_complex_numIdEPKS1_S1_EviiT3_lPKT2_lT1_lS7_lS8_lS4_lPT4_lS8_li.uses_vcc, 1
	.set _ZL32rocblas_gemvt_warp_reduce_kernelILb1ELi1024El19rocblas_complex_numIdEPKS1_S1_EviiT3_lPKT2_lT1_lS7_lS8_lS4_lPT4_lS8_li.uses_flat_scratch, 0
	.set _ZL32rocblas_gemvt_warp_reduce_kernelILb1ELi1024El19rocblas_complex_numIdEPKS1_S1_EviiT3_lPKT2_lT1_lS7_lS8_lS4_lPT4_lS8_li.has_dyn_sized_stack, 0
	.set _ZL32rocblas_gemvt_warp_reduce_kernelILb1ELi1024El19rocblas_complex_numIdEPKS1_S1_EviiT3_lPKT2_lT1_lS7_lS8_lS4_lPT4_lS8_li.has_recursion, 0
	.set _ZL32rocblas_gemvt_warp_reduce_kernelILb1ELi1024El19rocblas_complex_numIdEPKS1_S1_EviiT3_lPKT2_lT1_lS7_lS8_lS4_lPT4_lS8_li.has_indirect_call, 0
	.section	.AMDGPU.csdata,"",@progbits
; Kernel info:
; codeLenInByte = 2280
; TotalNumSgprs: 54
; NumVgprs: 40
; ScratchSize: 0
; MemoryBound: 0
; FloatMode: 240
; IeeeMode: 1
; LDSByteSize: 512 bytes/workgroup (compile time only)
; SGPRBlocks: 0
; VGPRBlocks: 4
; NumSGPRsForWavesPerEU: 54
; NumVGPRsForWavesPerEU: 40
; Occupancy: 16
; WaveLimiterHint : 0
; COMPUTE_PGM_RSRC2:SCRATCH_EN: 0
; COMPUTE_PGM_RSRC2:USER_SGPR: 2
; COMPUTE_PGM_RSRC2:TRAP_HANDLER: 0
; COMPUTE_PGM_RSRC2:TGID_X_EN: 1
; COMPUTE_PGM_RSRC2:TGID_Y_EN: 0
; COMPUTE_PGM_RSRC2:TGID_Z_EN: 1
; COMPUTE_PGM_RSRC2:TIDIG_COMP_CNT: 0
	.section	.text._ZL32rocblas_gemvt_warp_reduce_kernelILb1ELi1024Ei19rocblas_complex_numIdES1_S1_EviiT3_lPKT2_lT1_lS5_lS6_lS2_lPT4_lS6_li,"axG",@progbits,_ZL32rocblas_gemvt_warp_reduce_kernelILb1ELi1024Ei19rocblas_complex_numIdES1_S1_EviiT3_lPKT2_lT1_lS5_lS6_lS2_lPT4_lS6_li,comdat
	.globl	_ZL32rocblas_gemvt_warp_reduce_kernelILb1ELi1024Ei19rocblas_complex_numIdES1_S1_EviiT3_lPKT2_lT1_lS5_lS6_lS2_lPT4_lS6_li ; -- Begin function _ZL32rocblas_gemvt_warp_reduce_kernelILb1ELi1024Ei19rocblas_complex_numIdES1_S1_EviiT3_lPKT2_lT1_lS5_lS6_lS2_lPT4_lS6_li
	.p2align	8
	.type	_ZL32rocblas_gemvt_warp_reduce_kernelILb1ELi1024Ei19rocblas_complex_numIdES1_S1_EviiT3_lPKT2_lT1_lS5_lS6_lS2_lPT4_lS6_li,@function
_ZL32rocblas_gemvt_warp_reduce_kernelILb1ELi1024Ei19rocblas_complex_numIdES1_S1_EviiT3_lPKT2_lT1_lS5_lS6_lS2_lPT4_lS6_li: ; @_ZL32rocblas_gemvt_warp_reduce_kernelILb1ELi1024Ei19rocblas_complex_numIdES1_S1_EviiT3_lPKT2_lT1_lS5_lS6_lS2_lPT4_lS6_li
; %bb.0:
	s_load_b32 s33, s[0:1], 0x98
	s_lshr_b32 s28, ttmp7, 16
	s_wait_kmcnt 0x0
	s_cmp_ge_u32 s28, s33
	s_cbranch_scc1 .LBB188_34
; %bb.1:
	s_clause 0xa
	s_load_b128 s[8:11], s[0:1], 0x8
	s_load_b32 s27, s[0:1], 0x0
	s_load_b128 s[12:15], s[0:1], 0x58
	s_load_b96 s[24:26], s[0:1], 0x48
	s_load_b128 s[4:7], s[0:1], 0x78
	s_load_b128 s[20:23], s[0:1], 0x20
	s_load_b64 s[30:31], s[0:1], 0x68
	s_load_b128 s[16:19], s[0:1], 0x38
	s_load_b32 s3, s[0:1], 0x88
	s_load_b32 s40, s[0:1], 0x30
	s_load_b64 s[34:35], s[0:1], 0x90
	v_dual_mov_b32 v1, 0 :: v_dual_and_b32 v2, 31, v0
	v_lshrrev_b32_e32 v3, 1, v0
	v_cmp_eq_u32_e64 s0, 0, v0
	v_cmp_gt_u32_e64 s1, 32, v0
	s_delay_alu instid0(VALU_DEP_4)
	v_lshlrev_b32_e32 v16, 4, v2
	v_cmp_eq_u32_e64 s2, 0, v2
	v_mbcnt_lo_u32_b32 v21, -1, 0
	s_mov_b32 s29, 0
	s_wait_kmcnt 0x0
	v_cmp_neq_f64_e64 s42, s[8:9], 0
	v_cmp_neq_f64_e64 s43, s[10:11], 0
	v_cmp_neq_f64_e64 s46, s[14:15], 1.0
	v_cmp_neq_f64_e64 s48, s[14:15], 0
	v_cmp_gt_i32_e32 vcc_lo, s27, v0
	s_lshl_b64 s[38:39], s[22:23], 4
	v_cmp_neq_f64_e64 s47, s[30:31], 0
	v_and_b32_e32 v17, 0x1f0, v3
	s_mul_i32 s44, s3, ttmp9
	s_ashr_i32 s3, s27, 31
	v_cndmask_b32_e32 v2, 0, v0, vcc_lo
	s_lshr_b32 s3, s3, 22
	s_mul_i32 s40, s40, ttmp9
	s_add_co_i32 s3, s27, s3
	s_lshl_b64 s[24:25], s[24:25], 4
	s_and_b32 s22, s3, 0xfffffc00
	s_ashr_i32 s41, s40, 31
	v_or_b32_e32 v3, s22, v0
	v_lshlrev_b32_e32 v4, 4, v2
	s_lshl_b64 s[36:37], s[6:7], 4
	s_add_nc_u64 s[6:7], s[18:19], s[24:25]
	s_lshl_b64 s[24:25], s[40:41], 4
	v_mul_lo_u32 v2, s26, v3
	s_add_nc_u64 s[18:19], s[4:5], s[36:37]
	s_add_nc_u64 s[4:5], s[20:21], s[38:39]
	;; [unrolled: 1-line block ×3, first 2 shown]
	v_add_co_u32 v5, s4, s4, v4
	s_add_nc_u64 s[20:21], s[20:21], s[36:37]
	s_wait_alu 0xf1ff
	v_add_co_ci_u32_e64 v6, null, s5, 0, s4
	v_add_co_u32 v4, s20, s20, v4
	v_cmp_gt_i32_e64 s4, s27, v3
	v_ashrrev_i32_e32 v3, 31, v2
	v_add_co_u32 v19, vcc_lo, v5, s24
	s_wait_alu 0xf1ff
	v_add_co_ci_u32_e64 v5, null, s21, 0, s20
	v_mul_lo_u32 v18, v0, s26
	s_wait_alu 0xfffd
	v_add_co_ci_u32_e64 v20, null, s25, v6, vcc_lo
	v_add_co_u32 v10, vcc_lo, v4, 8
	s_or_b32 s5, s42, s43
	v_lshlrev_b64_e32 v[12:13], 4, v[2:3]
	v_cmp_gt_i32_e64 s3, s22, v0
	s_wait_alu 0xfffd
	v_add_co_ci_u32_e64 v11, null, 0, v5, vcc_lo
	s_ashr_i32 s45, s44, 31
	s_ashr_i32 s23, s22, 31
	s_wait_alu 0xfffe
	s_or_b32 s24, s5, s46
	s_lshl_b32 s40, s26, 10
	s_wait_alu 0xfffe
	s_or_b32 s41, s24, s47
	s_xor_b32 s42, s5, -1
	s_or_b32 s43, s48, s47
	s_lshl_b64 s[20:21], s[16:17], 4
	s_lshl_b64 s[24:25], s[44:45], 4
	;; [unrolled: 1-line block ×3, first 2 shown]
	s_branch .LBB188_4
.LBB188_2:                              ;   in Loop: Header=BB188_4 Depth=1
	s_wait_alu 0xfffe
	s_or_b32 exec_lo, exec_lo, s5
.LBB188_3:                              ;   in Loop: Header=BB188_4 Depth=1
	s_add_co_i32 s28, s28, 0x10000
	s_wait_alu 0xfffe
	s_cmp_lt_u32 s28, s33
	s_cbranch_scc0 .LBB188_34
.LBB188_4:                              ; =>This Loop Header: Depth=1
                                        ;     Child Loop BB188_23 Depth 2
	s_and_not1_b32 vcc_lo, exec_lo, s41
	s_wait_alu 0xfffe
	s_cbranch_vccnz .LBB188_3
; %bb.5:                                ;   in Loop: Header=BB188_4 Depth=1
	s_mul_u64 s[36:37], s[34:35], s[28:29]
	s_and_not1_b32 vcc_lo, exec_lo, s42
	s_lshl_b64 s[36:37], s[36:37], 4
	s_delay_alu instid0(SALU_CYCLE_1)
	s_add_nc_u64 s[36:37], s[18:19], s[36:37]
	s_wait_alu 0xfffe
	s_cbranch_vccnz .LBB188_9
; %bb.6:                                ;   in Loop: Header=BB188_4 Depth=1
	s_mov_b32 s5, 0
	s_mov_b32 s23, 0
                                        ; implicit-def: $vgpr4_vgpr5
	s_and_saveexec_b32 s38, s0
	s_cbranch_execz .LBB188_10
; %bb.7:                                ;   in Loop: Header=BB188_4 Depth=1
	s_and_not1_b32 vcc_lo, exec_lo, s43
	s_wait_alu 0xfffe
	s_cbranch_vccnz .LBB188_11
; %bb.8:                                ;   in Loop: Header=BB188_4 Depth=1
	s_add_nc_u64 s[44:45], s[36:37], s[24:25]
	s_wait_dscnt 0x0
	global_load_b128 v[4:7], v1, s[44:45]
	s_wait_loadcnt 0x0
	v_mul_f64_e32 v[2:3], s[30:31], v[6:7]
	v_mul_f64_e32 v[6:7], s[14:15], v[6:7]
	s_delay_alu instid0(VALU_DEP_2) | instskip(NEXT) | instid1(VALU_DEP_2)
	v_fma_f64 v[2:3], s[14:15], v[4:5], -v[2:3]
	v_fma_f64 v[4:5], s[30:31], v[4:5], v[6:7]
	s_branch .LBB188_12
.LBB188_9:                              ;   in Loop: Header=BB188_4 Depth=1
	s_mov_b32 s23, 0
                                        ; implicit-def: $vgpr4_vgpr5
	s_cbranch_execnz .LBB188_13
	s_branch .LBB188_32
.LBB188_10:                             ;   in Loop: Header=BB188_4 Depth=1
	s_wait_alu 0xfffe
	s_or_b32 exec_lo, exec_lo, s38
	s_delay_alu instid0(SALU_CYCLE_1)
	s_and_b32 vcc_lo, exec_lo, s5
	s_wait_alu 0xfffe
	s_cbranch_vccnz .LBB188_13
	s_branch .LBB188_32
.LBB188_11:                             ;   in Loop: Header=BB188_4 Depth=1
	v_mov_b32_e32 v4, 0
	v_dual_mov_b32 v5, 0 :: v_dual_mov_b32 v2, 0
	v_mov_b32_e32 v3, 0
.LBB188_12:                             ;   in Loop: Header=BB188_4 Depth=1
	s_mov_b32 s23, exec_lo
	s_or_b32 exec_lo, exec_lo, s38
	s_delay_alu instid0(SALU_CYCLE_1)
	s_and_b32 vcc_lo, exec_lo, s5
	s_wait_alu 0xfffe
	s_cbranch_vccz .LBB188_32
.LBB188_13:                             ;   in Loop: Header=BB188_4 Depth=1
	s_wait_dscnt 0x0
	v_mov_b32_e32 v5, 0
	s_mul_u64 s[38:39], s[12:13], s[28:29]
	v_dual_mov_b32 v6, 0 :: v_dual_mov_b32 v7, 0
	v_mov_b32_e32 v8, 0
	s_wait_alu 0xfffe
	s_lshl_b64 s[38:39], s[38:39], 4
	s_wait_alu 0xfffe
	s_add_nc_u64 s[38:39], s[6:7], s[38:39]
	s_and_saveexec_b32 s44, s3
	s_cbranch_execnz .LBB188_22
; %bb.14:                               ;   in Loop: Header=BB188_4 Depth=1
	s_wait_alu 0xfffe
	s_or_b32 exec_lo, exec_lo, s44
	s_and_saveexec_b32 s5, s4
	s_cbranch_execnz .LBB188_25
.LBB188_15:                             ;   in Loop: Header=BB188_4 Depth=1
	s_wait_alu 0xfffe
	s_or_b32 exec_lo, exec_lo, s5
	s_and_saveexec_b32 s5, s1
.LBB188_16:                             ;   in Loop: Header=BB188_4 Depth=1
	v_dual_mov_b32 v2, v1 :: v_dual_mov_b32 v3, v1
	v_mov_b32_e32 v4, v1
	ds_store_b128 v16, v[1:4]
.LBB188_17:                             ;   in Loop: Header=BB188_4 Depth=1
	s_wait_alu 0xfffe
	s_or_b32 exec_lo, exec_lo, s5
	v_lshl_or_b32 v14, v21, 2, 64
	v_cmp_gt_u32_e32 vcc_lo, 24, v21
	s_wait_dscnt 0x0
	s_barrier_signal -1
	s_barrier_wait -1
	ds_bpermute_b32 v2, v14, v7
	ds_bpermute_b32 v3, v14, v8
	;; [unrolled: 1-line block ×4, first 2 shown]
	s_wait_dscnt 0x0
	global_inv scope:SCOPE_SE
	v_add_f64_e32 v[2:3], v[7:8], v[2:3]
	v_add_f64_e32 v[4:5], v[5:6], v[22:23]
	s_wait_alu 0xfffd
	v_cndmask_b32_e64 v6, 0, 8, vcc_lo
	v_cmp_gt_u32_e32 vcc_lo, 28, v21
	s_delay_alu instid0(VALU_DEP_2)
	v_add_lshl_u32 v15, v6, v21, 2
	ds_bpermute_b32 v6, v15, v2
	ds_bpermute_b32 v7, v15, v3
	;; [unrolled: 1-line block ×4, first 2 shown]
	s_wait_dscnt 0x2
	v_add_f64_e32 v[2:3], v[2:3], v[6:7]
	s_wait_alu 0xfffd
	v_cndmask_b32_e64 v6, 0, 4, vcc_lo
	s_wait_dscnt 0x0
	v_add_f64_e32 v[4:5], v[4:5], v[8:9]
	v_cmp_gt_u32_e32 vcc_lo, 30, v21
	s_delay_alu instid0(VALU_DEP_3)
	v_add_lshl_u32 v22, v6, v21, 2
	ds_bpermute_b32 v6, v22, v2
	ds_bpermute_b32 v7, v22, v3
	;; [unrolled: 1-line block ×4, first 2 shown]
	s_wait_dscnt 0x2
	v_add_f64_e32 v[2:3], v[2:3], v[6:7]
	s_wait_alu 0xfffd
	v_cndmask_b32_e64 v6, 0, 2, vcc_lo
	s_wait_dscnt 0x0
	v_add_f64_e32 v[4:5], v[4:5], v[8:9]
	v_cmp_ne_u32_e32 vcc_lo, 31, v21
	s_delay_alu instid0(VALU_DEP_3)
	v_add_lshl_u32 v23, v6, v21, 2
	ds_bpermute_b32 v6, v23, v2
	ds_bpermute_b32 v7, v23, v3
	;; [unrolled: 1-line block ×4, first 2 shown]
	s_wait_dscnt 0x2
	v_add_f64_e32 v[2:3], v[2:3], v[6:7]
	s_wait_alu 0xfffd
	v_add_co_ci_u32_e64 v6, null, 0, v21, vcc_lo
	s_wait_dscnt 0x0
	v_add_f64_e32 v[4:5], v[4:5], v[8:9]
	s_delay_alu instid0(VALU_DEP_2)
	v_lshlrev_b32_e32 v24, 2, v6
	ds_bpermute_b32 v6, v24, v2
	ds_bpermute_b32 v7, v24, v3
	ds_bpermute_b32 v8, v24, v4
	ds_bpermute_b32 v9, v24, v5
	s_and_saveexec_b32 s5, s2
	s_cbranch_execz .LBB188_19
; %bb.18:                               ;   in Loop: Header=BB188_4 Depth=1
	s_wait_dscnt 0x0
	v_add_f64_e32 v[4:5], v[4:5], v[8:9]
	v_add_f64_e32 v[2:3], v[2:3], v[6:7]
	ds_store_b128 v17, v[2:5]
.LBB188_19:                             ;   in Loop: Header=BB188_4 Depth=1
	s_wait_alu 0xfffe
	s_or_b32 exec_lo, exec_lo, s5
	s_wait_dscnt 0x0
	v_mov_b32_e32 v8, 0
	v_dual_mov_b32 v9, 0 :: v_dual_mov_b32 v6, 0
	v_mov_b32_e32 v7, 0
	s_wait_loadcnt 0x0
	s_barrier_signal -1
	s_barrier_wait -1
	global_inv scope:SCOPE_SE
	s_and_saveexec_b32 s5, s1
	s_cbranch_execnz .LBB188_26
; %bb.20:                               ;   in Loop: Header=BB188_4 Depth=1
	s_wait_alu 0xfffe
	s_or_b32 exec_lo, exec_lo, s5
	s_and_saveexec_b32 s5, s1
	s_cbranch_execnz .LBB188_27
.LBB188_21:                             ;   in Loop: Header=BB188_4 Depth=1
	s_wait_alu 0xfffe
	s_or_b32 exec_lo, exec_lo, s5
                                        ; implicit-def: $vgpr4_vgpr5
	s_and_saveexec_b32 s5, s0
	s_cbranch_execnz .LBB188_28
	s_branch .LBB188_31
.LBB188_22:                             ;   in Loop: Header=BB188_4 Depth=1
	v_mad_co_u64_u32 v[2:3], null, s20, s28, v[10:11]
	v_mov_b32_e32 v5, 0
	v_dual_mov_b32 v6, 0 :: v_dual_mov_b32 v7, 0
	v_mov_b32_e32 v8, 0
	v_mov_b32_e32 v14, v18
	s_mov_b32 s45, 0
	v_mad_co_u64_u32 v[3:4], null, s21, s28, v[3:4]
	v_mov_b32_e32 v4, v0
.LBB188_23:                             ;   Parent Loop BB188_4 Depth=1
                                        ; =>  This Inner Loop Header: Depth=2
	s_delay_alu instid0(VALU_DEP_3) | instskip(NEXT) | instid1(VALU_DEP_2)
	v_ashrrev_i32_e32 v15, 31, v14
	v_add_nc_u32_e32 v4, 0x400, v4
	s_delay_alu instid0(VALU_DEP_2) | instskip(NEXT) | instid1(VALU_DEP_2)
	v_lshlrev_b64_e32 v[22:23], 4, v[14:15]
	v_cmp_le_i32_e64 s5, s22, v4
	v_add_nc_u32_e32 v14, s40, v14
	s_wait_alu 0xfffe
	s_or_b32 s45, s5, s45
	v_add_co_u32 v26, vcc_lo, s38, v22
	s_wait_alu 0xfffd
	v_add_co_ci_u32_e64 v27, null, s39, v23, vcc_lo
	global_load_b128 v[22:25], v[2:3], off offset:-8
	global_load_b128 v[26:29], v[26:27], off
	v_add_co_u32 v2, vcc_lo, 0x4000, v2
	s_wait_alu 0xfffd
	v_add_co_ci_u32_e64 v3, null, 0, v3, vcc_lo
	s_wait_loadcnt 0x0
	v_mul_f64_e32 v[30:31], v[24:25], v[28:29]
	v_mul_f64_e32 v[24:25], v[24:25], v[26:27]
	s_delay_alu instid0(VALU_DEP_2) | instskip(NEXT) | instid1(VALU_DEP_2)
	v_fma_f64 v[26:27], v[22:23], v[26:27], v[30:31]
	v_fma_f64 v[22:23], v[22:23], v[28:29], -v[24:25]
	s_delay_alu instid0(VALU_DEP_2) | instskip(NEXT) | instid1(VALU_DEP_2)
	v_add_f64_e32 v[7:8], v[7:8], v[26:27]
	v_add_f64_e32 v[5:6], v[5:6], v[22:23]
	s_wait_alu 0xfffe
	s_and_not1_b32 exec_lo, exec_lo, s45
	s_cbranch_execnz .LBB188_23
; %bb.24:                               ;   in Loop: Header=BB188_4 Depth=1
	s_or_b32 exec_lo, exec_lo, s45
	s_delay_alu instid0(SALU_CYCLE_1)
	s_or_b32 exec_lo, exec_lo, s44
	s_and_saveexec_b32 s5, s4
	s_cbranch_execz .LBB188_15
.LBB188_25:                             ;   in Loop: Header=BB188_4 Depth=1
	s_mul_u64 s[44:45], s[16:17], s[28:29]
	s_wait_alu 0xfffe
	s_lshl_b64 s[44:45], s[44:45], 4
	s_wait_alu 0xfffe
	v_add_co_u32 v4, vcc_lo, v19, s44
	s_wait_alu 0xfffd
	v_add_co_ci_u32_e64 v9, null, s45, v20, vcc_lo
	v_add_co_u32 v2, vcc_lo, s38, v12
	s_wait_alu 0xfffd
	v_add_co_ci_u32_e64 v3, null, s39, v13, vcc_lo
	v_add_co_u32 v14, vcc_lo, v4, s26
	s_wait_alu 0xfffd
	v_add_co_ci_u32_e64 v15, null, s27, v9, vcc_lo
	global_load_b128 v[22:25], v[2:3], off
	global_load_b128 v[26:29], v[14:15], off
	s_wait_loadcnt 0x0
	v_mul_f64_e32 v[2:3], v[28:29], v[24:25]
	v_mul_f64_e32 v[14:15], v[28:29], v[22:23]
	s_delay_alu instid0(VALU_DEP_2) | instskip(NEXT) | instid1(VALU_DEP_2)
	v_fma_f64 v[2:3], v[26:27], v[22:23], v[2:3]
	v_fma_f64 v[14:15], v[26:27], v[24:25], -v[14:15]
	s_delay_alu instid0(VALU_DEP_2) | instskip(NEXT) | instid1(VALU_DEP_2)
	v_add_f64_e32 v[7:8], v[7:8], v[2:3]
	v_add_f64_e32 v[5:6], v[5:6], v[14:15]
	s_or_b32 exec_lo, exec_lo, s5
	s_and_saveexec_b32 s5, s1
	s_cbranch_execnz .LBB188_16
	s_branch .LBB188_17
.LBB188_26:                             ;   in Loop: Header=BB188_4 Depth=1
	ds_load_b128 v[6:9], v16
	s_wait_alu 0xfffe
	s_or_b32 exec_lo, exec_lo, s5
	s_and_saveexec_b32 s5, s1
	s_cbranch_execz .LBB188_21
.LBB188_27:                             ;   in Loop: Header=BB188_4 Depth=1
	s_wait_dscnt 0x0
	ds_bpermute_b32 v2, v14, v6
	ds_bpermute_b32 v3, v14, v7
	ds_bpermute_b32 v4, v14, v8
	ds_bpermute_b32 v5, v14, v9
	s_wait_dscnt 0x2
	v_add_f64_e32 v[2:3], v[6:7], v[2:3]
	s_wait_dscnt 0x0
	v_add_f64_e32 v[4:5], v[8:9], v[4:5]
	ds_bpermute_b32 v6, v15, v2
	ds_bpermute_b32 v7, v15, v3
	ds_bpermute_b32 v8, v15, v4
	ds_bpermute_b32 v9, v15, v5
	s_wait_dscnt 0x2
	v_add_f64_e32 v[2:3], v[2:3], v[6:7]
	s_wait_dscnt 0x0
	v_add_f64_e32 v[4:5], v[4:5], v[8:9]
	ds_bpermute_b32 v6, v22, v2
	ds_bpermute_b32 v7, v22, v3
	ds_bpermute_b32 v8, v22, v4
	ds_bpermute_b32 v9, v22, v5
	s_wait_dscnt 0x2
	v_add_f64_e32 v[2:3], v[2:3], v[6:7]
	s_wait_dscnt 0x0
	v_add_f64_e32 v[4:5], v[4:5], v[8:9]
	ds_bpermute_b32 v6, v23, v2
	ds_bpermute_b32 v7, v23, v3
	ds_bpermute_b32 v8, v23, v4
	ds_bpermute_b32 v9, v23, v5
	s_wait_dscnt 0x2
	v_add_f64_e32 v[2:3], v[2:3], v[6:7]
	s_wait_dscnt 0x0
	v_add_f64_e32 v[4:5], v[4:5], v[8:9]
	ds_bpermute_b32 v6, v24, v2
	ds_bpermute_b32 v7, v24, v3
	ds_bpermute_b32 v8, v24, v4
	ds_bpermute_b32 v9, v24, v5
	s_wait_dscnt 0x2
	v_add_f64_e32 v[6:7], v[2:3], v[6:7]
	s_wait_dscnt 0x0
	v_add_f64_e32 v[8:9], v[4:5], v[8:9]
	s_wait_alu 0xfffe
	s_or_b32 exec_lo, exec_lo, s5
                                        ; implicit-def: $vgpr4_vgpr5
	s_and_saveexec_b32 s5, s0
	s_cbranch_execz .LBB188_31
.LBB188_28:                             ;   in Loop: Header=BB188_4 Depth=1
	s_wait_dscnt 0x0
	s_delay_alu instid0(VALU_DEP_1) | instskip(SKIP_2) | instid1(VALU_DEP_2)
	v_mul_f64_e32 v[2:3], s[10:11], v[8:9]
	v_mul_f64_e32 v[4:5], s[8:9], v[8:9]
	s_and_not1_b32 vcc_lo, exec_lo, s43
	v_fma_f64 v[2:3], s[8:9], v[6:7], -v[2:3]
	s_delay_alu instid0(VALU_DEP_2)
	v_fma_f64 v[4:5], s[10:11], v[6:7], v[4:5]
	s_wait_alu 0xfffe
	s_cbranch_vccnz .LBB188_30
; %bb.29:                               ;   in Loop: Header=BB188_4 Depth=1
	s_add_nc_u64 s[38:39], s[36:37], s[24:25]
	global_load_b128 v[6:9], v1, s[38:39]
	s_wait_loadcnt 0x0
	v_mul_f64_e32 v[14:15], s[30:31], v[8:9]
	v_mul_f64_e32 v[8:9], s[14:15], v[8:9]
	s_delay_alu instid0(VALU_DEP_2) | instskip(NEXT) | instid1(VALU_DEP_2)
	v_fma_f64 v[14:15], s[14:15], v[6:7], -v[14:15]
	v_fma_f64 v[6:7], s[30:31], v[6:7], v[8:9]
	s_delay_alu instid0(VALU_DEP_2) | instskip(NEXT) | instid1(VALU_DEP_2)
	v_add_f64_e32 v[2:3], v[2:3], v[14:15]
	v_add_f64_e32 v[4:5], v[4:5], v[6:7]
.LBB188_30:                             ;   in Loop: Header=BB188_4 Depth=1
	s_or_b32 s23, s23, exec_lo
.LBB188_31:                             ;   in Loop: Header=BB188_4 Depth=1
	s_wait_alu 0xfffe
	s_or_b32 exec_lo, exec_lo, s5
.LBB188_32:                             ;   in Loop: Header=BB188_4 Depth=1
	s_wait_alu 0xfffe
	s_and_saveexec_b32 s5, s23
	s_cbranch_execz .LBB188_2
; %bb.33:                               ;   in Loop: Header=BB188_4 Depth=1
	s_add_nc_u64 s[36:37], s[36:37], s[24:25]
	global_store_b128 v1, v[2:5], s[36:37]
	s_branch .LBB188_2
.LBB188_34:
	s_endpgm
	.section	.rodata,"a",@progbits
	.p2align	6, 0x0
	.amdhsa_kernel _ZL32rocblas_gemvt_warp_reduce_kernelILb1ELi1024Ei19rocblas_complex_numIdES1_S1_EviiT3_lPKT2_lT1_lS5_lS6_lS2_lPT4_lS6_li
		.amdhsa_group_segment_fixed_size 512
		.amdhsa_private_segment_fixed_size 0
		.amdhsa_kernarg_size 156
		.amdhsa_user_sgpr_count 2
		.amdhsa_user_sgpr_dispatch_ptr 0
		.amdhsa_user_sgpr_queue_ptr 0
		.amdhsa_user_sgpr_kernarg_segment_ptr 1
		.amdhsa_user_sgpr_dispatch_id 0
		.amdhsa_user_sgpr_private_segment_size 0
		.amdhsa_wavefront_size32 1
		.amdhsa_uses_dynamic_stack 0
		.amdhsa_enable_private_segment 0
		.amdhsa_system_sgpr_workgroup_id_x 1
		.amdhsa_system_sgpr_workgroup_id_y 0
		.amdhsa_system_sgpr_workgroup_id_z 1
		.amdhsa_system_sgpr_workgroup_info 0
		.amdhsa_system_vgpr_workitem_id 0
		.amdhsa_next_free_vgpr 32
		.amdhsa_next_free_sgpr 49
		.amdhsa_reserve_vcc 1
		.amdhsa_float_round_mode_32 0
		.amdhsa_float_round_mode_16_64 0
		.amdhsa_float_denorm_mode_32 3
		.amdhsa_float_denorm_mode_16_64 3
		.amdhsa_fp16_overflow 0
		.amdhsa_workgroup_processor_mode 1
		.amdhsa_memory_ordered 1
		.amdhsa_forward_progress 1
		.amdhsa_inst_pref_size 17
		.amdhsa_round_robin_scheduling 0
		.amdhsa_exception_fp_ieee_invalid_op 0
		.amdhsa_exception_fp_denorm_src 0
		.amdhsa_exception_fp_ieee_div_zero 0
		.amdhsa_exception_fp_ieee_overflow 0
		.amdhsa_exception_fp_ieee_underflow 0
		.amdhsa_exception_fp_ieee_inexact 0
		.amdhsa_exception_int_div_zero 0
	.end_amdhsa_kernel
	.section	.text._ZL32rocblas_gemvt_warp_reduce_kernelILb1ELi1024Ei19rocblas_complex_numIdES1_S1_EviiT3_lPKT2_lT1_lS5_lS6_lS2_lPT4_lS6_li,"axG",@progbits,_ZL32rocblas_gemvt_warp_reduce_kernelILb1ELi1024Ei19rocblas_complex_numIdES1_S1_EviiT3_lPKT2_lT1_lS5_lS6_lS2_lPT4_lS6_li,comdat
.Lfunc_end188:
	.size	_ZL32rocblas_gemvt_warp_reduce_kernelILb1ELi1024Ei19rocblas_complex_numIdES1_S1_EviiT3_lPKT2_lT1_lS5_lS6_lS2_lPT4_lS6_li, .Lfunc_end188-_ZL32rocblas_gemvt_warp_reduce_kernelILb1ELi1024Ei19rocblas_complex_numIdES1_S1_EviiT3_lPKT2_lT1_lS5_lS6_lS2_lPT4_lS6_li
                                        ; -- End function
	.set _ZL32rocblas_gemvt_warp_reduce_kernelILb1ELi1024Ei19rocblas_complex_numIdES1_S1_EviiT3_lPKT2_lT1_lS5_lS6_lS2_lPT4_lS6_li.num_vgpr, 32
	.set _ZL32rocblas_gemvt_warp_reduce_kernelILb1ELi1024Ei19rocblas_complex_numIdES1_S1_EviiT3_lPKT2_lT1_lS5_lS6_lS2_lPT4_lS6_li.num_agpr, 0
	.set _ZL32rocblas_gemvt_warp_reduce_kernelILb1ELi1024Ei19rocblas_complex_numIdES1_S1_EviiT3_lPKT2_lT1_lS5_lS6_lS2_lPT4_lS6_li.numbered_sgpr, 49
	.set _ZL32rocblas_gemvt_warp_reduce_kernelILb1ELi1024Ei19rocblas_complex_numIdES1_S1_EviiT3_lPKT2_lT1_lS5_lS6_lS2_lPT4_lS6_li.num_named_barrier, 0
	.set _ZL32rocblas_gemvt_warp_reduce_kernelILb1ELi1024Ei19rocblas_complex_numIdES1_S1_EviiT3_lPKT2_lT1_lS5_lS6_lS2_lPT4_lS6_li.private_seg_size, 0
	.set _ZL32rocblas_gemvt_warp_reduce_kernelILb1ELi1024Ei19rocblas_complex_numIdES1_S1_EviiT3_lPKT2_lT1_lS5_lS6_lS2_lPT4_lS6_li.uses_vcc, 1
	.set _ZL32rocblas_gemvt_warp_reduce_kernelILb1ELi1024Ei19rocblas_complex_numIdES1_S1_EviiT3_lPKT2_lT1_lS5_lS6_lS2_lPT4_lS6_li.uses_flat_scratch, 0
	.set _ZL32rocblas_gemvt_warp_reduce_kernelILb1ELi1024Ei19rocblas_complex_numIdES1_S1_EviiT3_lPKT2_lT1_lS5_lS6_lS2_lPT4_lS6_li.has_dyn_sized_stack, 0
	.set _ZL32rocblas_gemvt_warp_reduce_kernelILb1ELi1024Ei19rocblas_complex_numIdES1_S1_EviiT3_lPKT2_lT1_lS5_lS6_lS2_lPT4_lS6_li.has_recursion, 0
	.set _ZL32rocblas_gemvt_warp_reduce_kernelILb1ELi1024Ei19rocblas_complex_numIdES1_S1_EviiT3_lPKT2_lT1_lS5_lS6_lS2_lPT4_lS6_li.has_indirect_call, 0
	.section	.AMDGPU.csdata,"",@progbits
; Kernel info:
; codeLenInByte = 2136
; TotalNumSgprs: 51
; NumVgprs: 32
; ScratchSize: 0
; MemoryBound: 0
; FloatMode: 240
; IeeeMode: 1
; LDSByteSize: 512 bytes/workgroup (compile time only)
; SGPRBlocks: 0
; VGPRBlocks: 3
; NumSGPRsForWavesPerEU: 51
; NumVGPRsForWavesPerEU: 32
; Occupancy: 16
; WaveLimiterHint : 1
; COMPUTE_PGM_RSRC2:SCRATCH_EN: 0
; COMPUTE_PGM_RSRC2:USER_SGPR: 2
; COMPUTE_PGM_RSRC2:TRAP_HANDLER: 0
; COMPUTE_PGM_RSRC2:TGID_X_EN: 1
; COMPUTE_PGM_RSRC2:TGID_Y_EN: 0
; COMPUTE_PGM_RSRC2:TGID_Z_EN: 1
; COMPUTE_PGM_RSRC2:TIDIG_COMP_CNT: 0
	.section	.text._ZL32rocblas_gemvt_warp_reduce_kernelILb1ELi1024El19rocblas_complex_numIdES1_S1_EviiT3_lPKT2_lT1_lS5_lS6_lS2_lPT4_lS6_li,"axG",@progbits,_ZL32rocblas_gemvt_warp_reduce_kernelILb1ELi1024El19rocblas_complex_numIdES1_S1_EviiT3_lPKT2_lT1_lS5_lS6_lS2_lPT4_lS6_li,comdat
	.globl	_ZL32rocblas_gemvt_warp_reduce_kernelILb1ELi1024El19rocblas_complex_numIdES1_S1_EviiT3_lPKT2_lT1_lS5_lS6_lS2_lPT4_lS6_li ; -- Begin function _ZL32rocblas_gemvt_warp_reduce_kernelILb1ELi1024El19rocblas_complex_numIdES1_S1_EviiT3_lPKT2_lT1_lS5_lS6_lS2_lPT4_lS6_li
	.p2align	8
	.type	_ZL32rocblas_gemvt_warp_reduce_kernelILb1ELi1024El19rocblas_complex_numIdES1_S1_EviiT3_lPKT2_lT1_lS5_lS6_lS2_lPT4_lS6_li,@function
_ZL32rocblas_gemvt_warp_reduce_kernelILb1ELi1024El19rocblas_complex_numIdES1_S1_EviiT3_lPKT2_lT1_lS5_lS6_lS2_lPT4_lS6_li: ; @_ZL32rocblas_gemvt_warp_reduce_kernelILb1ELi1024El19rocblas_complex_numIdES1_S1_EviiT3_lPKT2_lT1_lS5_lS6_lS2_lPT4_lS6_li
; %bb.0:
	s_load_b32 s33, s[0:1], 0x98
	s_lshr_b32 s6, ttmp7, 16
	s_wait_kmcnt 0x0
	s_cmp_ge_u32 s6, s33
	s_cbranch_scc1 .LBB189_34
; %bb.1:
	s_clause 0x4
	s_load_b512 s[8:23], s[0:1], 0x20
	s_load_b256 s[24:31], s[0:1], 0x78
	s_load_b128 s[36:39], s[0:1], 0x8
	s_load_b128 s[40:43], s[0:1], 0x60
	s_load_b32 s34, s[0:1], 0x0
	v_lshrrev_b32_e32 v7, 1, v0
	s_mov_b32 s2, ttmp9
	s_ashr_i32 s3, ttmp9, 31
	v_dual_mov_b32 v1, 0 :: v_dual_and_b32 v6, 31, v0
	v_cmp_eq_u32_e64 s0, 0, v0
	v_cmp_gt_u32_e64 s1, 32, v0
	v_mbcnt_lo_u32_b32 v22, -1, 0
	s_mov_b32 s7, 0
	v_lshlrev_b32_e32 v20, 4, v6
	v_and_b32_e32 v21, 0x1f0, v7
	s_wait_kmcnt 0x0
	v_mad_co_u64_u32 v[2:3], null, s20, v0, 0
	v_cmp_neq_f64_e64 s35, s[36:37], 0
	v_cmp_neq_f64_e64 s46, s[38:39], 0
	v_cmp_neq_f64_e64 s47, s[40:41], 1.0
	v_cmp_gt_i32_e32 vcc_lo, s34, v0
	v_cmp_neq_f64_e64 s48, s[42:43], 0
	v_cmp_neq_f64_e64 s49, s[40:41], 0
	s_lshl_b64 s[4:5], s[18:19], 4
	s_mul_u64 s[44:45], s[28:29], s[2:3]
	v_cndmask_b32_e32 v4, 0, v0, vcc_lo
	s_ashr_i32 s28, s34, 31
	s_lshl_b64 s[18:19], s[26:27], 4
	s_lshl_b64 s[26:27], s[10:11], 4
	s_mul_u64 s[2:3], s[12:13], s[2:3]
	v_lshlrev_b32_e32 v8, 4, v4
	v_mad_co_u64_u32 v[3:4], null, s21, v0, v[3:4]
	s_add_nc_u64 s[10:11], s[16:17], s[4:5]
	s_lshr_b32 s16, s28, 22
	s_add_nc_u64 s[12:13], s[24:25], s[18:19]
	s_lshl_b64 s[18:19], s[2:3], 4
	s_add_co_i32 s2, s34, s16
	s_add_nc_u64 s[4:5], s[8:9], s[26:27]
	s_and_b32 s16, s2, 0xfffffc00
	v_add_co_u32 v10, s3, s4, v8
	v_or_b32_e32 v9, s16, v0
	v_lshlrev_b64_e32 v[2:3], 4, v[2:3]
	v_add_co_ci_u32_e64 v11, null, s5, 0, s3
	s_delay_alu instid0(VALU_DEP_4) | instskip(NEXT) | instid1(VALU_DEP_4)
	v_add_co_u32 v18, vcc_lo, v10, s18
	v_mul_lo_u32 v12, s21, v9
	v_mad_co_u64_u32 v[4:5], null, s20, v9, 0
	s_wait_alu 0xfffd
	v_add_co_ci_u32_e64 v19, null, s19, v11, vcc_lo
	v_add_co_u32 v2, vcc_lo, s10, v2
	s_add_nc_u64 s[18:19], s[18:19], s[26:27]
	s_ashr_i32 s17, s16, 31
	s_wait_alu 0xfffd
	v_add_co_ci_u32_e64 v3, null, s11, v3, vcc_lo
	s_wait_alu 0xfffe
	s_add_nc_u64 s[8:9], s[8:9], s[18:19]
	s_mul_i32 s4, s20, s17
	v_add_co_u32 v10, vcc_lo, v2, 8
	v_add_co_u32 v2, s8, s8, v8
	s_wait_alu 0xfffe
	v_add3_u32 v5, v5, s4, v12
	s_wait_alu 0xfffd
	v_add_co_ci_u32_e64 v11, null, 0, v3, vcc_lo
	s_wait_alu 0xf1ff
	v_add_co_ci_u32_e64 v3, null, s9, 0, s8
	v_add_co_u32 v12, vcc_lo, v2, 8
	s_or_b32 s5, s35, s46
	v_lshlrev_b64_e32 v[14:15], 4, v[4:5]
	v_cmp_gt_i32_e64 s2, s16, v0
	v_cmp_gt_i32_e64 s3, s34, v9
	v_cmp_eq_u32_e64 s4, 0, v6
	s_wait_alu 0xfffd
	v_add_co_ci_u32_e64 v13, null, 0, v3, vcc_lo
	s_wait_alu 0xfffe
	s_or_b32 s24, s5, s47
	s_lshl_b64 s[8:9], s[22:23], 4
	s_or_b32 s28, s24, s48
	s_xor_b32 s29, s5, -1
	s_or_b32 s34, s49, s48
	s_lshl_b64 s[18:19], s[20:21], 14
	s_lshl_b64 s[20:21], s[14:15], 4
	;; [unrolled: 1-line block ×3, first 2 shown]
	s_branch .LBB189_4
.LBB189_2:                              ;   in Loop: Header=BB189_4 Depth=1
	s_wait_alu 0xfffe
	s_or_b32 exec_lo, exec_lo, s5
.LBB189_3:                              ;   in Loop: Header=BB189_4 Depth=1
	s_add_co_i32 s6, s6, 0x10000
	s_wait_alu 0xfffe
	s_cmp_lt_u32 s6, s33
	s_cbranch_scc0 .LBB189_34
.LBB189_4:                              ; =>This Loop Header: Depth=1
                                        ;     Child Loop BB189_23 Depth 2
	s_and_not1_b32 vcc_lo, exec_lo, s28
	s_wait_alu 0xfffe
	s_cbranch_vccnz .LBB189_3
; %bb.5:                                ;   in Loop: Header=BB189_4 Depth=1
	s_mul_u64 s[26:27], s[30:31], s[6:7]
	s_and_not1_b32 vcc_lo, exec_lo, s29
	s_lshl_b64 s[26:27], s[26:27], 4
	s_delay_alu instid0(SALU_CYCLE_1)
	s_add_nc_u64 s[26:27], s[12:13], s[26:27]
	s_wait_alu 0xfffe
	s_cbranch_vccnz .LBB189_9
; %bb.6:                                ;   in Loop: Header=BB189_4 Depth=1
	s_mov_b32 s5, 0
	s_mov_b32 s35, 0
                                        ; implicit-def: $vgpr4_vgpr5
	s_and_saveexec_b32 s44, s0
	s_cbranch_execz .LBB189_10
; %bb.7:                                ;   in Loop: Header=BB189_4 Depth=1
	s_and_not1_b32 vcc_lo, exec_lo, s34
	s_wait_alu 0xfffe
	s_cbranch_vccnz .LBB189_11
; %bb.8:                                ;   in Loop: Header=BB189_4 Depth=1
	s_add_nc_u64 s[46:47], s[26:27], s[24:25]
	s_wait_dscnt 0x0
	global_load_b128 v[4:7], v1, s[46:47]
	s_wait_loadcnt 0x0
	v_mul_f64_e32 v[2:3], s[42:43], v[6:7]
	v_mul_f64_e32 v[6:7], s[40:41], v[6:7]
	s_delay_alu instid0(VALU_DEP_2) | instskip(NEXT) | instid1(VALU_DEP_2)
	v_fma_f64 v[2:3], s[40:41], v[4:5], -v[2:3]
	v_fma_f64 v[4:5], s[42:43], v[4:5], v[6:7]
	s_branch .LBB189_12
.LBB189_9:                              ;   in Loop: Header=BB189_4 Depth=1
	s_mov_b32 s35, 0
                                        ; implicit-def: $vgpr4_vgpr5
	s_cbranch_execnz .LBB189_13
	s_branch .LBB189_32
.LBB189_10:                             ;   in Loop: Header=BB189_4 Depth=1
	s_wait_alu 0xfffe
	s_or_b32 exec_lo, exec_lo, s44
	s_delay_alu instid0(SALU_CYCLE_1)
	s_and_b32 vcc_lo, exec_lo, s5
	s_wait_alu 0xfffe
	s_cbranch_vccnz .LBB189_13
	s_branch .LBB189_32
.LBB189_11:                             ;   in Loop: Header=BB189_4 Depth=1
	v_mov_b32_e32 v4, 0
	v_dual_mov_b32 v5, 0 :: v_dual_mov_b32 v2, 0
	v_mov_b32_e32 v3, 0
.LBB189_12:                             ;   in Loop: Header=BB189_4 Depth=1
	s_mov_b32 s35, exec_lo
	s_or_b32 exec_lo, exec_lo, s44
	s_delay_alu instid0(SALU_CYCLE_1)
	s_and_b32 vcc_lo, exec_lo, s5
	s_wait_alu 0xfffe
	s_cbranch_vccz .LBB189_32
.LBB189_13:                             ;   in Loop: Header=BB189_4 Depth=1
	s_wait_dscnt 0x0
	v_mov_b32_e32 v5, 0
	v_dual_mov_b32 v6, 0 :: v_dual_mov_b32 v7, 0
	v_mov_b32_e32 v8, 0
	s_and_saveexec_b32 s44, s2
	s_cbranch_execnz .LBB189_22
; %bb.14:                               ;   in Loop: Header=BB189_4 Depth=1
	s_wait_alu 0xfffe
	s_or_b32 exec_lo, exec_lo, s44
	s_and_saveexec_b32 s5, s3
	s_cbranch_execnz .LBB189_25
.LBB189_15:                             ;   in Loop: Header=BB189_4 Depth=1
	s_wait_alu 0xfffe
	s_or_b32 exec_lo, exec_lo, s5
	s_and_saveexec_b32 s5, s1
.LBB189_16:                             ;   in Loop: Header=BB189_4 Depth=1
	v_dual_mov_b32 v2, v1 :: v_dual_mov_b32 v3, v1
	v_mov_b32_e32 v4, v1
	ds_store_b128 v20, v[1:4]
.LBB189_17:                             ;   in Loop: Header=BB189_4 Depth=1
	s_wait_alu 0xfffe
	s_or_b32 exec_lo, exec_lo, s5
	v_lshl_or_b32 v16, v22, 2, 64
	v_cmp_gt_u32_e32 vcc_lo, 24, v22
	s_wait_dscnt 0x0
	s_barrier_signal -1
	s_barrier_wait -1
	ds_bpermute_b32 v2, v16, v7
	ds_bpermute_b32 v3, v16, v8
	;; [unrolled: 1-line block ×4, first 2 shown]
	s_wait_dscnt 0x0
	global_inv scope:SCOPE_SE
	v_add_f64_e32 v[2:3], v[7:8], v[2:3]
	v_add_f64_e32 v[4:5], v[5:6], v[23:24]
	s_wait_alu 0xfffd
	v_cndmask_b32_e64 v6, 0, 8, vcc_lo
	v_cmp_gt_u32_e32 vcc_lo, 28, v22
	s_delay_alu instid0(VALU_DEP_2)
	v_add_lshl_u32 v17, v6, v22, 2
	ds_bpermute_b32 v6, v17, v2
	ds_bpermute_b32 v7, v17, v3
	;; [unrolled: 1-line block ×4, first 2 shown]
	s_wait_dscnt 0x2
	v_add_f64_e32 v[2:3], v[2:3], v[6:7]
	s_wait_alu 0xfffd
	v_cndmask_b32_e64 v6, 0, 4, vcc_lo
	s_wait_dscnt 0x0
	v_add_f64_e32 v[4:5], v[4:5], v[8:9]
	v_cmp_gt_u32_e32 vcc_lo, 30, v22
	s_delay_alu instid0(VALU_DEP_3)
	v_add_lshl_u32 v23, v6, v22, 2
	ds_bpermute_b32 v6, v23, v2
	ds_bpermute_b32 v7, v23, v3
	;; [unrolled: 1-line block ×4, first 2 shown]
	s_wait_dscnt 0x2
	v_add_f64_e32 v[2:3], v[2:3], v[6:7]
	s_wait_alu 0xfffd
	v_cndmask_b32_e64 v6, 0, 2, vcc_lo
	s_wait_dscnt 0x0
	v_add_f64_e32 v[4:5], v[4:5], v[8:9]
	v_cmp_ne_u32_e32 vcc_lo, 31, v22
	s_delay_alu instid0(VALU_DEP_3)
	v_add_lshl_u32 v24, v6, v22, 2
	ds_bpermute_b32 v6, v24, v2
	ds_bpermute_b32 v7, v24, v3
	;; [unrolled: 1-line block ×4, first 2 shown]
	s_wait_dscnt 0x2
	v_add_f64_e32 v[2:3], v[2:3], v[6:7]
	s_wait_alu 0xfffd
	v_add_co_ci_u32_e64 v6, null, 0, v22, vcc_lo
	s_wait_dscnt 0x0
	v_add_f64_e32 v[4:5], v[4:5], v[8:9]
	s_delay_alu instid0(VALU_DEP_2)
	v_lshlrev_b32_e32 v25, 2, v6
	ds_bpermute_b32 v6, v25, v2
	ds_bpermute_b32 v7, v25, v3
	;; [unrolled: 1-line block ×4, first 2 shown]
	s_and_saveexec_b32 s5, s4
	s_cbranch_execz .LBB189_19
; %bb.18:                               ;   in Loop: Header=BB189_4 Depth=1
	s_wait_dscnt 0x0
	v_add_f64_e32 v[4:5], v[4:5], v[8:9]
	v_add_f64_e32 v[2:3], v[2:3], v[6:7]
	ds_store_b128 v21, v[2:5]
.LBB189_19:                             ;   in Loop: Header=BB189_4 Depth=1
	s_wait_alu 0xfffe
	s_or_b32 exec_lo, exec_lo, s5
	s_wait_dscnt 0x0
	v_mov_b32_e32 v8, 0
	v_dual_mov_b32 v9, 0 :: v_dual_mov_b32 v6, 0
	v_mov_b32_e32 v7, 0
	s_wait_loadcnt 0x0
	s_barrier_signal -1
	s_barrier_wait -1
	global_inv scope:SCOPE_SE
	s_and_saveexec_b32 s5, s1
	s_cbranch_execnz .LBB189_26
; %bb.20:                               ;   in Loop: Header=BB189_4 Depth=1
	s_wait_alu 0xfffe
	s_or_b32 exec_lo, exec_lo, s5
	s_and_saveexec_b32 s5, s1
	s_cbranch_execnz .LBB189_27
.LBB189_21:                             ;   in Loop: Header=BB189_4 Depth=1
	s_wait_alu 0xfffe
	s_or_b32 exec_lo, exec_lo, s5
                                        ; implicit-def: $vgpr4_vgpr5
	s_and_saveexec_b32 s5, s0
	s_cbranch_execnz .LBB189_28
	s_branch .LBB189_31
.LBB189_22:                             ;   in Loop: Header=BB189_4 Depth=1
	v_mad_co_u64_u32 v[16:17], null, s20, s6, v[12:13]
	v_mad_co_u64_u32 v[2:3], null, s8, s6, v[10:11]
	s_mov_b32 s45, 0
	v_dual_mov_b32 v7, 0 :: v_dual_mov_b32 v4, v17
	s_delay_alu instid0(VALU_DEP_1) | instskip(SKIP_3) | instid1(VALU_DEP_4)
	v_mad_co_u64_u32 v[23:24], null, s9, s6, v[3:4]
	v_mad_co_u64_u32 v[4:5], null, s21, s6, v[4:5]
	v_mov_b32_e32 v5, 0
	v_mov_b32_e32 v6, 0
	v_dual_mov_b32 v8, 0 :: v_dual_mov_b32 v3, v23
	s_delay_alu instid0(VALU_DEP_4)
	v_dual_mov_b32 v17, v4 :: v_dual_mov_b32 v4, v0
.LBB189_23:                             ;   Parent Loop BB189_4 Depth=1
                                        ; =>  This Inner Loop Header: Depth=2
	global_load_b128 v[23:26], v[16:17], off offset:-8
	global_load_b128 v[27:30], v[2:3], off offset:-8
	v_add_nc_u32_e32 v4, 0x400, v4
	v_add_co_u32 v2, vcc_lo, v2, s18
	s_wait_alu 0xfffd
	v_add_co_ci_u32_e64 v3, null, s19, v3, vcc_lo
	s_delay_alu instid0(VALU_DEP_3)
	v_cmp_le_i32_e32 vcc_lo, s16, v4
	v_add_co_u32 v16, s5, 0x4000, v16
	s_wait_alu 0xf1ff
	v_add_co_ci_u32_e64 v17, null, 0, v17, s5
	s_wait_alu 0xfffe
	s_or_b32 s45, vcc_lo, s45
	s_wait_loadcnt 0x0
	v_mul_f64_e32 v[31:32], v[25:26], v[29:30]
	v_mul_f64_e32 v[25:26], v[25:26], v[27:28]
	s_delay_alu instid0(VALU_DEP_2) | instskip(NEXT) | instid1(VALU_DEP_2)
	v_fma_f64 v[27:28], v[23:24], v[27:28], v[31:32]
	v_fma_f64 v[23:24], v[23:24], v[29:30], -v[25:26]
	s_delay_alu instid0(VALU_DEP_2) | instskip(NEXT) | instid1(VALU_DEP_2)
	v_add_f64_e32 v[7:8], v[7:8], v[27:28]
	v_add_f64_e32 v[5:6], v[5:6], v[23:24]
	s_wait_alu 0xfffe
	s_and_not1_b32 exec_lo, exec_lo, s45
	s_cbranch_execnz .LBB189_23
; %bb.24:                               ;   in Loop: Header=BB189_4 Depth=1
	s_or_b32 exec_lo, exec_lo, s45
	s_delay_alu instid0(SALU_CYCLE_1)
	s_or_b32 exec_lo, exec_lo, s44
	s_and_saveexec_b32 s5, s3
	s_cbranch_execz .LBB189_15
.LBB189_25:                             ;   in Loop: Header=BB189_4 Depth=1
	s_mul_u64 s[44:45], s[14:15], s[6:7]
	s_mul_u64 s[46:47], s[22:23], s[6:7]
	s_wait_alu 0xfffe
	s_lshl_b64 s[44:45], s[44:45], 4
	s_lshl_b64 s[46:47], s[46:47], 4
	s_wait_alu 0xfffe
	v_add_co_u32 v4, vcc_lo, v18, s44
	s_wait_alu 0xfffd
	v_add_co_ci_u32_e64 v9, null, s45, v19, vcc_lo
	s_add_nc_u64 s[44:45], s[10:11], s[46:47]
	s_lshl_b64 s[46:47], s[16:17], 4
	s_wait_alu 0xfffe
	v_add_co_u32 v2, vcc_lo, s44, v14
	s_wait_alu 0xfffd
	v_add_co_ci_u32_e64 v3, null, s45, v15, vcc_lo
	v_add_co_u32 v16, vcc_lo, v4, s46
	s_wait_alu 0xfffd
	v_add_co_ci_u32_e64 v17, null, s47, v9, vcc_lo
	global_load_b128 v[23:26], v[2:3], off
	global_load_b128 v[27:30], v[16:17], off
	s_wait_loadcnt 0x0
	v_mul_f64_e32 v[2:3], v[29:30], v[25:26]
	v_mul_f64_e32 v[16:17], v[29:30], v[23:24]
	s_delay_alu instid0(VALU_DEP_2) | instskip(NEXT) | instid1(VALU_DEP_2)
	v_fma_f64 v[2:3], v[27:28], v[23:24], v[2:3]
	v_fma_f64 v[16:17], v[27:28], v[25:26], -v[16:17]
	s_delay_alu instid0(VALU_DEP_2) | instskip(NEXT) | instid1(VALU_DEP_2)
	v_add_f64_e32 v[7:8], v[7:8], v[2:3]
	v_add_f64_e32 v[5:6], v[5:6], v[16:17]
	s_or_b32 exec_lo, exec_lo, s5
	s_and_saveexec_b32 s5, s1
	s_cbranch_execnz .LBB189_16
	s_branch .LBB189_17
.LBB189_26:                             ;   in Loop: Header=BB189_4 Depth=1
	ds_load_b128 v[6:9], v20
	s_wait_alu 0xfffe
	s_or_b32 exec_lo, exec_lo, s5
	s_and_saveexec_b32 s5, s1
	s_cbranch_execz .LBB189_21
.LBB189_27:                             ;   in Loop: Header=BB189_4 Depth=1
	s_wait_dscnt 0x0
	ds_bpermute_b32 v2, v16, v6
	ds_bpermute_b32 v3, v16, v7
	ds_bpermute_b32 v4, v16, v8
	ds_bpermute_b32 v5, v16, v9
	s_wait_dscnt 0x2
	v_add_f64_e32 v[2:3], v[6:7], v[2:3]
	s_wait_dscnt 0x0
	v_add_f64_e32 v[4:5], v[8:9], v[4:5]
	ds_bpermute_b32 v6, v17, v2
	ds_bpermute_b32 v7, v17, v3
	ds_bpermute_b32 v8, v17, v4
	ds_bpermute_b32 v9, v17, v5
	s_wait_dscnt 0x2
	v_add_f64_e32 v[2:3], v[2:3], v[6:7]
	s_wait_dscnt 0x0
	v_add_f64_e32 v[4:5], v[4:5], v[8:9]
	;; [unrolled: 8-line block ×5, first 2 shown]
	s_wait_alu 0xfffe
	s_or_b32 exec_lo, exec_lo, s5
                                        ; implicit-def: $vgpr4_vgpr5
	s_and_saveexec_b32 s5, s0
	s_cbranch_execz .LBB189_31
.LBB189_28:                             ;   in Loop: Header=BB189_4 Depth=1
	s_wait_dscnt 0x0
	s_delay_alu instid0(VALU_DEP_1) | instskip(SKIP_2) | instid1(VALU_DEP_2)
	v_mul_f64_e32 v[2:3], s[38:39], v[8:9]
	v_mul_f64_e32 v[4:5], s[36:37], v[8:9]
	s_and_not1_b32 vcc_lo, exec_lo, s34
	v_fma_f64 v[2:3], s[36:37], v[6:7], -v[2:3]
	s_delay_alu instid0(VALU_DEP_2)
	v_fma_f64 v[4:5], s[38:39], v[6:7], v[4:5]
	s_wait_alu 0xfffe
	s_cbranch_vccnz .LBB189_30
; %bb.29:                               ;   in Loop: Header=BB189_4 Depth=1
	s_add_nc_u64 s[44:45], s[26:27], s[24:25]
	global_load_b128 v[6:9], v1, s[44:45]
	s_wait_loadcnt 0x0
	v_mul_f64_e32 v[16:17], s[42:43], v[8:9]
	v_mul_f64_e32 v[8:9], s[40:41], v[8:9]
	s_delay_alu instid0(VALU_DEP_2) | instskip(NEXT) | instid1(VALU_DEP_2)
	v_fma_f64 v[16:17], s[40:41], v[6:7], -v[16:17]
	v_fma_f64 v[6:7], s[42:43], v[6:7], v[8:9]
	s_delay_alu instid0(VALU_DEP_2) | instskip(NEXT) | instid1(VALU_DEP_2)
	v_add_f64_e32 v[2:3], v[2:3], v[16:17]
	v_add_f64_e32 v[4:5], v[4:5], v[6:7]
.LBB189_30:                             ;   in Loop: Header=BB189_4 Depth=1
	s_or_b32 s35, s35, exec_lo
.LBB189_31:                             ;   in Loop: Header=BB189_4 Depth=1
	s_wait_alu 0xfffe
	s_or_b32 exec_lo, exec_lo, s5
.LBB189_32:                             ;   in Loop: Header=BB189_4 Depth=1
	s_wait_alu 0xfffe
	s_and_saveexec_b32 s5, s35
	s_cbranch_execz .LBB189_2
; %bb.33:                               ;   in Loop: Header=BB189_4 Depth=1
	s_add_nc_u64 s[26:27], s[26:27], s[24:25]
	global_store_b128 v1, v[2:5], s[26:27]
	s_branch .LBB189_2
.LBB189_34:
	s_endpgm
	.section	.rodata,"a",@progbits
	.p2align	6, 0x0
	.amdhsa_kernel _ZL32rocblas_gemvt_warp_reduce_kernelILb1ELi1024El19rocblas_complex_numIdES1_S1_EviiT3_lPKT2_lT1_lS5_lS6_lS2_lPT4_lS6_li
		.amdhsa_group_segment_fixed_size 512
		.amdhsa_private_segment_fixed_size 0
		.amdhsa_kernarg_size 156
		.amdhsa_user_sgpr_count 2
		.amdhsa_user_sgpr_dispatch_ptr 0
		.amdhsa_user_sgpr_queue_ptr 0
		.amdhsa_user_sgpr_kernarg_segment_ptr 1
		.amdhsa_user_sgpr_dispatch_id 0
		.amdhsa_user_sgpr_private_segment_size 0
		.amdhsa_wavefront_size32 1
		.amdhsa_uses_dynamic_stack 0
		.amdhsa_enable_private_segment 0
		.amdhsa_system_sgpr_workgroup_id_x 1
		.amdhsa_system_sgpr_workgroup_id_y 0
		.amdhsa_system_sgpr_workgroup_id_z 1
		.amdhsa_system_sgpr_workgroup_info 0
		.amdhsa_system_vgpr_workitem_id 0
		.amdhsa_next_free_vgpr 33
		.amdhsa_next_free_sgpr 50
		.amdhsa_reserve_vcc 1
		.amdhsa_float_round_mode_32 0
		.amdhsa_float_round_mode_16_64 0
		.amdhsa_float_denorm_mode_32 3
		.amdhsa_float_denorm_mode_16_64 3
		.amdhsa_fp16_overflow 0
		.amdhsa_workgroup_processor_mode 1
		.amdhsa_memory_ordered 1
		.amdhsa_forward_progress 1
		.amdhsa_inst_pref_size 17
		.amdhsa_round_robin_scheduling 0
		.amdhsa_exception_fp_ieee_invalid_op 0
		.amdhsa_exception_fp_denorm_src 0
		.amdhsa_exception_fp_ieee_div_zero 0
		.amdhsa_exception_fp_ieee_overflow 0
		.amdhsa_exception_fp_ieee_underflow 0
		.amdhsa_exception_fp_ieee_inexact 0
		.amdhsa_exception_int_div_zero 0
	.end_amdhsa_kernel
	.section	.text._ZL32rocblas_gemvt_warp_reduce_kernelILb1ELi1024El19rocblas_complex_numIdES1_S1_EviiT3_lPKT2_lT1_lS5_lS6_lS2_lPT4_lS6_li,"axG",@progbits,_ZL32rocblas_gemvt_warp_reduce_kernelILb1ELi1024El19rocblas_complex_numIdES1_S1_EviiT3_lPKT2_lT1_lS5_lS6_lS2_lPT4_lS6_li,comdat
.Lfunc_end189:
	.size	_ZL32rocblas_gemvt_warp_reduce_kernelILb1ELi1024El19rocblas_complex_numIdES1_S1_EviiT3_lPKT2_lT1_lS5_lS6_lS2_lPT4_lS6_li, .Lfunc_end189-_ZL32rocblas_gemvt_warp_reduce_kernelILb1ELi1024El19rocblas_complex_numIdES1_S1_EviiT3_lPKT2_lT1_lS5_lS6_lS2_lPT4_lS6_li
                                        ; -- End function
	.set _ZL32rocblas_gemvt_warp_reduce_kernelILb1ELi1024El19rocblas_complex_numIdES1_S1_EviiT3_lPKT2_lT1_lS5_lS6_lS2_lPT4_lS6_li.num_vgpr, 33
	.set _ZL32rocblas_gemvt_warp_reduce_kernelILb1ELi1024El19rocblas_complex_numIdES1_S1_EviiT3_lPKT2_lT1_lS5_lS6_lS2_lPT4_lS6_li.num_agpr, 0
	.set _ZL32rocblas_gemvt_warp_reduce_kernelILb1ELi1024El19rocblas_complex_numIdES1_S1_EviiT3_lPKT2_lT1_lS5_lS6_lS2_lPT4_lS6_li.numbered_sgpr, 50
	.set _ZL32rocblas_gemvt_warp_reduce_kernelILb1ELi1024El19rocblas_complex_numIdES1_S1_EviiT3_lPKT2_lT1_lS5_lS6_lS2_lPT4_lS6_li.num_named_barrier, 0
	.set _ZL32rocblas_gemvt_warp_reduce_kernelILb1ELi1024El19rocblas_complex_numIdES1_S1_EviiT3_lPKT2_lT1_lS5_lS6_lS2_lPT4_lS6_li.private_seg_size, 0
	.set _ZL32rocblas_gemvt_warp_reduce_kernelILb1ELi1024El19rocblas_complex_numIdES1_S1_EviiT3_lPKT2_lT1_lS5_lS6_lS2_lPT4_lS6_li.uses_vcc, 1
	.set _ZL32rocblas_gemvt_warp_reduce_kernelILb1ELi1024El19rocblas_complex_numIdES1_S1_EviiT3_lPKT2_lT1_lS5_lS6_lS2_lPT4_lS6_li.uses_flat_scratch, 0
	.set _ZL32rocblas_gemvt_warp_reduce_kernelILb1ELi1024El19rocblas_complex_numIdES1_S1_EviiT3_lPKT2_lT1_lS5_lS6_lS2_lPT4_lS6_li.has_dyn_sized_stack, 0
	.set _ZL32rocblas_gemvt_warp_reduce_kernelILb1ELi1024El19rocblas_complex_numIdES1_S1_EviiT3_lPKT2_lT1_lS5_lS6_lS2_lPT4_lS6_li.has_recursion, 0
	.set _ZL32rocblas_gemvt_warp_reduce_kernelILb1ELi1024El19rocblas_complex_numIdES1_S1_EviiT3_lPKT2_lT1_lS5_lS6_lS2_lPT4_lS6_li.has_indirect_call, 0
	.section	.AMDGPU.csdata,"",@progbits
; Kernel info:
; codeLenInByte = 2168
; TotalNumSgprs: 52
; NumVgprs: 33
; ScratchSize: 0
; MemoryBound: 0
; FloatMode: 240
; IeeeMode: 1
; LDSByteSize: 512 bytes/workgroup (compile time only)
; SGPRBlocks: 0
; VGPRBlocks: 4
; NumSGPRsForWavesPerEU: 52
; NumVGPRsForWavesPerEU: 33
; Occupancy: 16
; WaveLimiterHint : 1
; COMPUTE_PGM_RSRC2:SCRATCH_EN: 0
; COMPUTE_PGM_RSRC2:USER_SGPR: 2
; COMPUTE_PGM_RSRC2:TRAP_HANDLER: 0
; COMPUTE_PGM_RSRC2:TGID_X_EN: 1
; COMPUTE_PGM_RSRC2:TGID_Y_EN: 0
; COMPUTE_PGM_RSRC2:TGID_Z_EN: 1
; COMPUTE_PGM_RSRC2:TIDIG_COMP_CNT: 0
	.section	.text._ZL34rocblas_gemvn_sm_mn_batched_kernelILi32ELi24EPKfS1_KPfEviiT2_lPKT1_lilS7_lilS4_lPT3_lili,"axG",@progbits,_ZL34rocblas_gemvn_sm_mn_batched_kernelILi32ELi24EPKfS1_KPfEviiT2_lPKT1_lilS7_lilS4_lPT3_lili,comdat
	.globl	_ZL34rocblas_gemvn_sm_mn_batched_kernelILi32ELi24EPKfS1_KPfEviiT2_lPKT1_lilS7_lilS4_lPT3_lili ; -- Begin function _ZL34rocblas_gemvn_sm_mn_batched_kernelILi32ELi24EPKfS1_KPfEviiT2_lPKT1_lilS7_lilS4_lPT3_lili
	.p2align	8
	.type	_ZL34rocblas_gemvn_sm_mn_batched_kernelILi32ELi24EPKfS1_KPfEviiT2_lPKT1_lilS7_lilS4_lPT3_lili,@function
_ZL34rocblas_gemvn_sm_mn_batched_kernelILi32ELi24EPKfS1_KPfEviiT2_lPKT1_lilS7_lilS4_lPT3_lili: ; @_ZL34rocblas_gemvn_sm_mn_batched_kernelILi32ELi24EPKfS1_KPfEviiT2_lPKT1_lilS7_lilS4_lPT3_lili
; %bb.0:
	s_endpgm
	.section	.rodata,"a",@progbits
	.p2align	6, 0x0
	.amdhsa_kernel _ZL34rocblas_gemvn_sm_mn_batched_kernelILi32ELi24EPKfS1_KPfEviiT2_lPKT1_lilS7_lilS4_lPT3_lili
		.amdhsa_group_segment_fixed_size 0
		.amdhsa_private_segment_fixed_size 0
		.amdhsa_kernarg_size 140
		.amdhsa_user_sgpr_count 2
		.amdhsa_user_sgpr_dispatch_ptr 0
		.amdhsa_user_sgpr_queue_ptr 0
		.amdhsa_user_sgpr_kernarg_segment_ptr 1
		.amdhsa_user_sgpr_dispatch_id 0
		.amdhsa_user_sgpr_private_segment_size 0
		.amdhsa_wavefront_size32 1
		.amdhsa_uses_dynamic_stack 0
		.amdhsa_enable_private_segment 0
		.amdhsa_system_sgpr_workgroup_id_x 1
		.amdhsa_system_sgpr_workgroup_id_y 0
		.amdhsa_system_sgpr_workgroup_id_z 0
		.amdhsa_system_sgpr_workgroup_info 0
		.amdhsa_system_vgpr_workitem_id 0
		.amdhsa_next_free_vgpr 1
		.amdhsa_next_free_sgpr 1
		.amdhsa_reserve_vcc 0
		.amdhsa_float_round_mode_32 0
		.amdhsa_float_round_mode_16_64 0
		.amdhsa_float_denorm_mode_32 3
		.amdhsa_float_denorm_mode_16_64 3
		.amdhsa_fp16_overflow 0
		.amdhsa_workgroup_processor_mode 1
		.amdhsa_memory_ordered 1
		.amdhsa_forward_progress 1
		.amdhsa_inst_pref_size 1
		.amdhsa_round_robin_scheduling 0
		.amdhsa_exception_fp_ieee_invalid_op 0
		.amdhsa_exception_fp_denorm_src 0
		.amdhsa_exception_fp_ieee_div_zero 0
		.amdhsa_exception_fp_ieee_overflow 0
		.amdhsa_exception_fp_ieee_underflow 0
		.amdhsa_exception_fp_ieee_inexact 0
		.amdhsa_exception_int_div_zero 0
	.end_amdhsa_kernel
	.section	.text._ZL34rocblas_gemvn_sm_mn_batched_kernelILi32ELi24EPKfS1_KPfEviiT2_lPKT1_lilS7_lilS4_lPT3_lili,"axG",@progbits,_ZL34rocblas_gemvn_sm_mn_batched_kernelILi32ELi24EPKfS1_KPfEviiT2_lPKT1_lilS7_lilS4_lPT3_lili,comdat
.Lfunc_end190:
	.size	_ZL34rocblas_gemvn_sm_mn_batched_kernelILi32ELi24EPKfS1_KPfEviiT2_lPKT1_lilS7_lilS4_lPT3_lili, .Lfunc_end190-_ZL34rocblas_gemvn_sm_mn_batched_kernelILi32ELi24EPKfS1_KPfEviiT2_lPKT1_lilS7_lilS4_lPT3_lili
                                        ; -- End function
	.set _ZL34rocblas_gemvn_sm_mn_batched_kernelILi32ELi24EPKfS1_KPfEviiT2_lPKT1_lilS7_lilS4_lPT3_lili.num_vgpr, 0
	.set _ZL34rocblas_gemvn_sm_mn_batched_kernelILi32ELi24EPKfS1_KPfEviiT2_lPKT1_lilS7_lilS4_lPT3_lili.num_agpr, 0
	.set _ZL34rocblas_gemvn_sm_mn_batched_kernelILi32ELi24EPKfS1_KPfEviiT2_lPKT1_lilS7_lilS4_lPT3_lili.numbered_sgpr, 0
	.set _ZL34rocblas_gemvn_sm_mn_batched_kernelILi32ELi24EPKfS1_KPfEviiT2_lPKT1_lilS7_lilS4_lPT3_lili.num_named_barrier, 0
	.set _ZL34rocblas_gemvn_sm_mn_batched_kernelILi32ELi24EPKfS1_KPfEviiT2_lPKT1_lilS7_lilS4_lPT3_lili.private_seg_size, 0
	.set _ZL34rocblas_gemvn_sm_mn_batched_kernelILi32ELi24EPKfS1_KPfEviiT2_lPKT1_lilS7_lilS4_lPT3_lili.uses_vcc, 0
	.set _ZL34rocblas_gemvn_sm_mn_batched_kernelILi32ELi24EPKfS1_KPfEviiT2_lPKT1_lilS7_lilS4_lPT3_lili.uses_flat_scratch, 0
	.set _ZL34rocblas_gemvn_sm_mn_batched_kernelILi32ELi24EPKfS1_KPfEviiT2_lPKT1_lilS7_lilS4_lPT3_lili.has_dyn_sized_stack, 0
	.set _ZL34rocblas_gemvn_sm_mn_batched_kernelILi32ELi24EPKfS1_KPfEviiT2_lPKT1_lilS7_lilS4_lPT3_lili.has_recursion, 0
	.set _ZL34rocblas_gemvn_sm_mn_batched_kernelILi32ELi24EPKfS1_KPfEviiT2_lPKT1_lilS7_lilS4_lPT3_lili.has_indirect_call, 0
	.section	.AMDGPU.csdata,"",@progbits
; Kernel info:
; codeLenInByte = 4
; TotalNumSgprs: 0
; NumVgprs: 0
; ScratchSize: 0
; MemoryBound: 0
; FloatMode: 240
; IeeeMode: 1
; LDSByteSize: 0 bytes/workgroup (compile time only)
; SGPRBlocks: 0
; VGPRBlocks: 0
; NumSGPRsForWavesPerEU: 1
; NumVGPRsForWavesPerEU: 1
; Occupancy: 16
; WaveLimiterHint : 0
; COMPUTE_PGM_RSRC2:SCRATCH_EN: 0
; COMPUTE_PGM_RSRC2:USER_SGPR: 2
; COMPUTE_PGM_RSRC2:TRAP_HANDLER: 0
; COMPUTE_PGM_RSRC2:TGID_X_EN: 1
; COMPUTE_PGM_RSRC2:TGID_Y_EN: 0
; COMPUTE_PGM_RSRC2:TGID_Z_EN: 0
; COMPUTE_PGM_RSRC2:TIDIG_COMP_CNT: 0
	.section	.text._ZL34rocblas_gemvn_sm_mn_batched_kernelILi32ELi24EPKffKPfEviiT2_lPKT1_lilS7_lilS4_lPT3_lili,"axG",@progbits,_ZL34rocblas_gemvn_sm_mn_batched_kernelILi32ELi24EPKffKPfEviiT2_lPKT1_lilS7_lilS4_lPT3_lili,comdat
	.globl	_ZL34rocblas_gemvn_sm_mn_batched_kernelILi32ELi24EPKffKPfEviiT2_lPKT1_lilS7_lilS4_lPT3_lili ; -- Begin function _ZL34rocblas_gemvn_sm_mn_batched_kernelILi32ELi24EPKffKPfEviiT2_lPKT1_lilS7_lilS4_lPT3_lili
	.p2align	8
	.type	_ZL34rocblas_gemvn_sm_mn_batched_kernelILi32ELi24EPKffKPfEviiT2_lPKT1_lilS7_lilS4_lPT3_lili,@function
_ZL34rocblas_gemvn_sm_mn_batched_kernelILi32ELi24EPKffKPfEviiT2_lPKT1_lilS7_lilS4_lPT3_lili: ; @_ZL34rocblas_gemvn_sm_mn_batched_kernelILi32ELi24EPKffKPfEviiT2_lPKT1_lilS7_lilS4_lPT3_lili
; %bb.0:
	s_endpgm
	.section	.rodata,"a",@progbits
	.p2align	6, 0x0
	.amdhsa_kernel _ZL34rocblas_gemvn_sm_mn_batched_kernelILi32ELi24EPKffKPfEviiT2_lPKT1_lilS7_lilS4_lPT3_lili
		.amdhsa_group_segment_fixed_size 0
		.amdhsa_private_segment_fixed_size 0
		.amdhsa_kernarg_size 140
		.amdhsa_user_sgpr_count 2
		.amdhsa_user_sgpr_dispatch_ptr 0
		.amdhsa_user_sgpr_queue_ptr 0
		.amdhsa_user_sgpr_kernarg_segment_ptr 1
		.amdhsa_user_sgpr_dispatch_id 0
		.amdhsa_user_sgpr_private_segment_size 0
		.amdhsa_wavefront_size32 1
		.amdhsa_uses_dynamic_stack 0
		.amdhsa_enable_private_segment 0
		.amdhsa_system_sgpr_workgroup_id_x 1
		.amdhsa_system_sgpr_workgroup_id_y 0
		.amdhsa_system_sgpr_workgroup_id_z 0
		.amdhsa_system_sgpr_workgroup_info 0
		.amdhsa_system_vgpr_workitem_id 0
		.amdhsa_next_free_vgpr 1
		.amdhsa_next_free_sgpr 1
		.amdhsa_reserve_vcc 0
		.amdhsa_float_round_mode_32 0
		.amdhsa_float_round_mode_16_64 0
		.amdhsa_float_denorm_mode_32 3
		.amdhsa_float_denorm_mode_16_64 3
		.amdhsa_fp16_overflow 0
		.amdhsa_workgroup_processor_mode 1
		.amdhsa_memory_ordered 1
		.amdhsa_forward_progress 1
		.amdhsa_inst_pref_size 1
		.amdhsa_round_robin_scheduling 0
		.amdhsa_exception_fp_ieee_invalid_op 0
		.amdhsa_exception_fp_denorm_src 0
		.amdhsa_exception_fp_ieee_div_zero 0
		.amdhsa_exception_fp_ieee_overflow 0
		.amdhsa_exception_fp_ieee_underflow 0
		.amdhsa_exception_fp_ieee_inexact 0
		.amdhsa_exception_int_div_zero 0
	.end_amdhsa_kernel
	.section	.text._ZL34rocblas_gemvn_sm_mn_batched_kernelILi32ELi24EPKffKPfEviiT2_lPKT1_lilS7_lilS4_lPT3_lili,"axG",@progbits,_ZL34rocblas_gemvn_sm_mn_batched_kernelILi32ELi24EPKffKPfEviiT2_lPKT1_lilS7_lilS4_lPT3_lili,comdat
.Lfunc_end191:
	.size	_ZL34rocblas_gemvn_sm_mn_batched_kernelILi32ELi24EPKffKPfEviiT2_lPKT1_lilS7_lilS4_lPT3_lili, .Lfunc_end191-_ZL34rocblas_gemvn_sm_mn_batched_kernelILi32ELi24EPKffKPfEviiT2_lPKT1_lilS7_lilS4_lPT3_lili
                                        ; -- End function
	.set _ZL34rocblas_gemvn_sm_mn_batched_kernelILi32ELi24EPKffKPfEviiT2_lPKT1_lilS7_lilS4_lPT3_lili.num_vgpr, 0
	.set _ZL34rocblas_gemvn_sm_mn_batched_kernelILi32ELi24EPKffKPfEviiT2_lPKT1_lilS7_lilS4_lPT3_lili.num_agpr, 0
	.set _ZL34rocblas_gemvn_sm_mn_batched_kernelILi32ELi24EPKffKPfEviiT2_lPKT1_lilS7_lilS4_lPT3_lili.numbered_sgpr, 0
	.set _ZL34rocblas_gemvn_sm_mn_batched_kernelILi32ELi24EPKffKPfEviiT2_lPKT1_lilS7_lilS4_lPT3_lili.num_named_barrier, 0
	.set _ZL34rocblas_gemvn_sm_mn_batched_kernelILi32ELi24EPKffKPfEviiT2_lPKT1_lilS7_lilS4_lPT3_lili.private_seg_size, 0
	.set _ZL34rocblas_gemvn_sm_mn_batched_kernelILi32ELi24EPKffKPfEviiT2_lPKT1_lilS7_lilS4_lPT3_lili.uses_vcc, 0
	.set _ZL34rocblas_gemvn_sm_mn_batched_kernelILi32ELi24EPKffKPfEviiT2_lPKT1_lilS7_lilS4_lPT3_lili.uses_flat_scratch, 0
	.set _ZL34rocblas_gemvn_sm_mn_batched_kernelILi32ELi24EPKffKPfEviiT2_lPKT1_lilS7_lilS4_lPT3_lili.has_dyn_sized_stack, 0
	.set _ZL34rocblas_gemvn_sm_mn_batched_kernelILi32ELi24EPKffKPfEviiT2_lPKT1_lilS7_lilS4_lPT3_lili.has_recursion, 0
	.set _ZL34rocblas_gemvn_sm_mn_batched_kernelILi32ELi24EPKffKPfEviiT2_lPKT1_lilS7_lilS4_lPT3_lili.has_indirect_call, 0
	.section	.AMDGPU.csdata,"",@progbits
; Kernel info:
; codeLenInByte = 4
; TotalNumSgprs: 0
; NumVgprs: 0
; ScratchSize: 0
; MemoryBound: 0
; FloatMode: 240
; IeeeMode: 1
; LDSByteSize: 0 bytes/workgroup (compile time only)
; SGPRBlocks: 0
; VGPRBlocks: 0
; NumSGPRsForWavesPerEU: 1
; NumVGPRsForWavesPerEU: 1
; Occupancy: 16
; WaveLimiterHint : 0
; COMPUTE_PGM_RSRC2:SCRATCH_EN: 0
; COMPUTE_PGM_RSRC2:USER_SGPR: 2
; COMPUTE_PGM_RSRC2:TRAP_HANDLER: 0
; COMPUTE_PGM_RSRC2:TGID_X_EN: 1
; COMPUTE_PGM_RSRC2:TGID_Y_EN: 0
; COMPUTE_PGM_RSRC2:TGID_Z_EN: 0
; COMPUTE_PGM_RSRC2:TIDIG_COMP_CNT: 0
	.section	.text._ZL20rocblas_gemvn_kernelILi64ELi4EiPKfS1_KPfEviiT3_lPKT2_lT1_lS7_lS8_lS4_lPT4_lS8_li,"axG",@progbits,_ZL20rocblas_gemvn_kernelILi64ELi4EiPKfS1_KPfEviiT3_lPKT2_lT1_lS7_lS8_lS4_lPT4_lS8_li,comdat
	.globl	_ZL20rocblas_gemvn_kernelILi64ELi4EiPKfS1_KPfEviiT3_lPKT2_lT1_lS7_lS8_lS4_lPT4_lS8_li ; -- Begin function _ZL20rocblas_gemvn_kernelILi64ELi4EiPKfS1_KPfEviiT3_lPKT2_lT1_lS7_lS8_lS4_lPT4_lS8_li
	.p2align	8
	.type	_ZL20rocblas_gemvn_kernelILi64ELi4EiPKfS1_KPfEviiT3_lPKT2_lT1_lS7_lS8_lS4_lPT4_lS8_li,@function
_ZL20rocblas_gemvn_kernelILi64ELi4EiPKfS1_KPfEviiT3_lPKT2_lT1_lS7_lS8_lS4_lPT4_lS8_li: ; @_ZL20rocblas_gemvn_kernelILi64ELi4EiPKfS1_KPfEviiT3_lPKT2_lT1_lS7_lS8_lS4_lPT4_lS8_li
; %bb.0:
	s_clause 0x1
	s_load_b64 s[2:3], s[0:1], 0x9c
	s_load_b32 s33, s[0:1], 0x88
	s_lshr_b32 s10, ttmp7, 16
	s_wait_kmcnt 0x0
	s_lshr_b32 s4, s2, 16
	s_and_b32 s2, s2, 0xffff
	s_and_b32 s3, s3, 0xffff
	s_mul_i32 s2, s4, s2
	s_delay_alu instid0(SALU_CYCLE_1) | instskip(NEXT) | instid1(SALU_CYCLE_1)
	s_mul_i32 s2, s2, s3
	s_cmp_lg_u32 s2, 0x100
	s_cselect_b32 s2, -1, 0
	s_cmp_ge_u32 s10, s33
	s_cselect_b32 s3, -1, 0
	s_delay_alu instid0(SALU_CYCLE_1) | instskip(NEXT) | instid1(SALU_CYCLE_1)
	s_or_b32 s2, s2, s3
	s_and_b32 vcc_lo, exec_lo, s2
	s_cbranch_vccnz .LBB192_56
; %bb.1:
	s_clause 0x2
	s_load_b32 s6, s[0:1], 0x78
	s_load_b64 s[8:9], s[0:1], 0x0
	s_load_b256 s[12:19], s[0:1], 0x8
	v_and_b32_e32 v9, 0x3ff, v0
	v_bfe_u32 v8, v0, 10, 10
	s_clause 0x3
	s_load_b32 s35, s[0:1], 0x28
	s_load_b128 s[28:31], s[0:1], 0x38
	s_load_b32 s34, s[0:1], 0x48
	s_load_b256 s[20:27], s[0:1], 0x58
	s_lshl_b32 s36, ttmp9, 8
	v_mov_b32_e32 v1, 0
	v_or_b32_e32 v23, s36, v9
	v_lshl_add_u32 v5, v8, 6, v9
	v_lshlrev_b32_e32 v24, 2, v8
	v_lshlrev_b32_e32 v6, 2, v9
	s_mov_b32 s11, 0
	v_add_nc_u32_e32 v7, 0x80, v23
	v_add_nc_u32_e32 v0, s36, v5
	v_add_nc_u32_e32 v4, 64, v23
	v_or_b32_e32 v11, s36, v5
	v_add_nc_u32_e32 v10, 0xc0, v23
	v_or_b32_e32 v12, 3, v24
	v_lshl_add_u32 v25, v8, 8, v6
	s_wait_kmcnt 0x0
	v_mad_co_u64_u32 v[2:3], null, s6, v0, 0
	s_ashr_i32 s3, s6, 31
	v_cmp_gt_i32_e64 s2, s8, v7
	v_mul_lo_u32 v7, s35, v24
	s_ashr_i32 s7, s9, 31
	v_cmp_gt_i32_e64 s1, s8, v4
	s_wait_alu 0xfffe
	s_lshr_b32 s7, s7, 28
	v_mad_co_u64_u32 v[3:4], null, s3, v0, v[3:4]
	v_mul_lo_u32 v4, s6, v11
	v_cmp_gt_i32_e64 s6, s8, v11
	v_mul_lo_u32 v11, v8, s35
	v_cmp_gt_i32_e64 s3, s8, v10
	v_or_b32_e32 v10, 2, v24
	s_wait_alu 0xfffe
	s_add_co_i32 s7, s9, s7
	v_mul_lo_u32 v13, v8, s34
	s_ashr_i32 s5, s8, 31
	s_mov_b32 s4, s8
	s_wait_alu 0xfffe
	s_and_b32 s37, s7, -16
	v_cmp_gt_i64_e32 vcc_lo, s[4:5], v[0:1]
	v_lshl_add_u32 v0, v8, 10, v6
	v_add3_u32 v26, v7, s35, v9
	v_mad_co_u64_u32 v[6:7], null, s35, v10, v[9:10]
	s_wait_alu 0xfffe
	s_sub_co_i32 s5, s9, s37
	v_mad_co_u64_u32 v[7:8], null, s35, v12, v[9:10]
	v_lshl_add_u32 v27, v11, 2, v9
	v_mad_co_u64_u32 v[8:9], null, s34, v24, s[34:35]
	v_mul_lo_u32 v28, s34, v10
	v_mul_lo_u32 v29, s34, v12
	s_wait_alu 0xfffe
	s_cmp_gt_i32 s5, 0
	v_cmp_gt_u32_e64 s5, 0x100, v5
	v_lshlrev_b64_e32 v[9:10], 2, v[2:3]
	v_cmp_gt_i32_e64 s0, s8, v23
	v_cmp_gt_i32_e64 s4, s37, v24
	v_ashrrev_i32_e32 v5, 31, v4
	v_lshlrev_b32_e32 v30, 2, v13
	s_cselect_b32 s38, -1, 0
	s_and_b32 s39, s5, vcc_lo
	s_lshl_b32 s40, s35, 4
	s_lshl_b32 s41, s34, 4
	s_lshl_b64 s[18:19], s[18:19], 2
	s_lshl_b64 s[30:31], s[30:31], 2
	;; [unrolled: 1-line block ×3, first 2 shown]
	s_branch .LBB192_4
.LBB192_2:                              ;   in Loop: Header=BB192_4 Depth=1
	s_wait_alu 0xfffe
	s_or_b32 exec_lo, exec_lo, s7
.LBB192_3:                              ;   in Loop: Header=BB192_4 Depth=1
	s_add_co_i32 s10, s10, 0x10000
	s_delay_alu instid0(SALU_CYCLE_1)
	s_cmp_lt_u32 s10, s33
	s_cbranch_scc0 .LBB192_56
.LBB192_4:                              ; =>This Loop Header: Depth=1
                                        ;     Child Loop BB192_24 Depth 2
	s_mul_u64 s[42:43], s[14:15], s[10:11]
	s_mul_u64 s[44:45], s[22:23], s[10:11]
	s_wait_alu 0xfffe
	s_lshl_b64 s[42:43], s[42:43], 2
	s_lshl_b64 s[44:45], s[44:45], 2
	s_wait_alu 0xfffe
	s_add_nc_u64 s[42:43], s[12:13], s[42:43]
	s_add_nc_u64 s[44:45], s[20:21], s[44:45]
	s_clause 0x1
	global_load_b32 v31, v1, s[42:43]
	global_load_b32 v11, v1, s[44:45]
	s_wait_loadcnt 0x1
	v_cmp_eq_f32_e64 s7, 0, v31
	s_wait_loadcnt 0x0
	v_cmp_eq_f32_e32 vcc_lo, 1.0, v11
	v_readfirstlane_b32 s42, v11
	s_and_b32 s8, s7, vcc_lo
	s_wait_alu 0xfffe
	s_and_b32 vcc_lo, exec_lo, s8
	s_wait_alu 0xfffe
	s_cbranch_vccnz .LBB192_3
; %bb.5:                                ;   in Loop: Header=BB192_4 Depth=1
	v_mov_b32_e32 v13, 0
	v_dual_mov_b32 v14, 0 :: v_dual_mov_b32 v11, 0
	v_cmp_neq_f32_e64 s8, 0, v31
	v_mov_b32_e32 v12, 0
	s_and_b32 vcc_lo, exec_lo, s7
	s_wait_alu 0xfffe
	s_cbranch_vccnz .LBB192_7
; %bb.6:                                ;   in Loop: Header=BB192_4 Depth=1
	s_lshl_b64 s[44:45], s[10:11], 3
	s_wait_alu 0xfffe
	s_add_nc_u64 s[44:45], s[16:17], s[44:45]
	global_load_b64 v[11:12], v1, s[44:45]
	s_wait_loadcnt 0x0
	v_add_co_u32 v11, vcc_lo, v11, s18
	s_wait_alu 0xfffd
	v_add_co_ci_u32_e64 v12, null, s19, v12, vcc_lo
.LBB192_7:                              ;   in Loop: Header=BB192_4 Depth=1
	s_and_not1_b32 vcc_lo, exec_lo, s8
	s_wait_alu 0xfffe
	s_cbranch_vccnz .LBB192_9
; %bb.8:                                ;   in Loop: Header=BB192_4 Depth=1
	s_lshl_b64 s[44:45], s[10:11], 3
	s_wait_alu 0xfffe
	s_add_nc_u64 s[44:45], s[28:29], s[44:45]
	global_load_b64 v[13:14], v1, s[44:45]
	s_wait_loadcnt 0x0
	v_add_co_u32 v13, vcc_lo, v13, s30
	s_wait_alu 0xfffd
	v_add_co_ci_u32_e64 v14, null, s31, v14, vcc_lo
.LBB192_9:                              ;   in Loop: Header=BB192_4 Depth=1
	s_lshl_b64 s[44:45], s[10:11], 3
	s_wait_alu 0xfffe
	s_add_nc_u64 s[44:45], s[24:25], s[44:45]
	global_load_b64 v[15:16], v1, s[44:45]
	s_wait_loadcnt 0x0
	v_add_co_u32 v32, vcc_lo, v15, s26
	s_wait_alu 0xfffd
	v_add_co_ci_u32_e64 v33, null, s27, v16, vcc_lo
	s_and_not1_b32 vcc_lo, exec_lo, s7
	s_wait_alu 0xfffe
	s_cbranch_vccnz .LBB192_13
; %bb.10:                               ;   in Loop: Header=BB192_4 Depth=1
	s_mov_b32 s7, 0
	s_mov_b32 s8, 0
                                        ; implicit-def: $vgpr15
	s_and_saveexec_b32 s43, s39
	s_cbranch_execz .LBB192_14
; %bb.11:                               ;   in Loop: Header=BB192_4 Depth=1
	s_cmp_eq_f32 s42, 0
	s_cbranch_scc1 .LBB192_16
; %bb.12:                               ;   in Loop: Header=BB192_4 Depth=1
	v_add_co_u32 v15, vcc_lo, v32, v9
	s_wait_alu 0xfffd
	v_add_co_ci_u32_e64 v16, null, v33, v10, vcc_lo
	flat_load_b32 v15, v[15:16]
	s_wait_loadcnt_dscnt 0x0
	v_mul_f32_e32 v15, s42, v15
	s_branch .LBB192_17
.LBB192_13:                             ;   in Loop: Header=BB192_4 Depth=1
	s_mov_b32 s8, 0
                                        ; implicit-def: $vgpr15
	s_cbranch_execz .LBB192_15
	s_branch .LBB192_18
.LBB192_14:                             ;   in Loop: Header=BB192_4 Depth=1
	s_wait_alu 0xfffe
	s_or_b32 exec_lo, exec_lo, s43
	s_delay_alu instid0(SALU_CYCLE_1)
	s_and_b32 vcc_lo, exec_lo, s7
	s_wait_alu 0xfffe
	s_cbranch_vccnz .LBB192_18
.LBB192_15:                             ;   in Loop: Header=BB192_4 Depth=1
	v_dual_mov_b32 v12, v3 :: v_dual_mov_b32 v11, v2
	s_wait_alu 0xfffe
	s_and_saveexec_b32 s7, s8
	s_cbranch_execz .LBB192_2
	s_branch .LBB192_55
.LBB192_16:                             ;   in Loop: Header=BB192_4 Depth=1
	v_mov_b32_e32 v15, 0
.LBB192_17:                             ;   in Loop: Header=BB192_4 Depth=1
	s_mov_b32 s8, exec_lo
	s_wait_alu 0xfffe
	s_or_b32 exec_lo, exec_lo, s43
	s_delay_alu instid0(SALU_CYCLE_1)
	s_and_b32 vcc_lo, exec_lo, s7
	s_wait_alu 0xfffe
	s_cbranch_vccz .LBB192_15
.LBB192_18:                             ;   in Loop: Header=BB192_4 Depth=1
	v_dual_mov_b32 v34, 0 :: v_dual_mov_b32 v35, 0
	v_dual_mov_b32 v38, v24 :: v_dual_mov_b32 v37, 0
	v_mov_b32_e32 v36, 0
	s_and_saveexec_b32 s7, s4
	s_cbranch_execz .LBB192_30
; %bb.19:                               ;   in Loop: Header=BB192_4 Depth=1
	v_dual_mov_b32 v34, 0 :: v_dual_mov_b32 v39, v27
	v_dual_mov_b32 v40, v7 :: v_dual_mov_b32 v41, v6
	;; [unrolled: 1-line block ×4, first 2 shown]
	v_mov_b32_e32 v36, 0
	s_mov_b32 s43, 0
	s_mov_b32 s44, 0
	s_branch .LBB192_24
.LBB192_20:                             ;   in Loop: Header=BB192_24 Depth=2
	s_or_b32 exec_lo, exec_lo, s48
	s_wait_loadcnt_dscnt 0x303
	v_fmac_f32_e32 v36, v46, v58
	s_wait_loadcnt_dscnt 0x202
	s_delay_alu instid0(VALU_DEP_1) | instskip(SKIP_1) | instid1(VALU_DEP_1)
	v_fmac_f32_e32 v36, v45, v57
	s_wait_loadcnt_dscnt 0x101
	v_fmac_f32_e32 v36, v44, v56
	s_wait_loadcnt_dscnt 0x0
	s_delay_alu instid0(VALU_DEP_1)
	v_fmac_f32_e32 v36, v43, v55
.LBB192_21:                             ;   in Loop: Header=BB192_24 Depth=2
	s_or_b32 exec_lo, exec_lo, s47
	s_wait_loadcnt_dscnt 0x303
	v_fmac_f32_e32 v35, v46, v54
	s_wait_loadcnt_dscnt 0x202
	s_delay_alu instid0(VALU_DEP_1) | instskip(SKIP_1) | instid1(VALU_DEP_1)
	v_fmac_f32_e32 v35, v45, v53
	s_wait_loadcnt_dscnt 0x101
	v_fmac_f32_e32 v35, v44, v52
	s_wait_loadcnt_dscnt 0x0
	s_delay_alu instid0(VALU_DEP_1)
	v_fmac_f32_e32 v35, v43, v51
.LBB192_22:                             ;   in Loop: Header=BB192_24 Depth=2
	s_or_b32 exec_lo, exec_lo, s46
	s_wait_loadcnt_dscnt 0x303
	v_fmac_f32_e32 v34, v46, v50
	s_wait_loadcnt_dscnt 0x202
	s_delay_alu instid0(VALU_DEP_1) | instskip(SKIP_1) | instid1(VALU_DEP_1)
	v_fmac_f32_e32 v34, v45, v48
	s_wait_loadcnt_dscnt 0x101
	v_fmac_f32_e32 v34, v44, v47
	s_wait_loadcnt_dscnt 0x0
	s_delay_alu instid0(VALU_DEP_1)
	v_fmac_f32_e32 v34, v43, v49
.LBB192_23:                             ;   in Loop: Header=BB192_24 Depth=2
	s_wait_alu 0xfffe
	s_or_b32 exec_lo, exec_lo, s45
	v_add_nc_u32_e32 v38, 16, v38
	v_add_nc_u32_e32 v42, s40, v42
	;; [unrolled: 1-line block ×5, first 2 shown]
	v_cmp_le_i32_e32 vcc_lo, s37, v38
	s_add_co_i32 s44, s44, s41
	s_or_b32 s43, vcc_lo, s43
	s_wait_alu 0xfffe
	s_and_not1_b32 exec_lo, exec_lo, s43
	s_cbranch_execz .LBB192_29
.LBB192_24:                             ;   Parent Loop BB192_4 Depth=1
                                        ; =>  This Inner Loop Header: Depth=2
	s_and_saveexec_b32 s45, s0
	s_cbranch_execz .LBB192_23
; %bb.25:                               ;   in Loop: Header=BB192_24 Depth=2
	s_wait_alu 0xfffe
	v_add_nc_u32_e32 v15, s44, v30
	v_add_nc_u32_e32 v17, s44, v8
	;; [unrolled: 1-line block ×5, first 2 shown]
	v_ashrrev_i32_e32 v16, 31, v15
	v_ashrrev_i32_e32 v18, 31, v17
	;; [unrolled: 1-line block ×5, first 2 shown]
	v_lshlrev_b64_e32 v[15:16], 2, v[15:16]
	v_lshlrev_b64_e32 v[17:18], 2, v[17:18]
	;; [unrolled: 1-line block ×3, first 2 shown]
	s_delay_alu instid0(VALU_DEP_3) | instskip(SKIP_1) | instid1(VALU_DEP_4)
	v_add_co_u32 v45, vcc_lo, v13, v15
	s_wait_alu 0xfffd
	v_add_co_ci_u32_e64 v46, null, v14, v16, vcc_lo
	s_delay_alu instid0(VALU_DEP_4)
	v_add_co_u32 v47, vcc_lo, v13, v17
	v_add_nc_u32_e32 v17, s36, v42
	s_wait_alu 0xfffd
	v_add_co_ci_u32_e64 v48, null, v14, v18, vcc_lo
	v_lshlrev_b64_e32 v[15:16], 2, v[21:22]
	v_add_co_u32 v49, vcc_lo, v13, v19
	v_add_nc_u32_e32 v21, s36, v41
	s_wait_alu 0xfffd
	v_add_co_ci_u32_e64 v50, null, v14, v20, vcc_lo
	v_lshlrev_b64_e32 v[19:20], 2, v[43:44]
	v_add_nc_u32_e32 v43, s36, v40
	v_ashrrev_i32_e32 v18, 31, v17
	v_ashrrev_i32_e32 v22, 31, v21
	v_add_co_u32 v51, vcc_lo, v13, v15
	s_delay_alu instid0(VALU_DEP_4)
	v_ashrrev_i32_e32 v44, 31, v43
	s_wait_alu 0xfffd
	v_add_co_ci_u32_e64 v52, null, v14, v16, vcc_lo
	v_lshlrev_b64_e32 v[17:18], 2, v[17:18]
	v_add_co_u32 v15, vcc_lo, v11, v19
	s_wait_alu 0xfffd
	v_add_co_ci_u32_e64 v16, null, v12, v20, vcc_lo
	v_lshlrev_b64_e32 v[19:20], 2, v[21:22]
	v_lshlrev_b64_e32 v[43:44], 2, v[43:44]
	v_add_co_u32 v17, vcc_lo, v11, v17
	s_wait_alu 0xfffd
	v_add_co_ci_u32_e64 v18, null, v12, v18, vcc_lo
	s_delay_alu instid0(VALU_DEP_4)
	v_add_co_u32 v21, vcc_lo, v11, v19
	s_wait_alu 0xfffd
	v_add_co_ci_u32_e64 v22, null, v12, v20, vcc_lo
	v_add_co_u32 v19, vcc_lo, v11, v43
	s_wait_alu 0xfffd
	v_add_co_ci_u32_e64 v20, null, v12, v44, vcc_lo
	s_clause 0x3
	flat_load_b32 v46, v[45:46]
	flat_load_b32 v45, v[47:48]
	;; [unrolled: 1-line block ×4, first 2 shown]
	s_clause 0x3
	flat_load_b32 v50, v[15:16]
	flat_load_b32 v48, v[17:18]
	;; [unrolled: 1-line block ×4, first 2 shown]
	s_and_saveexec_b32 s46, s1
	s_cbranch_execz .LBB192_22
; %bb.26:                               ;   in Loop: Header=BB192_24 Depth=2
	s_clause 0x3
	flat_load_b32 v54, v[15:16] offset:256
	flat_load_b32 v53, v[17:18] offset:256
	flat_load_b32 v52, v[21:22] offset:256
	flat_load_b32 v51, v[19:20] offset:256
	s_and_saveexec_b32 s47, s2
	s_cbranch_execz .LBB192_21
; %bb.27:                               ;   in Loop: Header=BB192_24 Depth=2
	s_clause 0x3
	flat_load_b32 v58, v[15:16] offset:512
	flat_load_b32 v57, v[17:18] offset:512
	flat_load_b32 v56, v[21:22] offset:512
	flat_load_b32 v55, v[19:20] offset:512
	;; [unrolled: 8-line block ×3, first 2 shown]
	s_wait_loadcnt_dscnt 0x303
	v_fmac_f32_e32 v37, v46, v15
	s_wait_loadcnt_dscnt 0x202
	s_delay_alu instid0(VALU_DEP_1) | instskip(SKIP_1) | instid1(VALU_DEP_1)
	v_fmac_f32_e32 v37, v45, v16
	s_wait_loadcnt_dscnt 0x101
	v_fmac_f32_e32 v37, v44, v17
	s_wait_loadcnt_dscnt 0x0
	s_delay_alu instid0(VALU_DEP_1)
	v_fmac_f32_e32 v37, v43, v18
	s_branch .LBB192_20
.LBB192_29:                             ;   in Loop: Header=BB192_4 Depth=1
	s_or_b32 exec_lo, exec_lo, s43
.LBB192_30:                             ;   in Loop: Header=BB192_4 Depth=1
	s_wait_alu 0xfffe
	s_or_b32 exec_lo, exec_lo, s7
	s_delay_alu instid0(SALU_CYCLE_1)
	s_and_not1_b32 vcc_lo, exec_lo, s38
	s_wait_alu 0xfffe
	s_cbranch_vccnz .LBB192_48
; %bb.31:                               ;   in Loop: Header=BB192_4 Depth=1
	v_cmp_gt_i32_e32 vcc_lo, s9, v38
	v_dual_mov_b32 v22, 0 :: v_dual_mov_b32 v21, 0
	v_or_b32_e32 v15, 1, v38
	v_dual_mov_b32 v20, 0 :: v_dual_mov_b32 v19, 0
	s_and_saveexec_b32 s43, vcc_lo
	s_cbranch_execz .LBB192_39
; %bb.32:                               ;   in Loop: Header=BB192_4 Depth=1
	v_mul_lo_u32 v16, v38, s34
	v_dual_mov_b32 v20, 0 :: v_dual_mov_b32 v21, 0
	v_mov_b32_e32 v22, 0
	s_mov_b32 s44, exec_lo
	s_delay_alu instid0(VALU_DEP_3) | instskip(NEXT) | instid1(VALU_DEP_1)
	v_ashrrev_i32_e32 v17, 31, v16
	v_lshlrev_b64_e32 v[16:17], 2, v[16:17]
	s_delay_alu instid0(VALU_DEP_1) | instskip(SKIP_1) | instid1(VALU_DEP_2)
	v_add_co_u32 v16, s7, v13, v16
	s_wait_alu 0xf1ff
	v_add_co_ci_u32_e64 v17, null, v14, v17, s7
	flat_load_b32 v19, v[16:17]
	v_cmpx_gt_i32_e64 s9, v15
	s_cbranch_execz .LBB192_38
; %bb.33:                               ;   in Loop: Header=BB192_4 Depth=1
	v_mul_lo_u32 v16, v15, s34
	v_dual_mov_b32 v21, 0 :: v_dual_mov_b32 v22, 0
	s_mov_b32 s45, exec_lo
	s_delay_alu instid0(VALU_DEP_2) | instskip(NEXT) | instid1(VALU_DEP_1)
	v_ashrrev_i32_e32 v17, 31, v16
	v_lshlrev_b64_e32 v[16:17], 2, v[16:17]
	s_delay_alu instid0(VALU_DEP_1) | instskip(SKIP_1) | instid1(VALU_DEP_2)
	v_add_co_u32 v16, s7, v13, v16
	s_wait_alu 0xf1ff
	v_add_co_ci_u32_e64 v17, null, v14, v17, s7
	flat_load_b32 v20, v[16:17]
	v_or_b32_e32 v16, 2, v38
	s_delay_alu instid0(VALU_DEP_1)
	v_cmpx_gt_i32_e64 s9, v16
	s_cbranch_execz .LBB192_37
; %bb.34:                               ;   in Loop: Header=BB192_4 Depth=1
	v_mul_lo_u32 v16, v16, s34
	v_mov_b32_e32 v22, 0
	s_mov_b32 s46, exec_lo
	s_delay_alu instid0(VALU_DEP_2) | instskip(NEXT) | instid1(VALU_DEP_1)
	v_ashrrev_i32_e32 v17, 31, v16
	v_lshlrev_b64_e32 v[16:17], 2, v[16:17]
	s_delay_alu instid0(VALU_DEP_1) | instskip(SKIP_1) | instid1(VALU_DEP_2)
	v_add_co_u32 v16, s7, v13, v16
	s_wait_alu 0xf1ff
	v_add_co_ci_u32_e64 v17, null, v14, v17, s7
	flat_load_b32 v21, v[16:17]
	v_or_b32_e32 v16, 3, v38
	s_delay_alu instid0(VALU_DEP_1)
	v_cmpx_gt_i32_e64 s9, v16
	s_cbranch_execz .LBB192_36
; %bb.35:                               ;   in Loop: Header=BB192_4 Depth=1
	v_mul_lo_u32 v16, v16, s34
	s_delay_alu instid0(VALU_DEP_1) | instskip(NEXT) | instid1(VALU_DEP_1)
	v_ashrrev_i32_e32 v17, 31, v16
	v_lshlrev_b64_e32 v[16:17], 2, v[16:17]
	s_delay_alu instid0(VALU_DEP_1) | instskip(SKIP_1) | instid1(VALU_DEP_2)
	v_add_co_u32 v13, s7, v13, v16
	s_wait_alu 0xf1ff
	v_add_co_ci_u32_e64 v14, null, v14, v17, s7
	flat_load_b32 v22, v[13:14]
.LBB192_36:                             ;   in Loop: Header=BB192_4 Depth=1
	s_or_b32 exec_lo, exec_lo, s46
.LBB192_37:                             ;   in Loop: Header=BB192_4 Depth=1
	s_wait_alu 0xfffe
	s_or_b32 exec_lo, exec_lo, s45
.LBB192_38:                             ;   in Loop: Header=BB192_4 Depth=1
	s_wait_alu 0xfffe
	s_or_b32 exec_lo, exec_lo, s44
.LBB192_39:                             ;   in Loop: Header=BB192_4 Depth=1
	s_wait_alu 0xfffe
	s_or_b32 exec_lo, exec_lo, s43
	s_and_saveexec_b32 s7, s0
	s_cbranch_execz .LBB192_47
; %bb.40:                               ;   in Loop: Header=BB192_4 Depth=1
	v_mul_lo_u32 v14, v38, s35
	v_or_b32_e32 v13, 2, v38
	v_mul_lo_u32 v17, v15, s35
	v_or_b32_e32 v16, 3, v38
	s_delay_alu instid0(VALU_DEP_3) | instskip(NEXT) | instid1(VALU_DEP_2)
	v_mul_lo_u32 v18, v13, s35
	v_mul_lo_u32 v38, v16, s35
	v_cndmask_b32_e32 v14, 0, v14, vcc_lo
	v_cmp_gt_i32_e32 vcc_lo, s9, v15
	s_wait_alu 0xfffd
	v_cndmask_b32_e32 v15, 0, v17, vcc_lo
	v_cmp_gt_i32_e32 vcc_lo, s9, v13
	v_add_nc_u32_e32 v13, v14, v23
	s_delay_alu instid0(VALU_DEP_3)
	v_add_nc_u32_e32 v15, v15, v23
	s_wait_alu 0xfffd
	v_cndmask_b32_e32 v17, 0, v18, vcc_lo
	v_cmp_gt_i32_e32 vcc_lo, s9, v16
	v_ashrrev_i32_e32 v14, 31, v13
	s_wait_alu 0xfffd
	v_cndmask_b32_e32 v16, 0, v38, vcc_lo
	s_delay_alu instid0(VALU_DEP_2) | instskip(NEXT) | instid1(VALU_DEP_2)
	v_lshlrev_b64_e32 v[13:14], 2, v[13:14]
	v_add_nc_u32_e32 v38, v16, v23
	v_add_nc_u32_e32 v17, v17, v23
	v_ashrrev_i32_e32 v16, 31, v15
	s_delay_alu instid0(VALU_DEP_3) | instskip(NEXT) | instid1(VALU_DEP_3)
	v_ashrrev_i32_e32 v39, 31, v38
	v_ashrrev_i32_e32 v18, 31, v17
	s_delay_alu instid0(VALU_DEP_3) | instskip(NEXT) | instid1(VALU_DEP_3)
	v_lshlrev_b64_e32 v[15:16], 2, v[15:16]
	v_lshlrev_b64_e32 v[38:39], 2, v[38:39]
	s_delay_alu instid0(VALU_DEP_3)
	v_lshlrev_b64_e32 v[40:41], 2, v[17:18]
	v_add_co_u32 v17, vcc_lo, v11, v13
	s_wait_alu 0xfffd
	v_add_co_ci_u32_e64 v18, null, v12, v14, vcc_lo
	v_add_co_u32 v15, vcc_lo, v11, v15
	s_wait_alu 0xfffd
	v_add_co_ci_u32_e64 v16, null, v12, v16, vcc_lo
	v_add_co_u32 v13, vcc_lo, v11, v40
	s_wait_alu 0xfffd
	v_add_co_ci_u32_e64 v14, null, v12, v41, vcc_lo
	v_add_co_u32 v11, vcc_lo, v11, v38
	s_wait_alu 0xfffd
	v_add_co_ci_u32_e64 v12, null, v12, v39, vcc_lo
	s_clause 0x3
	flat_load_b32 v41, v[17:18]
	flat_load_b32 v39, v[15:16]
	;; [unrolled: 1-line block ×4, first 2 shown]
	s_and_saveexec_b32 s43, s1
	s_cbranch_execz .LBB192_46
; %bb.41:                               ;   in Loop: Header=BB192_4 Depth=1
	s_clause 0x3
	flat_load_b32 v45, v[17:18] offset:256
	flat_load_b32 v44, v[15:16] offset:256
	flat_load_b32 v43, v[13:14] offset:256
	flat_load_b32 v42, v[11:12] offset:256
	s_and_saveexec_b32 s44, s2
	s_cbranch_execz .LBB192_45
; %bb.42:                               ;   in Loop: Header=BB192_4 Depth=1
	s_clause 0x3
	flat_load_b32 v49, v[17:18] offset:512
	flat_load_b32 v48, v[15:16] offset:512
	flat_load_b32 v47, v[13:14] offset:512
	flat_load_b32 v46, v[11:12] offset:512
	;; [unrolled: 8-line block ×3, first 2 shown]
	s_wait_loadcnt_dscnt 0x303
	v_fmac_f32_e32 v37, v19, v17
	s_wait_loadcnt_dscnt 0x202
	s_delay_alu instid0(VALU_DEP_1) | instskip(SKIP_1) | instid1(VALU_DEP_1)
	v_fmac_f32_e32 v37, v20, v15
	s_wait_loadcnt_dscnt 0x101
	v_fmac_f32_e32 v37, v21, v13
	s_wait_loadcnt_dscnt 0x0
	s_delay_alu instid0(VALU_DEP_1)
	v_fmac_f32_e32 v37, v22, v11
.LBB192_44:                             ;   in Loop: Header=BB192_4 Depth=1
	s_wait_alu 0xfffe
	s_or_b32 exec_lo, exec_lo, s45
	s_wait_loadcnt_dscnt 0x303
	v_fmac_f32_e32 v36, v19, v49
	s_wait_loadcnt_dscnt 0x202
	s_delay_alu instid0(VALU_DEP_1) | instskip(SKIP_1) | instid1(VALU_DEP_1)
	v_fmac_f32_e32 v36, v20, v48
	s_wait_loadcnt_dscnt 0x101
	v_fmac_f32_e32 v36, v21, v47
	s_wait_loadcnt_dscnt 0x0
	s_delay_alu instid0(VALU_DEP_1)
	v_fmac_f32_e32 v36, v22, v46
.LBB192_45:                             ;   in Loop: Header=BB192_4 Depth=1
	s_wait_alu 0xfffe
	s_or_b32 exec_lo, exec_lo, s44
	s_wait_loadcnt_dscnt 0x303
	v_fmac_f32_e32 v35, v19, v45
	s_wait_loadcnt_dscnt 0x202
	s_delay_alu instid0(VALU_DEP_1) | instskip(SKIP_1) | instid1(VALU_DEP_1)
	v_fmac_f32_e32 v35, v20, v44
	s_wait_loadcnt_dscnt 0x101
	v_fmac_f32_e32 v35, v21, v43
	s_wait_loadcnt_dscnt 0x0
	s_delay_alu instid0(VALU_DEP_1)
	v_fmac_f32_e32 v35, v22, v42
.LBB192_46:                             ;   in Loop: Header=BB192_4 Depth=1
	s_wait_alu 0xfffe
	s_or_b32 exec_lo, exec_lo, s43
	s_wait_loadcnt_dscnt 0x303
	v_fmac_f32_e32 v34, v19, v41
	s_wait_loadcnt_dscnt 0x202
	s_delay_alu instid0(VALU_DEP_1) | instskip(SKIP_1) | instid1(VALU_DEP_1)
	v_fmac_f32_e32 v34, v20, v39
	s_wait_loadcnt_dscnt 0x101
	v_fmac_f32_e32 v34, v21, v38
	s_wait_loadcnt_dscnt 0x0
	s_delay_alu instid0(VALU_DEP_1)
	v_fmac_f32_e32 v34, v22, v40
.LBB192_47:                             ;   in Loop: Header=BB192_4 Depth=1
	s_wait_alu 0xfffe
	s_or_b32 exec_lo, exec_lo, s7
.LBB192_48:                             ;   in Loop: Header=BB192_4 Depth=1
	ds_store_2addr_stride64_b32 v0, v34, v35 offset1:1
	ds_store_2addr_stride64_b32 v0, v36, v37 offset0:2 offset1:3
	s_wait_loadcnt_dscnt 0x0
	s_barrier_signal -1
	s_barrier_wait -1
	global_inv scope:SCOPE_SE
                                        ; implicit-def: $vgpr15
	s_and_saveexec_b32 s7, s5
	s_cbranch_execz .LBB192_54
; %bb.49:                               ;   in Loop: Header=BB192_4 Depth=1
	ds_load_2addr_stride64_b32 v[11:12], v25 offset1:4
	ds_load_2addr_stride64_b32 v[13:14], v25 offset0:8 offset1:12
	s_mov_b32 s44, s8
                                        ; implicit-def: $vgpr15
	s_wait_dscnt 0x1
	v_add_f32_e32 v11, v11, v12
	s_wait_dscnt 0x0
	s_delay_alu instid0(VALU_DEP_1) | instskip(NEXT) | instid1(VALU_DEP_1)
	v_add_f32_e32 v11, v13, v11
	v_add_f32_e32 v11, v14, v11
	ds_store_b32 v25, v11
	s_and_saveexec_b32 s43, s6
	s_cbranch_execz .LBB192_53
; %bb.50:                               ;   in Loop: Header=BB192_4 Depth=1
	v_mul_f32_e32 v15, v31, v11
	s_cmp_eq_f32 s42, 0
	s_cbranch_scc1 .LBB192_52
; %bb.51:                               ;   in Loop: Header=BB192_4 Depth=1
	v_lshlrev_b64_e32 v[11:12], 2, v[4:5]
	s_delay_alu instid0(VALU_DEP_1) | instskip(SKIP_1) | instid1(VALU_DEP_2)
	v_add_co_u32 v11, vcc_lo, v32, v11
	s_wait_alu 0xfffd
	v_add_co_ci_u32_e64 v12, null, v33, v12, vcc_lo
	flat_load_b32 v11, v[11:12]
	s_wait_loadcnt_dscnt 0x0
	v_fmac_f32_e32 v15, s42, v11
.LBB192_52:                             ;   in Loop: Header=BB192_4 Depth=1
	s_or_b32 s44, s8, exec_lo
.LBB192_53:                             ;   in Loop: Header=BB192_4 Depth=1
	s_wait_alu 0xfffe
	s_or_b32 exec_lo, exec_lo, s43
	s_delay_alu instid0(SALU_CYCLE_1)
	s_and_not1_b32 s8, s8, exec_lo
	s_and_b32 s42, s44, exec_lo
	s_wait_alu 0xfffe
	s_or_b32 s8, s8, s42
.LBB192_54:                             ;   in Loop: Header=BB192_4 Depth=1
	s_wait_alu 0xfffe
	s_or_b32 exec_lo, exec_lo, s7
	v_dual_mov_b32 v12, v5 :: v_dual_mov_b32 v11, v4
	s_and_saveexec_b32 s7, s8
	s_cbranch_execz .LBB192_2
.LBB192_55:                             ;   in Loop: Header=BB192_4 Depth=1
	s_delay_alu instid0(VALU_DEP_1) | instskip(NEXT) | instid1(VALU_DEP_1)
	v_lshlrev_b64_e32 v[11:12], 2, v[11:12]
	v_add_co_u32 v11, vcc_lo, v32, v11
	s_wait_alu 0xfffd
	s_delay_alu instid0(VALU_DEP_2)
	v_add_co_ci_u32_e64 v12, null, v33, v12, vcc_lo
	flat_store_b32 v[11:12], v15
	s_branch .LBB192_2
.LBB192_56:
	s_endpgm
	.section	.rodata,"a",@progbits
	.p2align	6, 0x0
	.amdhsa_kernel _ZL20rocblas_gemvn_kernelILi64ELi4EiPKfS1_KPfEviiT3_lPKT2_lT1_lS7_lS8_lS4_lPT4_lS8_li
		.amdhsa_group_segment_fixed_size 4096
		.amdhsa_private_segment_fixed_size 0
		.amdhsa_kernarg_size 400
		.amdhsa_user_sgpr_count 2
		.amdhsa_user_sgpr_dispatch_ptr 0
		.amdhsa_user_sgpr_queue_ptr 0
		.amdhsa_user_sgpr_kernarg_segment_ptr 1
		.amdhsa_user_sgpr_dispatch_id 0
		.amdhsa_user_sgpr_private_segment_size 0
		.amdhsa_wavefront_size32 1
		.amdhsa_uses_dynamic_stack 0
		.amdhsa_enable_private_segment 0
		.amdhsa_system_sgpr_workgroup_id_x 1
		.amdhsa_system_sgpr_workgroup_id_y 0
		.amdhsa_system_sgpr_workgroup_id_z 1
		.amdhsa_system_sgpr_workgroup_info 0
		.amdhsa_system_vgpr_workitem_id 1
		.amdhsa_next_free_vgpr 59
		.amdhsa_next_free_sgpr 49
		.amdhsa_reserve_vcc 1
		.amdhsa_float_round_mode_32 0
		.amdhsa_float_round_mode_16_64 0
		.amdhsa_float_denorm_mode_32 3
		.amdhsa_float_denorm_mode_16_64 3
		.amdhsa_fp16_overflow 0
		.amdhsa_workgroup_processor_mode 1
		.amdhsa_memory_ordered 1
		.amdhsa_forward_progress 1
		.amdhsa_inst_pref_size 26
		.amdhsa_round_robin_scheduling 0
		.amdhsa_exception_fp_ieee_invalid_op 0
		.amdhsa_exception_fp_denorm_src 0
		.amdhsa_exception_fp_ieee_div_zero 0
		.amdhsa_exception_fp_ieee_overflow 0
		.amdhsa_exception_fp_ieee_underflow 0
		.amdhsa_exception_fp_ieee_inexact 0
		.amdhsa_exception_int_div_zero 0
	.end_amdhsa_kernel
	.section	.text._ZL20rocblas_gemvn_kernelILi64ELi4EiPKfS1_KPfEviiT3_lPKT2_lT1_lS7_lS8_lS4_lPT4_lS8_li,"axG",@progbits,_ZL20rocblas_gemvn_kernelILi64ELi4EiPKfS1_KPfEviiT3_lPKT2_lT1_lS7_lS8_lS4_lPT4_lS8_li,comdat
.Lfunc_end192:
	.size	_ZL20rocblas_gemvn_kernelILi64ELi4EiPKfS1_KPfEviiT3_lPKT2_lT1_lS7_lS8_lS4_lPT4_lS8_li, .Lfunc_end192-_ZL20rocblas_gemvn_kernelILi64ELi4EiPKfS1_KPfEviiT3_lPKT2_lT1_lS7_lS8_lS4_lPT4_lS8_li
                                        ; -- End function
	.set _ZL20rocblas_gemvn_kernelILi64ELi4EiPKfS1_KPfEviiT3_lPKT2_lT1_lS7_lS8_lS4_lPT4_lS8_li.num_vgpr, 59
	.set _ZL20rocblas_gemvn_kernelILi64ELi4EiPKfS1_KPfEviiT3_lPKT2_lT1_lS7_lS8_lS4_lPT4_lS8_li.num_agpr, 0
	.set _ZL20rocblas_gemvn_kernelILi64ELi4EiPKfS1_KPfEviiT3_lPKT2_lT1_lS7_lS8_lS4_lPT4_lS8_li.numbered_sgpr, 49
	.set _ZL20rocblas_gemvn_kernelILi64ELi4EiPKfS1_KPfEviiT3_lPKT2_lT1_lS7_lS8_lS4_lPT4_lS8_li.num_named_barrier, 0
	.set _ZL20rocblas_gemvn_kernelILi64ELi4EiPKfS1_KPfEviiT3_lPKT2_lT1_lS7_lS8_lS4_lPT4_lS8_li.private_seg_size, 0
	.set _ZL20rocblas_gemvn_kernelILi64ELi4EiPKfS1_KPfEviiT3_lPKT2_lT1_lS7_lS8_lS4_lPT4_lS8_li.uses_vcc, 1
	.set _ZL20rocblas_gemvn_kernelILi64ELi4EiPKfS1_KPfEviiT3_lPKT2_lT1_lS7_lS8_lS4_lPT4_lS8_li.uses_flat_scratch, 1
	.set _ZL20rocblas_gemvn_kernelILi64ELi4EiPKfS1_KPfEviiT3_lPKT2_lT1_lS7_lS8_lS4_lPT4_lS8_li.has_dyn_sized_stack, 0
	.set _ZL20rocblas_gemvn_kernelILi64ELi4EiPKfS1_KPfEviiT3_lPKT2_lT1_lS7_lS8_lS4_lPT4_lS8_li.has_recursion, 0
	.set _ZL20rocblas_gemvn_kernelILi64ELi4EiPKfS1_KPfEviiT3_lPKT2_lT1_lS7_lS8_lS4_lPT4_lS8_li.has_indirect_call, 0
	.section	.AMDGPU.csdata,"",@progbits
; Kernel info:
; codeLenInByte = 3240
; TotalNumSgprs: 51
; NumVgprs: 59
; ScratchSize: 0
; MemoryBound: 0
; FloatMode: 240
; IeeeMode: 1
; LDSByteSize: 4096 bytes/workgroup (compile time only)
; SGPRBlocks: 0
; VGPRBlocks: 7
; NumSGPRsForWavesPerEU: 51
; NumVGPRsForWavesPerEU: 59
; Occupancy: 16
; WaveLimiterHint : 1
; COMPUTE_PGM_RSRC2:SCRATCH_EN: 0
; COMPUTE_PGM_RSRC2:USER_SGPR: 2
; COMPUTE_PGM_RSRC2:TRAP_HANDLER: 0
; COMPUTE_PGM_RSRC2:TGID_X_EN: 1
; COMPUTE_PGM_RSRC2:TGID_Y_EN: 0
; COMPUTE_PGM_RSRC2:TGID_Z_EN: 1
; COMPUTE_PGM_RSRC2:TIDIG_COMP_CNT: 1
	.section	.text._ZL20rocblas_gemvn_kernelILi64ELi4ElPKfS1_KPfEviiT3_lPKT2_lT1_lS7_lS8_lS4_lPT4_lS8_li,"axG",@progbits,_ZL20rocblas_gemvn_kernelILi64ELi4ElPKfS1_KPfEviiT3_lPKT2_lT1_lS7_lS8_lS4_lPT4_lS8_li,comdat
	.globl	_ZL20rocblas_gemvn_kernelILi64ELi4ElPKfS1_KPfEviiT3_lPKT2_lT1_lS7_lS8_lS4_lPT4_lS8_li ; -- Begin function _ZL20rocblas_gemvn_kernelILi64ELi4ElPKfS1_KPfEviiT3_lPKT2_lT1_lS7_lS8_lS4_lPT4_lS8_li
	.p2align	8
	.type	_ZL20rocblas_gemvn_kernelILi64ELi4ElPKfS1_KPfEviiT3_lPKT2_lT1_lS7_lS8_lS4_lPT4_lS8_li,@function
_ZL20rocblas_gemvn_kernelILi64ELi4ElPKfS1_KPfEviiT3_lPKT2_lT1_lS7_lS8_lS4_lPT4_lS8_li: ; @_ZL20rocblas_gemvn_kernelILi64ELi4ElPKfS1_KPfEviiT3_lPKT2_lT1_lS7_lS8_lS4_lPT4_lS8_li
; %bb.0:
	s_clause 0x1
	s_load_b64 s[2:3], s[0:1], 0x9c
	s_load_b32 s33, s[0:1], 0x88
	s_lshr_b32 s10, ttmp7, 16
	s_wait_kmcnt 0x0
	s_lshr_b32 s4, s2, 16
	s_and_b32 s2, s2, 0xffff
	s_and_b32 s3, s3, 0xffff
	s_mul_i32 s2, s4, s2
	s_delay_alu instid0(SALU_CYCLE_1) | instskip(NEXT) | instid1(SALU_CYCLE_1)
	s_mul_i32 s2, s2, s3
	s_cmp_lg_u32 s2, 0x100
	s_cselect_b32 s2, -1, 0
	s_cmp_ge_u32 s10, s33
	s_cselect_b32 s3, -1, 0
	s_delay_alu instid0(SALU_CYCLE_1) | instskip(NEXT) | instid1(SALU_CYCLE_1)
	s_or_b32 s2, s2, s3
	s_and_b32 vcc_lo, exec_lo, s2
	s_cbranch_vccnz .LBB193_56
; %bb.1:
	s_clause 0x6
	s_load_b64 s[38:39], s[0:1], 0x78
	s_load_b64 s[8:9], s[0:1], 0x0
	s_load_b256 s[12:19], s[0:1], 0x8
	s_load_b64 s[34:35], s[0:1], 0x28
	s_load_b128 s[28:31], s[0:1], 0x38
	s_load_b64 s[36:37], s[0:1], 0x48
	s_load_b256 s[20:27], s[0:1], 0x58
	v_dual_mov_b32 v1, 0 :: v_dual_and_b32 v2, 0x3ff, v0
	s_lshl_b32 s6, ttmp9, 8
	v_bfe_u32 v26, v0, 10, 10
	s_mov_b32 s11, 0
	s_delay_alu instid0(VALU_DEP_2) | instskip(SKIP_1) | instid1(VALU_DEP_3)
	v_or_b32_e32 v8, s6, v2
	v_lshlrev_b32_e32 v16, 2, v2
	v_lshl_add_u32 v5, v26, 6, v2
	s_delay_alu instid0(VALU_DEP_3) | instskip(SKIP_2) | instid1(VALU_DEP_4)
	v_add_nc_u32_e32 v6, 0x80, v8
	v_add_nc_u32_e32 v7, 0xc0, v8
	;; [unrolled: 1-line block ×3, first 2 shown]
	v_or_b32_e32 v17, s6, v5
	v_lshl_add_u32 v41, v26, 8, v16
	v_ashrrev_i32_e32 v9, 31, v8
	s_wait_kmcnt 0x0
	s_ashr_i32 s3, s9, 31
	v_cmp_gt_i32_e64 s2, s8, v6
	s_lshr_b32 s3, s3, 28
	s_ashr_i32 s5, s8, 31
	s_add_co_i32 s7, s9, s3
	v_cmp_gt_i32_e64 s3, s8, v7
	v_mad_co_u64_u32 v[6:7], null, s36, v26, 0
	s_mov_b32 s4, s8
	s_wait_alu 0xfffe
	s_and_b32 s42, s7, -16
	v_cmp_gt_i32_e64 s1, s8, v4
	v_mul_lo_u32 v18, s39, v17
	v_cmp_gt_i32_e64 s0, s8, v8
	v_mad_co_u64_u32 v[14:15], null, s37, v26, v[7:8]
	v_lshlrev_b32_e32 v40, 2, v26
	v_lshlrev_b64_e32 v[8:9], 2, v[8:9]
	s_delay_alu instid0(VALU_DEP_3) | instskip(NEXT) | instid1(VALU_DEP_3)
	v_mov_b32_e32 v7, v14
	v_or_b32_e32 v19, 3, v40
	v_or_b32_e32 v29, 2, v40
	v_mad_co_u64_u32 v[22:23], null, s36, v40, s[36:37]
	v_mad_co_u64_u32 v[24:25], null, s34, v40, s[34:35]
	s_delay_alu instid0(VALU_DEP_4) | instskip(SKIP_3) | instid1(VALU_DEP_3)
	v_mad_co_u64_u32 v[10:11], null, s34, v19, 0
	v_mad_co_u64_u32 v[12:13], null, s36, v19, 0
	;; [unrolled: 1-line block ×3, first 2 shown]
	v_lshlrev_b64_e32 v[6:7], 4, v[6:7]
	v_mad_co_u64_u32 v[14:15], null, s35, v19, v[11:12]
	s_delay_alu instid0(VALU_DEP_1) | instskip(NEXT) | instid1(VALU_DEP_1)
	v_dual_mov_b32 v11, v14 :: v_dual_add_nc_u32 v0, s6, v5
	v_mad_co_u64_u32 v[2:3], null, s38, v0, 0
	v_cmp_gt_i64_e32 vcc_lo, s[4:5], v[0:1]
	s_sub_co_i32 s5, s9, s42
	s_delay_alu instid0(VALU_DEP_3)
	v_lshlrev_b64_e32 v[10:11], 2, v[10:11]
	s_wait_alu 0xfffe
	s_cmp_gt_i32 s5, 0
	v_cmp_gt_u32_e64 s5, 0x100, v5
	s_cselect_b32 s43, -1, 0
	v_mad_co_u64_u32 v[3:4], null, s39, v0, v[3:4]
	v_mad_co_u64_u32 v[4:5], null, s38, v17, 0
	s_ashr_i32 s7, s6, 31
	v_lshl_add_u32 v0, v26, 10, v16
	s_wait_alu 0xfffe
	s_mul_i32 s7, s38, s7
	v_mad_co_u64_u32 v[15:16], null, s37, v19, v[13:14]
	v_cmp_gt_i32_e64 s6, s8, v17
	s_wait_alu 0xfffe
	v_add3_u32 v5, v5, s7, v18
	v_mad_co_u64_u32 v[16:17], null, s34, v26, 0
	v_mad_co_u64_u32 v[18:19], null, s34, v29, 0
	v_mov_b32_e32 v13, v15
	v_cmp_gt_i32_e64 s4, s42, v40
	s_and_b32 s44, s5, vcc_lo
	s_lshl_b64 s[38:39], s[36:37], 6
	v_dual_mov_b32 v14, v17 :: v_dual_mov_b32 v17, v25
	v_mov_b32_e32 v15, v19
	v_lshlrev_b64_e32 v[12:13], 2, v[12:13]
	s_lshl_b64 s[40:41], s[34:35], 6
	s_lshl_b64 s[18:19], s[18:19], 2
	;; [unrolled: 1-line block ×3, first 2 shown]
	v_mad_co_u64_u32 v[26:27], null, s35, v26, v[14:15]
	v_mov_b32_e32 v14, v21
	v_mad_co_u64_u32 v[27:28], null, s35, v29, v[15:16]
	v_mov_b32_e32 v15, v23
	s_lshl_b64 s[26:27], s[26:27], 2
	s_delay_alu instid0(VALU_DEP_1)
	v_mad_co_u64_u32 v[28:29], null, s37, v29, v[14:15]
	v_mad_co_u64_u32 v[14:15], null, s37, v40, v[15:16]
	;; [unrolled: 1-line block ×3, first 2 shown]
	v_mov_b32_e32 v17, v26
	v_mov_b32_e32 v19, v27
	v_mov_b32_e32 v21, v28
	v_mov_b32_e32 v23, v14
	s_delay_alu instid0(VALU_DEP_4) | instskip(SKIP_4) | instid1(VALU_DEP_4)
	v_lshlrev_b64_e32 v[14:15], 4, v[16:17]
	v_mov_b32_e32 v25, v29
	v_lshlrev_b64_e32 v[16:17], 2, v[18:19]
	v_lshlrev_b64_e32 v[18:19], 2, v[20:21]
	;; [unrolled: 1-line block ×5, first 2 shown]
	s_branch .LBB193_4
.LBB193_2:                              ;   in Loop: Header=BB193_4 Depth=1
	s_wait_alu 0xfffe
	s_or_b32 exec_lo, exec_lo, s7
.LBB193_3:                              ;   in Loop: Header=BB193_4 Depth=1
	s_add_co_i32 s10, s10, 0x10000
	s_delay_alu instid0(SALU_CYCLE_1)
	s_cmp_lt_u32 s10, s33
	s_cbranch_scc0 .LBB193_56
.LBB193_4:                              ; =>This Loop Header: Depth=1
                                        ;     Child Loop BB193_24 Depth 2
	s_mul_u64 s[46:47], s[14:15], s[10:11]
	s_mul_u64 s[48:49], s[22:23], s[10:11]
	s_lshl_b64 s[46:47], s[46:47], 2
	s_lshl_b64 s[48:49], s[48:49], 2
	s_add_nc_u64 s[46:47], s[12:13], s[46:47]
	s_add_nc_u64 s[48:49], s[20:21], s[48:49]
	s_clause 0x1
	global_load_b32 v42, v1, s[46:47]
	global_load_b32 v26, v1, s[48:49]
	s_wait_loadcnt 0x1
	v_cmp_eq_f32_e64 s7, 0, v42
	s_wait_loadcnt 0x0
	v_cmp_eq_f32_e32 vcc_lo, 1.0, v26
	v_readfirstlane_b32 s45, v26
	s_and_b32 s8, s7, vcc_lo
	s_wait_alu 0xfffe
	s_and_b32 vcc_lo, exec_lo, s8
	s_wait_alu 0xfffe
	s_cbranch_vccnz .LBB193_3
; %bb.5:                                ;   in Loop: Header=BB193_4 Depth=1
	v_mov_b32_e32 v28, 0
	v_dual_mov_b32 v29, 0 :: v_dual_mov_b32 v26, 0
	v_cmp_neq_f32_e64 s8, 0, v42
	v_mov_b32_e32 v27, 0
	s_and_b32 vcc_lo, exec_lo, s7
	s_wait_alu 0xfffe
	s_cbranch_vccnz .LBB193_7
; %bb.6:                                ;   in Loop: Header=BB193_4 Depth=1
	s_lshl_b64 s[46:47], s[10:11], 3
	s_delay_alu instid0(SALU_CYCLE_1)
	s_add_nc_u64 s[46:47], s[16:17], s[46:47]
	global_load_b64 v[26:27], v1, s[46:47]
	s_wait_loadcnt 0x0
	v_add_co_u32 v26, vcc_lo, v26, s18
	s_wait_alu 0xfffd
	v_add_co_ci_u32_e64 v27, null, s19, v27, vcc_lo
.LBB193_7:                              ;   in Loop: Header=BB193_4 Depth=1
	s_and_not1_b32 vcc_lo, exec_lo, s8
	s_wait_alu 0xfffe
	s_cbranch_vccnz .LBB193_9
; %bb.8:                                ;   in Loop: Header=BB193_4 Depth=1
	s_lshl_b64 s[46:47], s[10:11], 3
	s_delay_alu instid0(SALU_CYCLE_1)
	s_add_nc_u64 s[46:47], s[28:29], s[46:47]
	global_load_b64 v[28:29], v1, s[46:47]
	s_wait_loadcnt 0x0
	v_add_co_u32 v28, vcc_lo, v28, s30
	s_wait_alu 0xfffd
	v_add_co_ci_u32_e64 v29, null, s31, v29, vcc_lo
.LBB193_9:                              ;   in Loop: Header=BB193_4 Depth=1
	s_lshl_b64 s[46:47], s[10:11], 3
	s_delay_alu instid0(SALU_CYCLE_1)
	s_add_nc_u64 s[46:47], s[24:25], s[46:47]
	global_load_b64 v[30:31], v1, s[46:47]
	s_wait_loadcnt 0x0
	v_add_co_u32 v43, vcc_lo, v30, s26
	s_wait_alu 0xfffd
	v_add_co_ci_u32_e64 v44, null, s27, v31, vcc_lo
	s_and_not1_b32 vcc_lo, exec_lo, s7
	s_wait_alu 0xfffe
	s_cbranch_vccnz .LBB193_13
; %bb.10:                               ;   in Loop: Header=BB193_4 Depth=1
	s_mov_b32 s7, 0
	s_mov_b32 s8, 0
                                        ; implicit-def: $vgpr30
	s_and_saveexec_b32 s46, s44
	s_cbranch_execz .LBB193_14
; %bb.11:                               ;   in Loop: Header=BB193_4 Depth=1
	s_cmp_eq_f32 s45, 0
	s_cbranch_scc1 .LBB193_16
; %bb.12:                               ;   in Loop: Header=BB193_4 Depth=1
	v_add_co_u32 v30, vcc_lo, v43, v24
	s_wait_alu 0xfffd
	v_add_co_ci_u32_e64 v31, null, v44, v25, vcc_lo
	flat_load_b32 v30, v[30:31]
	s_wait_loadcnt_dscnt 0x0
	v_mul_f32_e32 v30, s45, v30
	s_branch .LBB193_17
.LBB193_13:                             ;   in Loop: Header=BB193_4 Depth=1
	s_mov_b32 s8, 0
                                        ; implicit-def: $vgpr30
	s_cbranch_execz .LBB193_15
	s_branch .LBB193_18
.LBB193_14:                             ;   in Loop: Header=BB193_4 Depth=1
	s_or_b32 exec_lo, exec_lo, s46
	s_wait_alu 0xfffe
	s_and_b32 vcc_lo, exec_lo, s7
	s_wait_alu 0xfffe
	s_cbranch_vccnz .LBB193_18
.LBB193_15:                             ;   in Loop: Header=BB193_4 Depth=1
	v_dual_mov_b32 v27, v3 :: v_dual_mov_b32 v26, v2
	s_wait_alu 0xfffe
	s_and_saveexec_b32 s7, s8
	s_cbranch_execz .LBB193_2
	s_branch .LBB193_55
.LBB193_16:                             ;   in Loop: Header=BB193_4 Depth=1
	v_mov_b32_e32 v30, 0
.LBB193_17:                             ;   in Loop: Header=BB193_4 Depth=1
	s_mov_b32 s8, exec_lo
	s_or_b32 exec_lo, exec_lo, s46
	s_wait_alu 0xfffe
	s_and_b32 vcc_lo, exec_lo, s7
	s_wait_alu 0xfffe
	s_cbranch_vccz .LBB193_15
.LBB193_18:                             ;   in Loop: Header=BB193_4 Depth=1
	v_dual_mov_b32 v45, 0 :: v_dual_mov_b32 v46, 0
	v_dual_mov_b32 v49, v40 :: v_dual_mov_b32 v48, 0
	v_mov_b32_e32 v47, 0
	s_and_saveexec_b32 s46, s4
	s_cbranch_execz .LBB193_30
; %bb.19:                               ;   in Loop: Header=BB193_4 Depth=1
	v_add_co_u32 v50, vcc_lo, v26, v10
	s_wait_alu 0xfffd
	v_add_co_ci_u32_e64 v51, null, v27, v11, vcc_lo
	v_add_co_u32 v52, vcc_lo, v26, v14
	s_wait_alu 0xfffd
	v_add_co_ci_u32_e64 v53, null, v27, v15, vcc_lo
	;; [unrolled: 3-line block ×3, first 2 shown]
	v_add_co_u32 v56, vcc_lo, v26, v22
	v_dual_mov_b32 v31, v29 :: v_dual_mov_b32 v46, 0
	s_wait_alu 0xfffd
	v_add_co_ci_u32_e64 v57, null, v27, v23, vcc_lo
	v_dual_mov_b32 v45, 0 :: v_dual_mov_b32 v30, v28
	v_dual_mov_b32 v49, v40 :: v_dual_mov_b32 v48, 0
	v_mov_b32_e32 v47, 0
	s_mov_b32 s47, 0
	s_branch .LBB193_24
.LBB193_20:                             ;   in Loop: Header=BB193_24 Depth=2
	s_or_b32 exec_lo, exec_lo, s50
	s_wait_loadcnt_dscnt 0x303
	v_fmac_f32_e32 v47, v61, v73
	s_wait_loadcnt_dscnt 0x202
	s_delay_alu instid0(VALU_DEP_1) | instskip(SKIP_1) | instid1(VALU_DEP_1)
	v_fmac_f32_e32 v47, v60, v72
	s_wait_loadcnt_dscnt 0x101
	v_fmac_f32_e32 v47, v59, v71
	s_wait_loadcnt_dscnt 0x0
	s_delay_alu instid0(VALU_DEP_1)
	v_fmac_f32_e32 v47, v58, v70
.LBB193_21:                             ;   in Loop: Header=BB193_24 Depth=2
	s_or_b32 exec_lo, exec_lo, s49
	s_wait_loadcnt_dscnt 0x303
	v_fmac_f32_e32 v46, v61, v69
	s_wait_loadcnt_dscnt 0x202
	s_delay_alu instid0(VALU_DEP_1) | instskip(SKIP_1) | instid1(VALU_DEP_1)
	v_fmac_f32_e32 v46, v60, v68
	s_wait_loadcnt_dscnt 0x101
	v_fmac_f32_e32 v46, v59, v67
	s_wait_loadcnt_dscnt 0x0
	s_delay_alu instid0(VALU_DEP_1)
	v_fmac_f32_e32 v46, v58, v66
.LBB193_22:                             ;   in Loop: Header=BB193_24 Depth=2
	s_or_b32 exec_lo, exec_lo, s48
	s_wait_loadcnt_dscnt 0x303
	v_fmac_f32_e32 v45, v61, v65
	s_wait_loadcnt_dscnt 0x202
	s_delay_alu instid0(VALU_DEP_1) | instskip(SKIP_1) | instid1(VALU_DEP_1)
	v_fmac_f32_e32 v45, v60, v63
	s_wait_loadcnt_dscnt 0x101
	v_fmac_f32_e32 v45, v59, v62
	s_wait_loadcnt_dscnt 0x0
	s_delay_alu instid0(VALU_DEP_1)
	v_fmac_f32_e32 v45, v58, v64
.LBB193_23:                             ;   in Loop: Header=BB193_24 Depth=2
	s_wait_alu 0xfffe
	s_or_b32 exec_lo, exec_lo, s7
	v_add_co_u32 v30, vcc_lo, v30, s38
	s_wait_alu 0xfffd
	v_add_co_ci_u32_e64 v31, null, s39, v31, vcc_lo
	v_add_co_u32 v50, vcc_lo, v50, s40
	v_add_nc_u32_e32 v49, 16, v49
	s_wait_alu 0xfffd
	v_add_co_ci_u32_e64 v51, null, s41, v51, vcc_lo
	v_add_co_u32 v52, vcc_lo, v52, s40
	s_wait_alu 0xfffd
	v_add_co_ci_u32_e64 v53, null, s41, v53, vcc_lo
	v_add_co_u32 v54, vcc_lo, v54, s40
	s_wait_alu 0xfffd
	v_add_co_ci_u32_e64 v55, null, s41, v55, vcc_lo
	v_cmp_le_i32_e32 vcc_lo, s42, v49
	v_add_co_u32 v56, s7, v56, s40
	s_wait_alu 0xf1ff
	v_add_co_ci_u32_e64 v57, null, s41, v57, s7
	s_or_b32 s47, vcc_lo, s47
	s_delay_alu instid0(SALU_CYCLE_1)
	s_and_not1_b32 exec_lo, exec_lo, s47
	s_cbranch_execz .LBB193_29
.LBB193_24:                             ;   Parent Loop BB193_4 Depth=1
                                        ; =>  This Inner Loop Header: Depth=2
	s_and_saveexec_b32 s7, s0
	s_cbranch_execz .LBB193_23
; %bb.25:                               ;   in Loop: Header=BB193_24 Depth=2
	v_add_co_u32 v58, vcc_lo, v30, v6
	s_wait_alu 0xfffd
	v_add_co_ci_u32_e64 v59, null, v31, v7, vcc_lo
	v_add_co_u32 v62, vcc_lo, v30, v20
	s_wait_alu 0xfffd
	v_add_co_ci_u32_e64 v63, null, v31, v21, vcc_lo
	v_add_co_u32 v64, vcc_lo, v30, v18
	s_wait_alu 0xfffd
	v_add_co_ci_u32_e64 v65, null, v31, v19, vcc_lo
	v_add_co_u32 v66, vcc_lo, v30, v12
	s_wait_alu 0xfffd
	v_add_co_ci_u32_e64 v67, null, v31, v13, vcc_lo
	v_add_co_u32 v32, vcc_lo, v52, v8
	s_wait_alu 0xfffd
	v_add_co_ci_u32_e64 v33, null, v53, v9, vcc_lo
	v_add_co_u32 v34, vcc_lo, v56, v8
	s_wait_alu 0xfffd
	v_add_co_ci_u32_e64 v35, null, v57, v9, vcc_lo
	v_add_co_u32 v36, vcc_lo, v54, v8
	s_wait_alu 0xfffd
	v_add_co_ci_u32_e64 v37, null, v55, v9, vcc_lo
	v_add_co_u32 v38, vcc_lo, v50, v8
	s_wait_alu 0xfffd
	v_add_co_ci_u32_e64 v39, null, v51, v9, vcc_lo
	s_clause 0x3
	flat_load_b32 v61, v[58:59]
	flat_load_b32 v60, v[62:63]
	;; [unrolled: 1-line block ×8, first 2 shown]
	s_and_saveexec_b32 s48, s1
	s_cbranch_execz .LBB193_22
; %bb.26:                               ;   in Loop: Header=BB193_24 Depth=2
	flat_load_b32 v69, v[32:33] offset:256
	flat_load_b32 v68, v[34:35] offset:256
	flat_load_b32 v67, v[36:37] offset:256
	flat_load_b32 v66, v[38:39] offset:256
	s_and_saveexec_b32 s49, s2
	s_cbranch_execz .LBB193_21
; %bb.27:                               ;   in Loop: Header=BB193_24 Depth=2
	flat_load_b32 v73, v[32:33] offset:512
	flat_load_b32 v72, v[34:35] offset:512
	flat_load_b32 v71, v[36:37] offset:512
	flat_load_b32 v70, v[38:39] offset:512
	;; [unrolled: 7-line block ×3, first 2 shown]
	s_wait_loadcnt_dscnt 0x303
	v_fmac_f32_e32 v48, v61, v32
	s_wait_loadcnt_dscnt 0x202
	s_delay_alu instid0(VALU_DEP_1) | instskip(SKIP_1) | instid1(VALU_DEP_1)
	v_fmac_f32_e32 v48, v60, v33
	s_wait_loadcnt_dscnt 0x101
	v_fmac_f32_e32 v48, v59, v34
	s_wait_loadcnt_dscnt 0x0
	s_delay_alu instid0(VALU_DEP_1)
	v_fmac_f32_e32 v48, v58, v35
	s_branch .LBB193_20
.LBB193_29:                             ;   in Loop: Header=BB193_4 Depth=1
	s_or_b32 exec_lo, exec_lo, s47
.LBB193_30:                             ;   in Loop: Header=BB193_4 Depth=1
	s_delay_alu instid0(SALU_CYCLE_1) | instskip(NEXT) | instid1(SALU_CYCLE_1)
	s_or_b32 exec_lo, exec_lo, s46
	s_and_not1_b32 vcc_lo, exec_lo, s43
	s_wait_alu 0xfffe
	s_cbranch_vccnz .LBB193_48
; %bb.31:                               ;   in Loop: Header=BB193_4 Depth=1
	v_cmp_gt_i32_e32 vcc_lo, s9, v49
	v_dual_mov_b32 v37, 0 :: v_dual_mov_b32 v36, 0
	v_or_b32_e32 v30, 1, v49
	v_dual_mov_b32 v35, 0 :: v_dual_mov_b32 v34, 0
	s_and_saveexec_b32 s46, vcc_lo
	s_cbranch_execz .LBB193_39
; %bb.32:                               ;   in Loop: Header=BB193_4 Depth=1
	v_mad_co_u64_u32 v[31:32], null, s36, v49, 0
	v_dual_mov_b32 v35, 0 :: v_dual_mov_b32 v36, 0
	v_mov_b32_e32 v37, 0
	s_mov_b32 s47, exec_lo
	s_delay_alu instid0(VALU_DEP_3) | instskip(NEXT) | instid1(VALU_DEP_1)
	v_mad_co_u64_u32 v[32:33], null, s37, v49, v[32:33]
	v_lshlrev_b64_e32 v[31:32], 2, v[31:32]
	s_delay_alu instid0(VALU_DEP_1) | instskip(SKIP_1) | instid1(VALU_DEP_2)
	v_add_co_u32 v31, s7, v28, v31
	s_wait_alu 0xf1ff
	v_add_co_ci_u32_e64 v32, null, v29, v32, s7
	flat_load_b32 v34, v[31:32]
	v_cmpx_gt_i32_e64 s9, v30
	s_cbranch_execz .LBB193_38
; %bb.33:                               ;   in Loop: Header=BB193_4 Depth=1
	v_mad_co_u64_u32 v[31:32], null, s36, v30, 0
	v_dual_mov_b32 v36, 0 :: v_dual_mov_b32 v37, 0
	s_mov_b32 s48, exec_lo
	s_delay_alu instid0(VALU_DEP_2) | instskip(NEXT) | instid1(VALU_DEP_1)
	v_mad_co_u64_u32 v[32:33], null, s37, v30, v[32:33]
	v_lshlrev_b64_e32 v[31:32], 2, v[31:32]
	s_delay_alu instid0(VALU_DEP_1) | instskip(SKIP_1) | instid1(VALU_DEP_2)
	v_add_co_u32 v31, s7, v28, v31
	s_wait_alu 0xf1ff
	v_add_co_ci_u32_e64 v32, null, v29, v32, s7
	flat_load_b32 v35, v[31:32]
	v_or_b32_e32 v31, 2, v49
	s_delay_alu instid0(VALU_DEP_1)
	v_cmpx_gt_i32_e64 s9, v31
	s_cbranch_execz .LBB193_37
; %bb.34:                               ;   in Loop: Header=BB193_4 Depth=1
	v_mad_co_u64_u32 v[32:33], null, s36, v31, 0
	s_mov_b32 s49, exec_lo
	s_wait_loadcnt_dscnt 0x101
	v_mad_co_u64_u32 v[36:37], null, s37, v31, v[33:34]
	v_mov_b32_e32 v37, 0
	s_delay_alu instid0(VALU_DEP_2) | instskip(NEXT) | instid1(VALU_DEP_1)
	v_mov_b32_e32 v33, v36
	v_lshlrev_b64_e32 v[31:32], 2, v[32:33]
	s_delay_alu instid0(VALU_DEP_1) | instskip(SKIP_1) | instid1(VALU_DEP_2)
	v_add_co_u32 v31, s7, v28, v31
	s_wait_alu 0xf1ff
	v_add_co_ci_u32_e64 v32, null, v29, v32, s7
	flat_load_b32 v36, v[31:32]
	v_or_b32_e32 v31, 3, v49
	s_delay_alu instid0(VALU_DEP_1)
	v_cmpx_gt_i32_e64 s9, v31
	s_cbranch_execz .LBB193_36
; %bb.35:                               ;   in Loop: Header=BB193_4 Depth=1
	v_mad_co_u64_u32 v[32:33], null, s36, v31, 0
	s_delay_alu instid0(VALU_DEP_1) | instskip(NEXT) | instid1(VALU_DEP_1)
	v_mad_co_u64_u32 v[37:38], null, s37, v31, v[33:34]
	v_mov_b32_e32 v33, v37
	s_delay_alu instid0(VALU_DEP_1) | instskip(NEXT) | instid1(VALU_DEP_1)
	v_lshlrev_b64_e32 v[31:32], 2, v[32:33]
	v_add_co_u32 v28, s7, v28, v31
	s_wait_alu 0xf1ff
	s_delay_alu instid0(VALU_DEP_2)
	v_add_co_ci_u32_e64 v29, null, v29, v32, s7
	flat_load_b32 v37, v[28:29]
.LBB193_36:                             ;   in Loop: Header=BB193_4 Depth=1
	s_or_b32 exec_lo, exec_lo, s49
.LBB193_37:                             ;   in Loop: Header=BB193_4 Depth=1
	s_delay_alu instid0(SALU_CYCLE_1)
	s_or_b32 exec_lo, exec_lo, s48
.LBB193_38:                             ;   in Loop: Header=BB193_4 Depth=1
	s_delay_alu instid0(SALU_CYCLE_1)
	s_or_b32 exec_lo, exec_lo, s47
.LBB193_39:                             ;   in Loop: Header=BB193_4 Depth=1
	s_delay_alu instid0(SALU_CYCLE_1)
	s_or_b32 exec_lo, exec_lo, s46
	s_and_saveexec_b32 s46, s0
	s_cbranch_execz .LBB193_47
; %bb.40:                               ;   in Loop: Header=BB193_4 Depth=1
	v_mad_co_u64_u32 v[28:29], null, s34, v49, 0
	v_or_b32_e32 v52, 2, v49
	v_mad_co_u64_u32 v[31:32], null, s34, v30, 0
	v_or_b32_e32 v53, 3, v49
	v_cmp_gt_i32_e64 s7, s9, v30
	s_delay_alu instid0(VALU_DEP_4) | instskip(SKIP_3) | instid1(VALU_DEP_4)
	v_mad_co_u64_u32 v[38:39], null, s34, v52, 0
	v_mad_co_u64_u32 v[49:50], null, s35, v49, v[29:30]
	;; [unrolled: 1-line block ×4, first 2 shown]
	v_mov_b32_e32 v30, v39
	s_delay_alu instid0(VALU_DEP_4)
	v_dual_cndmask_b32 v50, 0, v28 :: v_dual_cndmask_b32 v51, 0, v49
	s_wait_alu 0xf1ff
	v_cndmask_b32_e64 v28, 0, v31, s7
	v_cndmask_b32_e64 v29, 0, v29, s7
	v_mad_co_u64_u32 v[30:31], null, s35, v52, v[30:31]
	v_mov_b32_e32 v31, v33
	v_lshlrev_b64_e32 v[49:50], 2, v[50:51]
	v_cmp_gt_i32_e32 vcc_lo, s9, v52
	v_lshlrev_b64_e32 v[51:52], 2, v[28:29]
	s_wait_alu 0xfffd
	v_cndmask_b32_e32 v39, 0, v30, vcc_lo
	s_delay_alu instid0(VALU_DEP_4)
	v_add_co_u32 v28, s7, v26, v49
	s_wait_alu 0xf1ff
	v_add_co_ci_u32_e64 v29, null, v27, v50, s7
	v_mad_co_u64_u32 v[30:31], null, s35, v53, v[31:32]
	v_cndmask_b32_e32 v38, 0, v38, vcc_lo
	v_add_co_u32 v28, vcc_lo, v28, v8
	s_wait_alu 0xfffd
	v_add_co_ci_u32_e64 v29, null, v29, v9, vcc_lo
	v_cmp_gt_i32_e32 vcc_lo, s9, v53
	v_add_co_u32 v31, s7, v26, v51
	s_wait_alu 0xf1ff
	v_add_co_ci_u32_e64 v49, null, v27, v52, s7
	s_wait_alu 0xfffd
	v_dual_cndmask_b32 v32, 0, v32 :: v_dual_cndmask_b32 v33, 0, v30
	v_lshlrev_b64_e32 v[38:39], 2, v[38:39]
	v_add_co_u32 v30, vcc_lo, v31, v8
	s_wait_alu 0xfffd
	v_add_co_ci_u32_e64 v31, null, v49, v9, vcc_lo
	v_lshlrev_b64_e32 v[32:33], 2, v[32:33]
	s_delay_alu instid0(VALU_DEP_4) | instskip(SKIP_2) | instid1(VALU_DEP_3)
	v_add_co_u32 v38, vcc_lo, v26, v38
	s_wait_alu 0xfffd
	v_add_co_ci_u32_e64 v39, null, v27, v39, vcc_lo
	v_add_co_u32 v26, vcc_lo, v26, v32
	s_wait_alu 0xfffd
	v_add_co_ci_u32_e64 v27, null, v27, v33, vcc_lo
	;; [unrolled: 3-line block ×4, first 2 shown]
	s_clause 0x3
	flat_load_b32 v50, v[28:29]
	flat_load_b32 v39, v[30:31]
	;; [unrolled: 1-line block ×4, first 2 shown]
	s_and_saveexec_b32 s7, s1
	s_cbranch_execz .LBB193_46
; %bb.41:                               ;   in Loop: Header=BB193_4 Depth=1
	s_clause 0x3
	flat_load_b32 v54, v[28:29] offset:256
	flat_load_b32 v53, v[30:31] offset:256
	flat_load_b32 v52, v[32:33] offset:256
	flat_load_b32 v51, v[26:27] offset:256
	s_and_saveexec_b32 s47, s2
	s_cbranch_execz .LBB193_45
; %bb.42:                               ;   in Loop: Header=BB193_4 Depth=1
	s_clause 0x3
	flat_load_b32 v58, v[28:29] offset:512
	flat_load_b32 v57, v[30:31] offset:512
	flat_load_b32 v56, v[32:33] offset:512
	flat_load_b32 v55, v[26:27] offset:512
	;; [unrolled: 8-line block ×3, first 2 shown]
	s_wait_loadcnt_dscnt 0x303
	v_fmac_f32_e32 v48, v34, v28
	s_wait_loadcnt_dscnt 0x202
	s_delay_alu instid0(VALU_DEP_1) | instskip(SKIP_1) | instid1(VALU_DEP_1)
	v_fmac_f32_e32 v48, v35, v29
	s_wait_loadcnt_dscnt 0x101
	v_fmac_f32_e32 v48, v36, v30
	s_wait_loadcnt_dscnt 0x0
	s_delay_alu instid0(VALU_DEP_1)
	v_fmac_f32_e32 v48, v37, v26
.LBB193_44:                             ;   in Loop: Header=BB193_4 Depth=1
	s_or_b32 exec_lo, exec_lo, s48
	s_wait_loadcnt_dscnt 0x303
	v_fmac_f32_e32 v47, v34, v58
	s_wait_loadcnt_dscnt 0x202
	s_delay_alu instid0(VALU_DEP_1) | instskip(SKIP_1) | instid1(VALU_DEP_1)
	v_fmac_f32_e32 v47, v35, v57
	s_wait_loadcnt_dscnt 0x101
	v_fmac_f32_e32 v47, v36, v56
	s_wait_loadcnt_dscnt 0x0
	s_delay_alu instid0(VALU_DEP_1)
	v_fmac_f32_e32 v47, v37, v55
.LBB193_45:                             ;   in Loop: Header=BB193_4 Depth=1
	s_or_b32 exec_lo, exec_lo, s47
	s_wait_loadcnt_dscnt 0x303
	v_fmac_f32_e32 v46, v34, v54
	s_wait_loadcnt_dscnt 0x202
	s_delay_alu instid0(VALU_DEP_1) | instskip(SKIP_1) | instid1(VALU_DEP_1)
	v_fmac_f32_e32 v46, v35, v53
	s_wait_loadcnt_dscnt 0x101
	v_fmac_f32_e32 v46, v36, v52
	s_wait_loadcnt_dscnt 0x0
	s_delay_alu instid0(VALU_DEP_1)
	v_fmac_f32_e32 v46, v37, v51
.LBB193_46:                             ;   in Loop: Header=BB193_4 Depth=1
	s_wait_alu 0xfffe
	s_or_b32 exec_lo, exec_lo, s7
	s_wait_loadcnt_dscnt 0x303
	v_fmac_f32_e32 v45, v34, v50
	s_wait_loadcnt_dscnt 0x202
	s_delay_alu instid0(VALU_DEP_1) | instskip(SKIP_1) | instid1(VALU_DEP_1)
	v_fmac_f32_e32 v45, v35, v39
	s_wait_loadcnt_dscnt 0x101
	v_fmac_f32_e32 v45, v36, v38
	s_wait_loadcnt_dscnt 0x0
	s_delay_alu instid0(VALU_DEP_1)
	v_fmac_f32_e32 v45, v37, v49
.LBB193_47:                             ;   in Loop: Header=BB193_4 Depth=1
	s_or_b32 exec_lo, exec_lo, s46
.LBB193_48:                             ;   in Loop: Header=BB193_4 Depth=1
	ds_store_2addr_stride64_b32 v0, v45, v46 offset1:1
	ds_store_2addr_stride64_b32 v0, v47, v48 offset0:2 offset1:3
	s_wait_loadcnt_dscnt 0x0
	s_barrier_signal -1
	s_barrier_wait -1
	global_inv scope:SCOPE_SE
                                        ; implicit-def: $vgpr30
	s_and_saveexec_b32 s7, s5
	s_cbranch_execz .LBB193_54
; %bb.49:                               ;   in Loop: Header=BB193_4 Depth=1
	ds_load_2addr_stride64_b32 v[26:27], v41 offset1:4
	ds_load_2addr_stride64_b32 v[28:29], v41 offset0:8 offset1:12
	s_mov_b32 s47, s8
                                        ; implicit-def: $vgpr30
	s_wait_dscnt 0x1
	v_add_f32_e32 v26, v26, v27
	s_wait_dscnt 0x0
	s_delay_alu instid0(VALU_DEP_1) | instskip(NEXT) | instid1(VALU_DEP_1)
	v_add_f32_e32 v26, v28, v26
	v_add_f32_e32 v26, v29, v26
	ds_store_b32 v41, v26
	s_and_saveexec_b32 s46, s6
	s_cbranch_execz .LBB193_53
; %bb.50:                               ;   in Loop: Header=BB193_4 Depth=1
	v_mul_f32_e32 v30, v42, v26
	s_cmp_eq_f32 s45, 0
	s_cbranch_scc1 .LBB193_52
; %bb.51:                               ;   in Loop: Header=BB193_4 Depth=1
	v_lshlrev_b64_e32 v[26:27], 2, v[4:5]
	s_delay_alu instid0(VALU_DEP_1) | instskip(SKIP_1) | instid1(VALU_DEP_2)
	v_add_co_u32 v26, vcc_lo, v43, v26
	s_wait_alu 0xfffd
	v_add_co_ci_u32_e64 v27, null, v44, v27, vcc_lo
	flat_load_b32 v26, v[26:27]
	s_wait_loadcnt_dscnt 0x0
	v_fmac_f32_e32 v30, s45, v26
.LBB193_52:                             ;   in Loop: Header=BB193_4 Depth=1
	s_or_b32 s47, s8, exec_lo
.LBB193_53:                             ;   in Loop: Header=BB193_4 Depth=1
	s_or_b32 exec_lo, exec_lo, s46
	s_delay_alu instid0(SALU_CYCLE_1)
	s_and_not1_b32 s8, s8, exec_lo
	s_and_b32 s45, s47, exec_lo
	s_wait_alu 0xfffe
	s_or_b32 s8, s8, s45
.LBB193_54:                             ;   in Loop: Header=BB193_4 Depth=1
	s_wait_alu 0xfffe
	s_or_b32 exec_lo, exec_lo, s7
	v_dual_mov_b32 v27, v5 :: v_dual_mov_b32 v26, v4
	s_and_saveexec_b32 s7, s8
	s_cbranch_execz .LBB193_2
.LBB193_55:                             ;   in Loop: Header=BB193_4 Depth=1
	s_delay_alu instid0(VALU_DEP_1) | instskip(NEXT) | instid1(VALU_DEP_1)
	v_lshlrev_b64_e32 v[26:27], 2, v[26:27]
	v_add_co_u32 v26, vcc_lo, v43, v26
	s_wait_alu 0xfffd
	s_delay_alu instid0(VALU_DEP_2)
	v_add_co_ci_u32_e64 v27, null, v44, v27, vcc_lo
	flat_store_b32 v[26:27], v30
	s_branch .LBB193_2
.LBB193_56:
	s_endpgm
	.section	.rodata,"a",@progbits
	.p2align	6, 0x0
	.amdhsa_kernel _ZL20rocblas_gemvn_kernelILi64ELi4ElPKfS1_KPfEviiT3_lPKT2_lT1_lS7_lS8_lS4_lPT4_lS8_li
		.amdhsa_group_segment_fixed_size 4096
		.amdhsa_private_segment_fixed_size 0
		.amdhsa_kernarg_size 400
		.amdhsa_user_sgpr_count 2
		.amdhsa_user_sgpr_dispatch_ptr 0
		.amdhsa_user_sgpr_queue_ptr 0
		.amdhsa_user_sgpr_kernarg_segment_ptr 1
		.amdhsa_user_sgpr_dispatch_id 0
		.amdhsa_user_sgpr_private_segment_size 0
		.amdhsa_wavefront_size32 1
		.amdhsa_uses_dynamic_stack 0
		.amdhsa_enable_private_segment 0
		.amdhsa_system_sgpr_workgroup_id_x 1
		.amdhsa_system_sgpr_workgroup_id_y 0
		.amdhsa_system_sgpr_workgroup_id_z 1
		.amdhsa_system_sgpr_workgroup_info 0
		.amdhsa_system_vgpr_workitem_id 1
		.amdhsa_next_free_vgpr 74
		.amdhsa_next_free_sgpr 51
		.amdhsa_reserve_vcc 1
		.amdhsa_float_round_mode_32 0
		.amdhsa_float_round_mode_16_64 0
		.amdhsa_float_denorm_mode_32 3
		.amdhsa_float_denorm_mode_16_64 3
		.amdhsa_fp16_overflow 0
		.amdhsa_workgroup_processor_mode 1
		.amdhsa_memory_ordered 1
		.amdhsa_forward_progress 1
		.amdhsa_inst_pref_size 28
		.amdhsa_round_robin_scheduling 0
		.amdhsa_exception_fp_ieee_invalid_op 0
		.amdhsa_exception_fp_denorm_src 0
		.amdhsa_exception_fp_ieee_div_zero 0
		.amdhsa_exception_fp_ieee_overflow 0
		.amdhsa_exception_fp_ieee_underflow 0
		.amdhsa_exception_fp_ieee_inexact 0
		.amdhsa_exception_int_div_zero 0
	.end_amdhsa_kernel
	.section	.text._ZL20rocblas_gemvn_kernelILi64ELi4ElPKfS1_KPfEviiT3_lPKT2_lT1_lS7_lS8_lS4_lPT4_lS8_li,"axG",@progbits,_ZL20rocblas_gemvn_kernelILi64ELi4ElPKfS1_KPfEviiT3_lPKT2_lT1_lS7_lS8_lS4_lPT4_lS8_li,comdat
.Lfunc_end193:
	.size	_ZL20rocblas_gemvn_kernelILi64ELi4ElPKfS1_KPfEviiT3_lPKT2_lT1_lS7_lS8_lS4_lPT4_lS8_li, .Lfunc_end193-_ZL20rocblas_gemvn_kernelILi64ELi4ElPKfS1_KPfEviiT3_lPKT2_lT1_lS7_lS8_lS4_lPT4_lS8_li
                                        ; -- End function
	.set _ZL20rocblas_gemvn_kernelILi64ELi4ElPKfS1_KPfEviiT3_lPKT2_lT1_lS7_lS8_lS4_lPT4_lS8_li.num_vgpr, 74
	.set _ZL20rocblas_gemvn_kernelILi64ELi4ElPKfS1_KPfEviiT3_lPKT2_lT1_lS7_lS8_lS4_lPT4_lS8_li.num_agpr, 0
	.set _ZL20rocblas_gemvn_kernelILi64ELi4ElPKfS1_KPfEviiT3_lPKT2_lT1_lS7_lS8_lS4_lPT4_lS8_li.numbered_sgpr, 51
	.set _ZL20rocblas_gemvn_kernelILi64ELi4ElPKfS1_KPfEviiT3_lPKT2_lT1_lS7_lS8_lS4_lPT4_lS8_li.num_named_barrier, 0
	.set _ZL20rocblas_gemvn_kernelILi64ELi4ElPKfS1_KPfEviiT3_lPKT2_lT1_lS7_lS8_lS4_lPT4_lS8_li.private_seg_size, 0
	.set _ZL20rocblas_gemvn_kernelILi64ELi4ElPKfS1_KPfEviiT3_lPKT2_lT1_lS7_lS8_lS4_lPT4_lS8_li.uses_vcc, 1
	.set _ZL20rocblas_gemvn_kernelILi64ELi4ElPKfS1_KPfEviiT3_lPKT2_lT1_lS7_lS8_lS4_lPT4_lS8_li.uses_flat_scratch, 1
	.set _ZL20rocblas_gemvn_kernelILi64ELi4ElPKfS1_KPfEviiT3_lPKT2_lT1_lS7_lS8_lS4_lPT4_lS8_li.has_dyn_sized_stack, 0
	.set _ZL20rocblas_gemvn_kernelILi64ELi4ElPKfS1_KPfEviiT3_lPKT2_lT1_lS7_lS8_lS4_lPT4_lS8_li.has_recursion, 0
	.set _ZL20rocblas_gemvn_kernelILi64ELi4ElPKfS1_KPfEviiT3_lPKT2_lT1_lS7_lS8_lS4_lPT4_lS8_li.has_indirect_call, 0
	.section	.AMDGPU.csdata,"",@progbits
; Kernel info:
; codeLenInByte = 3536
; TotalNumSgprs: 53
; NumVgprs: 74
; ScratchSize: 0
; MemoryBound: 0
; FloatMode: 240
; IeeeMode: 1
; LDSByteSize: 4096 bytes/workgroup (compile time only)
; SGPRBlocks: 0
; VGPRBlocks: 9
; NumSGPRsForWavesPerEU: 53
; NumVGPRsForWavesPerEU: 74
; Occupancy: 16
; WaveLimiterHint : 1
; COMPUTE_PGM_RSRC2:SCRATCH_EN: 0
; COMPUTE_PGM_RSRC2:USER_SGPR: 2
; COMPUTE_PGM_RSRC2:TRAP_HANDLER: 0
; COMPUTE_PGM_RSRC2:TGID_X_EN: 1
; COMPUTE_PGM_RSRC2:TGID_Y_EN: 0
; COMPUTE_PGM_RSRC2:TGID_Z_EN: 1
; COMPUTE_PGM_RSRC2:TIDIG_COMP_CNT: 1
	.section	.text._ZL20rocblas_gemvn_kernelILi64ELi4EiPKffKPfEviiT3_lPKT2_lT1_lS7_lS8_lS4_lPT4_lS8_li,"axG",@progbits,_ZL20rocblas_gemvn_kernelILi64ELi4EiPKffKPfEviiT3_lPKT2_lT1_lS7_lS8_lS4_lPT4_lS8_li,comdat
	.globl	_ZL20rocblas_gemvn_kernelILi64ELi4EiPKffKPfEviiT3_lPKT2_lT1_lS7_lS8_lS4_lPT4_lS8_li ; -- Begin function _ZL20rocblas_gemvn_kernelILi64ELi4EiPKffKPfEviiT3_lPKT2_lT1_lS7_lS8_lS4_lPT4_lS8_li
	.p2align	8
	.type	_ZL20rocblas_gemvn_kernelILi64ELi4EiPKffKPfEviiT3_lPKT2_lT1_lS7_lS8_lS4_lPT4_lS8_li,@function
_ZL20rocblas_gemvn_kernelILi64ELi4EiPKffKPfEviiT3_lPKT2_lT1_lS7_lS8_lS4_lPT4_lS8_li: ; @_ZL20rocblas_gemvn_kernelILi64ELi4EiPKffKPfEviiT3_lPKT2_lT1_lS7_lS8_lS4_lPT4_lS8_li
; %bb.0:
	s_clause 0x1
	s_load_b64 s[2:3], s[0:1], 0x9c
	s_load_b32 s23, s[0:1], 0x88
	s_lshr_b32 s24, ttmp7, 16
	s_wait_kmcnt 0x0
	s_lshr_b32 s4, s2, 16
	s_and_b32 s2, s2, 0xffff
	s_and_b32 s3, s3, 0xffff
	s_mul_i32 s2, s4, s2
	s_delay_alu instid0(SALU_CYCLE_1) | instskip(NEXT) | instid1(SALU_CYCLE_1)
	s_mul_i32 s2, s2, s3
	s_cmp_lg_u32 s2, 0x100
	s_cselect_b32 s2, -1, 0
	s_cmp_ge_u32 s24, s23
	s_cselect_b32 s3, -1, 0
	s_delay_alu instid0(SALU_CYCLE_1) | instskip(NEXT) | instid1(SALU_CYCLE_1)
	s_or_b32 s2, s2, s3
	s_and_b32 vcc_lo, exec_lo, s2
	s_cbranch_vccnz .LBB194_59
; %bb.1:
	s_clause 0x7
	s_load_b32 s4, s[0:1], 0x78
	s_load_b96 s[20:22], s[0:1], 0x0
	s_load_b32 s27, s[0:1], 0x58
	s_load_b32 s28, s[0:1], 0x28
	s_load_b128 s[8:11], s[0:1], 0x38
	s_load_b32 s26, s[0:1], 0x48
	s_load_b128 s[12:15], s[0:1], 0x68
	s_load_b128 s[16:19], s[0:1], 0x18
	v_and_b32_e32 v9, 0x3ff, v0
	v_bfe_u32 v8, v0, 10, 10
	v_mov_b32_e32 v1, 0
	s_mov_b32 s25, 0
	s_delay_alu instid0(VALU_DEP_3) | instskip(NEXT) | instid1(VALU_DEP_3)
	v_lshlrev_b32_e32 v0, 2, v9
	v_lshl_add_u32 v2, v8, 6, v9
	v_lshlrev_b32_e32 v23, 2, v8
	s_delay_alu instid0(VALU_DEP_3)
	v_lshl_add_u32 v24, v8, 10, v0
	v_lshl_add_u32 v25, v8, 8, v0
	s_wait_kmcnt 0x0
	s_ashr_i32 s5, s4, 31
	s_cmp_eq_f32 s22, 0
	s_mov_b32 s2, s20
	v_cmp_gt_u32_e64 s0, 0x100, v2
	v_mul_lo_u32 v10, s28, v23
	s_cselect_b32 s29, -1, 0
	s_cmp_neq_f32 s27, 1.0
	v_or_b32_e32 v12, 3, v23
	v_mul_lo_u32 v13, v8, s26
	s_cselect_b32 s1, -1, 0
	s_cmp_neq_f32 s22, 0
	s_delay_alu instid0(VALU_DEP_2)
	v_mul_lo_u32 v30, s26, v12
	s_cselect_b32 s6, -1, 0
	s_lshl_b32 s30, ttmp9, 8
	s_ashr_i32 s3, s20, 31
	v_add_nc_u32_e32 v0, s30, v2
	v_or_b32_e32 v4, s30, v2
	v_or_b32_e32 v27, s30, v9
	s_or_b32 s31, s6, s1
	s_cmp_neq_f32 s27, 0
	v_cmp_gt_i64_e32 vcc_lo, s[2:3], v[0:1]
	v_mad_co_u64_u32 v[2:3], null, s4, v0, 0
	v_cmp_gt_i32_e64 s2, s20, v4
	v_mul_lo_u32 v4, s4, v4
	v_add_nc_u32_e32 v6, 0x80, v27
	v_add_nc_u32_e32 v11, 0xc0, v27
	s_cselect_b32 s33, -1, 0
	s_ashr_i32 s3, s21, 31
	v_cndmask_b32_e64 v26, 0, 1, s6
	v_cmp_gt_i32_e64 s4, s20, v6
	s_wait_alu 0xfffe
	s_lshr_b32 s3, s3, 28
	v_mad_co_u64_u32 v[6:7], null, s5, v0, v[3:4]
	v_cmp_gt_i32_e64 s5, s20, v11
	v_mul_lo_u32 v11, v8, s28
	v_add3_u32 v0, v10, s28, v9
	v_or_b32_e32 v10, 2, v23
	v_add_nc_u32_e32 v5, 64, v27
	s_wait_alu 0xfffe
	s_add_co_i32 s6, s21, s3
	v_mov_b32_e32 v3, v6
	s_wait_alu 0xfffe
	s_and_b32 s34, s6, -16
	v_mad_co_u64_u32 v[6:7], null, s28, v10, v[9:10]
	v_mad_co_u64_u32 v[7:8], null, s28, v12, v[9:10]
	v_lshl_add_u32 v28, v11, 2, v9
	v_mad_co_u64_u32 v[8:9], null, s26, v23, s[26:27]
	v_mul_lo_u32 v29, s26, v10
	s_sub_co_i32 s7, s21, s34
	v_lshlrev_b64_e32 v[9:10], 2, v[2:3]
	v_cmp_gt_i32_e64 s1, s20, v27
	v_cmp_gt_i32_e64 s3, s20, v5
	;; [unrolled: 1-line block ×3, first 2 shown]
	v_ashrrev_i32_e32 v5, 31, v4
	v_lshlrev_b32_e32 v31, 2, v13
	s_wait_alu 0xfffe
	s_cmp_gt_i32 s7, 0
	s_cselect_b32 s20, -1, 0
	s_and_b32 s35, s0, vcc_lo
	s_lshl_b32 s36, s28, 4
	s_lshl_b32 s37, s26, 4
	s_lshl_b64 s[18:19], s[18:19], 2
	s_lshl_b64 s[10:11], s[10:11], 2
	;; [unrolled: 1-line block ×3, first 2 shown]
	s_branch .LBB194_4
.LBB194_2:                              ;   in Loop: Header=BB194_4 Depth=1
	s_wait_alu 0xfffe
	s_or_b32 exec_lo, exec_lo, s7
.LBB194_3:                              ;   in Loop: Header=BB194_4 Depth=1
	s_add_co_i32 s24, s24, 0x10000
	s_delay_alu instid0(SALU_CYCLE_1)
	s_cmp_lt_u32 s24, s23
	s_cbranch_scc0 .LBB194_59
.LBB194_4:                              ; =>This Loop Header: Depth=1
                                        ;     Child Loop BB194_27 Depth 2
	s_and_not1_b32 vcc_lo, exec_lo, s31
	s_wait_alu 0xfffe
	s_cbranch_vccnz .LBB194_3
; %bb.5:                                ;   in Loop: Header=BB194_4 Depth=1
	s_and_not1_b32 vcc_lo, exec_lo, s29
	s_wait_alu 0xfffe
	s_cbranch_vccnz .LBB194_7
; %bb.6:                                ;   in Loop: Header=BB194_4 Depth=1
	s_mov_b32 s7, 0
	s_branch .LBB194_8
.LBB194_7:                              ;   in Loop: Header=BB194_4 Depth=1
	s_mov_b32 s7, -1
.LBB194_8:                              ;   in Loop: Header=BB194_4 Depth=1
	v_mov_b32_e32 v13, 0
	v_dual_mov_b32 v14, 0 :: v_dual_mov_b32 v11, 0
	v_mov_b32_e32 v12, 0
	s_wait_alu 0xfffe
	s_and_not1_b32 vcc_lo, exec_lo, s7
	s_wait_alu 0xfffe
	s_cbranch_vccnz .LBB194_10
; %bb.9:                                ;   in Loop: Header=BB194_4 Depth=1
	s_lshl_b64 s[38:39], s[24:25], 3
	s_delay_alu instid0(SALU_CYCLE_1)
	s_add_nc_u64 s[38:39], s[16:17], s[38:39]
	global_load_b64 v[11:12], v1, s[38:39]
	s_wait_loadcnt 0x0
	v_add_co_u32 v11, vcc_lo, v11, s18
	s_wait_alu 0xfffd
	v_add_co_ci_u32_e64 v12, null, s19, v12, vcc_lo
.LBB194_10:                             ;   in Loop: Header=BB194_4 Depth=1
	v_cmp_ne_u32_e32 vcc_lo, 1, v26
	s_cbranch_vccnz .LBB194_12
; %bb.11:                               ;   in Loop: Header=BB194_4 Depth=1
	s_lshl_b64 s[38:39], s[24:25], 3
	s_delay_alu instid0(SALU_CYCLE_1)
	s_add_nc_u64 s[38:39], s[8:9], s[38:39]
	global_load_b64 v[13:14], v1, s[38:39]
	s_wait_loadcnt 0x0
	v_add_co_u32 v13, vcc_lo, v13, s10
	s_wait_alu 0xfffd
	v_add_co_ci_u32_e64 v14, null, s11, v14, vcc_lo
.LBB194_12:                             ;   in Loop: Header=BB194_4 Depth=1
	s_lshl_b64 s[38:39], s[24:25], 3
	s_delay_alu instid0(SALU_CYCLE_1)
	s_add_nc_u64 s[38:39], s[12:13], s[38:39]
	global_load_b64 v[15:16], v1, s[38:39]
	s_wait_loadcnt 0x0
	v_add_co_u32 v32, vcc_lo, v15, s14
	s_wait_alu 0xfffd
	v_add_co_ci_u32_e64 v33, null, s15, v16, vcc_lo
	s_and_not1_b32 vcc_lo, exec_lo, s29
	s_wait_alu 0xfffe
	s_cbranch_vccnz .LBB194_16
; %bb.13:                               ;   in Loop: Header=BB194_4 Depth=1
	s_mov_b32 s7, 0
	s_mov_b32 s38, 0
                                        ; implicit-def: $vgpr15
	s_and_saveexec_b32 s39, s35
	s_cbranch_execz .LBB194_17
; %bb.14:                               ;   in Loop: Header=BB194_4 Depth=1
	s_and_not1_b32 vcc_lo, exec_lo, s33
	s_wait_alu 0xfffe
	s_cbranch_vccnz .LBB194_19
; %bb.15:                               ;   in Loop: Header=BB194_4 Depth=1
	v_add_co_u32 v15, vcc_lo, v32, v9
	s_wait_alu 0xfffd
	v_add_co_ci_u32_e64 v16, null, v33, v10, vcc_lo
	flat_load_b32 v15, v[15:16]
	s_wait_loadcnt_dscnt 0x0
	v_mul_f32_e32 v15, s27, v15
	s_branch .LBB194_20
.LBB194_16:                             ;   in Loop: Header=BB194_4 Depth=1
	s_mov_b32 s38, 0
                                        ; implicit-def: $vgpr15
	s_cbranch_execz .LBB194_18
	s_branch .LBB194_21
.LBB194_17:                             ;   in Loop: Header=BB194_4 Depth=1
	s_or_b32 exec_lo, exec_lo, s39
	s_wait_alu 0xfffe
	s_and_b32 vcc_lo, exec_lo, s7
	s_wait_alu 0xfffe
	s_cbranch_vccnz .LBB194_21
.LBB194_18:                             ;   in Loop: Header=BB194_4 Depth=1
	v_dual_mov_b32 v12, v3 :: v_dual_mov_b32 v11, v2
	s_and_saveexec_b32 s7, s38
	s_cbranch_execz .LBB194_2
	s_branch .LBB194_58
.LBB194_19:                             ;   in Loop: Header=BB194_4 Depth=1
	v_mov_b32_e32 v15, 0
.LBB194_20:                             ;   in Loop: Header=BB194_4 Depth=1
	s_mov_b32 s38, exec_lo
	s_or_b32 exec_lo, exec_lo, s39
	s_delay_alu instid0(SALU_CYCLE_1)
	s_and_b32 vcc_lo, exec_lo, s7
	s_wait_alu 0xfffe
	s_cbranch_vccz .LBB194_18
.LBB194_21:                             ;   in Loop: Header=BB194_4 Depth=1
	v_dual_mov_b32 v34, 0 :: v_dual_mov_b32 v35, 0
	v_dual_mov_b32 v38, v23 :: v_dual_mov_b32 v37, 0
	v_mov_b32_e32 v36, 0
	s_and_saveexec_b32 s7, s6
	s_cbranch_execz .LBB194_33
; %bb.22:                               ;   in Loop: Header=BB194_4 Depth=1
	v_dual_mov_b32 v34, 0 :: v_dual_mov_b32 v39, v28
	v_dual_mov_b32 v40, v7 :: v_dual_mov_b32 v41, v6
	;; [unrolled: 1-line block ×4, first 2 shown]
	v_mov_b32_e32 v36, 0
	s_mov_b32 s39, 0
	s_mov_b32 s40, 0
	s_branch .LBB194_27
.LBB194_23:                             ;   in Loop: Header=BB194_27 Depth=2
	s_or_b32 exec_lo, exec_lo, s44
	s_wait_loadcnt_dscnt 0x303
	v_fmac_f32_e32 v36, v46, v58
	s_wait_loadcnt_dscnt 0x202
	s_delay_alu instid0(VALU_DEP_1) | instskip(SKIP_1) | instid1(VALU_DEP_1)
	v_fmac_f32_e32 v36, v45, v57
	s_wait_loadcnt_dscnt 0x101
	v_fmac_f32_e32 v36, v44, v56
	s_wait_loadcnt_dscnt 0x0
	s_delay_alu instid0(VALU_DEP_1)
	v_fmac_f32_e32 v36, v43, v55
.LBB194_24:                             ;   in Loop: Header=BB194_27 Depth=2
	s_or_b32 exec_lo, exec_lo, s43
	s_wait_loadcnt_dscnt 0x303
	v_fmac_f32_e32 v35, v46, v54
	s_wait_loadcnt_dscnt 0x202
	s_delay_alu instid0(VALU_DEP_1) | instskip(SKIP_1) | instid1(VALU_DEP_1)
	v_fmac_f32_e32 v35, v45, v53
	s_wait_loadcnt_dscnt 0x101
	v_fmac_f32_e32 v35, v44, v52
	s_wait_loadcnt_dscnt 0x0
	s_delay_alu instid0(VALU_DEP_1)
	v_fmac_f32_e32 v35, v43, v51
.LBB194_25:                             ;   in Loop: Header=BB194_27 Depth=2
	s_or_b32 exec_lo, exec_lo, s42
	s_wait_loadcnt_dscnt 0x303
	v_fmac_f32_e32 v34, v46, v50
	s_wait_loadcnt_dscnt 0x202
	s_delay_alu instid0(VALU_DEP_1) | instskip(SKIP_1) | instid1(VALU_DEP_1)
	v_fmac_f32_e32 v34, v45, v48
	s_wait_loadcnt_dscnt 0x101
	v_fmac_f32_e32 v34, v44, v47
	s_wait_loadcnt_dscnt 0x0
	s_delay_alu instid0(VALU_DEP_1)
	v_fmac_f32_e32 v34, v43, v49
.LBB194_26:                             ;   in Loop: Header=BB194_27 Depth=2
	s_wait_alu 0xfffe
	s_or_b32 exec_lo, exec_lo, s41
	v_add_nc_u32_e32 v38, 16, v38
	v_add_nc_u32_e32 v42, s36, v42
	;; [unrolled: 1-line block ×5, first 2 shown]
	v_cmp_le_i32_e32 vcc_lo, s34, v38
	s_add_co_i32 s40, s40, s37
	s_or_b32 s39, vcc_lo, s39
	s_delay_alu instid0(SALU_CYCLE_1)
	s_and_not1_b32 exec_lo, exec_lo, s39
	s_cbranch_execz .LBB194_32
.LBB194_27:                             ;   Parent Loop BB194_4 Depth=1
                                        ; =>  This Inner Loop Header: Depth=2
	s_and_saveexec_b32 s41, s1
	s_cbranch_execz .LBB194_26
; %bb.28:                               ;   in Loop: Header=BB194_27 Depth=2
	s_wait_alu 0xfffe
	v_add_nc_u32_e32 v15, s40, v31
	v_add_nc_u32_e32 v17, s40, v8
	;; [unrolled: 1-line block ×5, first 2 shown]
	v_ashrrev_i32_e32 v16, 31, v15
	v_ashrrev_i32_e32 v18, 31, v17
	;; [unrolled: 1-line block ×5, first 2 shown]
	v_lshlrev_b64_e32 v[15:16], 2, v[15:16]
	v_lshlrev_b64_e32 v[17:18], 2, v[17:18]
	;; [unrolled: 1-line block ×3, first 2 shown]
	s_delay_alu instid0(VALU_DEP_3) | instskip(SKIP_1) | instid1(VALU_DEP_4)
	v_add_co_u32 v45, vcc_lo, v13, v15
	s_wait_alu 0xfffd
	v_add_co_ci_u32_e64 v46, null, v14, v16, vcc_lo
	s_delay_alu instid0(VALU_DEP_4)
	v_add_co_u32 v47, vcc_lo, v13, v17
	v_add_nc_u32_e32 v17, s30, v42
	s_wait_alu 0xfffd
	v_add_co_ci_u32_e64 v48, null, v14, v18, vcc_lo
	v_lshlrev_b64_e32 v[15:16], 2, v[21:22]
	v_add_co_u32 v49, vcc_lo, v13, v19
	v_add_nc_u32_e32 v21, s30, v41
	s_wait_alu 0xfffd
	v_add_co_ci_u32_e64 v50, null, v14, v20, vcc_lo
	v_lshlrev_b64_e32 v[19:20], 2, v[43:44]
	v_add_nc_u32_e32 v43, s30, v40
	v_ashrrev_i32_e32 v18, 31, v17
	v_ashrrev_i32_e32 v22, 31, v21
	v_add_co_u32 v51, vcc_lo, v13, v15
	s_delay_alu instid0(VALU_DEP_4)
	v_ashrrev_i32_e32 v44, 31, v43
	s_wait_alu 0xfffd
	v_add_co_ci_u32_e64 v52, null, v14, v16, vcc_lo
	v_lshlrev_b64_e32 v[17:18], 2, v[17:18]
	v_add_co_u32 v15, vcc_lo, v11, v19
	s_wait_alu 0xfffd
	v_add_co_ci_u32_e64 v16, null, v12, v20, vcc_lo
	v_lshlrev_b64_e32 v[19:20], 2, v[21:22]
	v_lshlrev_b64_e32 v[43:44], 2, v[43:44]
	v_add_co_u32 v17, vcc_lo, v11, v17
	s_wait_alu 0xfffd
	v_add_co_ci_u32_e64 v18, null, v12, v18, vcc_lo
	s_delay_alu instid0(VALU_DEP_4)
	v_add_co_u32 v21, vcc_lo, v11, v19
	s_wait_alu 0xfffd
	v_add_co_ci_u32_e64 v22, null, v12, v20, vcc_lo
	v_add_co_u32 v19, vcc_lo, v11, v43
	s_wait_alu 0xfffd
	v_add_co_ci_u32_e64 v20, null, v12, v44, vcc_lo
	s_clause 0x3
	flat_load_b32 v46, v[45:46]
	flat_load_b32 v45, v[47:48]
	;; [unrolled: 1-line block ×4, first 2 shown]
	s_clause 0x3
	flat_load_b32 v50, v[15:16]
	flat_load_b32 v48, v[17:18]
	flat_load_b32 v47, v[21:22]
	flat_load_b32 v49, v[19:20]
	s_and_saveexec_b32 s42, s3
	s_cbranch_execz .LBB194_25
; %bb.29:                               ;   in Loop: Header=BB194_27 Depth=2
	s_clause 0x3
	flat_load_b32 v54, v[15:16] offset:256
	flat_load_b32 v53, v[17:18] offset:256
	flat_load_b32 v52, v[21:22] offset:256
	flat_load_b32 v51, v[19:20] offset:256
	s_and_saveexec_b32 s43, s4
	s_cbranch_execz .LBB194_24
; %bb.30:                               ;   in Loop: Header=BB194_27 Depth=2
	s_clause 0x3
	flat_load_b32 v58, v[15:16] offset:512
	flat_load_b32 v57, v[17:18] offset:512
	flat_load_b32 v56, v[21:22] offset:512
	flat_load_b32 v55, v[19:20] offset:512
	s_and_saveexec_b32 s44, s5
	s_cbranch_execz .LBB194_23
; %bb.31:                               ;   in Loop: Header=BB194_27 Depth=2
	s_clause 0x3
	flat_load_b32 v15, v[15:16] offset:768
	flat_load_b32 v16, v[17:18] offset:768
	flat_load_b32 v17, v[21:22] offset:768
	flat_load_b32 v18, v[19:20] offset:768
	s_wait_loadcnt_dscnt 0x303
	v_fmac_f32_e32 v37, v46, v15
	s_wait_loadcnt_dscnt 0x202
	s_delay_alu instid0(VALU_DEP_1) | instskip(SKIP_1) | instid1(VALU_DEP_1)
	v_fmac_f32_e32 v37, v45, v16
	s_wait_loadcnt_dscnt 0x101
	v_fmac_f32_e32 v37, v44, v17
	s_wait_loadcnt_dscnt 0x0
	s_delay_alu instid0(VALU_DEP_1)
	v_fmac_f32_e32 v37, v43, v18
	s_branch .LBB194_23
.LBB194_32:                             ;   in Loop: Header=BB194_4 Depth=1
	s_or_b32 exec_lo, exec_lo, s39
.LBB194_33:                             ;   in Loop: Header=BB194_4 Depth=1
	s_wait_alu 0xfffe
	s_or_b32 exec_lo, exec_lo, s7
	s_delay_alu instid0(SALU_CYCLE_1)
	s_and_not1_b32 vcc_lo, exec_lo, s20
	s_wait_alu 0xfffe
	s_cbranch_vccnz .LBB194_51
; %bb.34:                               ;   in Loop: Header=BB194_4 Depth=1
	v_cmp_gt_i32_e32 vcc_lo, s21, v38
	v_dual_mov_b32 v22, 0 :: v_dual_mov_b32 v21, 0
	v_or_b32_e32 v15, 1, v38
	v_dual_mov_b32 v20, 0 :: v_dual_mov_b32 v19, 0
	s_and_saveexec_b32 s39, vcc_lo
	s_cbranch_execz .LBB194_42
; %bb.35:                               ;   in Loop: Header=BB194_4 Depth=1
	v_mul_lo_u32 v16, v38, s26
	v_dual_mov_b32 v20, 0 :: v_dual_mov_b32 v21, 0
	v_mov_b32_e32 v22, 0
	s_mov_b32 s40, exec_lo
	s_delay_alu instid0(VALU_DEP_3) | instskip(NEXT) | instid1(VALU_DEP_1)
	v_ashrrev_i32_e32 v17, 31, v16
	v_lshlrev_b64_e32 v[16:17], 2, v[16:17]
	s_delay_alu instid0(VALU_DEP_1) | instskip(SKIP_1) | instid1(VALU_DEP_2)
	v_add_co_u32 v16, s7, v13, v16
	s_wait_alu 0xf1ff
	v_add_co_ci_u32_e64 v17, null, v14, v17, s7
	flat_load_b32 v19, v[16:17]
	v_cmpx_gt_i32_e64 s21, v15
	s_cbranch_execz .LBB194_41
; %bb.36:                               ;   in Loop: Header=BB194_4 Depth=1
	v_mul_lo_u32 v16, v15, s26
	v_dual_mov_b32 v21, 0 :: v_dual_mov_b32 v22, 0
	s_mov_b32 s41, exec_lo
	s_delay_alu instid0(VALU_DEP_2) | instskip(NEXT) | instid1(VALU_DEP_1)
	v_ashrrev_i32_e32 v17, 31, v16
	v_lshlrev_b64_e32 v[16:17], 2, v[16:17]
	s_delay_alu instid0(VALU_DEP_1) | instskip(SKIP_1) | instid1(VALU_DEP_2)
	v_add_co_u32 v16, s7, v13, v16
	s_wait_alu 0xf1ff
	v_add_co_ci_u32_e64 v17, null, v14, v17, s7
	flat_load_b32 v20, v[16:17]
	v_or_b32_e32 v16, 2, v38
	s_delay_alu instid0(VALU_DEP_1)
	v_cmpx_gt_i32_e64 s21, v16
	s_cbranch_execz .LBB194_40
; %bb.37:                               ;   in Loop: Header=BB194_4 Depth=1
	v_mul_lo_u32 v16, v16, s26
	v_mov_b32_e32 v22, 0
	s_mov_b32 s42, exec_lo
	s_delay_alu instid0(VALU_DEP_2) | instskip(NEXT) | instid1(VALU_DEP_1)
	v_ashrrev_i32_e32 v17, 31, v16
	v_lshlrev_b64_e32 v[16:17], 2, v[16:17]
	s_delay_alu instid0(VALU_DEP_1) | instskip(SKIP_1) | instid1(VALU_DEP_2)
	v_add_co_u32 v16, s7, v13, v16
	s_wait_alu 0xf1ff
	v_add_co_ci_u32_e64 v17, null, v14, v17, s7
	flat_load_b32 v21, v[16:17]
	v_or_b32_e32 v16, 3, v38
	s_delay_alu instid0(VALU_DEP_1)
	v_cmpx_gt_i32_e64 s21, v16
	s_cbranch_execz .LBB194_39
; %bb.38:                               ;   in Loop: Header=BB194_4 Depth=1
	v_mul_lo_u32 v16, v16, s26
	s_delay_alu instid0(VALU_DEP_1) | instskip(NEXT) | instid1(VALU_DEP_1)
	v_ashrrev_i32_e32 v17, 31, v16
	v_lshlrev_b64_e32 v[16:17], 2, v[16:17]
	s_delay_alu instid0(VALU_DEP_1) | instskip(SKIP_1) | instid1(VALU_DEP_2)
	v_add_co_u32 v13, s7, v13, v16
	s_wait_alu 0xf1ff
	v_add_co_ci_u32_e64 v14, null, v14, v17, s7
	flat_load_b32 v22, v[13:14]
.LBB194_39:                             ;   in Loop: Header=BB194_4 Depth=1
	s_or_b32 exec_lo, exec_lo, s42
.LBB194_40:                             ;   in Loop: Header=BB194_4 Depth=1
	s_wait_alu 0xfffe
	s_or_b32 exec_lo, exec_lo, s41
.LBB194_41:                             ;   in Loop: Header=BB194_4 Depth=1
	s_wait_alu 0xfffe
	s_or_b32 exec_lo, exec_lo, s40
.LBB194_42:                             ;   in Loop: Header=BB194_4 Depth=1
	s_delay_alu instid0(SALU_CYCLE_1)
	s_or_b32 exec_lo, exec_lo, s39
	s_and_saveexec_b32 s7, s1
	s_cbranch_execz .LBB194_50
; %bb.43:                               ;   in Loop: Header=BB194_4 Depth=1
	v_mul_lo_u32 v14, v38, s28
	v_or_b32_e32 v13, 2, v38
	v_mul_lo_u32 v17, v15, s28
	v_or_b32_e32 v16, 3, v38
	s_delay_alu instid0(VALU_DEP_3) | instskip(NEXT) | instid1(VALU_DEP_2)
	v_mul_lo_u32 v18, v13, s28
	v_mul_lo_u32 v38, v16, s28
	v_cndmask_b32_e32 v14, 0, v14, vcc_lo
	v_cmp_gt_i32_e32 vcc_lo, s21, v15
	s_wait_alu 0xfffd
	v_cndmask_b32_e32 v15, 0, v17, vcc_lo
	v_cmp_gt_i32_e32 vcc_lo, s21, v13
	v_add_nc_u32_e32 v13, v14, v27
	s_delay_alu instid0(VALU_DEP_3)
	v_add_nc_u32_e32 v15, v15, v27
	s_wait_alu 0xfffd
	v_cndmask_b32_e32 v17, 0, v18, vcc_lo
	v_cmp_gt_i32_e32 vcc_lo, s21, v16
	v_ashrrev_i32_e32 v14, 31, v13
	s_wait_alu 0xfffd
	v_cndmask_b32_e32 v16, 0, v38, vcc_lo
	s_delay_alu instid0(VALU_DEP_2) | instskip(NEXT) | instid1(VALU_DEP_2)
	v_lshlrev_b64_e32 v[13:14], 2, v[13:14]
	v_add_nc_u32_e32 v38, v16, v27
	v_add_nc_u32_e32 v17, v17, v27
	v_ashrrev_i32_e32 v16, 31, v15
	s_delay_alu instid0(VALU_DEP_3) | instskip(NEXT) | instid1(VALU_DEP_3)
	v_ashrrev_i32_e32 v39, 31, v38
	v_ashrrev_i32_e32 v18, 31, v17
	s_delay_alu instid0(VALU_DEP_3) | instskip(NEXT) | instid1(VALU_DEP_3)
	v_lshlrev_b64_e32 v[15:16], 2, v[15:16]
	v_lshlrev_b64_e32 v[38:39], 2, v[38:39]
	s_delay_alu instid0(VALU_DEP_3)
	v_lshlrev_b64_e32 v[40:41], 2, v[17:18]
	v_add_co_u32 v17, vcc_lo, v11, v13
	s_wait_alu 0xfffd
	v_add_co_ci_u32_e64 v18, null, v12, v14, vcc_lo
	v_add_co_u32 v15, vcc_lo, v11, v15
	s_wait_alu 0xfffd
	v_add_co_ci_u32_e64 v16, null, v12, v16, vcc_lo
	v_add_co_u32 v13, vcc_lo, v11, v40
	s_wait_alu 0xfffd
	v_add_co_ci_u32_e64 v14, null, v12, v41, vcc_lo
	v_add_co_u32 v11, vcc_lo, v11, v38
	s_wait_alu 0xfffd
	v_add_co_ci_u32_e64 v12, null, v12, v39, vcc_lo
	s_clause 0x3
	flat_load_b32 v41, v[17:18]
	flat_load_b32 v39, v[15:16]
	;; [unrolled: 1-line block ×4, first 2 shown]
	s_and_saveexec_b32 s39, s3
	s_cbranch_execz .LBB194_49
; %bb.44:                               ;   in Loop: Header=BB194_4 Depth=1
	s_clause 0x3
	flat_load_b32 v45, v[17:18] offset:256
	flat_load_b32 v44, v[15:16] offset:256
	flat_load_b32 v43, v[13:14] offset:256
	flat_load_b32 v42, v[11:12] offset:256
	s_and_saveexec_b32 s40, s4
	s_cbranch_execz .LBB194_48
; %bb.45:                               ;   in Loop: Header=BB194_4 Depth=1
	s_clause 0x3
	flat_load_b32 v49, v[17:18] offset:512
	flat_load_b32 v48, v[15:16] offset:512
	flat_load_b32 v47, v[13:14] offset:512
	flat_load_b32 v46, v[11:12] offset:512
	;; [unrolled: 8-line block ×3, first 2 shown]
	s_wait_loadcnt_dscnt 0x303
	v_fmac_f32_e32 v37, v19, v17
	s_wait_loadcnt_dscnt 0x202
	s_delay_alu instid0(VALU_DEP_1) | instskip(SKIP_1) | instid1(VALU_DEP_1)
	v_fmac_f32_e32 v37, v20, v15
	s_wait_loadcnt_dscnt 0x101
	v_fmac_f32_e32 v37, v21, v13
	s_wait_loadcnt_dscnt 0x0
	s_delay_alu instid0(VALU_DEP_1)
	v_fmac_f32_e32 v37, v22, v11
.LBB194_47:                             ;   in Loop: Header=BB194_4 Depth=1
	s_wait_alu 0xfffe
	s_or_b32 exec_lo, exec_lo, s41
	s_wait_loadcnt_dscnt 0x303
	v_fmac_f32_e32 v36, v19, v49
	s_wait_loadcnt_dscnt 0x202
	s_delay_alu instid0(VALU_DEP_1) | instskip(SKIP_1) | instid1(VALU_DEP_1)
	v_fmac_f32_e32 v36, v20, v48
	s_wait_loadcnt_dscnt 0x101
	v_fmac_f32_e32 v36, v21, v47
	s_wait_loadcnt_dscnt 0x0
	s_delay_alu instid0(VALU_DEP_1)
	v_fmac_f32_e32 v36, v22, v46
.LBB194_48:                             ;   in Loop: Header=BB194_4 Depth=1
	s_wait_alu 0xfffe
	s_or_b32 exec_lo, exec_lo, s40
	s_wait_loadcnt_dscnt 0x303
	v_fmac_f32_e32 v35, v19, v45
	s_wait_loadcnt_dscnt 0x202
	s_delay_alu instid0(VALU_DEP_1) | instskip(SKIP_1) | instid1(VALU_DEP_1)
	v_fmac_f32_e32 v35, v20, v44
	s_wait_loadcnt_dscnt 0x101
	v_fmac_f32_e32 v35, v21, v43
	s_wait_loadcnt_dscnt 0x0
	s_delay_alu instid0(VALU_DEP_1)
	v_fmac_f32_e32 v35, v22, v42
.LBB194_49:                             ;   in Loop: Header=BB194_4 Depth=1
	s_or_b32 exec_lo, exec_lo, s39
	s_wait_loadcnt_dscnt 0x303
	v_fmac_f32_e32 v34, v19, v41
	s_wait_loadcnt_dscnt 0x202
	s_delay_alu instid0(VALU_DEP_1) | instskip(SKIP_1) | instid1(VALU_DEP_1)
	v_fmac_f32_e32 v34, v20, v39
	s_wait_loadcnt_dscnt 0x101
	v_fmac_f32_e32 v34, v21, v38
	s_wait_loadcnt_dscnt 0x0
	s_delay_alu instid0(VALU_DEP_1)
	v_fmac_f32_e32 v34, v22, v40
.LBB194_50:                             ;   in Loop: Header=BB194_4 Depth=1
	s_wait_alu 0xfffe
	s_or_b32 exec_lo, exec_lo, s7
.LBB194_51:                             ;   in Loop: Header=BB194_4 Depth=1
	ds_store_2addr_stride64_b32 v24, v34, v35 offset1:1
	ds_store_2addr_stride64_b32 v24, v36, v37 offset0:2 offset1:3
	s_wait_loadcnt_dscnt 0x0
	s_barrier_signal -1
	s_barrier_wait -1
	global_inv scope:SCOPE_SE
                                        ; implicit-def: $vgpr15
	s_and_saveexec_b32 s7, s0
	s_cbranch_execz .LBB194_57
; %bb.52:                               ;   in Loop: Header=BB194_4 Depth=1
	ds_load_2addr_stride64_b32 v[11:12], v25 offset1:4
	ds_load_2addr_stride64_b32 v[13:14], v25 offset0:8 offset1:12
	s_mov_b32 s40, s38
                                        ; implicit-def: $vgpr15
	s_wait_dscnt 0x1
	v_add_f32_e32 v11, v11, v12
	s_wait_dscnt 0x0
	s_delay_alu instid0(VALU_DEP_1) | instskip(NEXT) | instid1(VALU_DEP_1)
	v_add_f32_e32 v11, v13, v11
	v_add_f32_e32 v11, v14, v11
	ds_store_b32 v25, v11
	s_and_saveexec_b32 s39, s2
	s_cbranch_execz .LBB194_56
; %bb.53:                               ;   in Loop: Header=BB194_4 Depth=1
	v_mul_f32_e32 v15, s22, v11
	s_and_not1_b32 vcc_lo, exec_lo, s33
	s_wait_alu 0xfffe
	s_cbranch_vccnz .LBB194_55
; %bb.54:                               ;   in Loop: Header=BB194_4 Depth=1
	v_lshlrev_b64_e32 v[11:12], 2, v[4:5]
	s_delay_alu instid0(VALU_DEP_1) | instskip(SKIP_1) | instid1(VALU_DEP_2)
	v_add_co_u32 v11, vcc_lo, v32, v11
	s_wait_alu 0xfffd
	v_add_co_ci_u32_e64 v12, null, v33, v12, vcc_lo
	flat_load_b32 v11, v[11:12]
	s_wait_loadcnt_dscnt 0x0
	v_fmac_f32_e32 v15, s27, v11
.LBB194_55:                             ;   in Loop: Header=BB194_4 Depth=1
	s_or_b32 s40, s38, exec_lo
.LBB194_56:                             ;   in Loop: Header=BB194_4 Depth=1
	s_or_b32 exec_lo, exec_lo, s39
	s_delay_alu instid0(SALU_CYCLE_1) | instskip(SKIP_2) | instid1(SALU_CYCLE_1)
	s_and_not1_b32 s38, s38, exec_lo
	s_wait_alu 0xfffe
	s_and_b32 s39, s40, exec_lo
	s_or_b32 s38, s38, s39
.LBB194_57:                             ;   in Loop: Header=BB194_4 Depth=1
	s_wait_alu 0xfffe
	s_or_b32 exec_lo, exec_lo, s7
	v_dual_mov_b32 v12, v5 :: v_dual_mov_b32 v11, v4
	s_and_saveexec_b32 s7, s38
	s_cbranch_execz .LBB194_2
.LBB194_58:                             ;   in Loop: Header=BB194_4 Depth=1
	s_delay_alu instid0(VALU_DEP_1) | instskip(NEXT) | instid1(VALU_DEP_1)
	v_lshlrev_b64_e32 v[11:12], 2, v[11:12]
	v_add_co_u32 v11, vcc_lo, v32, v11
	s_wait_alu 0xfffd
	s_delay_alu instid0(VALU_DEP_2)
	v_add_co_ci_u32_e64 v12, null, v33, v12, vcc_lo
	flat_store_b32 v[11:12], v15
	s_branch .LBB194_2
.LBB194_59:
	s_endpgm
	.section	.rodata,"a",@progbits
	.p2align	6, 0x0
	.amdhsa_kernel _ZL20rocblas_gemvn_kernelILi64ELi4EiPKffKPfEviiT3_lPKT2_lT1_lS7_lS8_lS4_lPT4_lS8_li
		.amdhsa_group_segment_fixed_size 4096
		.amdhsa_private_segment_fixed_size 0
		.amdhsa_kernarg_size 400
		.amdhsa_user_sgpr_count 2
		.amdhsa_user_sgpr_dispatch_ptr 0
		.amdhsa_user_sgpr_queue_ptr 0
		.amdhsa_user_sgpr_kernarg_segment_ptr 1
		.amdhsa_user_sgpr_dispatch_id 0
		.amdhsa_user_sgpr_private_segment_size 0
		.amdhsa_wavefront_size32 1
		.amdhsa_uses_dynamic_stack 0
		.amdhsa_enable_private_segment 0
		.amdhsa_system_sgpr_workgroup_id_x 1
		.amdhsa_system_sgpr_workgroup_id_y 0
		.amdhsa_system_sgpr_workgroup_id_z 1
		.amdhsa_system_sgpr_workgroup_info 0
		.amdhsa_system_vgpr_workitem_id 1
		.amdhsa_next_free_vgpr 59
		.amdhsa_next_free_sgpr 45
		.amdhsa_reserve_vcc 1
		.amdhsa_float_round_mode_32 0
		.amdhsa_float_round_mode_16_64 0
		.amdhsa_float_denorm_mode_32 3
		.amdhsa_float_denorm_mode_16_64 3
		.amdhsa_fp16_overflow 0
		.amdhsa_workgroup_processor_mode 1
		.amdhsa_memory_ordered 1
		.amdhsa_forward_progress 1
		.amdhsa_inst_pref_size 26
		.amdhsa_round_robin_scheduling 0
		.amdhsa_exception_fp_ieee_invalid_op 0
		.amdhsa_exception_fp_denorm_src 0
		.amdhsa_exception_fp_ieee_div_zero 0
		.amdhsa_exception_fp_ieee_overflow 0
		.amdhsa_exception_fp_ieee_underflow 0
		.amdhsa_exception_fp_ieee_inexact 0
		.amdhsa_exception_int_div_zero 0
	.end_amdhsa_kernel
	.section	.text._ZL20rocblas_gemvn_kernelILi64ELi4EiPKffKPfEviiT3_lPKT2_lT1_lS7_lS8_lS4_lPT4_lS8_li,"axG",@progbits,_ZL20rocblas_gemvn_kernelILi64ELi4EiPKffKPfEviiT3_lPKT2_lT1_lS7_lS8_lS4_lPT4_lS8_li,comdat
.Lfunc_end194:
	.size	_ZL20rocblas_gemvn_kernelILi64ELi4EiPKffKPfEviiT3_lPKT2_lT1_lS7_lS8_lS4_lPT4_lS8_li, .Lfunc_end194-_ZL20rocblas_gemvn_kernelILi64ELi4EiPKffKPfEviiT3_lPKT2_lT1_lS7_lS8_lS4_lPT4_lS8_li
                                        ; -- End function
	.set _ZL20rocblas_gemvn_kernelILi64ELi4EiPKffKPfEviiT3_lPKT2_lT1_lS7_lS8_lS4_lPT4_lS8_li.num_vgpr, 59
	.set _ZL20rocblas_gemvn_kernelILi64ELi4EiPKffKPfEviiT3_lPKT2_lT1_lS7_lS8_lS4_lPT4_lS8_li.num_agpr, 0
	.set _ZL20rocblas_gemvn_kernelILi64ELi4EiPKffKPfEviiT3_lPKT2_lT1_lS7_lS8_lS4_lPT4_lS8_li.numbered_sgpr, 45
	.set _ZL20rocblas_gemvn_kernelILi64ELi4EiPKffKPfEviiT3_lPKT2_lT1_lS7_lS8_lS4_lPT4_lS8_li.num_named_barrier, 0
	.set _ZL20rocblas_gemvn_kernelILi64ELi4EiPKffKPfEviiT3_lPKT2_lT1_lS7_lS8_lS4_lPT4_lS8_li.private_seg_size, 0
	.set _ZL20rocblas_gemvn_kernelILi64ELi4EiPKffKPfEviiT3_lPKT2_lT1_lS7_lS8_lS4_lPT4_lS8_li.uses_vcc, 1
	.set _ZL20rocblas_gemvn_kernelILi64ELi4EiPKffKPfEviiT3_lPKT2_lT1_lS7_lS8_lS4_lPT4_lS8_li.uses_flat_scratch, 1
	.set _ZL20rocblas_gemvn_kernelILi64ELi4EiPKffKPfEviiT3_lPKT2_lT1_lS7_lS8_lS4_lPT4_lS8_li.has_dyn_sized_stack, 0
	.set _ZL20rocblas_gemvn_kernelILi64ELi4EiPKffKPfEviiT3_lPKT2_lT1_lS7_lS8_lS4_lPT4_lS8_li.has_recursion, 0
	.set _ZL20rocblas_gemvn_kernelILi64ELi4EiPKffKPfEviiT3_lPKT2_lT1_lS7_lS8_lS4_lPT4_lS8_li.has_indirect_call, 0
	.section	.AMDGPU.csdata,"",@progbits
; Kernel info:
; codeLenInByte = 3212
; TotalNumSgprs: 47
; NumVgprs: 59
; ScratchSize: 0
; MemoryBound: 0
; FloatMode: 240
; IeeeMode: 1
; LDSByteSize: 4096 bytes/workgroup (compile time only)
; SGPRBlocks: 0
; VGPRBlocks: 7
; NumSGPRsForWavesPerEU: 47
; NumVGPRsForWavesPerEU: 59
; Occupancy: 16
; WaveLimiterHint : 1
; COMPUTE_PGM_RSRC2:SCRATCH_EN: 0
; COMPUTE_PGM_RSRC2:USER_SGPR: 2
; COMPUTE_PGM_RSRC2:TRAP_HANDLER: 0
; COMPUTE_PGM_RSRC2:TGID_X_EN: 1
; COMPUTE_PGM_RSRC2:TGID_Y_EN: 0
; COMPUTE_PGM_RSRC2:TGID_Z_EN: 1
; COMPUTE_PGM_RSRC2:TIDIG_COMP_CNT: 1
	.section	.text._ZL20rocblas_gemvn_kernelILi64ELi4ElPKffKPfEviiT3_lPKT2_lT1_lS7_lS8_lS4_lPT4_lS8_li,"axG",@progbits,_ZL20rocblas_gemvn_kernelILi64ELi4ElPKffKPfEviiT3_lPKT2_lT1_lS7_lS8_lS4_lPT4_lS8_li,comdat
	.globl	_ZL20rocblas_gemvn_kernelILi64ELi4ElPKffKPfEviiT3_lPKT2_lT1_lS7_lS8_lS4_lPT4_lS8_li ; -- Begin function _ZL20rocblas_gemvn_kernelILi64ELi4ElPKffKPfEviiT3_lPKT2_lT1_lS7_lS8_lS4_lPT4_lS8_li
	.p2align	8
	.type	_ZL20rocblas_gemvn_kernelILi64ELi4ElPKffKPfEviiT3_lPKT2_lT1_lS7_lS8_lS4_lPT4_lS8_li,@function
_ZL20rocblas_gemvn_kernelILi64ELi4ElPKffKPfEviiT3_lPKT2_lT1_lS7_lS8_lS4_lPT4_lS8_li: ; @_ZL20rocblas_gemvn_kernelILi64ELi4ElPKffKPfEviiT3_lPKT2_lT1_lS7_lS8_lS4_lPT4_lS8_li
; %bb.0:
	s_clause 0x1
	s_load_b64 s[2:3], s[0:1], 0x9c
	s_load_b32 s23, s[0:1], 0x88
	s_lshr_b32 s24, ttmp7, 16
	s_wait_kmcnt 0x0
	s_lshr_b32 s4, s2, 16
	s_and_b32 s2, s2, 0xffff
	s_and_b32 s3, s3, 0xffff
	s_mul_i32 s2, s4, s2
	s_delay_alu instid0(SALU_CYCLE_1) | instskip(NEXT) | instid1(SALU_CYCLE_1)
	s_mul_i32 s2, s2, s3
	s_cmp_lg_u32 s2, 0x100
	s_cselect_b32 s2, -1, 0
	s_cmp_ge_u32 s24, s23
	s_cselect_b32 s3, -1, 0
	s_delay_alu instid0(SALU_CYCLE_1) | instskip(NEXT) | instid1(SALU_CYCLE_1)
	s_or_b32 s2, s2, s3
	s_and_b32 vcc_lo, exec_lo, s2
	s_cbranch_vccnz .LBB195_59
; %bb.1:
	s_clause 0x7
	s_load_b96 s[20:22], s[0:1], 0x0
	s_load_b32 s33, s[0:1], 0x58
	s_load_b64 s[26:27], s[0:1], 0x48
	s_load_b128 s[8:11], s[0:1], 0x18
	s_load_b64 s[28:29], s[0:1], 0x28
	s_load_b128 s[12:15], s[0:1], 0x38
	;; [unrolled: 2-line block ×3, first 2 shown]
	v_dual_mov_b32 v1, 0 :: v_dual_and_b32 v2, 0x3ff, v0
	v_bfe_u32 v26, v0, 10, 10
	s_mov_b32 s25, 0
	s_delay_alu instid0(VALU_DEP_2) | instskip(NEXT) | instid1(VALU_DEP_2)
	v_lshlrev_b32_e32 v16, 2, v2
	v_lshl_add_u32 v3, v26, 6, v2
	v_lshlrev_b32_e32 v40, 2, v26
	s_delay_alu instid0(VALU_DEP_2)
	v_cmp_gt_u32_e64 s0, 0x100, v3
	s_wait_kmcnt 0x0
	s_cmp_eq_f32 s22, 0
	v_mad_co_u64_u32 v[6:7], null, s26, v26, 0
	s_mov_b32 s2, s20
	s_cselect_b32 s36, -1, 0
	s_cmp_neq_f32 s33, 1.0
	v_or_b32_e32 v17, 3, v40
	s_cselect_b32 s1, -1, 0
	s_cmp_neq_f32 s22, 0
	s_delay_alu instid0(VALU_DEP_1)
	v_mad_co_u64_u32 v[12:13], null, s26, v17, 0
	s_cselect_b32 s4, -1, 0
	s_lshl_b32 s30, ttmp9, 8
	s_ashr_i32 s3, s20, 31
	v_add_nc_u32_e32 v0, s30, v3
	v_or_b32_e32 v8, s30, v2
	s_or_b32 s37, s4, s1
	s_cmp_neq_f32 s33, 0
	v_or_b32_e32 v18, s30, v3
	v_mad_co_u64_u32 v[2:3], null, s6, v0, 0
	v_add_nc_u32_e32 v4, 64, v8
	v_cmp_gt_i64_e32 vcc_lo, s[2:3], v[0:1]
	s_cselect_b32 s38, -1, 0
	s_ashr_i32 s2, s21, 31
	v_add_nc_u32_e32 v5, 0x80, v8
	s_wait_alu 0xfffe
	s_lshr_b32 s2, s2, 28
	v_add_nc_u32_e32 v10, 0xc0, v8
	s_wait_alu 0xfffe
	s_add_co_i32 s3, s21, s2
	v_cmp_gt_i32_e64 s2, s20, v4
	v_mad_co_u64_u32 v[3:4], null, s7, v0, v[3:4]
	v_mov_b32_e32 v0, v7
	v_cndmask_b32_e64 v42, 0, 1, s4
	v_cmp_gt_i32_e64 s4, s20, v10
	v_mad_co_u64_u32 v[10:11], null, s28, v17, 0
	s_delay_alu instid0(VALU_DEP_4)
	v_mad_co_u64_u32 v[14:15], null, s27, v26, v[0:1]
	s_wait_alu 0xfffe
	s_and_b32 s39, s3, -16
	v_mul_lo_u32 v19, s7, v18
	v_cmp_gt_i32_e64 s3, s20, v5
	s_sub_co_i32 s5, s21, s39
	v_mad_co_u64_u32 v[4:5], null, s6, v18, 0
	v_mov_b32_e32 v7, v14
	v_mad_co_u64_u32 v[14:15], null, s29, v17, v[11:12]
	s_wait_alu 0xfffe
	s_cmp_gt_i32 s5, 0
	v_lshl_add_u32 v41, v26, 10, v16
	s_cselect_b32 s40, -1, 0
	s_ashr_i32 s7, s30, 31
	v_lshl_add_u32 v0, v26, 8, v16
	s_wait_alu 0xfffe
	s_mul_i32 s7, s6, s7
	v_mov_b32_e32 v11, v14
	v_or_b32_e32 v29, 2, v40
	v_mad_co_u64_u32 v[15:16], null, s27, v17, v[13:14]
	v_cmp_gt_i32_e64 s6, s20, v18
	s_wait_alu 0xfffe
	v_add3_u32 v5, v5, s7, v19
	v_mad_co_u64_u32 v[16:17], null, s28, v26, 0
	v_mad_co_u64_u32 v[18:19], null, s28, v29, 0
	;; [unrolled: 1-line block ×5, first 2 shown]
	v_dual_mov_b32 v13, v15 :: v_dual_mov_b32 v14, v17
	s_delay_alu instid0(VALU_DEP_4)
	v_mov_b32_e32 v17, v25
	v_mov_b32_e32 v15, v19
	v_ashrrev_i32_e32 v9, 31, v8
	v_cmp_gt_i32_e64 s1, s20, v8
	v_lshlrev_b64_e32 v[6:7], 4, v[6:7]
	v_lshlrev_b64_e32 v[10:11], 2, v[10:11]
	v_mad_co_u64_u32 v[26:27], null, s29, v26, v[14:15]
	v_mov_b32_e32 v14, v21
	v_mad_co_u64_u32 v[27:28], null, s29, v29, v[15:16]
	v_mov_b32_e32 v15, v23
	v_lshlrev_b64_e32 v[8:9], 2, v[8:9]
	v_lshlrev_b64_e32 v[12:13], 2, v[12:13]
	v_cmp_gt_i32_e64 s5, s39, v40
	s_and_b32 s20, s0, vcc_lo
	v_mad_co_u64_u32 v[28:29], null, s27, v29, v[14:15]
	v_mad_co_u64_u32 v[14:15], null, s27, v40, v[15:16]
	;; [unrolled: 1-line block ×3, first 2 shown]
	v_mov_b32_e32 v17, v26
	v_mov_b32_e32 v19, v27
	;; [unrolled: 1-line block ×3, first 2 shown]
	s_lshl_b64 s[30:31], s[26:27], 6
	v_mov_b32_e32 v23, v14
	v_lshlrev_b64_e32 v[14:15], 4, v[16:17]
	v_mov_b32_e32 v25, v29
	v_lshlrev_b64_e32 v[16:17], 2, v[18:19]
	v_lshlrev_b64_e32 v[18:19], 2, v[20:21]
	;; [unrolled: 1-line block ×3, first 2 shown]
	s_lshl_b64 s[34:35], s[28:29], 6
	v_lshlrev_b64_e32 v[22:23], 2, v[24:25]
	v_lshlrev_b64_e32 v[24:25], 2, v[2:3]
	s_lshl_b64 s[10:11], s[10:11], 2
	s_lshl_b64 s[14:15], s[14:15], 2
	;; [unrolled: 1-line block ×3, first 2 shown]
	s_branch .LBB195_4
.LBB195_2:                              ;   in Loop: Header=BB195_4 Depth=1
	s_wait_alu 0xfffe
	s_or_b32 exec_lo, exec_lo, s7
.LBB195_3:                              ;   in Loop: Header=BB195_4 Depth=1
	s_add_co_i32 s24, s24, 0x10000
	s_delay_alu instid0(SALU_CYCLE_1)
	s_cmp_lt_u32 s24, s23
	s_cbranch_scc0 .LBB195_59
.LBB195_4:                              ; =>This Loop Header: Depth=1
                                        ;     Child Loop BB195_27 Depth 2
	s_and_not1_b32 vcc_lo, exec_lo, s37
	s_wait_alu 0xfffe
	s_cbranch_vccnz .LBB195_3
; %bb.5:                                ;   in Loop: Header=BB195_4 Depth=1
	s_and_not1_b32 vcc_lo, exec_lo, s36
	s_wait_alu 0xfffe
	s_cbranch_vccnz .LBB195_7
; %bb.6:                                ;   in Loop: Header=BB195_4 Depth=1
	s_mov_b32 s7, 0
	s_branch .LBB195_8
.LBB195_7:                              ;   in Loop: Header=BB195_4 Depth=1
	s_mov_b32 s7, -1
.LBB195_8:                              ;   in Loop: Header=BB195_4 Depth=1
	v_mov_b32_e32 v28, 0
	v_dual_mov_b32 v29, 0 :: v_dual_mov_b32 v26, 0
	v_mov_b32_e32 v27, 0
	s_wait_alu 0xfffe
	s_and_not1_b32 vcc_lo, exec_lo, s7
	s_wait_alu 0xfffe
	s_cbranch_vccnz .LBB195_10
; %bb.9:                                ;   in Loop: Header=BB195_4 Depth=1
	s_lshl_b64 s[42:43], s[24:25], 3
	s_delay_alu instid0(SALU_CYCLE_1)
	s_add_nc_u64 s[42:43], s[8:9], s[42:43]
	global_load_b64 v[26:27], v1, s[42:43]
	s_wait_loadcnt 0x0
	v_add_co_u32 v26, vcc_lo, v26, s10
	s_wait_alu 0xfffd
	v_add_co_ci_u32_e64 v27, null, s11, v27, vcc_lo
.LBB195_10:                             ;   in Loop: Header=BB195_4 Depth=1
	v_cmp_ne_u32_e32 vcc_lo, 1, v42
	s_cbranch_vccnz .LBB195_12
; %bb.11:                               ;   in Loop: Header=BB195_4 Depth=1
	s_lshl_b64 s[42:43], s[24:25], 3
	s_delay_alu instid0(SALU_CYCLE_1)
	s_add_nc_u64 s[42:43], s[12:13], s[42:43]
	global_load_b64 v[28:29], v1, s[42:43]
	s_wait_loadcnt 0x0
	v_add_co_u32 v28, vcc_lo, v28, s14
	s_wait_alu 0xfffd
	v_add_co_ci_u32_e64 v29, null, s15, v29, vcc_lo
.LBB195_12:                             ;   in Loop: Header=BB195_4 Depth=1
	s_lshl_b64 s[42:43], s[24:25], 3
	s_delay_alu instid0(SALU_CYCLE_1)
	s_add_nc_u64 s[42:43], s[16:17], s[42:43]
	global_load_b64 v[30:31], v1, s[42:43]
	s_wait_loadcnt 0x0
	v_add_co_u32 v43, vcc_lo, v30, s18
	s_wait_alu 0xfffd
	v_add_co_ci_u32_e64 v44, null, s19, v31, vcc_lo
	s_and_not1_b32 vcc_lo, exec_lo, s36
	s_wait_alu 0xfffe
	s_cbranch_vccnz .LBB195_16
; %bb.13:                               ;   in Loop: Header=BB195_4 Depth=1
	s_mov_b32 s7, 0
	s_mov_b32 s41, 0
                                        ; implicit-def: $vgpr30
	s_and_saveexec_b32 s42, s20
	s_cbranch_execz .LBB195_17
; %bb.14:                               ;   in Loop: Header=BB195_4 Depth=1
	s_and_not1_b32 vcc_lo, exec_lo, s38
	s_wait_alu 0xfffe
	s_cbranch_vccnz .LBB195_19
; %bb.15:                               ;   in Loop: Header=BB195_4 Depth=1
	v_add_co_u32 v30, vcc_lo, v43, v24
	s_wait_alu 0xfffd
	v_add_co_ci_u32_e64 v31, null, v44, v25, vcc_lo
	flat_load_b32 v30, v[30:31]
	s_wait_loadcnt_dscnt 0x0
	v_mul_f32_e32 v30, s33, v30
	s_branch .LBB195_20
.LBB195_16:                             ;   in Loop: Header=BB195_4 Depth=1
	s_mov_b32 s41, 0
                                        ; implicit-def: $vgpr30
	s_cbranch_execz .LBB195_18
	s_branch .LBB195_21
.LBB195_17:                             ;   in Loop: Header=BB195_4 Depth=1
	s_or_b32 exec_lo, exec_lo, s42
	s_wait_alu 0xfffe
	s_and_b32 vcc_lo, exec_lo, s7
	s_wait_alu 0xfffe
	s_cbranch_vccnz .LBB195_21
.LBB195_18:                             ;   in Loop: Header=BB195_4 Depth=1
	v_dual_mov_b32 v27, v3 :: v_dual_mov_b32 v26, v2
	s_and_saveexec_b32 s7, s41
	s_cbranch_execz .LBB195_2
	s_branch .LBB195_58
.LBB195_19:                             ;   in Loop: Header=BB195_4 Depth=1
	v_mov_b32_e32 v30, 0
.LBB195_20:                             ;   in Loop: Header=BB195_4 Depth=1
	s_mov_b32 s41, exec_lo
	s_or_b32 exec_lo, exec_lo, s42
	s_delay_alu instid0(SALU_CYCLE_1)
	s_and_b32 vcc_lo, exec_lo, s7
	s_wait_alu 0xfffe
	s_cbranch_vccz .LBB195_18
.LBB195_21:                             ;   in Loop: Header=BB195_4 Depth=1
	v_dual_mov_b32 v45, 0 :: v_dual_mov_b32 v46, 0
	v_dual_mov_b32 v49, v40 :: v_dual_mov_b32 v48, 0
	v_mov_b32_e32 v47, 0
	s_and_saveexec_b32 s42, s5
	s_cbranch_execz .LBB195_33
; %bb.22:                               ;   in Loop: Header=BB195_4 Depth=1
	v_add_co_u32 v50, vcc_lo, v26, v10
	s_wait_alu 0xfffd
	v_add_co_ci_u32_e64 v51, null, v27, v11, vcc_lo
	v_add_co_u32 v52, vcc_lo, v26, v14
	s_wait_alu 0xfffd
	v_add_co_ci_u32_e64 v53, null, v27, v15, vcc_lo
	;; [unrolled: 3-line block ×3, first 2 shown]
	v_add_co_u32 v56, vcc_lo, v26, v22
	v_dual_mov_b32 v31, v29 :: v_dual_mov_b32 v46, 0
	s_wait_alu 0xfffd
	v_add_co_ci_u32_e64 v57, null, v27, v23, vcc_lo
	v_dual_mov_b32 v45, 0 :: v_dual_mov_b32 v30, v28
	v_dual_mov_b32 v49, v40 :: v_dual_mov_b32 v48, 0
	v_mov_b32_e32 v47, 0
	s_mov_b32 s43, 0
	s_branch .LBB195_27
.LBB195_23:                             ;   in Loop: Header=BB195_27 Depth=2
	s_or_b32 exec_lo, exec_lo, s46
	s_wait_loadcnt_dscnt 0x303
	v_fmac_f32_e32 v47, v61, v73
	s_wait_loadcnt_dscnt 0x202
	s_delay_alu instid0(VALU_DEP_1) | instskip(SKIP_1) | instid1(VALU_DEP_1)
	v_fmac_f32_e32 v47, v60, v72
	s_wait_loadcnt_dscnt 0x101
	v_fmac_f32_e32 v47, v59, v71
	s_wait_loadcnt_dscnt 0x0
	s_delay_alu instid0(VALU_DEP_1)
	v_fmac_f32_e32 v47, v58, v70
.LBB195_24:                             ;   in Loop: Header=BB195_27 Depth=2
	s_or_b32 exec_lo, exec_lo, s45
	s_wait_loadcnt_dscnt 0x303
	v_fmac_f32_e32 v46, v61, v69
	s_wait_loadcnt_dscnt 0x202
	s_delay_alu instid0(VALU_DEP_1) | instskip(SKIP_1) | instid1(VALU_DEP_1)
	v_fmac_f32_e32 v46, v60, v68
	s_wait_loadcnt_dscnt 0x101
	v_fmac_f32_e32 v46, v59, v67
	s_wait_loadcnt_dscnt 0x0
	s_delay_alu instid0(VALU_DEP_1)
	v_fmac_f32_e32 v46, v58, v66
.LBB195_25:                             ;   in Loop: Header=BB195_27 Depth=2
	s_or_b32 exec_lo, exec_lo, s44
	s_wait_loadcnt_dscnt 0x303
	v_fmac_f32_e32 v45, v61, v65
	s_wait_loadcnt_dscnt 0x202
	s_delay_alu instid0(VALU_DEP_1) | instskip(SKIP_1) | instid1(VALU_DEP_1)
	v_fmac_f32_e32 v45, v60, v63
	s_wait_loadcnt_dscnt 0x101
	v_fmac_f32_e32 v45, v59, v62
	s_wait_loadcnt_dscnt 0x0
	s_delay_alu instid0(VALU_DEP_1)
	v_fmac_f32_e32 v45, v58, v64
.LBB195_26:                             ;   in Loop: Header=BB195_27 Depth=2
	s_wait_alu 0xfffe
	s_or_b32 exec_lo, exec_lo, s7
	v_add_co_u32 v30, vcc_lo, v30, s30
	s_wait_alu 0xfffd
	v_add_co_ci_u32_e64 v31, null, s31, v31, vcc_lo
	v_add_co_u32 v50, vcc_lo, v50, s34
	v_add_nc_u32_e32 v49, 16, v49
	s_wait_alu 0xfffd
	v_add_co_ci_u32_e64 v51, null, s35, v51, vcc_lo
	v_add_co_u32 v52, vcc_lo, v52, s34
	s_wait_alu 0xfffd
	v_add_co_ci_u32_e64 v53, null, s35, v53, vcc_lo
	v_add_co_u32 v54, vcc_lo, v54, s34
	s_wait_alu 0xfffd
	v_add_co_ci_u32_e64 v55, null, s35, v55, vcc_lo
	v_cmp_le_i32_e32 vcc_lo, s39, v49
	v_add_co_u32 v56, s7, v56, s34
	s_wait_alu 0xf1ff
	v_add_co_ci_u32_e64 v57, null, s35, v57, s7
	s_or_b32 s43, vcc_lo, s43
	s_delay_alu instid0(SALU_CYCLE_1)
	s_and_not1_b32 exec_lo, exec_lo, s43
	s_cbranch_execz .LBB195_32
.LBB195_27:                             ;   Parent Loop BB195_4 Depth=1
                                        ; =>  This Inner Loop Header: Depth=2
	s_and_saveexec_b32 s7, s1
	s_cbranch_execz .LBB195_26
; %bb.28:                               ;   in Loop: Header=BB195_27 Depth=2
	v_add_co_u32 v58, vcc_lo, v30, v6
	s_wait_alu 0xfffd
	v_add_co_ci_u32_e64 v59, null, v31, v7, vcc_lo
	v_add_co_u32 v62, vcc_lo, v30, v20
	s_wait_alu 0xfffd
	v_add_co_ci_u32_e64 v63, null, v31, v21, vcc_lo
	;; [unrolled: 3-line block ×8, first 2 shown]
	s_clause 0x3
	flat_load_b32 v61, v[58:59]
	flat_load_b32 v60, v[62:63]
	;; [unrolled: 1-line block ×8, first 2 shown]
	s_and_saveexec_b32 s44, s2
	s_cbranch_execz .LBB195_25
; %bb.29:                               ;   in Loop: Header=BB195_27 Depth=2
	flat_load_b32 v69, v[32:33] offset:256
	flat_load_b32 v68, v[34:35] offset:256
	flat_load_b32 v67, v[36:37] offset:256
	flat_load_b32 v66, v[38:39] offset:256
	s_and_saveexec_b32 s45, s3
	s_cbranch_execz .LBB195_24
; %bb.30:                               ;   in Loop: Header=BB195_27 Depth=2
	flat_load_b32 v73, v[32:33] offset:512
	flat_load_b32 v72, v[34:35] offset:512
	flat_load_b32 v71, v[36:37] offset:512
	flat_load_b32 v70, v[38:39] offset:512
	;; [unrolled: 7-line block ×3, first 2 shown]
	s_wait_loadcnt_dscnt 0x303
	v_fmac_f32_e32 v48, v61, v32
	s_wait_loadcnt_dscnt 0x202
	s_delay_alu instid0(VALU_DEP_1) | instskip(SKIP_1) | instid1(VALU_DEP_1)
	v_fmac_f32_e32 v48, v60, v33
	s_wait_loadcnt_dscnt 0x101
	v_fmac_f32_e32 v48, v59, v34
	s_wait_loadcnt_dscnt 0x0
	s_delay_alu instid0(VALU_DEP_1)
	v_fmac_f32_e32 v48, v58, v35
	s_branch .LBB195_23
.LBB195_32:                             ;   in Loop: Header=BB195_4 Depth=1
	s_or_b32 exec_lo, exec_lo, s43
.LBB195_33:                             ;   in Loop: Header=BB195_4 Depth=1
	s_delay_alu instid0(SALU_CYCLE_1) | instskip(NEXT) | instid1(SALU_CYCLE_1)
	s_or_b32 exec_lo, exec_lo, s42
	s_and_not1_b32 vcc_lo, exec_lo, s40
	s_wait_alu 0xfffe
	s_cbranch_vccnz .LBB195_51
; %bb.34:                               ;   in Loop: Header=BB195_4 Depth=1
	v_cmp_gt_i32_e32 vcc_lo, s21, v49
	v_dual_mov_b32 v37, 0 :: v_dual_mov_b32 v36, 0
	v_or_b32_e32 v30, 1, v49
	v_dual_mov_b32 v35, 0 :: v_dual_mov_b32 v34, 0
	s_and_saveexec_b32 s42, vcc_lo
	s_cbranch_execz .LBB195_42
; %bb.35:                               ;   in Loop: Header=BB195_4 Depth=1
	v_mad_co_u64_u32 v[31:32], null, s26, v49, 0
	v_dual_mov_b32 v35, 0 :: v_dual_mov_b32 v36, 0
	v_mov_b32_e32 v37, 0
	s_mov_b32 s43, exec_lo
	s_delay_alu instid0(VALU_DEP_3) | instskip(NEXT) | instid1(VALU_DEP_1)
	v_mad_co_u64_u32 v[32:33], null, s27, v49, v[32:33]
	v_lshlrev_b64_e32 v[31:32], 2, v[31:32]
	s_delay_alu instid0(VALU_DEP_1) | instskip(SKIP_1) | instid1(VALU_DEP_2)
	v_add_co_u32 v31, s7, v28, v31
	s_wait_alu 0xf1ff
	v_add_co_ci_u32_e64 v32, null, v29, v32, s7
	flat_load_b32 v34, v[31:32]
	v_cmpx_gt_i32_e64 s21, v30
	s_cbranch_execz .LBB195_41
; %bb.36:                               ;   in Loop: Header=BB195_4 Depth=1
	v_mad_co_u64_u32 v[31:32], null, s26, v30, 0
	v_dual_mov_b32 v36, 0 :: v_dual_mov_b32 v37, 0
	s_mov_b32 s44, exec_lo
	s_delay_alu instid0(VALU_DEP_2) | instskip(NEXT) | instid1(VALU_DEP_1)
	v_mad_co_u64_u32 v[32:33], null, s27, v30, v[32:33]
	v_lshlrev_b64_e32 v[31:32], 2, v[31:32]
	s_delay_alu instid0(VALU_DEP_1) | instskip(SKIP_1) | instid1(VALU_DEP_2)
	v_add_co_u32 v31, s7, v28, v31
	s_wait_alu 0xf1ff
	v_add_co_ci_u32_e64 v32, null, v29, v32, s7
	flat_load_b32 v35, v[31:32]
	v_or_b32_e32 v31, 2, v49
	s_delay_alu instid0(VALU_DEP_1)
	v_cmpx_gt_i32_e64 s21, v31
	s_cbranch_execz .LBB195_40
; %bb.37:                               ;   in Loop: Header=BB195_4 Depth=1
	v_mad_co_u64_u32 v[32:33], null, s26, v31, 0
	s_mov_b32 s45, exec_lo
	s_wait_loadcnt_dscnt 0x101
	v_mad_co_u64_u32 v[36:37], null, s27, v31, v[33:34]
	v_mov_b32_e32 v37, 0
	s_delay_alu instid0(VALU_DEP_2) | instskip(NEXT) | instid1(VALU_DEP_1)
	v_mov_b32_e32 v33, v36
	v_lshlrev_b64_e32 v[31:32], 2, v[32:33]
	s_delay_alu instid0(VALU_DEP_1) | instskip(SKIP_1) | instid1(VALU_DEP_2)
	v_add_co_u32 v31, s7, v28, v31
	s_wait_alu 0xf1ff
	v_add_co_ci_u32_e64 v32, null, v29, v32, s7
	flat_load_b32 v36, v[31:32]
	v_or_b32_e32 v31, 3, v49
	s_delay_alu instid0(VALU_DEP_1)
	v_cmpx_gt_i32_e64 s21, v31
	s_cbranch_execz .LBB195_39
; %bb.38:                               ;   in Loop: Header=BB195_4 Depth=1
	v_mad_co_u64_u32 v[32:33], null, s26, v31, 0
	s_delay_alu instid0(VALU_DEP_1) | instskip(NEXT) | instid1(VALU_DEP_1)
	v_mad_co_u64_u32 v[37:38], null, s27, v31, v[33:34]
	v_mov_b32_e32 v33, v37
	s_delay_alu instid0(VALU_DEP_1) | instskip(NEXT) | instid1(VALU_DEP_1)
	v_lshlrev_b64_e32 v[31:32], 2, v[32:33]
	v_add_co_u32 v28, s7, v28, v31
	s_wait_alu 0xf1ff
	s_delay_alu instid0(VALU_DEP_2)
	v_add_co_ci_u32_e64 v29, null, v29, v32, s7
	flat_load_b32 v37, v[28:29]
.LBB195_39:                             ;   in Loop: Header=BB195_4 Depth=1
	s_or_b32 exec_lo, exec_lo, s45
.LBB195_40:                             ;   in Loop: Header=BB195_4 Depth=1
	s_delay_alu instid0(SALU_CYCLE_1)
	s_or_b32 exec_lo, exec_lo, s44
.LBB195_41:                             ;   in Loop: Header=BB195_4 Depth=1
	s_delay_alu instid0(SALU_CYCLE_1)
	s_or_b32 exec_lo, exec_lo, s43
.LBB195_42:                             ;   in Loop: Header=BB195_4 Depth=1
	s_delay_alu instid0(SALU_CYCLE_1)
	s_or_b32 exec_lo, exec_lo, s42
	s_and_saveexec_b32 s42, s1
	s_cbranch_execz .LBB195_50
; %bb.43:                               ;   in Loop: Header=BB195_4 Depth=1
	v_mad_co_u64_u32 v[28:29], null, s28, v49, 0
	v_or_b32_e32 v52, 2, v49
	v_mad_co_u64_u32 v[31:32], null, s28, v30, 0
	v_or_b32_e32 v53, 3, v49
	v_cmp_gt_i32_e64 s7, s21, v30
	s_delay_alu instid0(VALU_DEP_4) | instskip(SKIP_3) | instid1(VALU_DEP_4)
	v_mad_co_u64_u32 v[38:39], null, s28, v52, 0
	v_mad_co_u64_u32 v[49:50], null, s29, v49, v[29:30]
	;; [unrolled: 1-line block ×4, first 2 shown]
	v_mov_b32_e32 v30, v39
	s_delay_alu instid0(VALU_DEP_4)
	v_dual_cndmask_b32 v50, 0, v28 :: v_dual_cndmask_b32 v51, 0, v49
	s_wait_alu 0xf1ff
	v_cndmask_b32_e64 v28, 0, v31, s7
	v_cndmask_b32_e64 v29, 0, v29, s7
	v_mad_co_u64_u32 v[30:31], null, s29, v52, v[30:31]
	v_mov_b32_e32 v31, v33
	v_lshlrev_b64_e32 v[49:50], 2, v[50:51]
	v_cmp_gt_i32_e32 vcc_lo, s21, v52
	v_lshlrev_b64_e32 v[51:52], 2, v[28:29]
	s_wait_alu 0xfffd
	v_cndmask_b32_e32 v39, 0, v30, vcc_lo
	s_delay_alu instid0(VALU_DEP_4)
	v_add_co_u32 v28, s7, v26, v49
	s_wait_alu 0xf1ff
	v_add_co_ci_u32_e64 v29, null, v27, v50, s7
	v_mad_co_u64_u32 v[30:31], null, s29, v53, v[31:32]
	v_cndmask_b32_e32 v38, 0, v38, vcc_lo
	v_add_co_u32 v28, vcc_lo, v28, v8
	s_wait_alu 0xfffd
	v_add_co_ci_u32_e64 v29, null, v29, v9, vcc_lo
	v_cmp_gt_i32_e32 vcc_lo, s21, v53
	v_add_co_u32 v31, s7, v26, v51
	s_wait_alu 0xf1ff
	v_add_co_ci_u32_e64 v49, null, v27, v52, s7
	s_wait_alu 0xfffd
	v_dual_cndmask_b32 v32, 0, v32 :: v_dual_cndmask_b32 v33, 0, v30
	v_lshlrev_b64_e32 v[38:39], 2, v[38:39]
	v_add_co_u32 v30, vcc_lo, v31, v8
	s_wait_alu 0xfffd
	v_add_co_ci_u32_e64 v31, null, v49, v9, vcc_lo
	v_lshlrev_b64_e32 v[32:33], 2, v[32:33]
	s_delay_alu instid0(VALU_DEP_4) | instskip(SKIP_2) | instid1(VALU_DEP_3)
	v_add_co_u32 v38, vcc_lo, v26, v38
	s_wait_alu 0xfffd
	v_add_co_ci_u32_e64 v39, null, v27, v39, vcc_lo
	v_add_co_u32 v26, vcc_lo, v26, v32
	s_wait_alu 0xfffd
	v_add_co_ci_u32_e64 v27, null, v27, v33, vcc_lo
	;; [unrolled: 3-line block ×4, first 2 shown]
	s_clause 0x3
	flat_load_b32 v50, v[28:29]
	flat_load_b32 v39, v[30:31]
	;; [unrolled: 1-line block ×4, first 2 shown]
	s_and_saveexec_b32 s7, s2
	s_cbranch_execz .LBB195_49
; %bb.44:                               ;   in Loop: Header=BB195_4 Depth=1
	s_clause 0x3
	flat_load_b32 v54, v[28:29] offset:256
	flat_load_b32 v53, v[30:31] offset:256
	flat_load_b32 v52, v[32:33] offset:256
	flat_load_b32 v51, v[26:27] offset:256
	s_and_saveexec_b32 s43, s3
	s_cbranch_execz .LBB195_48
; %bb.45:                               ;   in Loop: Header=BB195_4 Depth=1
	s_clause 0x3
	flat_load_b32 v58, v[28:29] offset:512
	flat_load_b32 v57, v[30:31] offset:512
	flat_load_b32 v56, v[32:33] offset:512
	flat_load_b32 v55, v[26:27] offset:512
	;; [unrolled: 8-line block ×3, first 2 shown]
	s_wait_loadcnt_dscnt 0x303
	v_fmac_f32_e32 v48, v34, v28
	s_wait_loadcnt_dscnt 0x202
	s_delay_alu instid0(VALU_DEP_1) | instskip(SKIP_1) | instid1(VALU_DEP_1)
	v_fmac_f32_e32 v48, v35, v29
	s_wait_loadcnt_dscnt 0x101
	v_fmac_f32_e32 v48, v36, v30
	s_wait_loadcnt_dscnt 0x0
	s_delay_alu instid0(VALU_DEP_1)
	v_fmac_f32_e32 v48, v37, v26
.LBB195_47:                             ;   in Loop: Header=BB195_4 Depth=1
	s_or_b32 exec_lo, exec_lo, s44
	s_wait_loadcnt_dscnt 0x303
	v_fmac_f32_e32 v47, v34, v58
	s_wait_loadcnt_dscnt 0x202
	s_delay_alu instid0(VALU_DEP_1) | instskip(SKIP_1) | instid1(VALU_DEP_1)
	v_fmac_f32_e32 v47, v35, v57
	s_wait_loadcnt_dscnt 0x101
	v_fmac_f32_e32 v47, v36, v56
	s_wait_loadcnt_dscnt 0x0
	s_delay_alu instid0(VALU_DEP_1)
	v_fmac_f32_e32 v47, v37, v55
.LBB195_48:                             ;   in Loop: Header=BB195_4 Depth=1
	s_or_b32 exec_lo, exec_lo, s43
	s_wait_loadcnt_dscnt 0x303
	v_fmac_f32_e32 v46, v34, v54
	s_wait_loadcnt_dscnt 0x202
	s_delay_alu instid0(VALU_DEP_1) | instskip(SKIP_1) | instid1(VALU_DEP_1)
	v_fmac_f32_e32 v46, v35, v53
	s_wait_loadcnt_dscnt 0x101
	v_fmac_f32_e32 v46, v36, v52
	s_wait_loadcnt_dscnt 0x0
	s_delay_alu instid0(VALU_DEP_1)
	v_fmac_f32_e32 v46, v37, v51
.LBB195_49:                             ;   in Loop: Header=BB195_4 Depth=1
	s_wait_alu 0xfffe
	s_or_b32 exec_lo, exec_lo, s7
	s_wait_loadcnt_dscnt 0x303
	v_fmac_f32_e32 v45, v34, v50
	s_wait_loadcnt_dscnt 0x202
	s_delay_alu instid0(VALU_DEP_1) | instskip(SKIP_1) | instid1(VALU_DEP_1)
	v_fmac_f32_e32 v45, v35, v39
	s_wait_loadcnt_dscnt 0x101
	v_fmac_f32_e32 v45, v36, v38
	s_wait_loadcnt_dscnt 0x0
	s_delay_alu instid0(VALU_DEP_1)
	v_fmac_f32_e32 v45, v37, v49
.LBB195_50:                             ;   in Loop: Header=BB195_4 Depth=1
	s_or_b32 exec_lo, exec_lo, s42
.LBB195_51:                             ;   in Loop: Header=BB195_4 Depth=1
	ds_store_2addr_stride64_b32 v41, v45, v46 offset1:1
	ds_store_2addr_stride64_b32 v41, v47, v48 offset0:2 offset1:3
	s_wait_loadcnt_dscnt 0x0
	s_barrier_signal -1
	s_barrier_wait -1
	global_inv scope:SCOPE_SE
                                        ; implicit-def: $vgpr30
	s_and_saveexec_b32 s7, s0
	s_cbranch_execz .LBB195_57
; %bb.52:                               ;   in Loop: Header=BB195_4 Depth=1
	ds_load_2addr_stride64_b32 v[26:27], v0 offset1:4
	ds_load_2addr_stride64_b32 v[28:29], v0 offset0:8 offset1:12
	s_mov_b32 s43, s41
                                        ; implicit-def: $vgpr30
	s_wait_dscnt 0x1
	v_add_f32_e32 v26, v26, v27
	s_wait_dscnt 0x0
	s_delay_alu instid0(VALU_DEP_1) | instskip(NEXT) | instid1(VALU_DEP_1)
	v_add_f32_e32 v26, v28, v26
	v_add_f32_e32 v26, v29, v26
	ds_store_b32 v0, v26
	s_and_saveexec_b32 s42, s6
	s_cbranch_execz .LBB195_56
; %bb.53:                               ;   in Loop: Header=BB195_4 Depth=1
	v_mul_f32_e32 v30, s22, v26
	s_and_not1_b32 vcc_lo, exec_lo, s38
	s_wait_alu 0xfffe
	s_cbranch_vccnz .LBB195_55
; %bb.54:                               ;   in Loop: Header=BB195_4 Depth=1
	v_lshlrev_b64_e32 v[26:27], 2, v[4:5]
	s_delay_alu instid0(VALU_DEP_1) | instskip(SKIP_1) | instid1(VALU_DEP_2)
	v_add_co_u32 v26, vcc_lo, v43, v26
	s_wait_alu 0xfffd
	v_add_co_ci_u32_e64 v27, null, v44, v27, vcc_lo
	flat_load_b32 v26, v[26:27]
	s_wait_loadcnt_dscnt 0x0
	v_fmac_f32_e32 v30, s33, v26
.LBB195_55:                             ;   in Loop: Header=BB195_4 Depth=1
	s_or_b32 s43, s41, exec_lo
.LBB195_56:                             ;   in Loop: Header=BB195_4 Depth=1
	s_or_b32 exec_lo, exec_lo, s42
	s_delay_alu instid0(SALU_CYCLE_1) | instskip(SKIP_1) | instid1(SALU_CYCLE_1)
	s_and_not1_b32 s41, s41, exec_lo
	s_and_b32 s42, s43, exec_lo
	s_or_b32 s41, s41, s42
.LBB195_57:                             ;   in Loop: Header=BB195_4 Depth=1
	s_wait_alu 0xfffe
	s_or_b32 exec_lo, exec_lo, s7
	v_dual_mov_b32 v27, v5 :: v_dual_mov_b32 v26, v4
	s_and_saveexec_b32 s7, s41
	s_cbranch_execz .LBB195_2
.LBB195_58:                             ;   in Loop: Header=BB195_4 Depth=1
	s_delay_alu instid0(VALU_DEP_1) | instskip(NEXT) | instid1(VALU_DEP_1)
	v_lshlrev_b64_e32 v[26:27], 2, v[26:27]
	v_add_co_u32 v26, vcc_lo, v43, v26
	s_wait_alu 0xfffd
	s_delay_alu instid0(VALU_DEP_2)
	v_add_co_ci_u32_e64 v27, null, v44, v27, vcc_lo
	flat_store_b32 v[26:27], v30
	s_branch .LBB195_2
.LBB195_59:
	s_endpgm
	.section	.rodata,"a",@progbits
	.p2align	6, 0x0
	.amdhsa_kernel _ZL20rocblas_gemvn_kernelILi64ELi4ElPKffKPfEviiT3_lPKT2_lT1_lS7_lS8_lS4_lPT4_lS8_li
		.amdhsa_group_segment_fixed_size 4096
		.amdhsa_private_segment_fixed_size 0
		.amdhsa_kernarg_size 400
		.amdhsa_user_sgpr_count 2
		.amdhsa_user_sgpr_dispatch_ptr 0
		.amdhsa_user_sgpr_queue_ptr 0
		.amdhsa_user_sgpr_kernarg_segment_ptr 1
		.amdhsa_user_sgpr_dispatch_id 0
		.amdhsa_user_sgpr_private_segment_size 0
		.amdhsa_wavefront_size32 1
		.amdhsa_uses_dynamic_stack 0
		.amdhsa_enable_private_segment 0
		.amdhsa_system_sgpr_workgroup_id_x 1
		.amdhsa_system_sgpr_workgroup_id_y 0
		.amdhsa_system_sgpr_workgroup_id_z 1
		.amdhsa_system_sgpr_workgroup_info 0
		.amdhsa_system_vgpr_workitem_id 1
		.amdhsa_next_free_vgpr 74
		.amdhsa_next_free_sgpr 47
		.amdhsa_reserve_vcc 1
		.amdhsa_float_round_mode_32 0
		.amdhsa_float_round_mode_16_64 0
		.amdhsa_float_denorm_mode_32 3
		.amdhsa_float_denorm_mode_16_64 3
		.amdhsa_fp16_overflow 0
		.amdhsa_workgroup_processor_mode 1
		.amdhsa_memory_ordered 1
		.amdhsa_forward_progress 1
		.amdhsa_inst_pref_size 28
		.amdhsa_round_robin_scheduling 0
		.amdhsa_exception_fp_ieee_invalid_op 0
		.amdhsa_exception_fp_denorm_src 0
		.amdhsa_exception_fp_ieee_div_zero 0
		.amdhsa_exception_fp_ieee_overflow 0
		.amdhsa_exception_fp_ieee_underflow 0
		.amdhsa_exception_fp_ieee_inexact 0
		.amdhsa_exception_int_div_zero 0
	.end_amdhsa_kernel
	.section	.text._ZL20rocblas_gemvn_kernelILi64ELi4ElPKffKPfEviiT3_lPKT2_lT1_lS7_lS8_lS4_lPT4_lS8_li,"axG",@progbits,_ZL20rocblas_gemvn_kernelILi64ELi4ElPKffKPfEviiT3_lPKT2_lT1_lS7_lS8_lS4_lPT4_lS8_li,comdat
.Lfunc_end195:
	.size	_ZL20rocblas_gemvn_kernelILi64ELi4ElPKffKPfEviiT3_lPKT2_lT1_lS7_lS8_lS4_lPT4_lS8_li, .Lfunc_end195-_ZL20rocblas_gemvn_kernelILi64ELi4ElPKffKPfEviiT3_lPKT2_lT1_lS7_lS8_lS4_lPT4_lS8_li
                                        ; -- End function
	.set _ZL20rocblas_gemvn_kernelILi64ELi4ElPKffKPfEviiT3_lPKT2_lT1_lS7_lS8_lS4_lPT4_lS8_li.num_vgpr, 74
	.set _ZL20rocblas_gemvn_kernelILi64ELi4ElPKffKPfEviiT3_lPKT2_lT1_lS7_lS8_lS4_lPT4_lS8_li.num_agpr, 0
	.set _ZL20rocblas_gemvn_kernelILi64ELi4ElPKffKPfEviiT3_lPKT2_lT1_lS7_lS8_lS4_lPT4_lS8_li.numbered_sgpr, 47
	.set _ZL20rocblas_gemvn_kernelILi64ELi4ElPKffKPfEviiT3_lPKT2_lT1_lS7_lS8_lS4_lPT4_lS8_li.num_named_barrier, 0
	.set _ZL20rocblas_gemvn_kernelILi64ELi4ElPKffKPfEviiT3_lPKT2_lT1_lS7_lS8_lS4_lPT4_lS8_li.private_seg_size, 0
	.set _ZL20rocblas_gemvn_kernelILi64ELi4ElPKffKPfEviiT3_lPKT2_lT1_lS7_lS8_lS4_lPT4_lS8_li.uses_vcc, 1
	.set _ZL20rocblas_gemvn_kernelILi64ELi4ElPKffKPfEviiT3_lPKT2_lT1_lS7_lS8_lS4_lPT4_lS8_li.uses_flat_scratch, 1
	.set _ZL20rocblas_gemvn_kernelILi64ELi4ElPKffKPfEviiT3_lPKT2_lT1_lS7_lS8_lS4_lPT4_lS8_li.has_dyn_sized_stack, 0
	.set _ZL20rocblas_gemvn_kernelILi64ELi4ElPKffKPfEviiT3_lPKT2_lT1_lS7_lS8_lS4_lPT4_lS8_li.has_recursion, 0
	.set _ZL20rocblas_gemvn_kernelILi64ELi4ElPKffKPfEviiT3_lPKT2_lT1_lS7_lS8_lS4_lPT4_lS8_li.has_indirect_call, 0
	.section	.AMDGPU.csdata,"",@progbits
; Kernel info:
; codeLenInByte = 3520
; TotalNumSgprs: 49
; NumVgprs: 74
; ScratchSize: 0
; MemoryBound: 0
; FloatMode: 240
; IeeeMode: 1
; LDSByteSize: 4096 bytes/workgroup (compile time only)
; SGPRBlocks: 0
; VGPRBlocks: 9
; NumSGPRsForWavesPerEU: 49
; NumVGPRsForWavesPerEU: 74
; Occupancy: 16
; WaveLimiterHint : 1
; COMPUTE_PGM_RSRC2:SCRATCH_EN: 0
; COMPUTE_PGM_RSRC2:USER_SGPR: 2
; COMPUTE_PGM_RSRC2:TRAP_HANDLER: 0
; COMPUTE_PGM_RSRC2:TGID_X_EN: 1
; COMPUTE_PGM_RSRC2:TGID_Y_EN: 0
; COMPUTE_PGM_RSRC2:TGID_Z_EN: 1
; COMPUTE_PGM_RSRC2:TIDIG_COMP_CNT: 1
	.section	.text._ZL24rocblas_gemv_scal_kernelILi256EPKfPKPfEviT0_lT1_lili,"axG",@progbits,_ZL24rocblas_gemv_scal_kernelILi256EPKfPKPfEviT0_lT1_lili,comdat
	.globl	_ZL24rocblas_gemv_scal_kernelILi256EPKfPKPfEviT0_lT1_lili ; -- Begin function _ZL24rocblas_gemv_scal_kernelILi256EPKfPKPfEviT0_lT1_lili
	.p2align	8
	.type	_ZL24rocblas_gemv_scal_kernelILi256EPKfPKPfEviT0_lT1_lili,@function
_ZL24rocblas_gemv_scal_kernelILi256EPKfPKPfEviT0_lT1_lili: ; @_ZL24rocblas_gemv_scal_kernelILi256EPKfPKPfEviT0_lT1_lili
; %bb.0:
	s_load_b32 s16, s[0:1], 0x38
	s_lshr_b32 s2, ttmp7, 16
	s_wait_kmcnt 0x0
	s_cmp_ge_u32 s2, s16
	s_cbranch_scc1 .LBB196_10
; %bb.1:
	s_clause 0x2
	s_load_b32 s12, s[0:1], 0x0
	s_load_b32 s17, s[0:1], 0x28
	s_load_b256 s[4:11], s[0:1], 0x8
	v_mov_b32_e32 v2, 0
	s_add_nc_u64 s[14:15], s[0:1], 64
	s_mov_b32 s3, 0
	s_wait_kmcnt 0x0
	s_ashr_i32 s13, s12, 31
	s_ashr_i32 s1, s17, 31
	s_lshl_b64 s[10:11], s[10:11], 2
	s_branch .LBB196_6
.LBB196_2:                              ;   in Loop: Header=BB196_6 Depth=1
	flat_load_b32 v1, v[3:4]
	s_wait_loadcnt_dscnt 0x0
	v_mul_f32_e32 v1, v5, v1
.LBB196_3:                              ;   in Loop: Header=BB196_6 Depth=1
	flat_store_b32 v[3:4], v1
.LBB196_4:                              ;   in Loop: Header=BB196_6 Depth=1
	s_or_b32 exec_lo, exec_lo, s18
.LBB196_5:                              ;   in Loop: Header=BB196_6 Depth=1
	s_add_co_i32 s2, s2, 0x10000
	s_delay_alu instid0(SALU_CYCLE_1)
	s_cmp_lt_u32 s2, s16
	s_cbranch_scc0 .LBB196_10
.LBB196_6:                              ; =>This Inner Loop Header: Depth=1
	s_mul_u64 s[18:19], s[6:7], s[2:3]
	s_delay_alu instid0(SALU_CYCLE_1) | instskip(NEXT) | instid1(SALU_CYCLE_1)
	s_lshl_b64 s[18:19], s[18:19], 2
	s_add_nc_u64 s[18:19], s[4:5], s[18:19]
	global_load_b32 v5, v2, s[18:19]
	s_wait_loadcnt 0x0
	v_cmp_eq_f32_e32 vcc_lo, 1.0, v5
	s_cbranch_vccnz .LBB196_5
; %bb.7:                                ;   in Loop: Header=BB196_6 Depth=1
	s_load_b32 s0, s[14:15], 0xc
	s_mov_b32 s18, exec_lo
	s_wait_kmcnt 0x0
	s_and_b32 s0, s0, 0xffff
	s_wait_alu 0xfffe
	v_mad_co_u64_u32 v[3:4], null, ttmp9, s0, v[0:1]
	s_delay_alu instid0(VALU_DEP_1) | instskip(NEXT) | instid1(VALU_DEP_1)
	v_mov_b32_e32 v1, v3
	v_cmpx_gt_i64_e64 s[12:13], v[1:2]
	s_cbranch_execz .LBB196_4
; %bb.8:                                ;   in Loop: Header=BB196_6 Depth=1
	v_mad_co_u64_u32 v[3:4], null, v1, s17, 0
	s_lshl_b64 s[20:21], s[2:3], 3
	v_cmp_eq_f32_e32 vcc_lo, 0, v5
	s_wait_alu 0xfffe
	s_add_nc_u64 s[20:21], s[8:9], s[20:21]
	s_load_b64 s[20:21], s[20:21], 0x0
	s_and_b32 vcc_lo, exec_lo, vcc_lo
	v_mad_co_u64_u32 v[6:7], null, v1, s1, v[4:5]
	s_delay_alu instid0(VALU_DEP_1) | instskip(NEXT) | instid1(VALU_DEP_1)
	v_mov_b32_e32 v4, v6
	v_lshlrev_b64_e32 v[3:4], 2, v[3:4]
	s_wait_kmcnt 0x0
	s_add_nc_u64 s[20:21], s[20:21], s[10:11]
	s_wait_alu 0xfffe
	s_delay_alu instid0(VALU_DEP_1)
	v_add_co_u32 v3, s0, s20, v3
	s_wait_alu 0xf1ff
	v_add_co_ci_u32_e64 v4, null, s21, v4, s0
	s_cbranch_vccz .LBB196_2
; %bb.9:                                ;   in Loop: Header=BB196_6 Depth=1
	v_mov_b32_e32 v1, 0
	s_branch .LBB196_3
.LBB196_10:
	s_endpgm
	.section	.rodata,"a",@progbits
	.p2align	6, 0x0
	.amdhsa_kernel _ZL24rocblas_gemv_scal_kernelILi256EPKfPKPfEviT0_lT1_lili
		.amdhsa_group_segment_fixed_size 0
		.amdhsa_private_segment_fixed_size 0
		.amdhsa_kernarg_size 320
		.amdhsa_user_sgpr_count 2
		.amdhsa_user_sgpr_dispatch_ptr 0
		.amdhsa_user_sgpr_queue_ptr 0
		.amdhsa_user_sgpr_kernarg_segment_ptr 1
		.amdhsa_user_sgpr_dispatch_id 0
		.amdhsa_user_sgpr_private_segment_size 0
		.amdhsa_wavefront_size32 1
		.amdhsa_uses_dynamic_stack 0
		.amdhsa_enable_private_segment 0
		.amdhsa_system_sgpr_workgroup_id_x 1
		.amdhsa_system_sgpr_workgroup_id_y 0
		.amdhsa_system_sgpr_workgroup_id_z 1
		.amdhsa_system_sgpr_workgroup_info 0
		.amdhsa_system_vgpr_workitem_id 0
		.amdhsa_next_free_vgpr 8
		.amdhsa_next_free_sgpr 22
		.amdhsa_reserve_vcc 1
		.amdhsa_float_round_mode_32 0
		.amdhsa_float_round_mode_16_64 0
		.amdhsa_float_denorm_mode_32 3
		.amdhsa_float_denorm_mode_16_64 3
		.amdhsa_fp16_overflow 0
		.amdhsa_workgroup_processor_mode 1
		.amdhsa_memory_ordered 1
		.amdhsa_forward_progress 1
		.amdhsa_inst_pref_size 3
		.amdhsa_round_robin_scheduling 0
		.amdhsa_exception_fp_ieee_invalid_op 0
		.amdhsa_exception_fp_denorm_src 0
		.amdhsa_exception_fp_ieee_div_zero 0
		.amdhsa_exception_fp_ieee_overflow 0
		.amdhsa_exception_fp_ieee_underflow 0
		.amdhsa_exception_fp_ieee_inexact 0
		.amdhsa_exception_int_div_zero 0
	.end_amdhsa_kernel
	.section	.text._ZL24rocblas_gemv_scal_kernelILi256EPKfPKPfEviT0_lT1_lili,"axG",@progbits,_ZL24rocblas_gemv_scal_kernelILi256EPKfPKPfEviT0_lT1_lili,comdat
.Lfunc_end196:
	.size	_ZL24rocblas_gemv_scal_kernelILi256EPKfPKPfEviT0_lT1_lili, .Lfunc_end196-_ZL24rocblas_gemv_scal_kernelILi256EPKfPKPfEviT0_lT1_lili
                                        ; -- End function
	.set _ZL24rocblas_gemv_scal_kernelILi256EPKfPKPfEviT0_lT1_lili.num_vgpr, 8
	.set _ZL24rocblas_gemv_scal_kernelILi256EPKfPKPfEviT0_lT1_lili.num_agpr, 0
	.set _ZL24rocblas_gemv_scal_kernelILi256EPKfPKPfEviT0_lT1_lili.numbered_sgpr, 22
	.set _ZL24rocblas_gemv_scal_kernelILi256EPKfPKPfEviT0_lT1_lili.num_named_barrier, 0
	.set _ZL24rocblas_gemv_scal_kernelILi256EPKfPKPfEviT0_lT1_lili.private_seg_size, 0
	.set _ZL24rocblas_gemv_scal_kernelILi256EPKfPKPfEviT0_lT1_lili.uses_vcc, 1
	.set _ZL24rocblas_gemv_scal_kernelILi256EPKfPKPfEviT0_lT1_lili.uses_flat_scratch, 0
	.set _ZL24rocblas_gemv_scal_kernelILi256EPKfPKPfEviT0_lT1_lili.has_dyn_sized_stack, 0
	.set _ZL24rocblas_gemv_scal_kernelILi256EPKfPKPfEviT0_lT1_lili.has_recursion, 0
	.set _ZL24rocblas_gemv_scal_kernelILi256EPKfPKPfEviT0_lT1_lili.has_indirect_call, 0
	.section	.AMDGPU.csdata,"",@progbits
; Kernel info:
; codeLenInByte = 344
; TotalNumSgprs: 24
; NumVgprs: 8
; ScratchSize: 0
; MemoryBound: 0
; FloatMode: 240
; IeeeMode: 1
; LDSByteSize: 0 bytes/workgroup (compile time only)
; SGPRBlocks: 0
; VGPRBlocks: 0
; NumSGPRsForWavesPerEU: 24
; NumVGPRsForWavesPerEU: 8
; Occupancy: 16
; WaveLimiterHint : 1
; COMPUTE_PGM_RSRC2:SCRATCH_EN: 0
; COMPUTE_PGM_RSRC2:USER_SGPR: 2
; COMPUTE_PGM_RSRC2:TRAP_HANDLER: 0
; COMPUTE_PGM_RSRC2:TGID_X_EN: 1
; COMPUTE_PGM_RSRC2:TGID_Y_EN: 0
; COMPUTE_PGM_RSRC2:TGID_Z_EN: 1
; COMPUTE_PGM_RSRC2:TIDIG_COMP_CNT: 0
	.section	.text._ZL24rocblas_gemv_scal_kernelILi256EfPKPfEviT0_lT1_lili,"axG",@progbits,_ZL24rocblas_gemv_scal_kernelILi256EfPKPfEviT0_lT1_lili,comdat
	.globl	_ZL24rocblas_gemv_scal_kernelILi256EfPKPfEviT0_lT1_lili ; -- Begin function _ZL24rocblas_gemv_scal_kernelILi256EfPKPfEviT0_lT1_lili
	.p2align	8
	.type	_ZL24rocblas_gemv_scal_kernelILi256EfPKPfEviT0_lT1_lili,@function
_ZL24rocblas_gemv_scal_kernelILi256EfPKPfEviT0_lT1_lili: ; @_ZL24rocblas_gemv_scal_kernelILi256EfPKPfEviT0_lT1_lili
; %bb.0:
	s_load_b32 s12, s[0:1], 0x30
	s_lshr_b32 s2, ttmp7, 16
	s_wait_kmcnt 0x0
	s_cmp_ge_u32 s2, s12
	s_cbranch_scc1 .LBB197_10
; %bb.1:
	s_clause 0x2
	s_load_b32 s13, s[0:1], 0x20
	s_load_b64 s[8:9], s[0:1], 0x0
	s_load_b128 s[4:7], s[0:1], 0x10
	v_mov_b32_e32 v2, 0
	s_add_nc_u64 s[0:1], s[0:1], 56
	s_mov_b32 s3, 0
	s_wait_kmcnt 0x0
	s_ashr_i32 s14, s13, 31
	s_cmp_neq_f32 s9, 1.0
	s_mov_b32 s10, s8
	s_cselect_b32 s15, -1, 0
	s_ashr_i32 s11, s8, 31
	s_cmp_neq_f32 s9, 0
	s_cselect_b32 s16, -1, 0
	s_lshl_b64 s[6:7], s[6:7], 2
	s_branch .LBB197_6
.LBB197_2:                              ;   in Loop: Header=BB197_6 Depth=1
	flat_load_b32 v1, v[3:4]
	s_wait_loadcnt_dscnt 0x0
	v_mul_f32_e32 v1, s9, v1
.LBB197_3:                              ;   in Loop: Header=BB197_6 Depth=1
	flat_store_b32 v[3:4], v1
.LBB197_4:                              ;   in Loop: Header=BB197_6 Depth=1
	s_wait_alu 0xfffe
	s_or_b32 exec_lo, exec_lo, s8
.LBB197_5:                              ;   in Loop: Header=BB197_6 Depth=1
	s_add_co_i32 s2, s2, 0x10000
	s_delay_alu instid0(SALU_CYCLE_1)
	s_cmp_lt_u32 s2, s12
	s_cbranch_scc0 .LBB197_10
.LBB197_6:                              ; =>This Inner Loop Header: Depth=1
	s_and_not1_b32 vcc_lo, exec_lo, s15
	s_wait_alu 0xfffe
	s_cbranch_vccnz .LBB197_5
; %bb.7:                                ;   in Loop: Header=BB197_6 Depth=1
	s_load_b32 s8, s[0:1], 0xc
	s_wait_kmcnt 0x0
	s_and_b32 s8, s8, 0xffff
	s_wait_alu 0xfffe
	v_mad_co_u64_u32 v[3:4], null, ttmp9, s8, v[0:1]
	s_mov_b32 s8, exec_lo
	v_mov_b32_e32 v1, v3
	s_delay_alu instid0(VALU_DEP_1)
	v_cmpx_gt_i64_e64 s[10:11], v[1:2]
	s_cbranch_execz .LBB197_4
; %bb.8:                                ;   in Loop: Header=BB197_6 Depth=1
	s_lshl_b64 s[18:19], s[2:3], 3
	v_mad_co_u64_u32 v[3:4], null, v1, s13, 0
	s_wait_alu 0xfffe
	s_add_nc_u64 s[18:19], s[4:5], s[18:19]
	s_load_b64 s[18:19], s[18:19], 0x0
	s_delay_alu instid0(VALU_DEP_1) | instskip(NEXT) | instid1(VALU_DEP_1)
	v_mad_co_u64_u32 v[4:5], null, v1, s14, v[4:5]
	v_lshlrev_b64_e32 v[3:4], 2, v[3:4]
	s_wait_kmcnt 0x0
	s_add_nc_u64 s[18:19], s[18:19], s[6:7]
	s_wait_alu 0xfffe
	s_delay_alu instid0(VALU_DEP_1)
	v_add_co_u32 v3, vcc_lo, s18, v3
	s_wait_alu 0xfffd
	v_add_co_ci_u32_e64 v4, null, s19, v4, vcc_lo
	s_and_not1_b32 vcc_lo, exec_lo, s16
	s_wait_alu 0xfffe
	s_cbranch_vccz .LBB197_2
; %bb.9:                                ;   in Loop: Header=BB197_6 Depth=1
	v_mov_b32_e32 v1, 0
	s_branch .LBB197_3
.LBB197_10:
	s_endpgm
	.section	.rodata,"a",@progbits
	.p2align	6, 0x0
	.amdhsa_kernel _ZL24rocblas_gemv_scal_kernelILi256EfPKPfEviT0_lT1_lili
		.amdhsa_group_segment_fixed_size 0
		.amdhsa_private_segment_fixed_size 0
		.amdhsa_kernarg_size 312
		.amdhsa_user_sgpr_count 2
		.amdhsa_user_sgpr_dispatch_ptr 0
		.amdhsa_user_sgpr_queue_ptr 0
		.amdhsa_user_sgpr_kernarg_segment_ptr 1
		.amdhsa_user_sgpr_dispatch_id 0
		.amdhsa_user_sgpr_private_segment_size 0
		.amdhsa_wavefront_size32 1
		.amdhsa_uses_dynamic_stack 0
		.amdhsa_enable_private_segment 0
		.amdhsa_system_sgpr_workgroup_id_x 1
		.amdhsa_system_sgpr_workgroup_id_y 0
		.amdhsa_system_sgpr_workgroup_id_z 1
		.amdhsa_system_sgpr_workgroup_info 0
		.amdhsa_system_vgpr_workitem_id 0
		.amdhsa_next_free_vgpr 6
		.amdhsa_next_free_sgpr 20
		.amdhsa_reserve_vcc 1
		.amdhsa_float_round_mode_32 0
		.amdhsa_float_round_mode_16_64 0
		.amdhsa_float_denorm_mode_32 3
		.amdhsa_float_denorm_mode_16_64 3
		.amdhsa_fp16_overflow 0
		.amdhsa_workgroup_processor_mode 1
		.amdhsa_memory_ordered 1
		.amdhsa_forward_progress 1
		.amdhsa_inst_pref_size 3
		.amdhsa_round_robin_scheduling 0
		.amdhsa_exception_fp_ieee_invalid_op 0
		.amdhsa_exception_fp_denorm_src 0
		.amdhsa_exception_fp_ieee_div_zero 0
		.amdhsa_exception_fp_ieee_overflow 0
		.amdhsa_exception_fp_ieee_underflow 0
		.amdhsa_exception_fp_ieee_inexact 0
		.amdhsa_exception_int_div_zero 0
	.end_amdhsa_kernel
	.section	.text._ZL24rocblas_gemv_scal_kernelILi256EfPKPfEviT0_lT1_lili,"axG",@progbits,_ZL24rocblas_gemv_scal_kernelILi256EfPKPfEviT0_lT1_lili,comdat
.Lfunc_end197:
	.size	_ZL24rocblas_gemv_scal_kernelILi256EfPKPfEviT0_lT1_lili, .Lfunc_end197-_ZL24rocblas_gemv_scal_kernelILi256EfPKPfEviT0_lT1_lili
                                        ; -- End function
	.set _ZL24rocblas_gemv_scal_kernelILi256EfPKPfEviT0_lT1_lili.num_vgpr, 6
	.set _ZL24rocblas_gemv_scal_kernelILi256EfPKPfEviT0_lT1_lili.num_agpr, 0
	.set _ZL24rocblas_gemv_scal_kernelILi256EfPKPfEviT0_lT1_lili.numbered_sgpr, 20
	.set _ZL24rocblas_gemv_scal_kernelILi256EfPKPfEviT0_lT1_lili.num_named_barrier, 0
	.set _ZL24rocblas_gemv_scal_kernelILi256EfPKPfEviT0_lT1_lili.private_seg_size, 0
	.set _ZL24rocblas_gemv_scal_kernelILi256EfPKPfEviT0_lT1_lili.uses_vcc, 1
	.set _ZL24rocblas_gemv_scal_kernelILi256EfPKPfEviT0_lT1_lili.uses_flat_scratch, 0
	.set _ZL24rocblas_gemv_scal_kernelILi256EfPKPfEviT0_lT1_lili.has_dyn_sized_stack, 0
	.set _ZL24rocblas_gemv_scal_kernelILi256EfPKPfEviT0_lT1_lili.has_recursion, 0
	.set _ZL24rocblas_gemv_scal_kernelILi256EfPKPfEviT0_lT1_lili.has_indirect_call, 0
	.section	.AMDGPU.csdata,"",@progbits
; Kernel info:
; codeLenInByte = 336
; TotalNumSgprs: 22
; NumVgprs: 6
; ScratchSize: 0
; MemoryBound: 0
; FloatMode: 240
; IeeeMode: 1
; LDSByteSize: 0 bytes/workgroup (compile time only)
; SGPRBlocks: 0
; VGPRBlocks: 0
; NumSGPRsForWavesPerEU: 22
; NumVGPRsForWavesPerEU: 6
; Occupancy: 16
; WaveLimiterHint : 1
; COMPUTE_PGM_RSRC2:SCRATCH_EN: 0
; COMPUTE_PGM_RSRC2:USER_SGPR: 2
; COMPUTE_PGM_RSRC2:TRAP_HANDLER: 0
; COMPUTE_PGM_RSRC2:TGID_X_EN: 1
; COMPUTE_PGM_RSRC2:TGID_Y_EN: 0
; COMPUTE_PGM_RSRC2:TGID_Z_EN: 1
; COMPUTE_PGM_RSRC2:TIDIG_COMP_CNT: 0
	.section	.text._ZL36rocblas_gemvn_double_buffered_kernelILi128ELi8ELi8EPKfS1_KPfEviiT3_lPKT2_lilS7_lilPT4_lili,"axG",@progbits,_ZL36rocblas_gemvn_double_buffered_kernelILi128ELi8ELi8EPKfS1_KPfEviiT3_lPKT2_lilS7_lilPT4_lili,comdat
	.globl	_ZL36rocblas_gemvn_double_buffered_kernelILi128ELi8ELi8EPKfS1_KPfEviiT3_lPKT2_lilS7_lilPT4_lili ; -- Begin function _ZL36rocblas_gemvn_double_buffered_kernelILi128ELi8ELi8EPKfS1_KPfEviiT3_lPKT2_lilS7_lilPT4_lili
	.p2align	8
	.type	_ZL36rocblas_gemvn_double_buffered_kernelILi128ELi8ELi8EPKfS1_KPfEviiT3_lPKT2_lilS7_lilPT4_lili,@function
_ZL36rocblas_gemvn_double_buffered_kernelILi128ELi8ELi8EPKfS1_KPfEviiT3_lPKT2_lilS7_lilPT4_lili: ; @_ZL36rocblas_gemvn_double_buffered_kernelILi128ELi8ELi8EPKfS1_KPfEviiT3_lPKT2_lilS7_lilPT4_lili
; %bb.0:
	s_load_b32 s33, s[0:1], 0x78
	s_lshr_b32 s2, ttmp7, 16
	s_wait_kmcnt 0x0
	s_cmp_ge_u32 s2, s33
	s_cbranch_scc1 .LBB198_15
; %bb.1:
	s_and_b32 s48, ttmp7, 0xffff
	v_and_b32_e32 v6, 0x3ff, v0
	v_cvt_f64_i32_e32 v[2:3], s48
	v_bfe_u32 v7, v0, 10, 10
	s_clause 0x6
	s_load_b32 s3, s[0:1], 0x4
	s_load_b32 s20, s[0:1], 0x28
	s_load_b32 s22, s[0:1], 0x48
	s_load_b32 s30, s[0:1], 0x68
	s_load_b256 s[4:11], s[0:1], 0x8
	s_load_b128 s[12:15], s[0:1], 0x38
	s_load_b128 s[16:19], s[0:1], 0x58
	s_add_nc_u64 s[24:25], s[0:1], 0x80
	v_lshl_add_u32 v1, v7, 7, v6
	v_and_b32_e32 v0, 63, v0
	s_lshl_b32 s34, ttmp9, 7
	s_delay_alu instid0(SALU_CYCLE_1) | instskip(NEXT) | instid1(VALU_DEP_2)
	s_ashr_i32 s35, s34, 31
	v_lshrrev_b32_e32 v8, 6, v1
	v_mov_b32_e32 v1, 0
	v_lshlrev_b32_e32 v31, 2, v6
	v_lshlrev_b32_e32 v30, 2, v0
	s_delay_alu instid0(VALU_DEP_4)
	v_lshlrev_b32_e32 v32, 5, v8
	v_lshlrev_b32_e32 v4, 3, v8
	s_wait_kmcnt 0x0
	s_ashr_i32 s0, s3, 31
	s_ashr_i32 s21, s20, 31
	v_add_co_u32 v33, s1, 0x208, v32
	s_delay_alu instid0(VALU_DEP_1)
	v_add_co_ci_u32_e64 v34, null, 0, 0, s1
	v_add_co_u32 v35, s1, 0x20c, v32
	s_wait_alu 0xf1ff
	v_add_co_ci_u32_e64 v36, null, 0, 0, s1
	v_add_co_u32 v37, s1, 0x210, v32
	s_lshr_b32 s0, s0, 25
	v_add_co_ci_u32_e64 v38, null, 0, 0, s1
	v_add_co_u32 v39, s1, 0x214, v32
	s_wait_alu 0xfffe
	s_add_co_i32 s3, s3, s0
	v_mad_co_i64_i32 v[4:5], null, s20, v4, v[0:1]
	v_max_num_f64_e32 v[2:3], v[2:3], v[2:3]
	v_cmp_eq_u32_e64 s0, 0, v7
	v_mad_co_i64_i32 v[6:7], null, s30, v6, 0
	v_add_co_ci_u32_e64 v40, null, 0, 0, s1
	v_add_co_u32 v41, s1, 0x218, v32
	s_wait_alu 0xf1ff
	v_add_co_ci_u32_e64 v42, null, 0, 0, s1
	v_add_co_u32 v43, s1, 0x21c, v32
	s_wait_alu 0xf1ff
	v_add_co_ci_u32_e64 v44, null, 0, 0, s1
	v_add_co_u32 v45, s1, 0x204, v32
	s_ashr_i32 s31, s30, 31
	v_add_co_ci_u32_e64 v46, null, 0, 0, s1
	v_add_co_u32 v47, s1, 0x200, v32
	s_wait_alu 0xfffe
	s_mul_u64 s[44:45], s[30:31], s[34:35]
	s_lshl_b32 s40, s22, 7
	s_lshl_b64 s[10:11], s[10:11], 2
	s_lshl_b64 s[30:31], s[34:35], 2
	v_lshlrev_b64_e32 v[4:5], 2, v[4:5]
	v_lshlrev_b64_e32 v[6:7], 2, v[6:7]
	v_lshl_or_b32 v0, v8, 9, v30
	v_add_co_ci_u32_e64 v48, null, 0, 0, s1
	s_ashr_i32 s23, s22, 31
	s_ashr_i32 s26, s3, 7
	s_mov_b32 s3, 0
	s_ashr_i32 s41, s40, 31
	s_wait_alu 0xfffe
	s_add_nc_u64 s[36:37], s[10:11], s[30:31]
	s_lshl_b64 s[28:29], s[20:21], 9
	s_mov_b32 s27, s3
	s_lshl_b64 s[34:35], s[20:21], 2
	s_add_nc_u64 s[38:39], s[36:37], 0x100
	s_lshl_b64 s[14:15], s[14:15], 2
	s_lshl_b64 s[40:41], s[40:41], 2
	;; [unrolled: 1-line block ×5, first 2 shown]
	s_branch .LBB198_4
.LBB198_2:                              ;   in Loop: Header=BB198_4 Depth=1
	s_wait_alu 0xfffe
	s_or_b32 exec_lo, exec_lo, s1
.LBB198_3:                              ;   in Loop: Header=BB198_4 Depth=1
	s_add_co_i32 s2, s2, 0x10000
	s_delay_alu instid0(SALU_CYCLE_1)
	s_cmp_lt_u32 s2, s33
	s_cbranch_scc0 .LBB198_15
.LBB198_4:                              ; =>This Loop Header: Depth=1
                                        ;     Child Loop BB198_8 Depth 2
	s_mul_u64 s[46:47], s[6:7], s[2:3]
	s_wait_alu 0xfffe
	s_lshl_b64 s[46:47], s[46:47], 2
	s_wait_alu 0xfffe
	s_add_nc_u64 s[46:47], s[4:5], s[46:47]
	global_load_b32 v49, v1, s[46:47]
	s_wait_loadcnt 0x0
	v_cmp_eq_f32_e32 vcc_lo, 0, v49
	s_cbranch_vccnz .LBB198_3
; %bb.5:                                ;   in Loop: Header=BB198_4 Depth=1
	s_load_b32 s1, s[24:25], 0x4
	s_wait_kmcnt 0x0
	s_cvt_f32_u32 s46, s1
	s_sub_co_i32 s47, 0, s1
	s_wait_alu 0xfffe
	s_delay_alu instid0(SALU_CYCLE_1) | instskip(NEXT) | instid1(TRANS32_DEP_1)
	v_rcp_iflag_f32_e32 v8, s46
	v_readfirstlane_b32 s46, v8
	s_mul_f32 s46, s46, 0x4f7ffffe
	s_wait_alu 0xfffe
	s_delay_alu instid0(SALU_CYCLE_2) | instskip(SKIP_1) | instid1(SALU_CYCLE_2)
	s_cvt_u32_f32 s46, s46
	s_wait_alu 0xfffe
	s_mul_i32 s47, s47, s46
	s_wait_alu 0xfffe
	s_mul_hi_u32 s47, s46, s47
	s_wait_alu 0xfffe
	s_add_co_i32 s46, s46, s47
	s_mov_b32 s47, s3
	s_wait_alu 0xfffe
	s_mul_u64 s[46:47], s[26:27], s[46:47]
	s_wait_alu 0xfffe
	s_mul_i32 s46, s47, s1
	s_add_co_i32 s49, s47, 1
	s_wait_alu 0xfffe
	s_sub_co_i32 s46, s26, s46
	s_wait_alu 0xfffe
	s_sub_co_i32 s50, s46, s1
	s_cmp_ge_u32 s46, s1
	s_cselect_b32 s47, s49, s47
	s_wait_alu 0xfffe
	s_cselect_b32 s46, s50, s46
	s_add_co_i32 s49, s47, 1
	s_wait_alu 0xfffe
	s_cmp_ge_u32 s46, s1
	s_cselect_b32 s49, s49, s47
	s_wait_alu 0xfffe
	s_mul_i32 s1, s49, s1
	s_wait_alu 0xfffe
	s_sub_co_i32 s50, s26, s1
	s_wait_alu 0xfffe
	s_cmp_lt_u32 s48, s50
	s_cselect_b32 s1, -1, 0
	s_wait_alu 0xfffe
	s_cmp_lg_u32 s1, 0
	s_add_co_ci_u32 s1, s49, 0
	s_wait_alu 0xfffe
	s_cmp_eq_u32 s1, 0
	s_cbranch_scc1 .LBB198_3
; %bb.6:                                ;   in Loop: Header=BB198_4 Depth=1
	s_lshl_b64 s[46:47], s[2:3], 3
	s_cmp_lt_i32 s1, 1
	s_wait_alu 0xfffe
	s_add_nc_u64 s[52:53], s[16:17], s[46:47]
	global_load_b64 v[8:9], v1, s[52:53]
	s_cbranch_scc1 .LBB198_12
; %bb.7:                                ;   in Loop: Header=BB198_4 Depth=1
	s_add_nc_u64 s[52:53], s[8:9], s[46:47]
	v_cvt_f64_u32_e32 v[10:11], s50
	global_load_b64 v[26:27], v1, s[52:53]
	s_mul_i32 s49, s49, s48
	s_add_nc_u64 s[46:47], s[12:13], s[46:47]
	s_wait_alu 0xfffe
	v_cvt_f64_u32_e32 v[12:13], s49
	global_load_b64 v[28:29], v1, s[46:47]
	v_min_num_f64_e32 v[10:11], v[2:3], v[10:11]
	s_delay_alu instid0(VALU_DEP_1) | instskip(NEXT) | instid1(VALU_DEP_1)
	v_add_f64_e32 v[10:11], v[10:11], v[12:13]
	v_cvt_i32_f64_e32 v10, v[10:11]
	s_delay_alu instid0(VALU_DEP_1)
	v_readfirstlane_b32 s49, v10
	s_lshl_b32 s50, s49, 7
	s_wait_alu 0xfffe
	s_ashr_i32 s51, s50, 31
	s_wait_alu 0xfffe
	s_mul_u64 s[46:47], s[50:51], s[20:21]
	s_wait_alu 0xfffe
	s_lshl_b64 s[46:47], s[46:47], 2
	s_wait_loadcnt 0x1
	v_add_co_u32 v10, vcc_lo, v26, s10
	s_wait_alu 0xfffd
	v_add_co_ci_u32_e64 v11, null, s11, v27, vcc_lo
	s_delay_alu instid0(VALU_DEP_2) | instskip(SKIP_1) | instid1(VALU_DEP_2)
	v_add_co_u32 v10, vcc_lo, v10, s30
	s_wait_alu 0xfffd
	v_add_co_ci_u32_e64 v11, null, s31, v11, vcc_lo
	s_wait_alu 0xfffe
	s_delay_alu instid0(VALU_DEP_2) | instskip(SKIP_1) | instid1(VALU_DEP_2)
	v_add_co_u32 v10, vcc_lo, v10, s46
	s_wait_alu 0xfffd
	v_add_co_ci_u32_e64 v11, null, s47, v11, vcc_lo
	s_lshl_b64 s[46:47], s[50:51], 2
	v_add_co_u32 v10, vcc_lo, v10, v4
	s_wait_alu 0xfffd
	v_add_co_ci_u32_e64 v11, null, v11, v5, vcc_lo
	s_delay_alu instid0(VALU_DEP_2) | instskip(SKIP_1) | instid1(VALU_DEP_2)
	v_add_co_u32 v12, vcc_lo, v10, s34
	s_wait_alu 0xfffd
	v_add_co_ci_u32_e64 v13, null, s35, v11, vcc_lo
	s_delay_alu instid0(VALU_DEP_2) | instskip(SKIP_1) | instid1(VALU_DEP_2)
	;; [unrolled: 4-line block ×7, first 2 shown]
	v_add_co_u32 v24, vcc_lo, v22, s34
	s_wait_alu 0xfffd
	v_add_co_ci_u32_e64 v25, null, s35, v23, vcc_lo
	s_clause 0x6
	flat_load_b32 v57, v[10:11]
	flat_load_b32 v56, v[12:13]
	;; [unrolled: 1-line block ×8, first 2 shown]
	v_add_co_u32 v24, vcc_lo, v26, s36
	s_wait_alu 0xfffd
	v_add_co_ci_u32_e64 v25, null, s37, v27, vcc_lo
	s_wait_alu 0xfffe
	v_add_co_u32 v10, vcc_lo, v33, s46
	s_wait_alu 0xfffd
	v_add_co_ci_u32_e64 v11, null, s47, v34, vcc_lo
	v_add_co_u32 v12, vcc_lo, v35, s46
	s_wait_alu 0xfffd
	v_add_co_ci_u32_e64 v13, null, s47, v36, vcc_lo
	s_delay_alu instid0(VALU_DEP_3) | instskip(SKIP_2) | instid1(VALU_DEP_4)
	v_mul_lo_u32 v14, s20, v11
	v_mul_lo_u32 v15, s21, v10
	v_mad_co_u64_u32 v[10:11], null, s20, v10, v[24:25]
	v_mul_lo_u32 v16, s20, v13
	v_mul_lo_u32 v17, s21, v12
	v_mad_co_u64_u32 v[12:13], null, s20, v12, v[24:25]
	s_delay_alu instid0(VALU_DEP_4) | instskip(SKIP_3) | instid1(VALU_DEP_4)
	v_add3_u32 v11, v15, v11, v14
	v_add_co_u32 v14, vcc_lo, v37, s46
	s_wait_alu 0xfffd
	v_add_co_ci_u32_e64 v15, null, s47, v38, vcc_lo
	v_add3_u32 v13, v17, v13, v16
	v_add_co_u32 v16, vcc_lo, v39, s46
	s_wait_alu 0xfffd
	v_add_co_ci_u32_e64 v17, null, s47, v40, vcc_lo
	v_add_co_u32 v18, vcc_lo, v41, s46
	s_wait_alu 0xfffd
	v_add_co_ci_u32_e64 v19, null, s47, v42, vcc_lo
	;; [unrolled: 3-line block ×5, first 2 shown]
	v_add_co_u32 v26, vcc_lo, v26, s38
	v_mul_lo_u32 v58, s20, v15
	v_mul_lo_u32 v59, s21, v14
	v_mad_co_u64_u32 v[14:15], null, s20, v14, v[24:25]
	v_mul_lo_u32 v60, s20, v17
	v_mul_lo_u32 v61, s21, v16
	v_mad_co_u64_u32 v[16:17], null, s20, v16, v[24:25]
	;; [unrolled: 3-line block ×5, first 2 shown]
	v_mul_lo_u32 v70, s21, v66
	v_mad_co_u64_u32 v[24:25], null, s20, v66, v[24:25]
	v_add_co_u32 v66, s46, v32, s46
	s_wait_alu 0xfffd
	v_add_co_ci_u32_e64 v27, null, s39, v27, vcc_lo
	s_wait_loadcnt 0x8
	v_add_co_u32 v28, vcc_lo, v28, s14
	s_wait_alu 0xf1ff
	v_add_co_ci_u32_e64 v71, null, 0, s47, s46
	s_wait_alu 0xfffd
	v_add_co_ci_u32_e64 v29, null, s15, v29, vcc_lo
	v_mul_lo_u32 v67, s20, v67
	s_delay_alu instid0(VALU_DEP_3)
	v_mul_lo_u32 v72, s20, v71
	v_mul_lo_u32 v73, s21, v66
	v_mad_co_u64_u32 v[26:27], null, s20, v66, v[26:27]
	v_mul_lo_u32 v71, s22, v71
	v_mul_lo_u32 v74, s23, v66
	v_mad_co_u64_u32 v[28:29], null, s22, v66, v[28:29]
	v_add3_u32 v15, v59, v15, v58
	v_add3_u32 v17, v61, v17, v60
	v_add3_u32 v19, v63, v19, v62
	v_add3_u32 v21, v65, v21, v64
	v_add3_u32 v23, v69, v23, v68
	v_add3_u32 v25, v70, v25, v67
	v_add3_u32 v27, v73, v27, v72
	v_add3_u32 v29, v74, v29, v71
	v_dual_mov_b32 v58, 0 :: v_dual_mov_b32 v59, 0
	s_add_co_i32 s46, s1, -1
	s_mov_b32 s47, 0
	s_wait_loadcnt_dscnt 0x606
	v_dual_mov_b32 v60, v57 :: v_dual_mov_b32 v61, v56
	s_wait_loadcnt_dscnt 0x404
	v_dual_mov_b32 v62, v55 :: v_dual_mov_b32 v63, v54
	;; [unrolled: 2-line block ×4, first 2 shown]
.LBB198_8:                              ;   Parent Loop BB198_4 Depth=1
                                        ; =>  This Inner Loop Header: Depth=2
	v_add_co_u32 v68, vcc_lo, v26, v30
	s_wait_alu 0xfffd
	v_add_co_ci_u32_e64 v69, null, 0, v27, vcc_lo
	s_wait_alu 0xfffe
	s_cmp_eq_u32 s46, s47
	v_add_co_u32 v70, vcc_lo, v68, s34
	s_wait_alu 0xfffd
	v_add_co_ci_u32_e64 v71, null, s35, v69, vcc_lo
	s_delay_alu instid0(VALU_DEP_2) | instskip(SKIP_1) | instid1(VALU_DEP_2)
	v_add_co_u32 v72, vcc_lo, v70, s34
	s_wait_alu 0xfffd
	v_add_co_ci_u32_e64 v73, null, s35, v71, vcc_lo
	v_add_co_u32 v74, vcc_lo, v28, s42
	s_wait_alu 0xfffd
	v_add_co_ci_u32_e64 v75, null, s43, v29, vcc_lo
	;; [unrolled: 3-line block ×12, first 2 shown]
	s_clause 0x7
	flat_load_b32 v80, v[68:69]
	flat_load_b32 v79, v[70:71]
	;; [unrolled: 1-line block ×8, first 2 shown]
	v_add_co_u32 v86, vcc_lo, v100, s42
	s_wait_alu 0xfffd
	v_add_co_ci_u32_e64 v87, null, s43, v101, vcc_lo
	s_clause 0x7
	flat_load_b32 v83, v[28:29]
	flat_load_b32 v82, v[74:75]
	;; [unrolled: 1-line block ×8, first 2 shown]
	s_cbranch_scc1 .LBB198_10
; %bb.9:                                ;   in Loop: Header=BB198_8 Depth=2
	v_add_co_u32 v60, vcc_lo, v24, v30
	s_wait_alu 0xfffd
	v_add_co_ci_u32_e64 v61, null, 0, v25, vcc_lo
	v_add_co_u32 v62, vcc_lo, v22, v30
	s_wait_alu 0xfffd
	v_add_co_ci_u32_e64 v63, null, 0, v23, vcc_lo
	;; [unrolled: 3-line block ×3, first 2 shown]
	flat_load_b32 v60, v[60:61]
	flat_load_b32 v61, v[62:63]
	;; [unrolled: 1-line block ×3, first 2 shown]
	v_add_co_u32 v63, vcc_lo, v12, v30
	s_wait_alu 0xfffd
	v_add_co_ci_u32_e64 v64, null, 0, v13, vcc_lo
	v_add_co_u32 v65, vcc_lo, v14, v30
	s_wait_alu 0xfffd
	v_add_co_ci_u32_e64 v66, null, 0, v15, vcc_lo
	;; [unrolled: 3-line block ×5, first 2 shown]
	flat_load_b32 v63, v[63:64]
	flat_load_b32 v64, v[65:66]
	;; [unrolled: 1-line block ×5, first 2 shown]
.LBB198_10:                             ;   in Loop: Header=BB198_8 Depth=2
	s_wait_loadcnt_dscnt 0x707
	v_fmac_f32_e32 v58, v80, v83
	v_fmac_f32_e32 v59, v57, v83
	v_add_co_u32 v10, vcc_lo, v10, s28
	s_wait_alu 0xfffd
	v_add_co_ci_u32_e64 v11, null, s29, v11, vcc_lo
	s_wait_loadcnt_dscnt 0x606
	v_fmac_f32_e32 v58, v79, v82
	v_fmac_f32_e32 v59, v56, v82
	v_add_co_u32 v12, vcc_lo, v12, s28
	s_wait_alu 0xfffd
	v_add_co_ci_u32_e64 v13, null, s29, v13, vcc_lo
	;; [unrolled: 6-line block ×6, first 2 shown]
	v_add_co_u32 v22, vcc_lo, v22, s28
	s_wait_alu 0xfffd
	v_add_co_ci_u32_e64 v23, null, s29, v23, vcc_lo
	v_add_co_u32 v24, vcc_lo, v24, s28
	s_wait_loadcnt_dscnt 0x101
	v_fmac_f32_e32 v58, v69, v74
	v_fmac_f32_e32 v59, v51, v74
	s_wait_alu 0xfffd
	v_add_co_ci_u32_e64 v25, null, s29, v25, vcc_lo
	v_add_co_u32 v26, vcc_lo, v26, s28
	s_wait_alu 0xfffd
	v_add_co_ci_u32_e64 v27, null, s29, v27, vcc_lo
	v_add_co_u32 v28, vcc_lo, v28, s40
	s_wait_loadcnt_dscnt 0x0
	v_fmac_f32_e32 v58, v68, v72
	v_fmac_f32_e32 v59, v50, v72
	s_wait_alu 0xfffd
	v_add_co_ci_u32_e64 v29, null, s41, v29, vcc_lo
	s_add_co_i32 s47, s47, 1
	s_wait_alu 0xfffe
	s_cmp_lt_i32 s47, s1
	s_cbranch_scc0 .LBB198_13
; %bb.11:                               ;   in Loop: Header=BB198_8 Depth=2
	v_dual_mov_b32 v57, v60 :: v_dual_mov_b32 v56, v61
	v_dual_mov_b32 v55, v62 :: v_dual_mov_b32 v54, v63
	;; [unrolled: 1-line block ×4, first 2 shown]
	s_branch .LBB198_8
.LBB198_12:                             ;   in Loop: Header=BB198_4 Depth=1
	v_dual_mov_b32 v58, 0 :: v_dual_mov_b32 v59, 0
.LBB198_13:                             ;   in Loop: Header=BB198_4 Depth=1
	ds_store_2addr_stride64_b32 v0, v59, v58 offset1:1
	s_wait_loadcnt_dscnt 0x0
	s_barrier_signal -1
	s_barrier_wait -1
	global_inv scope:SCOPE_SE
	s_and_saveexec_b32 s1, s0
	s_cbranch_execz .LBB198_2
; %bb.14:                               ;   in Loop: Header=BB198_4 Depth=1
	ds_load_2addr_stride64_b32 v[10:11], v31 offset1:2
	ds_load_2addr_stride64_b32 v[12:13], v31 offset0:4 offset1:6
	ds_load_2addr_stride64_b32 v[14:15], v31 offset0:8 offset1:10
	v_add_co_u32 v8, vcc_lo, v8, s18
	s_wait_alu 0xfffd
	v_add_co_ci_u32_e64 v9, null, s19, v9, vcc_lo
	s_delay_alu instid0(VALU_DEP_2) | instskip(SKIP_1) | instid1(VALU_DEP_2)
	v_add_co_u32 v8, vcc_lo, v8, s44
	s_wait_alu 0xfffd
	v_add_co_ci_u32_e64 v9, null, s45, v9, vcc_lo
	s_delay_alu instid0(VALU_DEP_2) | instskip(SKIP_1) | instid1(VALU_DEP_2)
	v_add_co_u32 v8, vcc_lo, v8, v6
	s_wait_alu 0xfffd
	v_add_co_ci_u32_e64 v9, null, v9, v7, vcc_lo
	s_wait_dscnt 0x2
	v_add_f32_e32 v10, 0, v10
	s_delay_alu instid0(VALU_DEP_1) | instskip(SKIP_3) | instid1(VALU_DEP_1)
	v_add_f32_e32 v16, v10, v11
	ds_load_2addr_stride64_b32 v[10:11], v31 offset0:12 offset1:14
	s_wait_dscnt 0x2
	v_add_f32_e32 v12, v16, v12
	v_add_f32_e32 v16, v12, v13
	ds_load_2addr_stride64_b32 v[12:13], v31 offset0:16 offset1:18
	s_wait_dscnt 0x2
	v_add_f32_e32 v14, v16, v14
	s_delay_alu instid0(VALU_DEP_1) | instskip(SKIP_3) | instid1(VALU_DEP_1)
	v_add_f32_e32 v16, v14, v15
	ds_load_2addr_stride64_b32 v[14:15], v31 offset0:20 offset1:22
	s_wait_dscnt 0x2
	v_add_f32_e32 v10, v16, v10
	v_add_f32_e32 v10, v10, v11
	s_wait_dscnt 0x1
	s_delay_alu instid0(VALU_DEP_1) | instskip(SKIP_3) | instid1(VALU_DEP_1)
	v_add_f32_e32 v12, v10, v12
	ds_load_2addr_stride64_b32 v[10:11], v31 offset0:24 offset1:26
	v_add_f32_e32 v12, v12, v13
	s_wait_dscnt 0x1
	v_add_f32_e32 v14, v12, v14
	ds_load_2addr_stride64_b32 v[12:13], v31 offset0:28 offset1:30
	v_add_f32_e32 v14, v14, v15
	s_wait_dscnt 0x1
	s_delay_alu instid0(VALU_DEP_1) | instskip(NEXT) | instid1(VALU_DEP_1)
	v_add_f32_e32 v10, v14, v10
	v_add_f32_e32 v10, v10, v11
	s_wait_dscnt 0x0
	s_delay_alu instid0(VALU_DEP_1) | instskip(NEXT) | instid1(VALU_DEP_1)
	v_add_f32_e32 v10, v10, v12
	v_add_f32_e32 v10, v10, v13
	s_delay_alu instid0(VALU_DEP_1)
	v_mul_f32_e32 v10, v49, v10
	flat_atomic_add_f32 v[8:9], v10 scope:SCOPE_DEV
	s_branch .LBB198_2
.LBB198_15:
	s_nop 0
	s_sendmsg sendmsg(MSG_DEALLOC_VGPRS)
	s_endpgm
	.section	.rodata,"a",@progbits
	.p2align	6, 0x0
	.amdhsa_kernel _ZL36rocblas_gemvn_double_buffered_kernelILi128ELi8ELi8EPKfS1_KPfEviiT3_lPKT2_lilS7_lilPT4_lili
		.amdhsa_group_segment_fixed_size 8192
		.amdhsa_private_segment_fixed_size 0
		.amdhsa_kernarg_size 384
		.amdhsa_user_sgpr_count 2
		.amdhsa_user_sgpr_dispatch_ptr 0
		.amdhsa_user_sgpr_queue_ptr 0
		.amdhsa_user_sgpr_kernarg_segment_ptr 1
		.amdhsa_user_sgpr_dispatch_id 0
		.amdhsa_user_sgpr_private_segment_size 0
		.amdhsa_wavefront_size32 1
		.amdhsa_uses_dynamic_stack 0
		.amdhsa_enable_private_segment 0
		.amdhsa_system_sgpr_workgroup_id_x 1
		.amdhsa_system_sgpr_workgroup_id_y 1
		.amdhsa_system_sgpr_workgroup_id_z 1
		.amdhsa_system_sgpr_workgroup_info 0
		.amdhsa_system_vgpr_workitem_id 1
		.amdhsa_next_free_vgpr 102
		.amdhsa_next_free_sgpr 54
		.amdhsa_reserve_vcc 1
		.amdhsa_float_round_mode_32 0
		.amdhsa_float_round_mode_16_64 0
		.amdhsa_float_denorm_mode_32 3
		.amdhsa_float_denorm_mode_16_64 3
		.amdhsa_fp16_overflow 0
		.amdhsa_workgroup_processor_mode 1
		.amdhsa_memory_ordered 1
		.amdhsa_forward_progress 1
		.amdhsa_inst_pref_size 27
		.amdhsa_round_robin_scheduling 0
		.amdhsa_exception_fp_ieee_invalid_op 0
		.amdhsa_exception_fp_denorm_src 0
		.amdhsa_exception_fp_ieee_div_zero 0
		.amdhsa_exception_fp_ieee_overflow 0
		.amdhsa_exception_fp_ieee_underflow 0
		.amdhsa_exception_fp_ieee_inexact 0
		.amdhsa_exception_int_div_zero 0
	.end_amdhsa_kernel
	.section	.text._ZL36rocblas_gemvn_double_buffered_kernelILi128ELi8ELi8EPKfS1_KPfEviiT3_lPKT2_lilS7_lilPT4_lili,"axG",@progbits,_ZL36rocblas_gemvn_double_buffered_kernelILi128ELi8ELi8EPKfS1_KPfEviiT3_lPKT2_lilS7_lilPT4_lili,comdat
.Lfunc_end198:
	.size	_ZL36rocblas_gemvn_double_buffered_kernelILi128ELi8ELi8EPKfS1_KPfEviiT3_lPKT2_lilS7_lilPT4_lili, .Lfunc_end198-_ZL36rocblas_gemvn_double_buffered_kernelILi128ELi8ELi8EPKfS1_KPfEviiT3_lPKT2_lilS7_lilPT4_lili
                                        ; -- End function
	.set _ZL36rocblas_gemvn_double_buffered_kernelILi128ELi8ELi8EPKfS1_KPfEviiT3_lPKT2_lilS7_lilPT4_lili.num_vgpr, 102
	.set _ZL36rocblas_gemvn_double_buffered_kernelILi128ELi8ELi8EPKfS1_KPfEviiT3_lPKT2_lilS7_lilPT4_lili.num_agpr, 0
	.set _ZL36rocblas_gemvn_double_buffered_kernelILi128ELi8ELi8EPKfS1_KPfEviiT3_lPKT2_lilS7_lilPT4_lili.numbered_sgpr, 54
	.set _ZL36rocblas_gemvn_double_buffered_kernelILi128ELi8ELi8EPKfS1_KPfEviiT3_lPKT2_lilS7_lilPT4_lili.num_named_barrier, 0
	.set _ZL36rocblas_gemvn_double_buffered_kernelILi128ELi8ELi8EPKfS1_KPfEviiT3_lPKT2_lilS7_lilPT4_lili.private_seg_size, 0
	.set _ZL36rocblas_gemvn_double_buffered_kernelILi128ELi8ELi8EPKfS1_KPfEviiT3_lPKT2_lilS7_lilPT4_lili.uses_vcc, 1
	.set _ZL36rocblas_gemvn_double_buffered_kernelILi128ELi8ELi8EPKfS1_KPfEviiT3_lPKT2_lilS7_lilPT4_lili.uses_flat_scratch, 1
	.set _ZL36rocblas_gemvn_double_buffered_kernelILi128ELi8ELi8EPKfS1_KPfEviiT3_lPKT2_lilS7_lilPT4_lili.has_dyn_sized_stack, 0
	.set _ZL36rocblas_gemvn_double_buffered_kernelILi128ELi8ELi8EPKfS1_KPfEviiT3_lPKT2_lilS7_lilPT4_lili.has_recursion, 0
	.set _ZL36rocblas_gemvn_double_buffered_kernelILi128ELi8ELi8EPKfS1_KPfEviiT3_lPKT2_lilS7_lilPT4_lili.has_indirect_call, 0
	.section	.AMDGPU.csdata,"",@progbits
; Kernel info:
; codeLenInByte = 3380
; TotalNumSgprs: 56
; NumVgprs: 102
; ScratchSize: 0
; MemoryBound: 0
; FloatMode: 240
; IeeeMode: 1
; LDSByteSize: 8192 bytes/workgroup (compile time only)
; SGPRBlocks: 0
; VGPRBlocks: 12
; NumSGPRsForWavesPerEU: 56
; NumVGPRsForWavesPerEU: 102
; Occupancy: 12
; WaveLimiterHint : 1
; COMPUTE_PGM_RSRC2:SCRATCH_EN: 0
; COMPUTE_PGM_RSRC2:USER_SGPR: 2
; COMPUTE_PGM_RSRC2:TRAP_HANDLER: 0
; COMPUTE_PGM_RSRC2:TGID_X_EN: 1
; COMPUTE_PGM_RSRC2:TGID_Y_EN: 1
; COMPUTE_PGM_RSRC2:TGID_Z_EN: 1
; COMPUTE_PGM_RSRC2:TIDIG_COMP_CNT: 1
	.section	.text._ZL36rocblas_gemvn_double_buffered_kernelILi128ELi8ELi8EPKffKPfEviiT3_lPKT2_lilS7_lilPT4_lili,"axG",@progbits,_ZL36rocblas_gemvn_double_buffered_kernelILi128ELi8ELi8EPKffKPfEviiT3_lPKT2_lilS7_lilPT4_lili,comdat
	.globl	_ZL36rocblas_gemvn_double_buffered_kernelILi128ELi8ELi8EPKffKPfEviiT3_lPKT2_lilS7_lilPT4_lili ; -- Begin function _ZL36rocblas_gemvn_double_buffered_kernelILi128ELi8ELi8EPKffKPfEviiT3_lPKT2_lilS7_lilPT4_lili
	.p2align	8
	.type	_ZL36rocblas_gemvn_double_buffered_kernelILi128ELi8ELi8EPKffKPfEviiT3_lPKT2_lilS7_lilPT4_lili,@function
_ZL36rocblas_gemvn_double_buffered_kernelILi128ELi8ELi8EPKffKPfEviiT3_lPKT2_lilS7_lilPT4_lili: ; @_ZL36rocblas_gemvn_double_buffered_kernelILi128ELi8ELi8EPKffKPfEviiT3_lPKT2_lilS7_lilPT4_lili
; %bb.0:
	s_load_b32 s33, s[0:1], 0x78
	s_lshr_b32 s2, ttmp7, 16
	s_wait_kmcnt 0x0
	s_cmp_ge_u32 s2, s33
	s_cbranch_scc1 .LBB199_15
; %bb.1:
	s_clause 0x5
	s_load_b32 s16, s[0:1], 0x28
	s_load_b32 s18, s[0:1], 0x48
	;; [unrolled: 1-line block ×3, first 2 shown]
	s_load_b64 s[20:21], s[0:1], 0x4
	s_load_b128 s[4:7], s[0:1], 0x38
	s_load_b128 s[8:11], s[0:1], 0x18
	v_and_b32_e32 v6, 0x3ff, v0
	v_bfe_u32 v4, v0, 10, 10
	v_and_b32_e32 v0, 63, v0
	s_load_b128 s[12:15], s[0:1], 0x58
	s_add_nc_u64 s[24:25], s[0:1], 0x80
	s_mov_b32 s23, 0
	v_lshl_add_u32 v1, v4, 7, v6
	v_lshlrev_b32_e32 v30, 2, v0
	v_cmp_eq_u32_e64 s0, 0, v4
	s_mov_b32 s27, s23
	v_lshrrev_b32_e32 v5, 6, v1
	v_mov_b32_e32 v1, 0
	v_lshlrev_b32_e32 v31, 2, v6
	s_wait_kmcnt 0x0
	s_ashr_i32 s17, s16, 31
	s_ashr_i32 s19, s18, 31
	;; [unrolled: 1-line block ×3, first 2 shown]
	s_cmp_neq_f32 s21, 0
	v_lshlrev_b32_e32 v4, 3, v5
	v_lshlrev_b32_e32 v33, 5, v5
	v_lshl_or_b32 v32, v5, 9, v30
	s_cselect_b32 s48, -1, 0
	s_and_b32 s49, ttmp7, 0xffff
	v_mad_co_i64_i32 v[4:5], null, s16, v4, v[0:1]
	v_cvt_f64_i32_e32 v[2:3], s49
	v_add_co_u32 v0, s1, 0x208, v33
	s_delay_alu instid0(VALU_DEP_1)
	v_add_co_ci_u32_e64 v34, null, 0, 0, s1
	s_ashr_i32 s1, s20, 31
	v_mad_co_i64_i32 v[6:7], null, s34, v6, 0
	s_wait_alu 0xfffe
	s_lshr_b32 s1, s1, 25
	s_lshl_b32 s36, ttmp9, 7
	s_wait_alu 0xfffe
	s_add_co_i32 s1, s20, s1
	s_ashr_i32 s37, s36, 31
	s_wait_alu 0xfffe
	s_ashr_i32 s26, s1, 7
	v_add_co_u32 v35, s1, 0x20c, v33
	s_wait_alu 0xf1ff
	v_add_co_ci_u32_e64 v36, null, 0, 0, s1
	v_add_co_u32 v37, s1, 0x210, v33
	s_wait_alu 0xf1ff
	v_add_co_ci_u32_e64 v38, null, 0, 0, s1
	;; [unrolled: 3-line block ×6, first 2 shown]
	v_add_co_u32 v47, s1, 0x200, v33
	v_max_num_f64_e32 v[2:3], v[2:3], v[2:3]
	s_lshl_b32 s40, s18, 7
	s_lshl_b64 s[10:11], s[10:11], 2
	s_mul_u64 s[44:45], s[34:35], s[36:37]
	s_lshl_b64 s[34:35], s[36:37], 2
	v_lshlrev_b64_e32 v[4:5], 2, v[4:5]
	v_lshlrev_b64_e32 v[6:7], 2, v[6:7]
	v_add_co_ci_u32_e64 v48, null, 0, 0, s1
	s_ashr_i32 s41, s40, 31
	s_wait_alu 0xfffe
	s_add_nc_u64 s[36:37], s[10:11], s[34:35]
	s_lshl_b64 s[28:29], s[16:17], 9
	s_lshl_b64 s[30:31], s[16:17], 2
	s_add_nc_u64 s[38:39], s[36:37], 0x100
	s_lshl_b64 s[6:7], s[6:7], 2
	s_lshl_b64 s[40:41], s[40:41], 2
	;; [unrolled: 1-line block ×5, first 2 shown]
	s_branch .LBB199_4
.LBB199_2:                              ;   in Loop: Header=BB199_4 Depth=1
	s_wait_alu 0xfffe
	s_or_b32 exec_lo, exec_lo, s1
.LBB199_3:                              ;   in Loop: Header=BB199_4 Depth=1
	s_add_co_i32 s2, s2, 0x10000
	s_wait_alu 0xfffe
	s_cmp_lt_u32 s2, s33
	s_cbranch_scc0 .LBB199_15
.LBB199_4:                              ; =>This Loop Header: Depth=1
                                        ;     Child Loop BB199_8 Depth 2
	s_and_not1_b32 vcc_lo, exec_lo, s48
	s_wait_alu 0xfffe
	s_cbranch_vccnz .LBB199_3
; %bb.5:                                ;   in Loop: Header=BB199_4 Depth=1
	s_load_b32 s1, s[24:25], 0x4
	s_wait_kmcnt 0x0
	s_cvt_f32_u32 s3, s1
	s_sub_co_i32 s20, 0, s1
	s_wait_alu 0xfffe
	s_delay_alu instid0(SALU_CYCLE_1) | instskip(NEXT) | instid1(TRANS32_DEP_1)
	v_rcp_iflag_f32_e32 v8, s3
	v_readfirstlane_b32 s3, v8
	s_mul_f32 s3, s3, 0x4f7ffffe
	s_wait_alu 0xfffe
	s_delay_alu instid0(SALU_CYCLE_2) | instskip(SKIP_1) | instid1(SALU_CYCLE_2)
	s_cvt_u32_f32 s3, s3
	s_wait_alu 0xfffe
	s_mul_i32 s20, s20, s3
	s_wait_alu 0xfffe
	s_mul_hi_u32 s20, s3, s20
	s_wait_alu 0xfffe
	s_add_co_i32 s22, s3, s20
	s_wait_alu 0xfffe
	s_mul_u64 s[46:47], s[26:27], s[22:23]
	s_wait_alu 0xfffe
	s_mul_i32 s3, s47, s1
	s_add_co_i32 s20, s47, 1
	s_wait_alu 0xfffe
	s_sub_co_i32 s3, s26, s3
	s_wait_alu 0xfffe
	s_sub_co_i32 s22, s3, s1
	s_cmp_ge_u32 s3, s1
	s_cselect_b32 s20, s20, s47
	s_wait_alu 0xfffe
	s_cselect_b32 s3, s22, s3
	s_add_co_i32 s22, s20, 1
	s_wait_alu 0xfffe
	s_cmp_ge_u32 s3, s1
	s_cselect_b32 s20, s22, s20
	s_wait_alu 0xfffe
	s_mul_i32 s1, s20, s1
	s_wait_alu 0xfffe
	s_sub_co_i32 s22, s26, s1
	s_wait_alu 0xfffe
	s_cmp_lt_u32 s49, s22
	s_cselect_b32 s1, -1, 0
	s_wait_alu 0xfffe
	s_cmp_lg_u32 s1, 0
	s_add_co_ci_u32 s1, s20, 0
	s_wait_alu 0xfffe
	s_cmp_eq_u32 s1, 0
	s_cbranch_scc1 .LBB199_3
; %bb.6:                                ;   in Loop: Header=BB199_4 Depth=1
	s_mov_b32 s3, s23
	s_wait_alu 0xfffe
	s_lshl_b64 s[46:47], s[2:3], 3
	s_cmp_lt_i32 s1, 1
	s_wait_alu 0xfffe
	s_add_nc_u64 s[50:51], s[12:13], s[46:47]
	global_load_b64 v[8:9], v1, s[50:51]
	s_cbranch_scc1 .LBB199_12
; %bb.7:                                ;   in Loop: Header=BB199_4 Depth=1
	s_add_nc_u64 s[50:51], s[8:9], s[46:47]
	v_cvt_f64_u32_e32 v[10:11], s22
	global_load_b64 v[26:27], v1, s[50:51]
	s_mul_i32 s20, s20, s49
	s_add_nc_u64 s[46:47], s[4:5], s[46:47]
	s_wait_alu 0xfffe
	v_cvt_f64_u32_e32 v[12:13], s20
	global_load_b64 v[28:29], v1, s[46:47]
	s_mov_b32 s20, 0
	v_min_num_f64_e32 v[10:11], v[2:3], v[10:11]
	s_delay_alu instid0(VALU_DEP_1) | instskip(NEXT) | instid1(VALU_DEP_1)
	v_add_f64_e32 v[10:11], v[10:11], v[12:13]
	v_cvt_i32_f64_e32 v10, v[10:11]
	s_delay_alu instid0(VALU_DEP_1) | instskip(SKIP_1) | instid1(SALU_CYCLE_1)
	v_readfirstlane_b32 s3, v10
	s_lshl_b32 s50, s3, 7
	s_ashr_i32 s51, s50, 31
	s_delay_alu instid0(SALU_CYCLE_1)
	s_mul_u64 s[46:47], s[50:51], s[16:17]
	s_wait_alu 0xfffe
	s_lshl_b64 s[46:47], s[46:47], 2
	s_wait_loadcnt 0x1
	v_add_co_u32 v10, vcc_lo, v26, s10
	s_wait_alu 0xfffd
	v_add_co_ci_u32_e64 v11, null, s11, v27, vcc_lo
	s_delay_alu instid0(VALU_DEP_2) | instskip(SKIP_1) | instid1(VALU_DEP_2)
	v_add_co_u32 v10, vcc_lo, v10, s34
	s_wait_alu 0xfffd
	v_add_co_ci_u32_e64 v11, null, s35, v11, vcc_lo
	s_wait_alu 0xfffe
	s_delay_alu instid0(VALU_DEP_2) | instskip(SKIP_1) | instid1(VALU_DEP_2)
	v_add_co_u32 v10, vcc_lo, v10, s46
	s_wait_alu 0xfffd
	v_add_co_ci_u32_e64 v11, null, s47, v11, vcc_lo
	s_lshl_b64 s[46:47], s[50:51], 2
	v_add_co_u32 v10, vcc_lo, v10, v4
	s_wait_alu 0xfffd
	v_add_co_ci_u32_e64 v11, null, v11, v5, vcc_lo
	s_delay_alu instid0(VALU_DEP_2) | instskip(SKIP_1) | instid1(VALU_DEP_2)
	v_add_co_u32 v12, vcc_lo, v10, s30
	s_wait_alu 0xfffd
	v_add_co_ci_u32_e64 v13, null, s31, v11, vcc_lo
	s_delay_alu instid0(VALU_DEP_2) | instskip(SKIP_1) | instid1(VALU_DEP_2)
	v_add_co_u32 v14, vcc_lo, v12, s30
	s_wait_alu 0xfffd
	v_add_co_ci_u32_e64 v15, null, s31, v13, vcc_lo
	s_delay_alu instid0(VALU_DEP_2) | instskip(SKIP_1) | instid1(VALU_DEP_2)
	v_add_co_u32 v16, vcc_lo, v14, s30
	s_wait_alu 0xfffd
	v_add_co_ci_u32_e64 v17, null, s31, v15, vcc_lo
	s_delay_alu instid0(VALU_DEP_2) | instskip(SKIP_1) | instid1(VALU_DEP_2)
	v_add_co_u32 v18, vcc_lo, v16, s30
	s_wait_alu 0xfffd
	v_add_co_ci_u32_e64 v19, null, s31, v17, vcc_lo
	s_delay_alu instid0(VALU_DEP_2) | instskip(SKIP_1) | instid1(VALU_DEP_2)
	v_add_co_u32 v20, vcc_lo, v18, s30
	s_wait_alu 0xfffd
	v_add_co_ci_u32_e64 v21, null, s31, v19, vcc_lo
	s_delay_alu instid0(VALU_DEP_2) | instskip(SKIP_1) | instid1(VALU_DEP_2)
	v_add_co_u32 v22, vcc_lo, v20, s30
	s_wait_alu 0xfffd
	v_add_co_ci_u32_e64 v23, null, s31, v21, vcc_lo
	s_delay_alu instid0(VALU_DEP_2) | instskip(SKIP_1) | instid1(VALU_DEP_2)
	v_add_co_u32 v24, vcc_lo, v22, s30
	s_wait_alu 0xfffd
	v_add_co_ci_u32_e64 v25, null, s31, v23, vcc_lo
	s_clause 0x6
	flat_load_b32 v56, v[10:11]
	flat_load_b32 v55, v[12:13]
	;; [unrolled: 1-line block ×8, first 2 shown]
	v_add_co_u32 v24, vcc_lo, v26, s36
	s_wait_alu 0xfffd
	v_add_co_ci_u32_e64 v25, null, s37, v27, vcc_lo
	s_wait_alu 0xfffe
	v_add_co_u32 v10, vcc_lo, v0, s46
	s_wait_alu 0xfffd
	v_add_co_ci_u32_e64 v11, null, s47, v34, vcc_lo
	v_add_co_u32 v12, vcc_lo, v35, s46
	s_wait_alu 0xfffd
	v_add_co_ci_u32_e64 v13, null, s47, v36, vcc_lo
	s_delay_alu instid0(VALU_DEP_3) | instskip(SKIP_2) | instid1(VALU_DEP_4)
	v_mul_lo_u32 v14, s16, v11
	v_mul_lo_u32 v15, s17, v10
	v_mad_co_u64_u32 v[10:11], null, s16, v10, v[24:25]
	v_mul_lo_u32 v16, s16, v13
	v_mul_lo_u32 v17, s17, v12
	v_mad_co_u64_u32 v[12:13], null, s16, v12, v[24:25]
	s_delay_alu instid0(VALU_DEP_4) | instskip(SKIP_3) | instid1(VALU_DEP_4)
	v_add3_u32 v11, v15, v11, v14
	v_add_co_u32 v14, vcc_lo, v37, s46
	s_wait_alu 0xfffd
	v_add_co_ci_u32_e64 v15, null, s47, v38, vcc_lo
	v_add3_u32 v13, v17, v13, v16
	v_add_co_u32 v16, vcc_lo, v39, s46
	s_wait_alu 0xfffd
	v_add_co_ci_u32_e64 v17, null, s47, v40, vcc_lo
	v_add_co_u32 v18, vcc_lo, v41, s46
	s_wait_alu 0xfffd
	v_add_co_ci_u32_e64 v19, null, s47, v42, vcc_lo
	;; [unrolled: 3-line block ×5, first 2 shown]
	v_add_co_u32 v26, vcc_lo, v26, s38
	v_mul_lo_u32 v57, s16, v15
	v_mul_lo_u32 v58, s17, v14
	v_mad_co_u64_u32 v[14:15], null, s16, v14, v[24:25]
	v_mul_lo_u32 v59, s16, v17
	v_mul_lo_u32 v60, s17, v16
	v_mad_co_u64_u32 v[16:17], null, s16, v16, v[24:25]
	;; [unrolled: 3-line block ×5, first 2 shown]
	v_mul_lo_u32 v69, s17, v65
	v_mad_co_u64_u32 v[24:25], null, s16, v65, v[24:25]
	v_add_co_u32 v65, s3, v33, s46
	s_wait_alu 0xfffd
	v_add_co_ci_u32_e64 v27, null, s39, v27, vcc_lo
	s_wait_loadcnt 0x8
	v_add_co_u32 v28, vcc_lo, v28, s6
	s_wait_alu 0xf1ff
	v_add_co_ci_u32_e64 v70, null, 0, s47, s3
	s_wait_alu 0xfffd
	v_add_co_ci_u32_e64 v29, null, s7, v29, vcc_lo
	v_mul_lo_u32 v66, s16, v66
	s_delay_alu instid0(VALU_DEP_3)
	v_mul_lo_u32 v71, s16, v70
	v_mul_lo_u32 v72, s17, v65
	v_mad_co_u64_u32 v[26:27], null, s16, v65, v[26:27]
	v_mul_lo_u32 v70, s18, v70
	v_mul_lo_u32 v73, s19, v65
	v_mad_co_u64_u32 v[28:29], null, s18, v65, v[28:29]
	v_add3_u32 v15, v58, v15, v57
	v_add3_u32 v17, v60, v17, v59
	;; [unrolled: 1-line block ×8, first 2 shown]
	v_dual_mov_b32 v57, 0 :: v_dual_mov_b32 v58, 0
	s_add_co_i32 s3, s1, -1
	s_wait_loadcnt_dscnt 0x606
	v_dual_mov_b32 v59, v56 :: v_dual_mov_b32 v60, v55
	s_wait_loadcnt_dscnt 0x404
	v_dual_mov_b32 v61, v54 :: v_dual_mov_b32 v62, v53
	;; [unrolled: 2-line block ×4, first 2 shown]
.LBB199_8:                              ;   Parent Loop BB199_4 Depth=1
                                        ; =>  This Inner Loop Header: Depth=2
	v_add_co_u32 v67, vcc_lo, v26, v30
	s_wait_alu 0xfffd
	v_add_co_ci_u32_e64 v68, null, 0, v27, vcc_lo
	s_wait_alu 0xfffe
	s_cmp_eq_u32 s3, s20
	v_add_co_u32 v69, vcc_lo, v67, s30
	s_wait_alu 0xfffd
	v_add_co_ci_u32_e64 v70, null, s31, v68, vcc_lo
	s_delay_alu instid0(VALU_DEP_2) | instskip(SKIP_1) | instid1(VALU_DEP_2)
	v_add_co_u32 v71, vcc_lo, v69, s30
	s_wait_alu 0xfffd
	v_add_co_ci_u32_e64 v72, null, s31, v70, vcc_lo
	v_add_co_u32 v73, vcc_lo, v28, s42
	s_wait_alu 0xfffd
	v_add_co_ci_u32_e64 v74, null, s43, v29, vcc_lo
	;; [unrolled: 3-line block ×12, first 2 shown]
	s_clause 0x7
	flat_load_b32 v79, v[67:68]
	flat_load_b32 v78, v[69:70]
	;; [unrolled: 1-line block ×8, first 2 shown]
	v_add_co_u32 v85, vcc_lo, v99, s42
	s_wait_alu 0xfffd
	v_add_co_ci_u32_e64 v86, null, s43, v100, vcc_lo
	s_clause 0x7
	flat_load_b32 v82, v[28:29]
	flat_load_b32 v81, v[73:74]
	;; [unrolled: 1-line block ×8, first 2 shown]
	s_cbranch_scc1 .LBB199_10
; %bb.9:                                ;   in Loop: Header=BB199_8 Depth=2
	v_add_co_u32 v59, vcc_lo, v24, v30
	s_wait_alu 0xfffd
	v_add_co_ci_u32_e64 v60, null, 0, v25, vcc_lo
	v_add_co_u32 v61, vcc_lo, v22, v30
	s_wait_alu 0xfffd
	v_add_co_ci_u32_e64 v62, null, 0, v23, vcc_lo
	;; [unrolled: 3-line block ×3, first 2 shown]
	flat_load_b32 v59, v[59:60]
	flat_load_b32 v60, v[61:62]
	;; [unrolled: 1-line block ×3, first 2 shown]
	v_add_co_u32 v62, vcc_lo, v12, v30
	s_wait_alu 0xfffd
	v_add_co_ci_u32_e64 v63, null, 0, v13, vcc_lo
	v_add_co_u32 v64, vcc_lo, v14, v30
	s_wait_alu 0xfffd
	v_add_co_ci_u32_e64 v65, null, 0, v15, vcc_lo
	;; [unrolled: 3-line block ×5, first 2 shown]
	flat_load_b32 v62, v[62:63]
	flat_load_b32 v63, v[64:65]
	flat_load_b32 v64, v[83:84]
	flat_load_b32 v65, v[85:86]
	flat_load_b32 v66, v[87:88]
.LBB199_10:                             ;   in Loop: Header=BB199_8 Depth=2
	s_wait_loadcnt_dscnt 0x707
	v_fmac_f32_e32 v57, v79, v82
	v_fmac_f32_e32 v58, v56, v82
	v_add_co_u32 v10, vcc_lo, v10, s28
	s_wait_alu 0xfffd
	v_add_co_ci_u32_e64 v11, null, s29, v11, vcc_lo
	s_wait_loadcnt_dscnt 0x606
	v_fmac_f32_e32 v57, v78, v81
	v_fmac_f32_e32 v58, v55, v81
	v_add_co_u32 v12, vcc_lo, v12, s28
	s_wait_alu 0xfffd
	v_add_co_ci_u32_e64 v13, null, s29, v13, vcc_lo
	;; [unrolled: 6-line block ×6, first 2 shown]
	v_add_co_u32 v22, vcc_lo, v22, s28
	s_wait_alu 0xfffd
	v_add_co_ci_u32_e64 v23, null, s29, v23, vcc_lo
	v_add_co_u32 v24, vcc_lo, v24, s28
	s_wait_loadcnt_dscnt 0x101
	v_fmac_f32_e32 v57, v68, v73
	v_fmac_f32_e32 v58, v50, v73
	s_wait_alu 0xfffd
	v_add_co_ci_u32_e64 v25, null, s29, v25, vcc_lo
	v_add_co_u32 v26, vcc_lo, v26, s28
	s_wait_alu 0xfffd
	v_add_co_ci_u32_e64 v27, null, s29, v27, vcc_lo
	v_add_co_u32 v28, vcc_lo, v28, s40
	s_wait_loadcnt_dscnt 0x0
	v_fmac_f32_e32 v57, v67, v71
	v_fmac_f32_e32 v58, v49, v71
	s_wait_alu 0xfffd
	v_add_co_ci_u32_e64 v29, null, s41, v29, vcc_lo
	s_add_co_i32 s20, s20, 1
	s_wait_alu 0xfffe
	s_cmp_lt_i32 s20, s1
	s_cbranch_scc0 .LBB199_13
; %bb.11:                               ;   in Loop: Header=BB199_8 Depth=2
	v_dual_mov_b32 v56, v59 :: v_dual_mov_b32 v55, v60
	v_dual_mov_b32 v54, v61 :: v_dual_mov_b32 v53, v62
	;; [unrolled: 1-line block ×4, first 2 shown]
	s_branch .LBB199_8
.LBB199_12:                             ;   in Loop: Header=BB199_4 Depth=1
	v_dual_mov_b32 v57, 0 :: v_dual_mov_b32 v58, 0
.LBB199_13:                             ;   in Loop: Header=BB199_4 Depth=1
	ds_store_2addr_stride64_b32 v32, v58, v57 offset1:1
	s_wait_loadcnt_dscnt 0x0
	s_barrier_signal -1
	s_barrier_wait -1
	global_inv scope:SCOPE_SE
	s_and_saveexec_b32 s1, s0
	s_cbranch_execz .LBB199_2
; %bb.14:                               ;   in Loop: Header=BB199_4 Depth=1
	ds_load_2addr_stride64_b32 v[10:11], v31 offset1:2
	ds_load_2addr_stride64_b32 v[12:13], v31 offset0:4 offset1:6
	ds_load_2addr_stride64_b32 v[14:15], v31 offset0:8 offset1:10
	v_add_co_u32 v8, vcc_lo, v8, s14
	s_wait_alu 0xfffd
	v_add_co_ci_u32_e64 v9, null, s15, v9, vcc_lo
	s_delay_alu instid0(VALU_DEP_2) | instskip(SKIP_1) | instid1(VALU_DEP_2)
	v_add_co_u32 v8, vcc_lo, v8, s44
	s_wait_alu 0xfffd
	v_add_co_ci_u32_e64 v9, null, s45, v9, vcc_lo
	s_delay_alu instid0(VALU_DEP_2) | instskip(SKIP_1) | instid1(VALU_DEP_2)
	v_add_co_u32 v8, vcc_lo, v8, v6
	s_wait_alu 0xfffd
	v_add_co_ci_u32_e64 v9, null, v9, v7, vcc_lo
	s_wait_dscnt 0x2
	v_add_f32_e32 v10, 0, v10
	s_delay_alu instid0(VALU_DEP_1) | instskip(SKIP_3) | instid1(VALU_DEP_1)
	v_add_f32_e32 v16, v10, v11
	ds_load_2addr_stride64_b32 v[10:11], v31 offset0:12 offset1:14
	s_wait_dscnt 0x2
	v_add_f32_e32 v12, v16, v12
	v_add_f32_e32 v16, v12, v13
	ds_load_2addr_stride64_b32 v[12:13], v31 offset0:16 offset1:18
	s_wait_dscnt 0x2
	v_add_f32_e32 v14, v16, v14
	s_delay_alu instid0(VALU_DEP_1) | instskip(SKIP_3) | instid1(VALU_DEP_1)
	v_add_f32_e32 v16, v14, v15
	ds_load_2addr_stride64_b32 v[14:15], v31 offset0:20 offset1:22
	s_wait_dscnt 0x2
	v_add_f32_e32 v10, v16, v10
	v_add_f32_e32 v10, v10, v11
	s_wait_dscnt 0x1
	s_delay_alu instid0(VALU_DEP_1) | instskip(SKIP_3) | instid1(VALU_DEP_1)
	v_add_f32_e32 v12, v10, v12
	ds_load_2addr_stride64_b32 v[10:11], v31 offset0:24 offset1:26
	v_add_f32_e32 v12, v12, v13
	s_wait_dscnt 0x1
	v_add_f32_e32 v14, v12, v14
	ds_load_2addr_stride64_b32 v[12:13], v31 offset0:28 offset1:30
	v_add_f32_e32 v14, v14, v15
	s_wait_dscnt 0x1
	s_delay_alu instid0(VALU_DEP_1) | instskip(NEXT) | instid1(VALU_DEP_1)
	v_add_f32_e32 v10, v14, v10
	v_add_f32_e32 v10, v10, v11
	s_wait_dscnt 0x0
	s_delay_alu instid0(VALU_DEP_1) | instskip(NEXT) | instid1(VALU_DEP_1)
	v_add_f32_e32 v10, v10, v12
	v_add_f32_e32 v10, v10, v13
	s_delay_alu instid0(VALU_DEP_1)
	v_mul_f32_e32 v10, s21, v10
	flat_atomic_add_f32 v[8:9], v10 scope:SCOPE_DEV
	s_branch .LBB199_2
.LBB199_15:
	s_nop 0
	s_sendmsg sendmsg(MSG_DEALLOC_VGPRS)
	s_endpgm
	.section	.rodata,"a",@progbits
	.p2align	6, 0x0
	.amdhsa_kernel _ZL36rocblas_gemvn_double_buffered_kernelILi128ELi8ELi8EPKffKPfEviiT3_lPKT2_lilS7_lilPT4_lili
		.amdhsa_group_segment_fixed_size 8192
		.amdhsa_private_segment_fixed_size 0
		.amdhsa_kernarg_size 384
		.amdhsa_user_sgpr_count 2
		.amdhsa_user_sgpr_dispatch_ptr 0
		.amdhsa_user_sgpr_queue_ptr 0
		.amdhsa_user_sgpr_kernarg_segment_ptr 1
		.amdhsa_user_sgpr_dispatch_id 0
		.amdhsa_user_sgpr_private_segment_size 0
		.amdhsa_wavefront_size32 1
		.amdhsa_uses_dynamic_stack 0
		.amdhsa_enable_private_segment 0
		.amdhsa_system_sgpr_workgroup_id_x 1
		.amdhsa_system_sgpr_workgroup_id_y 1
		.amdhsa_system_sgpr_workgroup_id_z 1
		.amdhsa_system_sgpr_workgroup_info 0
		.amdhsa_system_vgpr_workitem_id 1
		.amdhsa_next_free_vgpr 101
		.amdhsa_next_free_sgpr 52
		.amdhsa_reserve_vcc 1
		.amdhsa_float_round_mode_32 0
		.amdhsa_float_round_mode_16_64 0
		.amdhsa_float_denorm_mode_32 3
		.amdhsa_float_denorm_mode_16_64 3
		.amdhsa_fp16_overflow 0
		.amdhsa_workgroup_processor_mode 1
		.amdhsa_memory_ordered 1
		.amdhsa_forward_progress 1
		.amdhsa_inst_pref_size 27
		.amdhsa_round_robin_scheduling 0
		.amdhsa_exception_fp_ieee_invalid_op 0
		.amdhsa_exception_fp_denorm_src 0
		.amdhsa_exception_fp_ieee_div_zero 0
		.amdhsa_exception_fp_ieee_overflow 0
		.amdhsa_exception_fp_ieee_underflow 0
		.amdhsa_exception_fp_ieee_inexact 0
		.amdhsa_exception_int_div_zero 0
	.end_amdhsa_kernel
	.section	.text._ZL36rocblas_gemvn_double_buffered_kernelILi128ELi8ELi8EPKffKPfEviiT3_lPKT2_lilS7_lilPT4_lili,"axG",@progbits,_ZL36rocblas_gemvn_double_buffered_kernelILi128ELi8ELi8EPKffKPfEviiT3_lPKT2_lilS7_lilPT4_lili,comdat
.Lfunc_end199:
	.size	_ZL36rocblas_gemvn_double_buffered_kernelILi128ELi8ELi8EPKffKPfEviiT3_lPKT2_lilS7_lilPT4_lili, .Lfunc_end199-_ZL36rocblas_gemvn_double_buffered_kernelILi128ELi8ELi8EPKffKPfEviiT3_lPKT2_lilS7_lilPT4_lili
                                        ; -- End function
	.set _ZL36rocblas_gemvn_double_buffered_kernelILi128ELi8ELi8EPKffKPfEviiT3_lPKT2_lilS7_lilPT4_lili.num_vgpr, 101
	.set _ZL36rocblas_gemvn_double_buffered_kernelILi128ELi8ELi8EPKffKPfEviiT3_lPKT2_lilS7_lilPT4_lili.num_agpr, 0
	.set _ZL36rocblas_gemvn_double_buffered_kernelILi128ELi8ELi8EPKffKPfEviiT3_lPKT2_lilS7_lilPT4_lili.numbered_sgpr, 52
	.set _ZL36rocblas_gemvn_double_buffered_kernelILi128ELi8ELi8EPKffKPfEviiT3_lPKT2_lilS7_lilPT4_lili.num_named_barrier, 0
	.set _ZL36rocblas_gemvn_double_buffered_kernelILi128ELi8ELi8EPKffKPfEviiT3_lPKT2_lilS7_lilPT4_lili.private_seg_size, 0
	.set _ZL36rocblas_gemvn_double_buffered_kernelILi128ELi8ELi8EPKffKPfEviiT3_lPKT2_lilS7_lilPT4_lili.uses_vcc, 1
	.set _ZL36rocblas_gemvn_double_buffered_kernelILi128ELi8ELi8EPKffKPfEviiT3_lPKT2_lilS7_lilPT4_lili.uses_flat_scratch, 1
	.set _ZL36rocblas_gemvn_double_buffered_kernelILi128ELi8ELi8EPKffKPfEviiT3_lPKT2_lilS7_lilPT4_lili.has_dyn_sized_stack, 0
	.set _ZL36rocblas_gemvn_double_buffered_kernelILi128ELi8ELi8EPKffKPfEviiT3_lPKT2_lilS7_lilPT4_lili.has_recursion, 0
	.set _ZL36rocblas_gemvn_double_buffered_kernelILi128ELi8ELi8EPKffKPfEviiT3_lPKT2_lilS7_lilPT4_lili.has_indirect_call, 0
	.section	.AMDGPU.csdata,"",@progbits
; Kernel info:
; codeLenInByte = 3364
; TotalNumSgprs: 54
; NumVgprs: 101
; ScratchSize: 0
; MemoryBound: 0
; FloatMode: 240
; IeeeMode: 1
; LDSByteSize: 8192 bytes/workgroup (compile time only)
; SGPRBlocks: 0
; VGPRBlocks: 12
; NumSGPRsForWavesPerEU: 54
; NumVGPRsForWavesPerEU: 101
; Occupancy: 12
; WaveLimiterHint : 1
; COMPUTE_PGM_RSRC2:SCRATCH_EN: 0
; COMPUTE_PGM_RSRC2:USER_SGPR: 2
; COMPUTE_PGM_RSRC2:TRAP_HANDLER: 0
; COMPUTE_PGM_RSRC2:TGID_X_EN: 1
; COMPUTE_PGM_RSRC2:TGID_Y_EN: 1
; COMPUTE_PGM_RSRC2:TGID_Z_EN: 1
; COMPUTE_PGM_RSRC2:TIDIG_COMP_CNT: 1
	.section	.text._ZL20rocblas_gemvn_kernelILi32ELi16EiPKfS1_KPfEviiT3_lPKT2_lT1_lS7_lS8_lS4_lPT4_lS8_li,"axG",@progbits,_ZL20rocblas_gemvn_kernelILi32ELi16EiPKfS1_KPfEviiT3_lPKT2_lT1_lS7_lS8_lS4_lPT4_lS8_li,comdat
	.globl	_ZL20rocblas_gemvn_kernelILi32ELi16EiPKfS1_KPfEviiT3_lPKT2_lT1_lS7_lS8_lS4_lPT4_lS8_li ; -- Begin function _ZL20rocblas_gemvn_kernelILi32ELi16EiPKfS1_KPfEviiT3_lPKT2_lT1_lS7_lS8_lS4_lPT4_lS8_li
	.p2align	8
	.type	_ZL20rocblas_gemvn_kernelILi32ELi16EiPKfS1_KPfEviiT3_lPKT2_lT1_lS7_lS8_lS4_lPT4_lS8_li,@function
_ZL20rocblas_gemvn_kernelILi32ELi16EiPKfS1_KPfEviiT3_lPKT2_lT1_lS7_lS8_lS4_lPT4_lS8_li: ; @_ZL20rocblas_gemvn_kernelILi32ELi16EiPKfS1_KPfEviiT3_lPKT2_lT1_lS7_lS8_lS4_lPT4_lS8_li
; %bb.0:
	s_clause 0x1
	s_load_b64 s[2:3], s[0:1], 0x9c
	s_load_b32 s33, s[0:1], 0x88
	s_lshr_b32 s10, ttmp7, 16
	s_wait_kmcnt 0x0
	s_lshr_b32 s4, s2, 16
	s_and_b32 s2, s2, 0xffff
	s_and_b32 s3, s3, 0xffff
	s_mul_i32 s2, s4, s2
	s_delay_alu instid0(SALU_CYCLE_1) | instskip(NEXT) | instid1(SALU_CYCLE_1)
	s_mul_i32 s2, s2, s3
	s_cmp_lg_u32 s2, 0x200
	s_cselect_b32 s2, -1, 0
	s_cmp_ge_u32 s10, s33
	s_cselect_b32 s3, -1, 0
	s_delay_alu instid0(SALU_CYCLE_1) | instskip(NEXT) | instid1(SALU_CYCLE_1)
	s_or_b32 s2, s2, s3
	s_and_b32 vcc_lo, exec_lo, s2
	s_cbranch_vccnz .LBB200_56
; %bb.1:
	s_clause 0x2
	s_load_b32 s6, s[0:1], 0x78
	s_load_b64 s[8:9], s[0:1], 0x0
	s_load_b256 s[12:19], s[0:1], 0x8
	v_and_b32_e32 v9, 0x3ff, v0
	v_bfe_u32 v8, v0, 10, 10
	s_clause 0x3
	s_load_b32 s35, s[0:1], 0x28
	s_load_b128 s[28:31], s[0:1], 0x38
	s_load_b32 s34, s[0:1], 0x48
	s_load_b256 s[20:27], s[0:1], 0x58
	s_lshl_b32 s36, ttmp9, 7
	v_mov_b32_e32 v1, 0
	v_add_nc_u32_e32 v25, s36, v9
	v_lshl_add_u32 v5, v8, 5, v9
	v_lshlrev_b32_e32 v26, 2, v8
	v_lshlrev_b32_e32 v6, 2, v9
	s_mov_b32 s11, 0
	v_add_nc_u32_e32 v4, 32, v25
	v_add_nc_u32_e32 v0, s36, v5
	v_or_b32_e32 v11, s36, v5
	v_add_nc_u32_e32 v7, 64, v25
	v_add_nc_u32_e32 v10, 0x60, v25
	v_or_b32_e32 v12, 3, v26
	v_lshl_add_u32 v27, v8, 7, v6
	s_wait_kmcnt 0x0
	v_mad_co_u64_u32 v[2:3], null, s6, v0, 0
	s_ashr_i32 s3, s6, 31
	s_ashr_i32 s7, s9, 31
	v_cmp_gt_i32_e64 s1, s8, v4
	s_wait_alu 0xfffe
	s_lshr_b32 s7, s7, 26
	v_cmp_gt_i32_e64 s2, s8, v7
	v_mul_lo_u32 v7, s35, v26
	v_mad_co_u64_u32 v[3:4], null, s3, v0, v[3:4]
	v_mul_lo_u32 v4, s6, v11
	s_wait_alu 0xfffe
	s_add_co_i32 s37, s9, s7
	v_cmp_gt_i32_e64 s6, s8, v11
	v_mul_lo_u32 v11, v8, s35
	s_ashr_i32 s5, s8, 31
	s_mov_b32 s4, s8
	v_cmp_gt_i32_e64 s3, s8, v10
	s_wait_alu 0xfffe
	s_and_not1_b32 s37, s37, 63
	v_or_b32_e32 v10, 2, v26
	v_cmp_gt_i64_e32 vcc_lo, s[4:5], v[0:1]
	s_wait_alu 0xfffe
	s_sub_co_i32 s5, s9, s37
	v_mul_lo_u32 v13, v8, s34
	s_wait_alu 0xfffe
	s_cmp_gt_i32 s5, 0
	v_cmp_gt_u32_e64 s5, 0x80, v5
	v_ashrrev_i32_e32 v5, 31, v4
	v_lshl_add_u32 v0, v8, 9, v6
	v_add3_u32 v28, v7, s35, v9
	v_mad_co_u64_u32 v[6:7], null, s35, v10, v[9:10]
	v_mad_co_u64_u32 v[7:8], null, s35, v12, v[9:10]
	v_lshl_add_u32 v29, v11, 2, v9
	v_mad_co_u64_u32 v[8:9], null, s34, v26, s[34:35]
	v_mul_lo_u32 v30, s34, v10
	v_mul_lo_u32 v31, s34, v12
	v_lshlrev_b64_e32 v[9:10], 2, v[2:3]
	v_lshlrev_b64_e32 v[11:12], 2, v[4:5]
	v_cmp_gt_i32_e64 s0, s8, v25
	v_cmp_gt_i32_e64 s4, s37, v26
	v_lshlrev_b32_e32 v32, 2, v13
	s_cselect_b32 s38, -1, 0
	s_and_b32 s39, s5, vcc_lo
	s_lshl_b32 s40, s35, 6
	s_lshl_b32 s41, s34, 6
	s_lshl_b64 s[18:19], s[18:19], 2
	s_lshl_b64 s[30:31], s[30:31], 2
	;; [unrolled: 1-line block ×3, first 2 shown]
	s_branch .LBB200_4
.LBB200_2:                              ;   in Loop: Header=BB200_4 Depth=1
	s_wait_alu 0xfffe
	s_or_b32 exec_lo, exec_lo, s7
.LBB200_3:                              ;   in Loop: Header=BB200_4 Depth=1
	s_add_co_i32 s10, s10, 0x10000
	s_delay_alu instid0(SALU_CYCLE_1)
	s_cmp_lt_u32 s10, s33
	s_cbranch_scc0 .LBB200_56
.LBB200_4:                              ; =>This Loop Header: Depth=1
                                        ;     Child Loop BB200_24 Depth 2
	s_mul_u64 s[42:43], s[14:15], s[10:11]
	s_mul_u64 s[44:45], s[22:23], s[10:11]
	s_wait_alu 0xfffe
	s_lshl_b64 s[42:43], s[42:43], 2
	s_lshl_b64 s[44:45], s[44:45], 2
	s_wait_alu 0xfffe
	s_add_nc_u64 s[42:43], s[12:13], s[42:43]
	s_add_nc_u64 s[44:45], s[20:21], s[44:45]
	s_clause 0x1
	global_load_b32 v33, v1, s[42:43]
	global_load_b32 v13, v1, s[44:45]
	s_wait_loadcnt 0x1
	v_cmp_eq_f32_e64 s7, 0, v33
	s_wait_loadcnt 0x0
	v_cmp_eq_f32_e32 vcc_lo, 1.0, v13
	v_readfirstlane_b32 s42, v13
	s_and_b32 s8, s7, vcc_lo
	s_wait_alu 0xfffe
	s_and_b32 vcc_lo, exec_lo, s8
	s_wait_alu 0xfffe
	s_cbranch_vccnz .LBB200_3
; %bb.5:                                ;   in Loop: Header=BB200_4 Depth=1
	v_mov_b32_e32 v15, 0
	v_dual_mov_b32 v16, 0 :: v_dual_mov_b32 v13, 0
	v_cmp_neq_f32_e64 s8, 0, v33
	v_mov_b32_e32 v14, 0
	s_and_b32 vcc_lo, exec_lo, s7
	s_wait_alu 0xfffe
	s_cbranch_vccnz .LBB200_7
; %bb.6:                                ;   in Loop: Header=BB200_4 Depth=1
	s_lshl_b64 s[44:45], s[10:11], 3
	s_wait_alu 0xfffe
	s_add_nc_u64 s[44:45], s[16:17], s[44:45]
	global_load_b64 v[13:14], v1, s[44:45]
	s_wait_loadcnt 0x0
	v_add_co_u32 v13, vcc_lo, v13, s18
	s_wait_alu 0xfffd
	v_add_co_ci_u32_e64 v14, null, s19, v14, vcc_lo
.LBB200_7:                              ;   in Loop: Header=BB200_4 Depth=1
	s_and_not1_b32 vcc_lo, exec_lo, s8
	s_wait_alu 0xfffe
	s_cbranch_vccnz .LBB200_9
; %bb.8:                                ;   in Loop: Header=BB200_4 Depth=1
	s_lshl_b64 s[44:45], s[10:11], 3
	s_wait_alu 0xfffe
	s_add_nc_u64 s[44:45], s[28:29], s[44:45]
	global_load_b64 v[15:16], v1, s[44:45]
	s_wait_loadcnt 0x0
	v_add_co_u32 v15, vcc_lo, v15, s30
	s_wait_alu 0xfffd
	v_add_co_ci_u32_e64 v16, null, s31, v16, vcc_lo
.LBB200_9:                              ;   in Loop: Header=BB200_4 Depth=1
	s_lshl_b64 s[44:45], s[10:11], 3
	s_wait_alu 0xfffe
	s_add_nc_u64 s[44:45], s[24:25], s[44:45]
	global_load_b64 v[17:18], v1, s[44:45]
	s_wait_loadcnt 0x0
	v_add_co_u32 v34, vcc_lo, v17, s26
	s_wait_alu 0xfffd
	v_add_co_ci_u32_e64 v35, null, s27, v18, vcc_lo
	s_and_not1_b32 vcc_lo, exec_lo, s7
	s_wait_alu 0xfffe
	s_cbranch_vccnz .LBB200_13
; %bb.10:                               ;   in Loop: Header=BB200_4 Depth=1
	s_mov_b32 s7, 0
	s_mov_b32 s8, 0
                                        ; implicit-def: $vgpr17
	s_and_saveexec_b32 s43, s39
	s_cbranch_execz .LBB200_14
; %bb.11:                               ;   in Loop: Header=BB200_4 Depth=1
	s_cmp_eq_f32 s42, 0
	s_cbranch_scc1 .LBB200_16
; %bb.12:                               ;   in Loop: Header=BB200_4 Depth=1
	v_add_co_u32 v17, vcc_lo, v34, v9
	s_wait_alu 0xfffd
	v_add_co_ci_u32_e64 v18, null, v35, v10, vcc_lo
	flat_load_b32 v17, v[17:18]
	s_wait_loadcnt_dscnt 0x0
	v_mul_f32_e32 v17, s42, v17
	s_branch .LBB200_17
.LBB200_13:                             ;   in Loop: Header=BB200_4 Depth=1
	s_mov_b32 s8, 0
                                        ; implicit-def: $vgpr17
	s_cbranch_execz .LBB200_15
	s_branch .LBB200_18
.LBB200_14:                             ;   in Loop: Header=BB200_4 Depth=1
	s_wait_alu 0xfffe
	s_or_b32 exec_lo, exec_lo, s43
	s_delay_alu instid0(SALU_CYCLE_1)
	s_and_b32 vcc_lo, exec_lo, s7
	s_wait_alu 0xfffe
	s_cbranch_vccnz .LBB200_18
.LBB200_15:                             ;   in Loop: Header=BB200_4 Depth=1
	v_dual_mov_b32 v14, v3 :: v_dual_mov_b32 v13, v2
	s_wait_alu 0xfffe
	s_and_saveexec_b32 s7, s8
	s_cbranch_execz .LBB200_2
	s_branch .LBB200_55
.LBB200_16:                             ;   in Loop: Header=BB200_4 Depth=1
	v_mov_b32_e32 v17, 0
.LBB200_17:                             ;   in Loop: Header=BB200_4 Depth=1
	s_mov_b32 s8, exec_lo
	s_wait_alu 0xfffe
	s_or_b32 exec_lo, exec_lo, s43
	s_delay_alu instid0(SALU_CYCLE_1)
	s_and_b32 vcc_lo, exec_lo, s7
	s_wait_alu 0xfffe
	s_cbranch_vccz .LBB200_15
.LBB200_18:                             ;   in Loop: Header=BB200_4 Depth=1
	v_dual_mov_b32 v36, 0 :: v_dual_mov_b32 v37, 0
	v_dual_mov_b32 v40, v26 :: v_dual_mov_b32 v39, 0
	v_mov_b32_e32 v38, 0
	s_and_saveexec_b32 s7, s4
	s_cbranch_execz .LBB200_30
; %bb.19:                               ;   in Loop: Header=BB200_4 Depth=1
	v_dual_mov_b32 v36, 0 :: v_dual_mov_b32 v41, v29
	v_dual_mov_b32 v42, v7 :: v_dual_mov_b32 v43, v6
	;; [unrolled: 1-line block ×4, first 2 shown]
	v_mov_b32_e32 v38, 0
	s_mov_b32 s43, 0
	s_mov_b32 s44, 0
	s_branch .LBB200_24
.LBB200_20:                             ;   in Loop: Header=BB200_24 Depth=2
	s_or_b32 exec_lo, exec_lo, s48
	s_wait_loadcnt_dscnt 0x303
	v_fmac_f32_e32 v38, v48, v60
	s_wait_loadcnt_dscnt 0x202
	s_delay_alu instid0(VALU_DEP_1) | instskip(SKIP_1) | instid1(VALU_DEP_1)
	v_fmac_f32_e32 v38, v47, v59
	s_wait_loadcnt_dscnt 0x101
	v_fmac_f32_e32 v38, v46, v58
	s_wait_loadcnt_dscnt 0x0
	s_delay_alu instid0(VALU_DEP_1)
	v_fmac_f32_e32 v38, v45, v57
.LBB200_21:                             ;   in Loop: Header=BB200_24 Depth=2
	s_or_b32 exec_lo, exec_lo, s47
	s_wait_loadcnt_dscnt 0x303
	v_fmac_f32_e32 v37, v48, v56
	s_wait_loadcnt_dscnt 0x202
	s_delay_alu instid0(VALU_DEP_1) | instskip(SKIP_1) | instid1(VALU_DEP_1)
	v_fmac_f32_e32 v37, v47, v55
	s_wait_loadcnt_dscnt 0x101
	v_fmac_f32_e32 v37, v46, v54
	s_wait_loadcnt_dscnt 0x0
	s_delay_alu instid0(VALU_DEP_1)
	v_fmac_f32_e32 v37, v45, v53
.LBB200_22:                             ;   in Loop: Header=BB200_24 Depth=2
	s_or_b32 exec_lo, exec_lo, s46
	s_wait_loadcnt_dscnt 0x303
	v_fmac_f32_e32 v36, v48, v52
	s_wait_loadcnt_dscnt 0x202
	s_delay_alu instid0(VALU_DEP_1) | instskip(SKIP_1) | instid1(VALU_DEP_1)
	v_fmac_f32_e32 v36, v47, v50
	s_wait_loadcnt_dscnt 0x101
	v_fmac_f32_e32 v36, v46, v49
	s_wait_loadcnt_dscnt 0x0
	s_delay_alu instid0(VALU_DEP_1)
	v_fmac_f32_e32 v36, v45, v51
.LBB200_23:                             ;   in Loop: Header=BB200_24 Depth=2
	s_wait_alu 0xfffe
	s_or_b32 exec_lo, exec_lo, s45
	v_add_nc_u32_e32 v40, 64, v40
	v_add_nc_u32_e32 v44, s40, v44
	;; [unrolled: 1-line block ×5, first 2 shown]
	v_cmp_le_i32_e32 vcc_lo, s37, v40
	s_add_co_i32 s44, s44, s41
	s_or_b32 s43, vcc_lo, s43
	s_wait_alu 0xfffe
	s_and_not1_b32 exec_lo, exec_lo, s43
	s_cbranch_execz .LBB200_29
.LBB200_24:                             ;   Parent Loop BB200_4 Depth=1
                                        ; =>  This Inner Loop Header: Depth=2
	s_and_saveexec_b32 s45, s0
	s_cbranch_execz .LBB200_23
; %bb.25:                               ;   in Loop: Header=BB200_24 Depth=2
	s_wait_alu 0xfffe
	v_add_nc_u32_e32 v17, s44, v32
	v_add_nc_u32_e32 v19, s44, v8
	;; [unrolled: 1-line block ×5, first 2 shown]
	v_ashrrev_i32_e32 v18, 31, v17
	v_ashrrev_i32_e32 v20, 31, v19
	;; [unrolled: 1-line block ×5, first 2 shown]
	v_lshlrev_b64_e32 v[17:18], 2, v[17:18]
	v_lshlrev_b64_e32 v[19:20], 2, v[19:20]
	;; [unrolled: 1-line block ×3, first 2 shown]
	s_delay_alu instid0(VALU_DEP_3) | instskip(SKIP_1) | instid1(VALU_DEP_4)
	v_add_co_u32 v47, vcc_lo, v15, v17
	s_wait_alu 0xfffd
	v_add_co_ci_u32_e64 v48, null, v16, v18, vcc_lo
	s_delay_alu instid0(VALU_DEP_4)
	v_add_co_u32 v49, vcc_lo, v15, v19
	v_add_nc_u32_e32 v19, s36, v44
	s_wait_alu 0xfffd
	v_add_co_ci_u32_e64 v50, null, v16, v20, vcc_lo
	v_lshlrev_b64_e32 v[17:18], 2, v[23:24]
	v_add_co_u32 v51, vcc_lo, v15, v21
	v_add_nc_u32_e32 v23, s36, v43
	s_wait_alu 0xfffd
	v_add_co_ci_u32_e64 v52, null, v16, v22, vcc_lo
	v_lshlrev_b64_e32 v[21:22], 2, v[45:46]
	v_add_nc_u32_e32 v45, s36, v42
	v_ashrrev_i32_e32 v20, 31, v19
	v_ashrrev_i32_e32 v24, 31, v23
	v_add_co_u32 v53, vcc_lo, v15, v17
	s_delay_alu instid0(VALU_DEP_4)
	v_ashrrev_i32_e32 v46, 31, v45
	s_wait_alu 0xfffd
	v_add_co_ci_u32_e64 v54, null, v16, v18, vcc_lo
	v_lshlrev_b64_e32 v[19:20], 2, v[19:20]
	v_add_co_u32 v17, vcc_lo, v13, v21
	s_wait_alu 0xfffd
	v_add_co_ci_u32_e64 v18, null, v14, v22, vcc_lo
	v_lshlrev_b64_e32 v[21:22], 2, v[23:24]
	v_lshlrev_b64_e32 v[45:46], 2, v[45:46]
	v_add_co_u32 v19, vcc_lo, v13, v19
	s_wait_alu 0xfffd
	v_add_co_ci_u32_e64 v20, null, v14, v20, vcc_lo
	s_delay_alu instid0(VALU_DEP_4)
	v_add_co_u32 v23, vcc_lo, v13, v21
	s_wait_alu 0xfffd
	v_add_co_ci_u32_e64 v24, null, v14, v22, vcc_lo
	v_add_co_u32 v21, vcc_lo, v13, v45
	s_wait_alu 0xfffd
	v_add_co_ci_u32_e64 v22, null, v14, v46, vcc_lo
	s_clause 0x3
	flat_load_b32 v48, v[47:48]
	flat_load_b32 v47, v[49:50]
	;; [unrolled: 1-line block ×4, first 2 shown]
	s_clause 0x3
	flat_load_b32 v52, v[17:18]
	flat_load_b32 v50, v[19:20]
	;; [unrolled: 1-line block ×4, first 2 shown]
	s_and_saveexec_b32 s46, s1
	s_cbranch_execz .LBB200_22
; %bb.26:                               ;   in Loop: Header=BB200_24 Depth=2
	s_clause 0x3
	flat_load_b32 v56, v[17:18] offset:128
	flat_load_b32 v55, v[19:20] offset:128
	flat_load_b32 v54, v[23:24] offset:128
	flat_load_b32 v53, v[21:22] offset:128
	s_and_saveexec_b32 s47, s2
	s_cbranch_execz .LBB200_21
; %bb.27:                               ;   in Loop: Header=BB200_24 Depth=2
	s_clause 0x3
	flat_load_b32 v60, v[17:18] offset:256
	flat_load_b32 v59, v[19:20] offset:256
	flat_load_b32 v58, v[23:24] offset:256
	flat_load_b32 v57, v[21:22] offset:256
	;; [unrolled: 8-line block ×3, first 2 shown]
	s_wait_loadcnt_dscnt 0x303
	v_fmac_f32_e32 v39, v48, v17
	s_wait_loadcnt_dscnt 0x202
	s_delay_alu instid0(VALU_DEP_1) | instskip(SKIP_1) | instid1(VALU_DEP_1)
	v_fmac_f32_e32 v39, v47, v18
	s_wait_loadcnt_dscnt 0x101
	v_fmac_f32_e32 v39, v46, v19
	s_wait_loadcnt_dscnt 0x0
	s_delay_alu instid0(VALU_DEP_1)
	v_fmac_f32_e32 v39, v45, v20
	s_branch .LBB200_20
.LBB200_29:                             ;   in Loop: Header=BB200_4 Depth=1
	s_or_b32 exec_lo, exec_lo, s43
.LBB200_30:                             ;   in Loop: Header=BB200_4 Depth=1
	s_wait_alu 0xfffe
	s_or_b32 exec_lo, exec_lo, s7
	s_delay_alu instid0(SALU_CYCLE_1)
	s_and_not1_b32 vcc_lo, exec_lo, s38
	s_wait_alu 0xfffe
	s_cbranch_vccnz .LBB200_48
; %bb.31:                               ;   in Loop: Header=BB200_4 Depth=1
	v_cmp_gt_i32_e32 vcc_lo, s9, v40
	v_dual_mov_b32 v24, 0 :: v_dual_mov_b32 v23, 0
	v_or_b32_e32 v17, 1, v40
	v_dual_mov_b32 v22, 0 :: v_dual_mov_b32 v21, 0
	s_and_saveexec_b32 s43, vcc_lo
	s_cbranch_execz .LBB200_39
; %bb.32:                               ;   in Loop: Header=BB200_4 Depth=1
	v_mul_lo_u32 v18, v40, s34
	v_dual_mov_b32 v22, 0 :: v_dual_mov_b32 v23, 0
	v_mov_b32_e32 v24, 0
	s_mov_b32 s44, exec_lo
	s_delay_alu instid0(VALU_DEP_3) | instskip(NEXT) | instid1(VALU_DEP_1)
	v_ashrrev_i32_e32 v19, 31, v18
	v_lshlrev_b64_e32 v[18:19], 2, v[18:19]
	s_delay_alu instid0(VALU_DEP_1) | instskip(SKIP_1) | instid1(VALU_DEP_2)
	v_add_co_u32 v18, s7, v15, v18
	s_wait_alu 0xf1ff
	v_add_co_ci_u32_e64 v19, null, v16, v19, s7
	flat_load_b32 v21, v[18:19]
	v_cmpx_gt_i32_e64 s9, v17
	s_cbranch_execz .LBB200_38
; %bb.33:                               ;   in Loop: Header=BB200_4 Depth=1
	v_mul_lo_u32 v18, v17, s34
	v_dual_mov_b32 v23, 0 :: v_dual_mov_b32 v24, 0
	s_mov_b32 s45, exec_lo
	s_delay_alu instid0(VALU_DEP_2) | instskip(NEXT) | instid1(VALU_DEP_1)
	v_ashrrev_i32_e32 v19, 31, v18
	v_lshlrev_b64_e32 v[18:19], 2, v[18:19]
	s_delay_alu instid0(VALU_DEP_1) | instskip(SKIP_1) | instid1(VALU_DEP_2)
	v_add_co_u32 v18, s7, v15, v18
	s_wait_alu 0xf1ff
	v_add_co_ci_u32_e64 v19, null, v16, v19, s7
	flat_load_b32 v22, v[18:19]
	v_or_b32_e32 v18, 2, v40
	s_delay_alu instid0(VALU_DEP_1)
	v_cmpx_gt_i32_e64 s9, v18
	s_cbranch_execz .LBB200_37
; %bb.34:                               ;   in Loop: Header=BB200_4 Depth=1
	v_mul_lo_u32 v18, v18, s34
	v_mov_b32_e32 v24, 0
	s_mov_b32 s46, exec_lo
	s_delay_alu instid0(VALU_DEP_2) | instskip(NEXT) | instid1(VALU_DEP_1)
	v_ashrrev_i32_e32 v19, 31, v18
	v_lshlrev_b64_e32 v[18:19], 2, v[18:19]
	s_delay_alu instid0(VALU_DEP_1) | instskip(SKIP_1) | instid1(VALU_DEP_2)
	v_add_co_u32 v18, s7, v15, v18
	s_wait_alu 0xf1ff
	v_add_co_ci_u32_e64 v19, null, v16, v19, s7
	flat_load_b32 v23, v[18:19]
	v_or_b32_e32 v18, 3, v40
	s_delay_alu instid0(VALU_DEP_1)
	v_cmpx_gt_i32_e64 s9, v18
	s_cbranch_execz .LBB200_36
; %bb.35:                               ;   in Loop: Header=BB200_4 Depth=1
	v_mul_lo_u32 v18, v18, s34
	s_delay_alu instid0(VALU_DEP_1) | instskip(NEXT) | instid1(VALU_DEP_1)
	v_ashrrev_i32_e32 v19, 31, v18
	v_lshlrev_b64_e32 v[18:19], 2, v[18:19]
	s_delay_alu instid0(VALU_DEP_1) | instskip(SKIP_1) | instid1(VALU_DEP_2)
	v_add_co_u32 v15, s7, v15, v18
	s_wait_alu 0xf1ff
	v_add_co_ci_u32_e64 v16, null, v16, v19, s7
	flat_load_b32 v24, v[15:16]
.LBB200_36:                             ;   in Loop: Header=BB200_4 Depth=1
	s_or_b32 exec_lo, exec_lo, s46
.LBB200_37:                             ;   in Loop: Header=BB200_4 Depth=1
	s_wait_alu 0xfffe
	s_or_b32 exec_lo, exec_lo, s45
.LBB200_38:                             ;   in Loop: Header=BB200_4 Depth=1
	s_wait_alu 0xfffe
	s_or_b32 exec_lo, exec_lo, s44
.LBB200_39:                             ;   in Loop: Header=BB200_4 Depth=1
	s_wait_alu 0xfffe
	s_or_b32 exec_lo, exec_lo, s43
	s_and_saveexec_b32 s7, s0
	s_cbranch_execz .LBB200_47
; %bb.40:                               ;   in Loop: Header=BB200_4 Depth=1
	v_mul_lo_u32 v16, v40, s35
	v_or_b32_e32 v15, 2, v40
	v_mul_lo_u32 v19, v17, s35
	v_or_b32_e32 v18, 3, v40
	s_delay_alu instid0(VALU_DEP_3) | instskip(NEXT) | instid1(VALU_DEP_2)
	v_mul_lo_u32 v20, v15, s35
	v_mul_lo_u32 v40, v18, s35
	v_cndmask_b32_e32 v16, 0, v16, vcc_lo
	v_cmp_gt_i32_e32 vcc_lo, s9, v17
	s_wait_alu 0xfffd
	v_cndmask_b32_e32 v17, 0, v19, vcc_lo
	v_cmp_gt_i32_e32 vcc_lo, s9, v15
	v_add_nc_u32_e32 v15, v16, v25
	s_delay_alu instid0(VALU_DEP_3)
	v_add_nc_u32_e32 v17, v17, v25
	s_wait_alu 0xfffd
	v_cndmask_b32_e32 v19, 0, v20, vcc_lo
	v_cmp_gt_i32_e32 vcc_lo, s9, v18
	v_ashrrev_i32_e32 v16, 31, v15
	s_wait_alu 0xfffd
	v_cndmask_b32_e32 v18, 0, v40, vcc_lo
	s_delay_alu instid0(VALU_DEP_2) | instskip(NEXT) | instid1(VALU_DEP_2)
	v_lshlrev_b64_e32 v[15:16], 2, v[15:16]
	v_add_nc_u32_e32 v40, v18, v25
	v_add_nc_u32_e32 v19, v19, v25
	v_ashrrev_i32_e32 v18, 31, v17
	s_delay_alu instid0(VALU_DEP_3) | instskip(NEXT) | instid1(VALU_DEP_3)
	v_ashrrev_i32_e32 v41, 31, v40
	v_ashrrev_i32_e32 v20, 31, v19
	s_delay_alu instid0(VALU_DEP_3) | instskip(NEXT) | instid1(VALU_DEP_3)
	v_lshlrev_b64_e32 v[17:18], 2, v[17:18]
	v_lshlrev_b64_e32 v[40:41], 2, v[40:41]
	s_delay_alu instid0(VALU_DEP_3)
	v_lshlrev_b64_e32 v[42:43], 2, v[19:20]
	v_add_co_u32 v19, vcc_lo, v13, v15
	s_wait_alu 0xfffd
	v_add_co_ci_u32_e64 v20, null, v14, v16, vcc_lo
	v_add_co_u32 v17, vcc_lo, v13, v17
	s_wait_alu 0xfffd
	v_add_co_ci_u32_e64 v18, null, v14, v18, vcc_lo
	;; [unrolled: 3-line block ×4, first 2 shown]
	s_clause 0x3
	flat_load_b32 v43, v[19:20]
	flat_load_b32 v41, v[17:18]
	;; [unrolled: 1-line block ×4, first 2 shown]
	s_and_saveexec_b32 s43, s1
	s_cbranch_execz .LBB200_46
; %bb.41:                               ;   in Loop: Header=BB200_4 Depth=1
	s_clause 0x3
	flat_load_b32 v47, v[19:20] offset:128
	flat_load_b32 v46, v[17:18] offset:128
	flat_load_b32 v45, v[15:16] offset:128
	flat_load_b32 v44, v[13:14] offset:128
	s_and_saveexec_b32 s44, s2
	s_cbranch_execz .LBB200_45
; %bb.42:                               ;   in Loop: Header=BB200_4 Depth=1
	s_clause 0x3
	flat_load_b32 v51, v[19:20] offset:256
	flat_load_b32 v50, v[17:18] offset:256
	flat_load_b32 v49, v[15:16] offset:256
	flat_load_b32 v48, v[13:14] offset:256
	;; [unrolled: 8-line block ×3, first 2 shown]
	s_wait_loadcnt_dscnt 0x303
	v_fmac_f32_e32 v39, v21, v19
	s_wait_loadcnt_dscnt 0x202
	s_delay_alu instid0(VALU_DEP_1) | instskip(SKIP_1) | instid1(VALU_DEP_1)
	v_fmac_f32_e32 v39, v22, v17
	s_wait_loadcnt_dscnt 0x101
	v_fmac_f32_e32 v39, v23, v15
	s_wait_loadcnt_dscnt 0x0
	s_delay_alu instid0(VALU_DEP_1)
	v_fmac_f32_e32 v39, v24, v13
.LBB200_44:                             ;   in Loop: Header=BB200_4 Depth=1
	s_wait_alu 0xfffe
	s_or_b32 exec_lo, exec_lo, s45
	s_wait_loadcnt_dscnt 0x303
	v_fmac_f32_e32 v38, v21, v51
	s_wait_loadcnt_dscnt 0x202
	s_delay_alu instid0(VALU_DEP_1) | instskip(SKIP_1) | instid1(VALU_DEP_1)
	v_fmac_f32_e32 v38, v22, v50
	s_wait_loadcnt_dscnt 0x101
	v_fmac_f32_e32 v38, v23, v49
	s_wait_loadcnt_dscnt 0x0
	s_delay_alu instid0(VALU_DEP_1)
	v_fmac_f32_e32 v38, v24, v48
.LBB200_45:                             ;   in Loop: Header=BB200_4 Depth=1
	s_wait_alu 0xfffe
	s_or_b32 exec_lo, exec_lo, s44
	s_wait_loadcnt_dscnt 0x303
	v_fmac_f32_e32 v37, v21, v47
	s_wait_loadcnt_dscnt 0x202
	s_delay_alu instid0(VALU_DEP_1) | instskip(SKIP_1) | instid1(VALU_DEP_1)
	v_fmac_f32_e32 v37, v22, v46
	s_wait_loadcnt_dscnt 0x101
	v_fmac_f32_e32 v37, v23, v45
	s_wait_loadcnt_dscnt 0x0
	s_delay_alu instid0(VALU_DEP_1)
	v_fmac_f32_e32 v37, v24, v44
.LBB200_46:                             ;   in Loop: Header=BB200_4 Depth=1
	s_wait_alu 0xfffe
	s_or_b32 exec_lo, exec_lo, s43
	s_wait_loadcnt_dscnt 0x303
	v_fmac_f32_e32 v36, v21, v43
	s_wait_loadcnt_dscnt 0x202
	s_delay_alu instid0(VALU_DEP_1) | instskip(SKIP_1) | instid1(VALU_DEP_1)
	v_fmac_f32_e32 v36, v22, v41
	s_wait_loadcnt_dscnt 0x101
	v_fmac_f32_e32 v36, v23, v40
	s_wait_loadcnt_dscnt 0x0
	s_delay_alu instid0(VALU_DEP_1)
	v_fmac_f32_e32 v36, v24, v42
.LBB200_47:                             ;   in Loop: Header=BB200_4 Depth=1
	s_wait_alu 0xfffe
	s_or_b32 exec_lo, exec_lo, s7
.LBB200_48:                             ;   in Loop: Header=BB200_4 Depth=1
	ds_store_2addr_b32 v0, v36, v37 offset1:32
	ds_store_2addr_b32 v0, v38, v39 offset0:64 offset1:96
	s_wait_loadcnt_dscnt 0x0
	s_barrier_signal -1
	s_barrier_wait -1
	global_inv scope:SCOPE_SE
                                        ; implicit-def: $vgpr17
	s_and_saveexec_b32 s7, s5
	s_cbranch_execz .LBB200_54
; %bb.49:                               ;   in Loop: Header=BB200_4 Depth=1
	ds_load_2addr_stride64_b32 v[13:14], v27 offset1:2
	ds_load_2addr_stride64_b32 v[15:16], v27 offset0:4 offset1:6
	ds_load_2addr_stride64_b32 v[17:18], v27 offset0:8 offset1:10
	s_mov_b32 s44, s8
	s_wait_dscnt 0x2
	v_add_f32_e32 v19, v13, v14
	ds_load_2addr_stride64_b32 v[13:14], v27 offset0:12 offset1:14
	s_wait_dscnt 0x2
	v_add_f32_e32 v15, v15, v19
	s_delay_alu instid0(VALU_DEP_1) | instskip(SKIP_3) | instid1(VALU_DEP_1)
	v_add_f32_e32 v19, v16, v15
	ds_load_2addr_stride64_b32 v[15:16], v27 offset0:16 offset1:18
	s_wait_dscnt 0x2
	v_add_f32_e32 v17, v17, v19
	v_add_f32_e32 v19, v18, v17
	ds_load_2addr_stride64_b32 v[17:18], v27 offset0:20 offset1:22
	s_wait_dscnt 0x2
	v_add_f32_e32 v13, v13, v19
	s_delay_alu instid0(VALU_DEP_1) | instskip(SKIP_1) | instid1(VALU_DEP_1)
	v_add_f32_e32 v13, v14, v13
	s_wait_dscnt 0x1
	v_add_f32_e32 v15, v15, v13
	ds_load_2addr_stride64_b32 v[13:14], v27 offset0:24 offset1:26
	v_add_f32_e32 v15, v16, v15
	s_wait_dscnt 0x1
	s_delay_alu instid0(VALU_DEP_1) | instskip(SKIP_3) | instid1(VALU_DEP_1)
	v_add_f32_e32 v17, v17, v15
	ds_load_2addr_stride64_b32 v[15:16], v27 offset0:28 offset1:30
	v_add_f32_e32 v17, v18, v17
	s_wait_dscnt 0x1
	v_add_f32_e32 v13, v13, v17
                                        ; implicit-def: $vgpr17
	s_delay_alu instid0(VALU_DEP_1) | instskip(SKIP_1) | instid1(VALU_DEP_1)
	v_add_f32_e32 v13, v14, v13
	s_wait_dscnt 0x0
	v_add_f32_e32 v13, v15, v13
	s_delay_alu instid0(VALU_DEP_1)
	v_add_f32_e32 v13, v16, v13
	ds_store_b32 v27, v13
	s_and_saveexec_b32 s43, s6
	s_cbranch_execz .LBB200_53
; %bb.50:                               ;   in Loop: Header=BB200_4 Depth=1
	v_mul_f32_e32 v17, v33, v13
	s_cmp_eq_f32 s42, 0
	s_cbranch_scc1 .LBB200_52
; %bb.51:                               ;   in Loop: Header=BB200_4 Depth=1
	v_add_co_u32 v13, vcc_lo, v34, v11
	s_wait_alu 0xfffd
	v_add_co_ci_u32_e64 v14, null, v35, v12, vcc_lo
	flat_load_b32 v13, v[13:14]
	s_wait_loadcnt_dscnt 0x0
	v_fmac_f32_e32 v17, s42, v13
.LBB200_52:                             ;   in Loop: Header=BB200_4 Depth=1
	s_or_b32 s44, s8, exec_lo
.LBB200_53:                             ;   in Loop: Header=BB200_4 Depth=1
	s_wait_alu 0xfffe
	s_or_b32 exec_lo, exec_lo, s43
	s_delay_alu instid0(SALU_CYCLE_1)
	s_and_not1_b32 s8, s8, exec_lo
	s_and_b32 s42, s44, exec_lo
	s_wait_alu 0xfffe
	s_or_b32 s8, s8, s42
.LBB200_54:                             ;   in Loop: Header=BB200_4 Depth=1
	s_wait_alu 0xfffe
	s_or_b32 exec_lo, exec_lo, s7
	v_dual_mov_b32 v14, v5 :: v_dual_mov_b32 v13, v4
	s_and_saveexec_b32 s7, s8
	s_cbranch_execz .LBB200_2
.LBB200_55:                             ;   in Loop: Header=BB200_4 Depth=1
	s_delay_alu instid0(VALU_DEP_1) | instskip(NEXT) | instid1(VALU_DEP_1)
	v_lshlrev_b64_e32 v[13:14], 2, v[13:14]
	v_add_co_u32 v13, vcc_lo, v34, v13
	s_wait_alu 0xfffd
	s_delay_alu instid0(VALU_DEP_2)
	v_add_co_ci_u32_e64 v14, null, v35, v14, vcc_lo
	flat_store_b32 v[13:14], v17
	s_branch .LBB200_2
.LBB200_56:
	s_endpgm
	.section	.rodata,"a",@progbits
	.p2align	6, 0x0
	.amdhsa_kernel _ZL20rocblas_gemvn_kernelILi32ELi16EiPKfS1_KPfEviiT3_lPKT2_lT1_lS7_lS8_lS4_lPT4_lS8_li
		.amdhsa_group_segment_fixed_size 8192
		.amdhsa_private_segment_fixed_size 0
		.amdhsa_kernarg_size 400
		.amdhsa_user_sgpr_count 2
		.amdhsa_user_sgpr_dispatch_ptr 0
		.amdhsa_user_sgpr_queue_ptr 0
		.amdhsa_user_sgpr_kernarg_segment_ptr 1
		.amdhsa_user_sgpr_dispatch_id 0
		.amdhsa_user_sgpr_private_segment_size 0
		.amdhsa_wavefront_size32 1
		.amdhsa_uses_dynamic_stack 0
		.amdhsa_enable_private_segment 0
		.amdhsa_system_sgpr_workgroup_id_x 1
		.amdhsa_system_sgpr_workgroup_id_y 0
		.amdhsa_system_sgpr_workgroup_id_z 1
		.amdhsa_system_sgpr_workgroup_info 0
		.amdhsa_system_vgpr_workitem_id 1
		.amdhsa_next_free_vgpr 61
		.amdhsa_next_free_sgpr 49
		.amdhsa_reserve_vcc 1
		.amdhsa_float_round_mode_32 0
		.amdhsa_float_round_mode_16_64 0
		.amdhsa_float_denorm_mode_32 3
		.amdhsa_float_denorm_mode_16_64 3
		.amdhsa_fp16_overflow 0
		.amdhsa_workgroup_processor_mode 1
		.amdhsa_memory_ordered 1
		.amdhsa_forward_progress 1
		.amdhsa_inst_pref_size 27
		.amdhsa_round_robin_scheduling 0
		.amdhsa_exception_fp_ieee_invalid_op 0
		.amdhsa_exception_fp_denorm_src 0
		.amdhsa_exception_fp_ieee_div_zero 0
		.amdhsa_exception_fp_ieee_overflow 0
		.amdhsa_exception_fp_ieee_underflow 0
		.amdhsa_exception_fp_ieee_inexact 0
		.amdhsa_exception_int_div_zero 0
	.end_amdhsa_kernel
	.section	.text._ZL20rocblas_gemvn_kernelILi32ELi16EiPKfS1_KPfEviiT3_lPKT2_lT1_lS7_lS8_lS4_lPT4_lS8_li,"axG",@progbits,_ZL20rocblas_gemvn_kernelILi32ELi16EiPKfS1_KPfEviiT3_lPKT2_lT1_lS7_lS8_lS4_lPT4_lS8_li,comdat
.Lfunc_end200:
	.size	_ZL20rocblas_gemvn_kernelILi32ELi16EiPKfS1_KPfEviiT3_lPKT2_lT1_lS7_lS8_lS4_lPT4_lS8_li, .Lfunc_end200-_ZL20rocblas_gemvn_kernelILi32ELi16EiPKfS1_KPfEviiT3_lPKT2_lT1_lS7_lS8_lS4_lPT4_lS8_li
                                        ; -- End function
	.set _ZL20rocblas_gemvn_kernelILi32ELi16EiPKfS1_KPfEviiT3_lPKT2_lT1_lS7_lS8_lS4_lPT4_lS8_li.num_vgpr, 61
	.set _ZL20rocblas_gemvn_kernelILi32ELi16EiPKfS1_KPfEviiT3_lPKT2_lT1_lS7_lS8_lS4_lPT4_lS8_li.num_agpr, 0
	.set _ZL20rocblas_gemvn_kernelILi32ELi16EiPKfS1_KPfEviiT3_lPKT2_lT1_lS7_lS8_lS4_lPT4_lS8_li.numbered_sgpr, 49
	.set _ZL20rocblas_gemvn_kernelILi32ELi16EiPKfS1_KPfEviiT3_lPKT2_lT1_lS7_lS8_lS4_lPT4_lS8_li.num_named_barrier, 0
	.set _ZL20rocblas_gemvn_kernelILi32ELi16EiPKfS1_KPfEviiT3_lPKT2_lT1_lS7_lS8_lS4_lPT4_lS8_li.private_seg_size, 0
	.set _ZL20rocblas_gemvn_kernelILi32ELi16EiPKfS1_KPfEviiT3_lPKT2_lT1_lS7_lS8_lS4_lPT4_lS8_li.uses_vcc, 1
	.set _ZL20rocblas_gemvn_kernelILi32ELi16EiPKfS1_KPfEviiT3_lPKT2_lT1_lS7_lS8_lS4_lPT4_lS8_li.uses_flat_scratch, 1
	.set _ZL20rocblas_gemvn_kernelILi32ELi16EiPKfS1_KPfEviiT3_lPKT2_lT1_lS7_lS8_lS4_lPT4_lS8_li.has_dyn_sized_stack, 0
	.set _ZL20rocblas_gemvn_kernelILi32ELi16EiPKfS1_KPfEviiT3_lPKT2_lT1_lS7_lS8_lS4_lPT4_lS8_li.has_recursion, 0
	.set _ZL20rocblas_gemvn_kernelILi32ELi16EiPKfS1_KPfEviiT3_lPKT2_lT1_lS7_lS8_lS4_lPT4_lS8_li.has_indirect_call, 0
	.section	.AMDGPU.csdata,"",@progbits
; Kernel info:
; codeLenInByte = 3368
; TotalNumSgprs: 51
; NumVgprs: 61
; ScratchSize: 0
; MemoryBound: 0
; FloatMode: 240
; IeeeMode: 1
; LDSByteSize: 8192 bytes/workgroup (compile time only)
; SGPRBlocks: 0
; VGPRBlocks: 7
; NumSGPRsForWavesPerEU: 51
; NumVGPRsForWavesPerEU: 61
; Occupancy: 16
; WaveLimiterHint : 1
; COMPUTE_PGM_RSRC2:SCRATCH_EN: 0
; COMPUTE_PGM_RSRC2:USER_SGPR: 2
; COMPUTE_PGM_RSRC2:TRAP_HANDLER: 0
; COMPUTE_PGM_RSRC2:TGID_X_EN: 1
; COMPUTE_PGM_RSRC2:TGID_Y_EN: 0
; COMPUTE_PGM_RSRC2:TGID_Z_EN: 1
; COMPUTE_PGM_RSRC2:TIDIG_COMP_CNT: 1
	.section	.text._ZL20rocblas_gemvn_kernelILi32ELi16ElPKfS1_KPfEviiT3_lPKT2_lT1_lS7_lS8_lS4_lPT4_lS8_li,"axG",@progbits,_ZL20rocblas_gemvn_kernelILi32ELi16ElPKfS1_KPfEviiT3_lPKT2_lT1_lS7_lS8_lS4_lPT4_lS8_li,comdat
	.globl	_ZL20rocblas_gemvn_kernelILi32ELi16ElPKfS1_KPfEviiT3_lPKT2_lT1_lS7_lS8_lS4_lPT4_lS8_li ; -- Begin function _ZL20rocblas_gemvn_kernelILi32ELi16ElPKfS1_KPfEviiT3_lPKT2_lT1_lS7_lS8_lS4_lPT4_lS8_li
	.p2align	8
	.type	_ZL20rocblas_gemvn_kernelILi32ELi16ElPKfS1_KPfEviiT3_lPKT2_lT1_lS7_lS8_lS4_lPT4_lS8_li,@function
_ZL20rocblas_gemvn_kernelILi32ELi16ElPKfS1_KPfEviiT3_lPKT2_lT1_lS7_lS8_lS4_lPT4_lS8_li: ; @_ZL20rocblas_gemvn_kernelILi32ELi16ElPKfS1_KPfEviiT3_lPKT2_lT1_lS7_lS8_lS4_lPT4_lS8_li
; %bb.0:
	s_clause 0x1
	s_load_b64 s[2:3], s[0:1], 0x9c
	s_load_b32 s33, s[0:1], 0x88
	s_lshr_b32 s10, ttmp7, 16
	s_wait_kmcnt 0x0
	s_lshr_b32 s4, s2, 16
	s_and_b32 s2, s2, 0xffff
	s_and_b32 s3, s3, 0xffff
	s_mul_i32 s2, s4, s2
	s_delay_alu instid0(SALU_CYCLE_1) | instskip(NEXT) | instid1(SALU_CYCLE_1)
	s_mul_i32 s2, s2, s3
	s_cmp_lg_u32 s2, 0x200
	s_cselect_b32 s2, -1, 0
	s_cmp_ge_u32 s10, s33
	s_cselect_b32 s3, -1, 0
	s_delay_alu instid0(SALU_CYCLE_1) | instskip(NEXT) | instid1(SALU_CYCLE_1)
	s_or_b32 s2, s2, s3
	s_and_b32 vcc_lo, exec_lo, s2
	s_cbranch_vccnz .LBB201_56
; %bb.1:
	s_clause 0x6
	s_load_b64 s[6:7], s[0:1], 0x78
	s_load_b64 s[8:9], s[0:1], 0x0
	s_load_b256 s[12:19], s[0:1], 0x8
	s_load_b64 s[34:35], s[0:1], 0x28
	s_load_b128 s[28:31], s[0:1], 0x38
	s_load_b64 s[36:37], s[0:1], 0x48
	s_load_b256 s[20:27], s[0:1], 0x58
	v_dual_mov_b32 v1, 0 :: v_dual_and_b32 v2, 0x3ff, v0
	s_lshl_b32 s38, ttmp9, 7
	v_bfe_u32 v26, v0, 10, 10
	s_mov_b32 s11, 0
	s_delay_alu instid0(VALU_DEP_2) | instskip(SKIP_1) | instid1(VALU_DEP_3)
	v_add_nc_u32_e32 v8, s38, v2
	v_lshlrev_b32_e32 v16, 2, v2
	v_lshlrev_b32_e32 v40, 2, v26
	v_lshl_add_u32 v5, v26, 5, v2
	s_delay_alu instid0(VALU_DEP_4)
	v_add_nc_u32_e32 v6, 64, v8
	v_add_nc_u32_e32 v7, 0x60, v8
	v_lshl_add_u32 v41, v26, 7, v16
	v_or_b32_e32 v19, 3, v40
	v_add_nc_u32_e32 v0, s38, v5
	v_or_b32_e32 v17, s38, v5
	s_wait_kmcnt 0x0
	s_ashr_i32 s2, s9, 31
	v_mad_co_u64_u32 v[10:11], null, s34, v19, 0
	s_lshr_b32 s3, s2, 26
	v_cmp_gt_i32_e64 s2, s8, v6
	s_add_co_i32 s42, s9, s3
	v_cmp_gt_i32_e64 s3, s8, v7
	v_mad_co_u64_u32 v[6:7], null, s36, v26, 0
	v_mad_co_u64_u32 v[12:13], null, s36, v19, 0
	;; [unrolled: 1-line block ×3, first 2 shown]
	s_ashr_i32 s5, s8, 31
	s_mov_b32 s4, s8
	v_mad_co_u64_u32 v[14:15], null, s37, v26, v[7:8]
	s_and_not1_b32 s42, s42, 63
	v_cmp_gt_i64_e32 vcc_lo, s[4:5], v[0:1]
	s_sub_co_i32 s39, s9, s42
	v_cmp_gt_u32_e64 s5, 0x80, v5
	v_mul_lo_u32 v18, s7, v17
	s_wait_alu 0xfffe
	s_cmp_gt_i32 s39, 0
	v_mov_b32_e32 v7, v14
	v_mad_co_u64_u32 v[14:15], null, s35, v19, v[11:12]
	s_cselect_b32 s43, -1, 0
	s_ashr_i32 s38, s38, 31
	v_ashrrev_i32_e32 v9, 31, v8
	v_cmp_gt_i32_e64 s0, s8, v8
	v_lshlrev_b64_e32 v[6:7], 4, v[6:7]
	s_and_b32 s44, s5, vcc_lo
	v_mov_b32_e32 v11, v14
	v_mad_co_u64_u32 v[22:23], null, s36, v40, s[36:37]
	v_add_nc_u32_e32 v4, 32, v8
	v_or_b32_e32 v29, 2, v40
	v_mad_co_u64_u32 v[24:25], null, s34, v40, s[34:35]
	v_lshlrev_b64_e32 v[8:9], 2, v[8:9]
	s_delay_alu instid0(VALU_DEP_4)
	v_cmp_gt_i32_e64 s1, s8, v4
	v_mad_co_u64_u32 v[3:4], null, s7, v0, v[3:4]
	v_mad_co_u64_u32 v[4:5], null, s6, v17, 0
	s_wait_alu 0xfffe
	s_mul_i32 s7, s6, s38
	v_lshl_add_u32 v0, v26, 9, v16
	v_mad_co_u64_u32 v[15:16], null, s37, v19, v[13:14]
	v_cmp_gt_i32_e64 s6, s8, v17
	v_mad_co_u64_u32 v[16:17], null, s34, v26, 0
	s_wait_alu 0xfffe
	v_add3_u32 v5, v5, s7, v18
	v_mad_co_u64_u32 v[18:19], null, s34, v29, 0
	v_mad_co_u64_u32 v[20:21], null, s36, v29, 0
	s_delay_alu instid0(VALU_DEP_4) | instskip(SKIP_3) | instid1(VALU_DEP_4)
	v_dual_mov_b32 v13, v15 :: v_dual_mov_b32 v14, v17
	v_mov_b32_e32 v17, v25
	v_lshlrev_b64_e32 v[10:11], 2, v[10:11]
	v_mov_b32_e32 v15, v19
	v_lshlrev_b64_e32 v[12:13], 2, v[12:13]
	v_cmp_gt_i32_e64 s4, s42, v40
	s_lshl_b64 s[38:39], s[36:37], 8
	s_lshl_b64 s[40:41], s[34:35], 8
	v_mad_co_u64_u32 v[26:27], null, s35, v26, v[14:15]
	v_mov_b32_e32 v14, v21
	v_mad_co_u64_u32 v[27:28], null, s35, v29, v[15:16]
	v_mov_b32_e32 v15, v23
	s_lshl_b64 s[18:19], s[18:19], 2
	s_lshl_b64 s[30:31], s[30:31], 2
	;; [unrolled: 1-line block ×3, first 2 shown]
	s_delay_alu instid0(VALU_DEP_1)
	v_mad_co_u64_u32 v[28:29], null, s37, v29, v[14:15]
	v_mad_co_u64_u32 v[14:15], null, s37, v40, v[15:16]
	;; [unrolled: 1-line block ×3, first 2 shown]
	v_mov_b32_e32 v17, v26
	v_mov_b32_e32 v19, v27
	;; [unrolled: 1-line block ×4, first 2 shown]
	s_delay_alu instid0(VALU_DEP_4) | instskip(SKIP_4) | instid1(VALU_DEP_4)
	v_lshlrev_b64_e32 v[14:15], 4, v[16:17]
	v_mov_b32_e32 v25, v29
	v_lshlrev_b64_e32 v[16:17], 2, v[18:19]
	v_lshlrev_b64_e32 v[18:19], 2, v[20:21]
	;; [unrolled: 1-line block ×5, first 2 shown]
	s_branch .LBB201_4
.LBB201_2:                              ;   in Loop: Header=BB201_4 Depth=1
	s_wait_alu 0xfffe
	s_or_b32 exec_lo, exec_lo, s7
.LBB201_3:                              ;   in Loop: Header=BB201_4 Depth=1
	s_add_co_i32 s10, s10, 0x10000
	s_delay_alu instid0(SALU_CYCLE_1)
	s_cmp_lt_u32 s10, s33
	s_cbranch_scc0 .LBB201_56
.LBB201_4:                              ; =>This Loop Header: Depth=1
                                        ;     Child Loop BB201_24 Depth 2
	s_mul_u64 s[46:47], s[14:15], s[10:11]
	s_mul_u64 s[48:49], s[22:23], s[10:11]
	s_lshl_b64 s[46:47], s[46:47], 2
	s_lshl_b64 s[48:49], s[48:49], 2
	s_add_nc_u64 s[46:47], s[12:13], s[46:47]
	s_add_nc_u64 s[48:49], s[20:21], s[48:49]
	s_clause 0x1
	global_load_b32 v42, v1, s[46:47]
	global_load_b32 v26, v1, s[48:49]
	s_wait_loadcnt 0x1
	v_cmp_eq_f32_e64 s7, 0, v42
	s_wait_loadcnt 0x0
	v_cmp_eq_f32_e32 vcc_lo, 1.0, v26
	v_readfirstlane_b32 s45, v26
	s_and_b32 s8, s7, vcc_lo
	s_wait_alu 0xfffe
	s_and_b32 vcc_lo, exec_lo, s8
	s_wait_alu 0xfffe
	s_cbranch_vccnz .LBB201_3
; %bb.5:                                ;   in Loop: Header=BB201_4 Depth=1
	v_mov_b32_e32 v28, 0
	v_dual_mov_b32 v29, 0 :: v_dual_mov_b32 v26, 0
	v_cmp_neq_f32_e64 s8, 0, v42
	v_mov_b32_e32 v27, 0
	s_and_b32 vcc_lo, exec_lo, s7
	s_wait_alu 0xfffe
	s_cbranch_vccnz .LBB201_7
; %bb.6:                                ;   in Loop: Header=BB201_4 Depth=1
	s_lshl_b64 s[46:47], s[10:11], 3
	s_delay_alu instid0(SALU_CYCLE_1)
	s_add_nc_u64 s[46:47], s[16:17], s[46:47]
	global_load_b64 v[26:27], v1, s[46:47]
	s_wait_loadcnt 0x0
	v_add_co_u32 v26, vcc_lo, v26, s18
	s_wait_alu 0xfffd
	v_add_co_ci_u32_e64 v27, null, s19, v27, vcc_lo
.LBB201_7:                              ;   in Loop: Header=BB201_4 Depth=1
	s_and_not1_b32 vcc_lo, exec_lo, s8
	s_wait_alu 0xfffe
	s_cbranch_vccnz .LBB201_9
; %bb.8:                                ;   in Loop: Header=BB201_4 Depth=1
	s_lshl_b64 s[46:47], s[10:11], 3
	s_delay_alu instid0(SALU_CYCLE_1)
	s_add_nc_u64 s[46:47], s[28:29], s[46:47]
	global_load_b64 v[28:29], v1, s[46:47]
	s_wait_loadcnt 0x0
	v_add_co_u32 v28, vcc_lo, v28, s30
	s_wait_alu 0xfffd
	v_add_co_ci_u32_e64 v29, null, s31, v29, vcc_lo
.LBB201_9:                              ;   in Loop: Header=BB201_4 Depth=1
	s_lshl_b64 s[46:47], s[10:11], 3
	s_delay_alu instid0(SALU_CYCLE_1)
	s_add_nc_u64 s[46:47], s[24:25], s[46:47]
	global_load_b64 v[30:31], v1, s[46:47]
	s_wait_loadcnt 0x0
	v_add_co_u32 v43, vcc_lo, v30, s26
	s_wait_alu 0xfffd
	v_add_co_ci_u32_e64 v44, null, s27, v31, vcc_lo
	s_and_not1_b32 vcc_lo, exec_lo, s7
	s_wait_alu 0xfffe
	s_cbranch_vccnz .LBB201_13
; %bb.10:                               ;   in Loop: Header=BB201_4 Depth=1
	s_mov_b32 s7, 0
	s_mov_b32 s8, 0
                                        ; implicit-def: $vgpr30
	s_and_saveexec_b32 s46, s44
	s_cbranch_execz .LBB201_14
; %bb.11:                               ;   in Loop: Header=BB201_4 Depth=1
	s_cmp_eq_f32 s45, 0
	s_cbranch_scc1 .LBB201_16
; %bb.12:                               ;   in Loop: Header=BB201_4 Depth=1
	v_add_co_u32 v30, vcc_lo, v43, v24
	s_wait_alu 0xfffd
	v_add_co_ci_u32_e64 v31, null, v44, v25, vcc_lo
	flat_load_b32 v30, v[30:31]
	s_wait_loadcnt_dscnt 0x0
	v_mul_f32_e32 v30, s45, v30
	s_branch .LBB201_17
.LBB201_13:                             ;   in Loop: Header=BB201_4 Depth=1
	s_mov_b32 s8, 0
                                        ; implicit-def: $vgpr30
	s_cbranch_execz .LBB201_15
	s_branch .LBB201_18
.LBB201_14:                             ;   in Loop: Header=BB201_4 Depth=1
	s_or_b32 exec_lo, exec_lo, s46
	s_wait_alu 0xfffe
	s_and_b32 vcc_lo, exec_lo, s7
	s_wait_alu 0xfffe
	s_cbranch_vccnz .LBB201_18
.LBB201_15:                             ;   in Loop: Header=BB201_4 Depth=1
	v_dual_mov_b32 v27, v3 :: v_dual_mov_b32 v26, v2
	s_wait_alu 0xfffe
	s_and_saveexec_b32 s7, s8
	s_cbranch_execz .LBB201_2
	s_branch .LBB201_55
.LBB201_16:                             ;   in Loop: Header=BB201_4 Depth=1
	v_mov_b32_e32 v30, 0
.LBB201_17:                             ;   in Loop: Header=BB201_4 Depth=1
	s_mov_b32 s8, exec_lo
	s_or_b32 exec_lo, exec_lo, s46
	s_wait_alu 0xfffe
	s_and_b32 vcc_lo, exec_lo, s7
	s_wait_alu 0xfffe
	s_cbranch_vccz .LBB201_15
.LBB201_18:                             ;   in Loop: Header=BB201_4 Depth=1
	v_dual_mov_b32 v45, 0 :: v_dual_mov_b32 v46, 0
	v_dual_mov_b32 v49, v40 :: v_dual_mov_b32 v48, 0
	v_mov_b32_e32 v47, 0
	s_and_saveexec_b32 s46, s4
	s_cbranch_execz .LBB201_30
; %bb.19:                               ;   in Loop: Header=BB201_4 Depth=1
	v_add_co_u32 v50, vcc_lo, v26, v10
	s_wait_alu 0xfffd
	v_add_co_ci_u32_e64 v51, null, v27, v11, vcc_lo
	v_add_co_u32 v52, vcc_lo, v26, v14
	s_wait_alu 0xfffd
	v_add_co_ci_u32_e64 v53, null, v27, v15, vcc_lo
	;; [unrolled: 3-line block ×3, first 2 shown]
	v_add_co_u32 v56, vcc_lo, v26, v22
	v_dual_mov_b32 v31, v29 :: v_dual_mov_b32 v46, 0
	s_wait_alu 0xfffd
	v_add_co_ci_u32_e64 v57, null, v27, v23, vcc_lo
	v_dual_mov_b32 v45, 0 :: v_dual_mov_b32 v30, v28
	v_dual_mov_b32 v49, v40 :: v_dual_mov_b32 v48, 0
	v_mov_b32_e32 v47, 0
	s_mov_b32 s47, 0
	s_branch .LBB201_24
.LBB201_20:                             ;   in Loop: Header=BB201_24 Depth=2
	s_or_b32 exec_lo, exec_lo, s50
	s_wait_loadcnt_dscnt 0x303
	v_fmac_f32_e32 v47, v61, v73
	s_wait_loadcnt_dscnt 0x202
	s_delay_alu instid0(VALU_DEP_1) | instskip(SKIP_1) | instid1(VALU_DEP_1)
	v_fmac_f32_e32 v47, v60, v72
	s_wait_loadcnt_dscnt 0x101
	v_fmac_f32_e32 v47, v59, v71
	s_wait_loadcnt_dscnt 0x0
	s_delay_alu instid0(VALU_DEP_1)
	v_fmac_f32_e32 v47, v58, v70
.LBB201_21:                             ;   in Loop: Header=BB201_24 Depth=2
	s_or_b32 exec_lo, exec_lo, s49
	s_wait_loadcnt_dscnt 0x303
	v_fmac_f32_e32 v46, v61, v69
	s_wait_loadcnt_dscnt 0x202
	s_delay_alu instid0(VALU_DEP_1) | instskip(SKIP_1) | instid1(VALU_DEP_1)
	v_fmac_f32_e32 v46, v60, v68
	s_wait_loadcnt_dscnt 0x101
	v_fmac_f32_e32 v46, v59, v67
	s_wait_loadcnt_dscnt 0x0
	s_delay_alu instid0(VALU_DEP_1)
	v_fmac_f32_e32 v46, v58, v66
.LBB201_22:                             ;   in Loop: Header=BB201_24 Depth=2
	s_or_b32 exec_lo, exec_lo, s48
	s_wait_loadcnt_dscnt 0x303
	v_fmac_f32_e32 v45, v61, v65
	s_wait_loadcnt_dscnt 0x202
	s_delay_alu instid0(VALU_DEP_1) | instskip(SKIP_1) | instid1(VALU_DEP_1)
	v_fmac_f32_e32 v45, v60, v63
	s_wait_loadcnt_dscnt 0x101
	v_fmac_f32_e32 v45, v59, v62
	s_wait_loadcnt_dscnt 0x0
	s_delay_alu instid0(VALU_DEP_1)
	v_fmac_f32_e32 v45, v58, v64
.LBB201_23:                             ;   in Loop: Header=BB201_24 Depth=2
	s_wait_alu 0xfffe
	s_or_b32 exec_lo, exec_lo, s7
	v_add_co_u32 v30, vcc_lo, v30, s38
	s_wait_alu 0xfffd
	v_add_co_ci_u32_e64 v31, null, s39, v31, vcc_lo
	v_add_co_u32 v50, vcc_lo, v50, s40
	v_add_nc_u32_e32 v49, 64, v49
	s_wait_alu 0xfffd
	v_add_co_ci_u32_e64 v51, null, s41, v51, vcc_lo
	v_add_co_u32 v52, vcc_lo, v52, s40
	s_wait_alu 0xfffd
	v_add_co_ci_u32_e64 v53, null, s41, v53, vcc_lo
	v_add_co_u32 v54, vcc_lo, v54, s40
	s_wait_alu 0xfffd
	v_add_co_ci_u32_e64 v55, null, s41, v55, vcc_lo
	v_cmp_le_i32_e32 vcc_lo, s42, v49
	v_add_co_u32 v56, s7, v56, s40
	s_wait_alu 0xf1ff
	v_add_co_ci_u32_e64 v57, null, s41, v57, s7
	s_or_b32 s47, vcc_lo, s47
	s_delay_alu instid0(SALU_CYCLE_1)
	s_and_not1_b32 exec_lo, exec_lo, s47
	s_cbranch_execz .LBB201_29
.LBB201_24:                             ;   Parent Loop BB201_4 Depth=1
                                        ; =>  This Inner Loop Header: Depth=2
	s_and_saveexec_b32 s7, s0
	s_cbranch_execz .LBB201_23
; %bb.25:                               ;   in Loop: Header=BB201_24 Depth=2
	v_add_co_u32 v58, vcc_lo, v30, v6
	s_wait_alu 0xfffd
	v_add_co_ci_u32_e64 v59, null, v31, v7, vcc_lo
	v_add_co_u32 v62, vcc_lo, v30, v20
	s_wait_alu 0xfffd
	v_add_co_ci_u32_e64 v63, null, v31, v21, vcc_lo
	;; [unrolled: 3-line block ×8, first 2 shown]
	s_clause 0x3
	flat_load_b32 v61, v[58:59]
	flat_load_b32 v60, v[62:63]
	;; [unrolled: 1-line block ×8, first 2 shown]
	s_and_saveexec_b32 s48, s1
	s_cbranch_execz .LBB201_22
; %bb.26:                               ;   in Loop: Header=BB201_24 Depth=2
	flat_load_b32 v69, v[32:33] offset:128
	flat_load_b32 v68, v[34:35] offset:128
	flat_load_b32 v67, v[36:37] offset:128
	flat_load_b32 v66, v[38:39] offset:128
	s_and_saveexec_b32 s49, s2
	s_cbranch_execz .LBB201_21
; %bb.27:                               ;   in Loop: Header=BB201_24 Depth=2
	flat_load_b32 v73, v[32:33] offset:256
	flat_load_b32 v72, v[34:35] offset:256
	flat_load_b32 v71, v[36:37] offset:256
	flat_load_b32 v70, v[38:39] offset:256
	;; [unrolled: 7-line block ×3, first 2 shown]
	s_wait_loadcnt_dscnt 0x303
	v_fmac_f32_e32 v48, v61, v32
	s_wait_loadcnt_dscnt 0x202
	s_delay_alu instid0(VALU_DEP_1) | instskip(SKIP_1) | instid1(VALU_DEP_1)
	v_fmac_f32_e32 v48, v60, v33
	s_wait_loadcnt_dscnt 0x101
	v_fmac_f32_e32 v48, v59, v34
	s_wait_loadcnt_dscnt 0x0
	s_delay_alu instid0(VALU_DEP_1)
	v_fmac_f32_e32 v48, v58, v35
	s_branch .LBB201_20
.LBB201_29:                             ;   in Loop: Header=BB201_4 Depth=1
	s_or_b32 exec_lo, exec_lo, s47
.LBB201_30:                             ;   in Loop: Header=BB201_4 Depth=1
	s_delay_alu instid0(SALU_CYCLE_1) | instskip(NEXT) | instid1(SALU_CYCLE_1)
	s_or_b32 exec_lo, exec_lo, s46
	s_and_not1_b32 vcc_lo, exec_lo, s43
	s_wait_alu 0xfffe
	s_cbranch_vccnz .LBB201_48
; %bb.31:                               ;   in Loop: Header=BB201_4 Depth=1
	v_cmp_gt_i32_e32 vcc_lo, s9, v49
	v_dual_mov_b32 v37, 0 :: v_dual_mov_b32 v36, 0
	v_or_b32_e32 v30, 1, v49
	v_dual_mov_b32 v35, 0 :: v_dual_mov_b32 v34, 0
	s_and_saveexec_b32 s46, vcc_lo
	s_cbranch_execz .LBB201_39
; %bb.32:                               ;   in Loop: Header=BB201_4 Depth=1
	v_mad_co_u64_u32 v[31:32], null, s36, v49, 0
	v_dual_mov_b32 v35, 0 :: v_dual_mov_b32 v36, 0
	v_mov_b32_e32 v37, 0
	s_mov_b32 s47, exec_lo
	s_delay_alu instid0(VALU_DEP_3) | instskip(NEXT) | instid1(VALU_DEP_1)
	v_mad_co_u64_u32 v[32:33], null, s37, v49, v[32:33]
	v_lshlrev_b64_e32 v[31:32], 2, v[31:32]
	s_delay_alu instid0(VALU_DEP_1) | instskip(SKIP_1) | instid1(VALU_DEP_2)
	v_add_co_u32 v31, s7, v28, v31
	s_wait_alu 0xf1ff
	v_add_co_ci_u32_e64 v32, null, v29, v32, s7
	flat_load_b32 v34, v[31:32]
	v_cmpx_gt_i32_e64 s9, v30
	s_cbranch_execz .LBB201_38
; %bb.33:                               ;   in Loop: Header=BB201_4 Depth=1
	v_mad_co_u64_u32 v[31:32], null, s36, v30, 0
	v_dual_mov_b32 v36, 0 :: v_dual_mov_b32 v37, 0
	s_mov_b32 s48, exec_lo
	s_delay_alu instid0(VALU_DEP_2) | instskip(NEXT) | instid1(VALU_DEP_1)
	v_mad_co_u64_u32 v[32:33], null, s37, v30, v[32:33]
	v_lshlrev_b64_e32 v[31:32], 2, v[31:32]
	s_delay_alu instid0(VALU_DEP_1) | instskip(SKIP_1) | instid1(VALU_DEP_2)
	v_add_co_u32 v31, s7, v28, v31
	s_wait_alu 0xf1ff
	v_add_co_ci_u32_e64 v32, null, v29, v32, s7
	flat_load_b32 v35, v[31:32]
	v_or_b32_e32 v31, 2, v49
	s_delay_alu instid0(VALU_DEP_1)
	v_cmpx_gt_i32_e64 s9, v31
	s_cbranch_execz .LBB201_37
; %bb.34:                               ;   in Loop: Header=BB201_4 Depth=1
	v_mad_co_u64_u32 v[32:33], null, s36, v31, 0
	s_mov_b32 s49, exec_lo
	s_wait_loadcnt_dscnt 0x101
	v_mad_co_u64_u32 v[36:37], null, s37, v31, v[33:34]
	v_mov_b32_e32 v37, 0
	s_delay_alu instid0(VALU_DEP_2) | instskip(NEXT) | instid1(VALU_DEP_1)
	v_mov_b32_e32 v33, v36
	v_lshlrev_b64_e32 v[31:32], 2, v[32:33]
	s_delay_alu instid0(VALU_DEP_1) | instskip(SKIP_1) | instid1(VALU_DEP_2)
	v_add_co_u32 v31, s7, v28, v31
	s_wait_alu 0xf1ff
	v_add_co_ci_u32_e64 v32, null, v29, v32, s7
	flat_load_b32 v36, v[31:32]
	v_or_b32_e32 v31, 3, v49
	s_delay_alu instid0(VALU_DEP_1)
	v_cmpx_gt_i32_e64 s9, v31
	s_cbranch_execz .LBB201_36
; %bb.35:                               ;   in Loop: Header=BB201_4 Depth=1
	v_mad_co_u64_u32 v[32:33], null, s36, v31, 0
	s_delay_alu instid0(VALU_DEP_1) | instskip(NEXT) | instid1(VALU_DEP_1)
	v_mad_co_u64_u32 v[37:38], null, s37, v31, v[33:34]
	v_mov_b32_e32 v33, v37
	s_delay_alu instid0(VALU_DEP_1) | instskip(NEXT) | instid1(VALU_DEP_1)
	v_lshlrev_b64_e32 v[31:32], 2, v[32:33]
	v_add_co_u32 v28, s7, v28, v31
	s_wait_alu 0xf1ff
	s_delay_alu instid0(VALU_DEP_2)
	v_add_co_ci_u32_e64 v29, null, v29, v32, s7
	flat_load_b32 v37, v[28:29]
.LBB201_36:                             ;   in Loop: Header=BB201_4 Depth=1
	s_or_b32 exec_lo, exec_lo, s49
.LBB201_37:                             ;   in Loop: Header=BB201_4 Depth=1
	s_delay_alu instid0(SALU_CYCLE_1)
	s_or_b32 exec_lo, exec_lo, s48
.LBB201_38:                             ;   in Loop: Header=BB201_4 Depth=1
	s_delay_alu instid0(SALU_CYCLE_1)
	s_or_b32 exec_lo, exec_lo, s47
.LBB201_39:                             ;   in Loop: Header=BB201_4 Depth=1
	s_delay_alu instid0(SALU_CYCLE_1)
	s_or_b32 exec_lo, exec_lo, s46
	s_and_saveexec_b32 s46, s0
	s_cbranch_execz .LBB201_47
; %bb.40:                               ;   in Loop: Header=BB201_4 Depth=1
	v_mad_co_u64_u32 v[28:29], null, s34, v49, 0
	v_or_b32_e32 v52, 2, v49
	v_mad_co_u64_u32 v[31:32], null, s34, v30, 0
	v_or_b32_e32 v53, 3, v49
	v_cmp_gt_i32_e64 s7, s9, v30
	s_delay_alu instid0(VALU_DEP_4) | instskip(SKIP_3) | instid1(VALU_DEP_4)
	v_mad_co_u64_u32 v[38:39], null, s34, v52, 0
	v_mad_co_u64_u32 v[49:50], null, s35, v49, v[29:30]
	v_mad_co_u64_u32 v[29:30], null, s35, v30, v[32:33]
	v_mad_co_u64_u32 v[32:33], null, s34, v53, 0
	v_mov_b32_e32 v30, v39
	s_delay_alu instid0(VALU_DEP_4)
	v_dual_cndmask_b32 v50, 0, v28 :: v_dual_cndmask_b32 v51, 0, v49
	s_wait_alu 0xf1ff
	v_cndmask_b32_e64 v28, 0, v31, s7
	v_cndmask_b32_e64 v29, 0, v29, s7
	v_mad_co_u64_u32 v[30:31], null, s35, v52, v[30:31]
	v_mov_b32_e32 v31, v33
	v_lshlrev_b64_e32 v[49:50], 2, v[50:51]
	v_cmp_gt_i32_e32 vcc_lo, s9, v52
	v_lshlrev_b64_e32 v[51:52], 2, v[28:29]
	s_wait_alu 0xfffd
	v_cndmask_b32_e32 v39, 0, v30, vcc_lo
	s_delay_alu instid0(VALU_DEP_4)
	v_add_co_u32 v28, s7, v26, v49
	s_wait_alu 0xf1ff
	v_add_co_ci_u32_e64 v29, null, v27, v50, s7
	v_mad_co_u64_u32 v[30:31], null, s35, v53, v[31:32]
	v_cndmask_b32_e32 v38, 0, v38, vcc_lo
	v_add_co_u32 v28, vcc_lo, v28, v8
	s_wait_alu 0xfffd
	v_add_co_ci_u32_e64 v29, null, v29, v9, vcc_lo
	v_cmp_gt_i32_e32 vcc_lo, s9, v53
	v_add_co_u32 v31, s7, v26, v51
	s_wait_alu 0xf1ff
	v_add_co_ci_u32_e64 v49, null, v27, v52, s7
	s_wait_alu 0xfffd
	v_dual_cndmask_b32 v32, 0, v32 :: v_dual_cndmask_b32 v33, 0, v30
	v_lshlrev_b64_e32 v[38:39], 2, v[38:39]
	v_add_co_u32 v30, vcc_lo, v31, v8
	s_wait_alu 0xfffd
	v_add_co_ci_u32_e64 v31, null, v49, v9, vcc_lo
	v_lshlrev_b64_e32 v[32:33], 2, v[32:33]
	s_delay_alu instid0(VALU_DEP_4) | instskip(SKIP_2) | instid1(VALU_DEP_3)
	v_add_co_u32 v38, vcc_lo, v26, v38
	s_wait_alu 0xfffd
	v_add_co_ci_u32_e64 v39, null, v27, v39, vcc_lo
	v_add_co_u32 v26, vcc_lo, v26, v32
	s_wait_alu 0xfffd
	v_add_co_ci_u32_e64 v27, null, v27, v33, vcc_lo
	;; [unrolled: 3-line block ×4, first 2 shown]
	s_clause 0x3
	flat_load_b32 v50, v[28:29]
	flat_load_b32 v39, v[30:31]
	;; [unrolled: 1-line block ×4, first 2 shown]
	s_and_saveexec_b32 s7, s1
	s_cbranch_execz .LBB201_46
; %bb.41:                               ;   in Loop: Header=BB201_4 Depth=1
	s_clause 0x3
	flat_load_b32 v54, v[28:29] offset:128
	flat_load_b32 v53, v[30:31] offset:128
	flat_load_b32 v52, v[32:33] offset:128
	flat_load_b32 v51, v[26:27] offset:128
	s_and_saveexec_b32 s47, s2
	s_cbranch_execz .LBB201_45
; %bb.42:                               ;   in Loop: Header=BB201_4 Depth=1
	s_clause 0x3
	flat_load_b32 v58, v[28:29] offset:256
	flat_load_b32 v57, v[30:31] offset:256
	flat_load_b32 v56, v[32:33] offset:256
	flat_load_b32 v55, v[26:27] offset:256
	;; [unrolled: 8-line block ×3, first 2 shown]
	s_wait_loadcnt_dscnt 0x303
	v_fmac_f32_e32 v48, v34, v28
	s_wait_loadcnt_dscnt 0x202
	s_delay_alu instid0(VALU_DEP_1) | instskip(SKIP_1) | instid1(VALU_DEP_1)
	v_fmac_f32_e32 v48, v35, v29
	s_wait_loadcnt_dscnt 0x101
	v_fmac_f32_e32 v48, v36, v30
	s_wait_loadcnt_dscnt 0x0
	s_delay_alu instid0(VALU_DEP_1)
	v_fmac_f32_e32 v48, v37, v26
.LBB201_44:                             ;   in Loop: Header=BB201_4 Depth=1
	s_or_b32 exec_lo, exec_lo, s48
	s_wait_loadcnt_dscnt 0x303
	v_fmac_f32_e32 v47, v34, v58
	s_wait_loadcnt_dscnt 0x202
	s_delay_alu instid0(VALU_DEP_1) | instskip(SKIP_1) | instid1(VALU_DEP_1)
	v_fmac_f32_e32 v47, v35, v57
	s_wait_loadcnt_dscnt 0x101
	v_fmac_f32_e32 v47, v36, v56
	s_wait_loadcnt_dscnt 0x0
	s_delay_alu instid0(VALU_DEP_1)
	v_fmac_f32_e32 v47, v37, v55
.LBB201_45:                             ;   in Loop: Header=BB201_4 Depth=1
	s_or_b32 exec_lo, exec_lo, s47
	s_wait_loadcnt_dscnt 0x303
	v_fmac_f32_e32 v46, v34, v54
	s_wait_loadcnt_dscnt 0x202
	s_delay_alu instid0(VALU_DEP_1) | instskip(SKIP_1) | instid1(VALU_DEP_1)
	v_fmac_f32_e32 v46, v35, v53
	s_wait_loadcnt_dscnt 0x101
	v_fmac_f32_e32 v46, v36, v52
	s_wait_loadcnt_dscnt 0x0
	s_delay_alu instid0(VALU_DEP_1)
	v_fmac_f32_e32 v46, v37, v51
.LBB201_46:                             ;   in Loop: Header=BB201_4 Depth=1
	s_wait_alu 0xfffe
	s_or_b32 exec_lo, exec_lo, s7
	s_wait_loadcnt_dscnt 0x303
	v_fmac_f32_e32 v45, v34, v50
	s_wait_loadcnt_dscnt 0x202
	s_delay_alu instid0(VALU_DEP_1) | instskip(SKIP_1) | instid1(VALU_DEP_1)
	v_fmac_f32_e32 v45, v35, v39
	s_wait_loadcnt_dscnt 0x101
	v_fmac_f32_e32 v45, v36, v38
	s_wait_loadcnt_dscnt 0x0
	s_delay_alu instid0(VALU_DEP_1)
	v_fmac_f32_e32 v45, v37, v49
.LBB201_47:                             ;   in Loop: Header=BB201_4 Depth=1
	s_or_b32 exec_lo, exec_lo, s46
.LBB201_48:                             ;   in Loop: Header=BB201_4 Depth=1
	ds_store_2addr_b32 v0, v45, v46 offset1:32
	ds_store_2addr_b32 v0, v47, v48 offset0:64 offset1:96
	s_wait_loadcnt_dscnt 0x0
	s_barrier_signal -1
	s_barrier_wait -1
	global_inv scope:SCOPE_SE
                                        ; implicit-def: $vgpr30
	s_and_saveexec_b32 s7, s5
	s_cbranch_execz .LBB201_54
; %bb.49:                               ;   in Loop: Header=BB201_4 Depth=1
	ds_load_2addr_stride64_b32 v[26:27], v41 offset1:2
	ds_load_2addr_stride64_b32 v[28:29], v41 offset0:4 offset1:6
	ds_load_2addr_stride64_b32 v[30:31], v41 offset0:8 offset1:10
	s_mov_b32 s47, s8
	s_wait_dscnt 0x2
	v_add_f32_e32 v32, v26, v27
	ds_load_2addr_stride64_b32 v[26:27], v41 offset0:12 offset1:14
	s_wait_dscnt 0x2
	v_add_f32_e32 v28, v28, v32
	s_delay_alu instid0(VALU_DEP_1) | instskip(SKIP_3) | instid1(VALU_DEP_1)
	v_add_f32_e32 v32, v29, v28
	ds_load_2addr_stride64_b32 v[28:29], v41 offset0:16 offset1:18
	s_wait_dscnt 0x2
	v_add_f32_e32 v30, v30, v32
	v_add_f32_e32 v32, v31, v30
	ds_load_2addr_stride64_b32 v[30:31], v41 offset0:20 offset1:22
	s_wait_dscnt 0x2
	v_add_f32_e32 v26, v26, v32
	s_delay_alu instid0(VALU_DEP_1) | instskip(SKIP_1) | instid1(VALU_DEP_1)
	v_add_f32_e32 v26, v27, v26
	s_wait_dscnt 0x1
	v_add_f32_e32 v28, v28, v26
	ds_load_2addr_stride64_b32 v[26:27], v41 offset0:24 offset1:26
	v_add_f32_e32 v28, v29, v28
	s_wait_dscnt 0x1
	s_delay_alu instid0(VALU_DEP_1) | instskip(SKIP_3) | instid1(VALU_DEP_1)
	v_add_f32_e32 v30, v30, v28
	ds_load_2addr_stride64_b32 v[28:29], v41 offset0:28 offset1:30
	v_add_f32_e32 v30, v31, v30
	s_wait_dscnt 0x1
	v_add_f32_e32 v26, v26, v30
                                        ; implicit-def: $vgpr30
	s_delay_alu instid0(VALU_DEP_1) | instskip(SKIP_1) | instid1(VALU_DEP_1)
	v_add_f32_e32 v26, v27, v26
	s_wait_dscnt 0x0
	v_add_f32_e32 v26, v28, v26
	s_delay_alu instid0(VALU_DEP_1)
	v_add_f32_e32 v26, v29, v26
	ds_store_b32 v41, v26
	s_and_saveexec_b32 s46, s6
	s_cbranch_execz .LBB201_53
; %bb.50:                               ;   in Loop: Header=BB201_4 Depth=1
	v_mul_f32_e32 v30, v42, v26
	s_cmp_eq_f32 s45, 0
	s_cbranch_scc1 .LBB201_52
; %bb.51:                               ;   in Loop: Header=BB201_4 Depth=1
	v_lshlrev_b64_e32 v[26:27], 2, v[4:5]
	s_delay_alu instid0(VALU_DEP_1) | instskip(SKIP_1) | instid1(VALU_DEP_2)
	v_add_co_u32 v26, vcc_lo, v43, v26
	s_wait_alu 0xfffd
	v_add_co_ci_u32_e64 v27, null, v44, v27, vcc_lo
	flat_load_b32 v26, v[26:27]
	s_wait_loadcnt_dscnt 0x0
	v_fmac_f32_e32 v30, s45, v26
.LBB201_52:                             ;   in Loop: Header=BB201_4 Depth=1
	s_or_b32 s47, s8, exec_lo
.LBB201_53:                             ;   in Loop: Header=BB201_4 Depth=1
	s_or_b32 exec_lo, exec_lo, s46
	s_delay_alu instid0(SALU_CYCLE_1)
	s_and_not1_b32 s8, s8, exec_lo
	s_and_b32 s45, s47, exec_lo
	s_wait_alu 0xfffe
	s_or_b32 s8, s8, s45
.LBB201_54:                             ;   in Loop: Header=BB201_4 Depth=1
	s_wait_alu 0xfffe
	s_or_b32 exec_lo, exec_lo, s7
	v_dual_mov_b32 v27, v5 :: v_dual_mov_b32 v26, v4
	s_and_saveexec_b32 s7, s8
	s_cbranch_execz .LBB201_2
.LBB201_55:                             ;   in Loop: Header=BB201_4 Depth=1
	s_delay_alu instid0(VALU_DEP_1) | instskip(NEXT) | instid1(VALU_DEP_1)
	v_lshlrev_b64_e32 v[26:27], 2, v[26:27]
	v_add_co_u32 v26, vcc_lo, v43, v26
	s_wait_alu 0xfffd
	s_delay_alu instid0(VALU_DEP_2)
	v_add_co_ci_u32_e64 v27, null, v44, v27, vcc_lo
	flat_store_b32 v[26:27], v30
	s_branch .LBB201_2
.LBB201_56:
	s_endpgm
	.section	.rodata,"a",@progbits
	.p2align	6, 0x0
	.amdhsa_kernel _ZL20rocblas_gemvn_kernelILi32ELi16ElPKfS1_KPfEviiT3_lPKT2_lT1_lS7_lS8_lS4_lPT4_lS8_li
		.amdhsa_group_segment_fixed_size 8192
		.amdhsa_private_segment_fixed_size 0
		.amdhsa_kernarg_size 400
		.amdhsa_user_sgpr_count 2
		.amdhsa_user_sgpr_dispatch_ptr 0
		.amdhsa_user_sgpr_queue_ptr 0
		.amdhsa_user_sgpr_kernarg_segment_ptr 1
		.amdhsa_user_sgpr_dispatch_id 0
		.amdhsa_user_sgpr_private_segment_size 0
		.amdhsa_wavefront_size32 1
		.amdhsa_uses_dynamic_stack 0
		.amdhsa_enable_private_segment 0
		.amdhsa_system_sgpr_workgroup_id_x 1
		.amdhsa_system_sgpr_workgroup_id_y 0
		.amdhsa_system_sgpr_workgroup_id_z 1
		.amdhsa_system_sgpr_workgroup_info 0
		.amdhsa_system_vgpr_workitem_id 1
		.amdhsa_next_free_vgpr 74
		.amdhsa_next_free_sgpr 51
		.amdhsa_reserve_vcc 1
		.amdhsa_float_round_mode_32 0
		.amdhsa_float_round_mode_16_64 0
		.amdhsa_float_denorm_mode_32 3
		.amdhsa_float_denorm_mode_16_64 3
		.amdhsa_fp16_overflow 0
		.amdhsa_workgroup_processor_mode 1
		.amdhsa_memory_ordered 1
		.amdhsa_forward_progress 1
		.amdhsa_inst_pref_size 29
		.amdhsa_round_robin_scheduling 0
		.amdhsa_exception_fp_ieee_invalid_op 0
		.amdhsa_exception_fp_denorm_src 0
		.amdhsa_exception_fp_ieee_div_zero 0
		.amdhsa_exception_fp_ieee_overflow 0
		.amdhsa_exception_fp_ieee_underflow 0
		.amdhsa_exception_fp_ieee_inexact 0
		.amdhsa_exception_int_div_zero 0
	.end_amdhsa_kernel
	.section	.text._ZL20rocblas_gemvn_kernelILi32ELi16ElPKfS1_KPfEviiT3_lPKT2_lT1_lS7_lS8_lS4_lPT4_lS8_li,"axG",@progbits,_ZL20rocblas_gemvn_kernelILi32ELi16ElPKfS1_KPfEviiT3_lPKT2_lT1_lS7_lS8_lS4_lPT4_lS8_li,comdat
.Lfunc_end201:
	.size	_ZL20rocblas_gemvn_kernelILi32ELi16ElPKfS1_KPfEviiT3_lPKT2_lT1_lS7_lS8_lS4_lPT4_lS8_li, .Lfunc_end201-_ZL20rocblas_gemvn_kernelILi32ELi16ElPKfS1_KPfEviiT3_lPKT2_lT1_lS7_lS8_lS4_lPT4_lS8_li
                                        ; -- End function
	.set _ZL20rocblas_gemvn_kernelILi32ELi16ElPKfS1_KPfEviiT3_lPKT2_lT1_lS7_lS8_lS4_lPT4_lS8_li.num_vgpr, 74
	.set _ZL20rocblas_gemvn_kernelILi32ELi16ElPKfS1_KPfEviiT3_lPKT2_lT1_lS7_lS8_lS4_lPT4_lS8_li.num_agpr, 0
	.set _ZL20rocblas_gemvn_kernelILi32ELi16ElPKfS1_KPfEviiT3_lPKT2_lT1_lS7_lS8_lS4_lPT4_lS8_li.numbered_sgpr, 51
	.set _ZL20rocblas_gemvn_kernelILi32ELi16ElPKfS1_KPfEviiT3_lPKT2_lT1_lS7_lS8_lS4_lPT4_lS8_li.num_named_barrier, 0
	.set _ZL20rocblas_gemvn_kernelILi32ELi16ElPKfS1_KPfEviiT3_lPKT2_lT1_lS7_lS8_lS4_lPT4_lS8_li.private_seg_size, 0
	.set _ZL20rocblas_gemvn_kernelILi32ELi16ElPKfS1_KPfEviiT3_lPKT2_lT1_lS7_lS8_lS4_lPT4_lS8_li.uses_vcc, 1
	.set _ZL20rocblas_gemvn_kernelILi32ELi16ElPKfS1_KPfEviiT3_lPKT2_lT1_lS7_lS8_lS4_lPT4_lS8_li.uses_flat_scratch, 1
	.set _ZL20rocblas_gemvn_kernelILi32ELi16ElPKfS1_KPfEviiT3_lPKT2_lT1_lS7_lS8_lS4_lPT4_lS8_li.has_dyn_sized_stack, 0
	.set _ZL20rocblas_gemvn_kernelILi32ELi16ElPKfS1_KPfEviiT3_lPKT2_lT1_lS7_lS8_lS4_lPT4_lS8_li.has_recursion, 0
	.set _ZL20rocblas_gemvn_kernelILi32ELi16ElPKfS1_KPfEviiT3_lPKT2_lT1_lS7_lS8_lS4_lPT4_lS8_li.has_indirect_call, 0
	.section	.AMDGPU.csdata,"",@progbits
; Kernel info:
; codeLenInByte = 3656
; TotalNumSgprs: 53
; NumVgprs: 74
; ScratchSize: 0
; MemoryBound: 0
; FloatMode: 240
; IeeeMode: 1
; LDSByteSize: 8192 bytes/workgroup (compile time only)
; SGPRBlocks: 0
; VGPRBlocks: 9
; NumSGPRsForWavesPerEU: 53
; NumVGPRsForWavesPerEU: 74
; Occupancy: 16
; WaveLimiterHint : 1
; COMPUTE_PGM_RSRC2:SCRATCH_EN: 0
; COMPUTE_PGM_RSRC2:USER_SGPR: 2
; COMPUTE_PGM_RSRC2:TRAP_HANDLER: 0
; COMPUTE_PGM_RSRC2:TGID_X_EN: 1
; COMPUTE_PGM_RSRC2:TGID_Y_EN: 0
; COMPUTE_PGM_RSRC2:TGID_Z_EN: 1
; COMPUTE_PGM_RSRC2:TIDIG_COMP_CNT: 1
	.section	.text._ZL20rocblas_gemvn_kernelILi32ELi16EiPKffKPfEviiT3_lPKT2_lT1_lS7_lS8_lS4_lPT4_lS8_li,"axG",@progbits,_ZL20rocblas_gemvn_kernelILi32ELi16EiPKffKPfEviiT3_lPKT2_lT1_lS7_lS8_lS4_lPT4_lS8_li,comdat
	.globl	_ZL20rocblas_gemvn_kernelILi32ELi16EiPKffKPfEviiT3_lPKT2_lT1_lS7_lS8_lS4_lPT4_lS8_li ; -- Begin function _ZL20rocblas_gemvn_kernelILi32ELi16EiPKffKPfEviiT3_lPKT2_lT1_lS7_lS8_lS4_lPT4_lS8_li
	.p2align	8
	.type	_ZL20rocblas_gemvn_kernelILi32ELi16EiPKffKPfEviiT3_lPKT2_lT1_lS7_lS8_lS4_lPT4_lS8_li,@function
_ZL20rocblas_gemvn_kernelILi32ELi16EiPKffKPfEviiT3_lPKT2_lT1_lS7_lS8_lS4_lPT4_lS8_li: ; @_ZL20rocblas_gemvn_kernelILi32ELi16EiPKffKPfEviiT3_lPKT2_lT1_lS7_lS8_lS4_lPT4_lS8_li
; %bb.0:
	s_clause 0x1
	s_load_b64 s[2:3], s[0:1], 0x9c
	s_load_b32 s23, s[0:1], 0x88
	s_lshr_b32 s24, ttmp7, 16
	s_wait_kmcnt 0x0
	s_lshr_b32 s4, s2, 16
	s_and_b32 s2, s2, 0xffff
	s_and_b32 s3, s3, 0xffff
	s_mul_i32 s2, s4, s2
	s_delay_alu instid0(SALU_CYCLE_1) | instskip(NEXT) | instid1(SALU_CYCLE_1)
	s_mul_i32 s2, s2, s3
	s_cmp_lg_u32 s2, 0x200
	s_cselect_b32 s2, -1, 0
	s_cmp_ge_u32 s24, s23
	s_cselect_b32 s3, -1, 0
	s_delay_alu instid0(SALU_CYCLE_1) | instskip(NEXT) | instid1(SALU_CYCLE_1)
	s_or_b32 s2, s2, s3
	s_and_b32 vcc_lo, exec_lo, s2
	s_cbranch_vccnz .LBB202_59
; %bb.1:
	s_clause 0x7
	s_load_b32 s4, s[0:1], 0x78
	s_load_b96 s[20:22], s[0:1], 0x0
	s_load_b32 s27, s[0:1], 0x58
	s_load_b32 s28, s[0:1], 0x28
	s_load_b128 s[8:11], s[0:1], 0x38
	s_load_b32 s26, s[0:1], 0x48
	s_load_b128 s[12:15], s[0:1], 0x68
	s_load_b128 s[16:19], s[0:1], 0x18
	v_and_b32_e32 v9, 0x3ff, v0
	v_bfe_u32 v8, v0, 10, 10
	v_mov_b32_e32 v1, 0
	s_mov_b32 s25, 0
	s_delay_alu instid0(VALU_DEP_3) | instskip(NEXT) | instid1(VALU_DEP_3)
	v_lshlrev_b32_e32 v0, 2, v9
	v_lshl_add_u32 v2, v8, 5, v9
	v_lshlrev_b32_e32 v25, 2, v8
	s_delay_alu instid0(VALU_DEP_3)
	v_lshl_add_u32 v26, v8, 9, v0
	v_lshl_add_u32 v27, v8, 7, v0
	s_wait_kmcnt 0x0
	s_ashr_i32 s5, s4, 31
	s_cmp_eq_f32 s22, 0
	s_mov_b32 s2, s20
	v_cmp_gt_u32_e64 s0, 0x80, v2
	v_mul_lo_u32 v10, s28, v25
	s_cselect_b32 s29, -1, 0
	s_cmp_neq_f32 s27, 1.0
	v_or_b32_e32 v12, 3, v25
	v_mul_lo_u32 v13, v8, s26
	s_cselect_b32 s1, -1, 0
	s_cmp_neq_f32 s22, 0
	s_delay_alu instid0(VALU_DEP_2)
	v_mul_lo_u32 v32, s26, v12
	s_cselect_b32 s6, -1, 0
	s_lshl_b32 s30, ttmp9, 7
	s_ashr_i32 s3, s20, 31
	v_add_nc_u32_e32 v0, s30, v2
	v_or_b32_e32 v4, s30, v2
	v_add_nc_u32_e32 v29, s30, v9
	s_or_b32 s31, s6, s1
	s_cmp_neq_f32 s27, 0
	v_cmp_gt_i64_e32 vcc_lo, s[2:3], v[0:1]
	v_mad_co_u64_u32 v[2:3], null, s4, v0, 0
	v_cmp_gt_i32_e64 s2, s20, v4
	v_mul_lo_u32 v4, s4, v4
	v_add_nc_u32_e32 v6, 64, v29
	v_add_nc_u32_e32 v11, 0x60, v29
	;; [unrolled: 1-line block ×3, first 2 shown]
	s_cselect_b32 s33, -1, 0
	s_ashr_i32 s3, s21, 31
	v_cmp_gt_i32_e64 s4, s20, v6
	s_wait_alu 0xfffe
	s_lshr_b32 s3, s3, 26
	v_mad_co_u64_u32 v[6:7], null, s5, v0, v[3:4]
	v_cmp_gt_i32_e64 s5, s20, v11
	v_mul_lo_u32 v11, v8, s28
	v_add3_u32 v0, v10, s28, v9
	v_or_b32_e32 v10, 2, v25
	s_wait_alu 0xfffe
	s_add_co_i32 s34, s21, s3
	v_cmp_gt_i32_e64 s3, s20, v5
	v_ashrrev_i32_e32 v5, 31, v4
	v_mov_b32_e32 v3, v6
	v_mad_co_u64_u32 v[6:7], null, s28, v10, v[9:10]
	v_mad_co_u64_u32 v[7:8], null, s28, v12, v[9:10]
	s_and_not1_b32 s34, s34, 63
	v_lshl_add_u32 v30, v11, 2, v9
	v_mad_co_u64_u32 v[8:9], null, s26, v25, s[26:27]
	v_mul_lo_u32 v31, s26, v10
	s_sub_co_i32 s7, s21, s34
	v_lshlrev_b64_e32 v[9:10], 2, v[2:3]
	v_lshlrev_b64_e32 v[11:12], 2, v[4:5]
	v_cndmask_b32_e64 v28, 0, 1, s6
	v_cmp_gt_i32_e64 s1, s20, v29
	v_cmp_gt_i32_e64 s6, s34, v25
	v_lshlrev_b32_e32 v33, 2, v13
	s_cmp_gt_i32 s7, 0
	s_cselect_b32 s20, -1, 0
	s_and_b32 s35, s0, vcc_lo
	s_lshl_b32 s36, s28, 6
	s_lshl_b32 s37, s26, 6
	s_lshl_b64 s[18:19], s[18:19], 2
	s_lshl_b64 s[10:11], s[10:11], 2
	;; [unrolled: 1-line block ×3, first 2 shown]
	s_branch .LBB202_4
.LBB202_2:                              ;   in Loop: Header=BB202_4 Depth=1
	s_wait_alu 0xfffe
	s_or_b32 exec_lo, exec_lo, s7
.LBB202_3:                              ;   in Loop: Header=BB202_4 Depth=1
	s_add_co_i32 s24, s24, 0x10000
	s_delay_alu instid0(SALU_CYCLE_1)
	s_cmp_lt_u32 s24, s23
	s_cbranch_scc0 .LBB202_59
.LBB202_4:                              ; =>This Loop Header: Depth=1
                                        ;     Child Loop BB202_27 Depth 2
	s_and_not1_b32 vcc_lo, exec_lo, s31
	s_wait_alu 0xfffe
	s_cbranch_vccnz .LBB202_3
; %bb.5:                                ;   in Loop: Header=BB202_4 Depth=1
	s_and_not1_b32 vcc_lo, exec_lo, s29
	s_wait_alu 0xfffe
	s_cbranch_vccnz .LBB202_7
; %bb.6:                                ;   in Loop: Header=BB202_4 Depth=1
	s_mov_b32 s7, 0
	s_branch .LBB202_8
.LBB202_7:                              ;   in Loop: Header=BB202_4 Depth=1
	s_mov_b32 s7, -1
.LBB202_8:                              ;   in Loop: Header=BB202_4 Depth=1
	v_mov_b32_e32 v15, 0
	v_dual_mov_b32 v16, 0 :: v_dual_mov_b32 v13, 0
	v_mov_b32_e32 v14, 0
	s_wait_alu 0xfffe
	s_and_not1_b32 vcc_lo, exec_lo, s7
	s_wait_alu 0xfffe
	s_cbranch_vccnz .LBB202_10
; %bb.9:                                ;   in Loop: Header=BB202_4 Depth=1
	s_lshl_b64 s[38:39], s[24:25], 3
	s_delay_alu instid0(SALU_CYCLE_1)
	s_add_nc_u64 s[38:39], s[16:17], s[38:39]
	global_load_b64 v[13:14], v1, s[38:39]
	s_wait_loadcnt 0x0
	v_add_co_u32 v13, vcc_lo, v13, s18
	s_wait_alu 0xfffd
	v_add_co_ci_u32_e64 v14, null, s19, v14, vcc_lo
.LBB202_10:                             ;   in Loop: Header=BB202_4 Depth=1
	v_cmp_ne_u32_e32 vcc_lo, 1, v28
	s_cbranch_vccnz .LBB202_12
; %bb.11:                               ;   in Loop: Header=BB202_4 Depth=1
	s_lshl_b64 s[38:39], s[24:25], 3
	s_delay_alu instid0(SALU_CYCLE_1)
	s_add_nc_u64 s[38:39], s[8:9], s[38:39]
	global_load_b64 v[15:16], v1, s[38:39]
	s_wait_loadcnt 0x0
	v_add_co_u32 v15, vcc_lo, v15, s10
	s_wait_alu 0xfffd
	v_add_co_ci_u32_e64 v16, null, s11, v16, vcc_lo
.LBB202_12:                             ;   in Loop: Header=BB202_4 Depth=1
	s_lshl_b64 s[38:39], s[24:25], 3
	s_delay_alu instid0(SALU_CYCLE_1)
	s_add_nc_u64 s[38:39], s[12:13], s[38:39]
	global_load_b64 v[17:18], v1, s[38:39]
	s_wait_loadcnt 0x0
	v_add_co_u32 v34, vcc_lo, v17, s14
	s_wait_alu 0xfffd
	v_add_co_ci_u32_e64 v35, null, s15, v18, vcc_lo
	s_and_not1_b32 vcc_lo, exec_lo, s29
	s_wait_alu 0xfffe
	s_cbranch_vccnz .LBB202_16
; %bb.13:                               ;   in Loop: Header=BB202_4 Depth=1
	s_mov_b32 s7, 0
	s_mov_b32 s38, 0
                                        ; implicit-def: $vgpr17
	s_and_saveexec_b32 s39, s35
	s_cbranch_execz .LBB202_17
; %bb.14:                               ;   in Loop: Header=BB202_4 Depth=1
	s_and_not1_b32 vcc_lo, exec_lo, s33
	s_wait_alu 0xfffe
	s_cbranch_vccnz .LBB202_19
; %bb.15:                               ;   in Loop: Header=BB202_4 Depth=1
	v_add_co_u32 v17, vcc_lo, v34, v9
	s_wait_alu 0xfffd
	v_add_co_ci_u32_e64 v18, null, v35, v10, vcc_lo
	flat_load_b32 v17, v[17:18]
	s_wait_loadcnt_dscnt 0x0
	v_mul_f32_e32 v17, s27, v17
	s_branch .LBB202_20
.LBB202_16:                             ;   in Loop: Header=BB202_4 Depth=1
	s_mov_b32 s38, 0
                                        ; implicit-def: $vgpr17
	s_cbranch_execz .LBB202_18
	s_branch .LBB202_21
.LBB202_17:                             ;   in Loop: Header=BB202_4 Depth=1
	s_or_b32 exec_lo, exec_lo, s39
	s_wait_alu 0xfffe
	s_and_b32 vcc_lo, exec_lo, s7
	s_wait_alu 0xfffe
	s_cbranch_vccnz .LBB202_21
.LBB202_18:                             ;   in Loop: Header=BB202_4 Depth=1
	v_dual_mov_b32 v14, v3 :: v_dual_mov_b32 v13, v2
	s_and_saveexec_b32 s7, s38
	s_cbranch_execz .LBB202_2
	s_branch .LBB202_58
.LBB202_19:                             ;   in Loop: Header=BB202_4 Depth=1
	v_mov_b32_e32 v17, 0
.LBB202_20:                             ;   in Loop: Header=BB202_4 Depth=1
	s_mov_b32 s38, exec_lo
	s_or_b32 exec_lo, exec_lo, s39
	s_delay_alu instid0(SALU_CYCLE_1)
	s_and_b32 vcc_lo, exec_lo, s7
	s_wait_alu 0xfffe
	s_cbranch_vccz .LBB202_18
.LBB202_21:                             ;   in Loop: Header=BB202_4 Depth=1
	v_dual_mov_b32 v36, 0 :: v_dual_mov_b32 v37, 0
	v_dual_mov_b32 v40, v25 :: v_dual_mov_b32 v39, 0
	v_mov_b32_e32 v38, 0
	s_and_saveexec_b32 s7, s6
	s_cbranch_execz .LBB202_33
; %bb.22:                               ;   in Loop: Header=BB202_4 Depth=1
	v_dual_mov_b32 v36, 0 :: v_dual_mov_b32 v41, v30
	v_dual_mov_b32 v42, v7 :: v_dual_mov_b32 v43, v6
	;; [unrolled: 1-line block ×4, first 2 shown]
	v_mov_b32_e32 v38, 0
	s_mov_b32 s39, 0
	s_mov_b32 s40, 0
	s_branch .LBB202_27
.LBB202_23:                             ;   in Loop: Header=BB202_27 Depth=2
	s_or_b32 exec_lo, exec_lo, s44
	s_wait_loadcnt_dscnt 0x303
	v_fmac_f32_e32 v38, v48, v60
	s_wait_loadcnt_dscnt 0x202
	s_delay_alu instid0(VALU_DEP_1) | instskip(SKIP_1) | instid1(VALU_DEP_1)
	v_fmac_f32_e32 v38, v47, v59
	s_wait_loadcnt_dscnt 0x101
	v_fmac_f32_e32 v38, v46, v58
	s_wait_loadcnt_dscnt 0x0
	s_delay_alu instid0(VALU_DEP_1)
	v_fmac_f32_e32 v38, v45, v57
.LBB202_24:                             ;   in Loop: Header=BB202_27 Depth=2
	s_or_b32 exec_lo, exec_lo, s43
	s_wait_loadcnt_dscnt 0x303
	v_fmac_f32_e32 v37, v48, v56
	s_wait_loadcnt_dscnt 0x202
	s_delay_alu instid0(VALU_DEP_1) | instskip(SKIP_1) | instid1(VALU_DEP_1)
	v_fmac_f32_e32 v37, v47, v55
	s_wait_loadcnt_dscnt 0x101
	v_fmac_f32_e32 v37, v46, v54
	s_wait_loadcnt_dscnt 0x0
	s_delay_alu instid0(VALU_DEP_1)
	v_fmac_f32_e32 v37, v45, v53
.LBB202_25:                             ;   in Loop: Header=BB202_27 Depth=2
	s_or_b32 exec_lo, exec_lo, s42
	s_wait_loadcnt_dscnt 0x303
	v_fmac_f32_e32 v36, v48, v52
	s_wait_loadcnt_dscnt 0x202
	s_delay_alu instid0(VALU_DEP_1) | instskip(SKIP_1) | instid1(VALU_DEP_1)
	v_fmac_f32_e32 v36, v47, v50
	s_wait_loadcnt_dscnt 0x101
	v_fmac_f32_e32 v36, v46, v49
	s_wait_loadcnt_dscnt 0x0
	s_delay_alu instid0(VALU_DEP_1)
	v_fmac_f32_e32 v36, v45, v51
.LBB202_26:                             ;   in Loop: Header=BB202_27 Depth=2
	s_wait_alu 0xfffe
	s_or_b32 exec_lo, exec_lo, s41
	v_add_nc_u32_e32 v40, 64, v40
	v_add_nc_u32_e32 v44, s36, v44
	;; [unrolled: 1-line block ×5, first 2 shown]
	v_cmp_le_i32_e32 vcc_lo, s34, v40
	s_add_co_i32 s40, s40, s37
	s_or_b32 s39, vcc_lo, s39
	s_delay_alu instid0(SALU_CYCLE_1)
	s_and_not1_b32 exec_lo, exec_lo, s39
	s_cbranch_execz .LBB202_32
.LBB202_27:                             ;   Parent Loop BB202_4 Depth=1
                                        ; =>  This Inner Loop Header: Depth=2
	s_and_saveexec_b32 s41, s1
	s_cbranch_execz .LBB202_26
; %bb.28:                               ;   in Loop: Header=BB202_27 Depth=2
	s_wait_alu 0xfffe
	v_add_nc_u32_e32 v17, s40, v33
	v_add_nc_u32_e32 v19, s40, v8
	;; [unrolled: 1-line block ×5, first 2 shown]
	v_ashrrev_i32_e32 v18, 31, v17
	v_ashrrev_i32_e32 v20, 31, v19
	;; [unrolled: 1-line block ×5, first 2 shown]
	v_lshlrev_b64_e32 v[17:18], 2, v[17:18]
	v_lshlrev_b64_e32 v[19:20], 2, v[19:20]
	;; [unrolled: 1-line block ×3, first 2 shown]
	s_delay_alu instid0(VALU_DEP_3) | instskip(SKIP_1) | instid1(VALU_DEP_4)
	v_add_co_u32 v47, vcc_lo, v15, v17
	s_wait_alu 0xfffd
	v_add_co_ci_u32_e64 v48, null, v16, v18, vcc_lo
	s_delay_alu instid0(VALU_DEP_4)
	v_add_co_u32 v49, vcc_lo, v15, v19
	v_add_nc_u32_e32 v19, s30, v44
	s_wait_alu 0xfffd
	v_add_co_ci_u32_e64 v50, null, v16, v20, vcc_lo
	v_lshlrev_b64_e32 v[17:18], 2, v[23:24]
	v_add_co_u32 v51, vcc_lo, v15, v21
	v_add_nc_u32_e32 v23, s30, v43
	s_wait_alu 0xfffd
	v_add_co_ci_u32_e64 v52, null, v16, v22, vcc_lo
	v_lshlrev_b64_e32 v[21:22], 2, v[45:46]
	v_add_nc_u32_e32 v45, s30, v42
	v_ashrrev_i32_e32 v20, 31, v19
	v_ashrrev_i32_e32 v24, 31, v23
	v_add_co_u32 v53, vcc_lo, v15, v17
	s_delay_alu instid0(VALU_DEP_4)
	v_ashrrev_i32_e32 v46, 31, v45
	s_wait_alu 0xfffd
	v_add_co_ci_u32_e64 v54, null, v16, v18, vcc_lo
	v_lshlrev_b64_e32 v[19:20], 2, v[19:20]
	v_add_co_u32 v17, vcc_lo, v13, v21
	s_wait_alu 0xfffd
	v_add_co_ci_u32_e64 v18, null, v14, v22, vcc_lo
	v_lshlrev_b64_e32 v[21:22], 2, v[23:24]
	v_lshlrev_b64_e32 v[45:46], 2, v[45:46]
	v_add_co_u32 v19, vcc_lo, v13, v19
	s_wait_alu 0xfffd
	v_add_co_ci_u32_e64 v20, null, v14, v20, vcc_lo
	s_delay_alu instid0(VALU_DEP_4)
	v_add_co_u32 v23, vcc_lo, v13, v21
	s_wait_alu 0xfffd
	v_add_co_ci_u32_e64 v24, null, v14, v22, vcc_lo
	v_add_co_u32 v21, vcc_lo, v13, v45
	s_wait_alu 0xfffd
	v_add_co_ci_u32_e64 v22, null, v14, v46, vcc_lo
	s_clause 0x3
	flat_load_b32 v48, v[47:48]
	flat_load_b32 v47, v[49:50]
	;; [unrolled: 1-line block ×4, first 2 shown]
	s_clause 0x3
	flat_load_b32 v52, v[17:18]
	flat_load_b32 v50, v[19:20]
	flat_load_b32 v49, v[23:24]
	flat_load_b32 v51, v[21:22]
	s_and_saveexec_b32 s42, s3
	s_cbranch_execz .LBB202_25
; %bb.29:                               ;   in Loop: Header=BB202_27 Depth=2
	s_clause 0x3
	flat_load_b32 v56, v[17:18] offset:128
	flat_load_b32 v55, v[19:20] offset:128
	flat_load_b32 v54, v[23:24] offset:128
	flat_load_b32 v53, v[21:22] offset:128
	s_and_saveexec_b32 s43, s4
	s_cbranch_execz .LBB202_24
; %bb.30:                               ;   in Loop: Header=BB202_27 Depth=2
	s_clause 0x3
	flat_load_b32 v60, v[17:18] offset:256
	flat_load_b32 v59, v[19:20] offset:256
	flat_load_b32 v58, v[23:24] offset:256
	flat_load_b32 v57, v[21:22] offset:256
	;; [unrolled: 8-line block ×3, first 2 shown]
	s_wait_loadcnt_dscnt 0x303
	v_fmac_f32_e32 v39, v48, v17
	s_wait_loadcnt_dscnt 0x202
	s_delay_alu instid0(VALU_DEP_1) | instskip(SKIP_1) | instid1(VALU_DEP_1)
	v_fmac_f32_e32 v39, v47, v18
	s_wait_loadcnt_dscnt 0x101
	v_fmac_f32_e32 v39, v46, v19
	s_wait_loadcnt_dscnt 0x0
	s_delay_alu instid0(VALU_DEP_1)
	v_fmac_f32_e32 v39, v45, v20
	s_branch .LBB202_23
.LBB202_32:                             ;   in Loop: Header=BB202_4 Depth=1
	s_or_b32 exec_lo, exec_lo, s39
.LBB202_33:                             ;   in Loop: Header=BB202_4 Depth=1
	s_wait_alu 0xfffe
	s_or_b32 exec_lo, exec_lo, s7
	s_delay_alu instid0(SALU_CYCLE_1)
	s_and_not1_b32 vcc_lo, exec_lo, s20
	s_wait_alu 0xfffe
	s_cbranch_vccnz .LBB202_51
; %bb.34:                               ;   in Loop: Header=BB202_4 Depth=1
	v_cmp_gt_i32_e32 vcc_lo, s21, v40
	v_dual_mov_b32 v24, 0 :: v_dual_mov_b32 v23, 0
	v_or_b32_e32 v17, 1, v40
	v_dual_mov_b32 v22, 0 :: v_dual_mov_b32 v21, 0
	s_and_saveexec_b32 s39, vcc_lo
	s_cbranch_execz .LBB202_42
; %bb.35:                               ;   in Loop: Header=BB202_4 Depth=1
	v_mul_lo_u32 v18, v40, s26
	v_dual_mov_b32 v22, 0 :: v_dual_mov_b32 v23, 0
	v_mov_b32_e32 v24, 0
	s_mov_b32 s40, exec_lo
	s_delay_alu instid0(VALU_DEP_3) | instskip(NEXT) | instid1(VALU_DEP_1)
	v_ashrrev_i32_e32 v19, 31, v18
	v_lshlrev_b64_e32 v[18:19], 2, v[18:19]
	s_delay_alu instid0(VALU_DEP_1) | instskip(SKIP_1) | instid1(VALU_DEP_2)
	v_add_co_u32 v18, s7, v15, v18
	s_wait_alu 0xf1ff
	v_add_co_ci_u32_e64 v19, null, v16, v19, s7
	flat_load_b32 v21, v[18:19]
	v_cmpx_gt_i32_e64 s21, v17
	s_cbranch_execz .LBB202_41
; %bb.36:                               ;   in Loop: Header=BB202_4 Depth=1
	v_mul_lo_u32 v18, v17, s26
	v_dual_mov_b32 v23, 0 :: v_dual_mov_b32 v24, 0
	s_mov_b32 s41, exec_lo
	s_delay_alu instid0(VALU_DEP_2) | instskip(NEXT) | instid1(VALU_DEP_1)
	v_ashrrev_i32_e32 v19, 31, v18
	v_lshlrev_b64_e32 v[18:19], 2, v[18:19]
	s_delay_alu instid0(VALU_DEP_1) | instskip(SKIP_1) | instid1(VALU_DEP_2)
	v_add_co_u32 v18, s7, v15, v18
	s_wait_alu 0xf1ff
	v_add_co_ci_u32_e64 v19, null, v16, v19, s7
	flat_load_b32 v22, v[18:19]
	v_or_b32_e32 v18, 2, v40
	s_delay_alu instid0(VALU_DEP_1)
	v_cmpx_gt_i32_e64 s21, v18
	s_cbranch_execz .LBB202_40
; %bb.37:                               ;   in Loop: Header=BB202_4 Depth=1
	v_mul_lo_u32 v18, v18, s26
	v_mov_b32_e32 v24, 0
	s_mov_b32 s42, exec_lo
	s_delay_alu instid0(VALU_DEP_2) | instskip(NEXT) | instid1(VALU_DEP_1)
	v_ashrrev_i32_e32 v19, 31, v18
	v_lshlrev_b64_e32 v[18:19], 2, v[18:19]
	s_delay_alu instid0(VALU_DEP_1) | instskip(SKIP_1) | instid1(VALU_DEP_2)
	v_add_co_u32 v18, s7, v15, v18
	s_wait_alu 0xf1ff
	v_add_co_ci_u32_e64 v19, null, v16, v19, s7
	flat_load_b32 v23, v[18:19]
	v_or_b32_e32 v18, 3, v40
	s_delay_alu instid0(VALU_DEP_1)
	v_cmpx_gt_i32_e64 s21, v18
	s_cbranch_execz .LBB202_39
; %bb.38:                               ;   in Loop: Header=BB202_4 Depth=1
	v_mul_lo_u32 v18, v18, s26
	s_delay_alu instid0(VALU_DEP_1) | instskip(NEXT) | instid1(VALU_DEP_1)
	v_ashrrev_i32_e32 v19, 31, v18
	v_lshlrev_b64_e32 v[18:19], 2, v[18:19]
	s_delay_alu instid0(VALU_DEP_1) | instskip(SKIP_1) | instid1(VALU_DEP_2)
	v_add_co_u32 v15, s7, v15, v18
	s_wait_alu 0xf1ff
	v_add_co_ci_u32_e64 v16, null, v16, v19, s7
	flat_load_b32 v24, v[15:16]
.LBB202_39:                             ;   in Loop: Header=BB202_4 Depth=1
	s_or_b32 exec_lo, exec_lo, s42
.LBB202_40:                             ;   in Loop: Header=BB202_4 Depth=1
	s_wait_alu 0xfffe
	s_or_b32 exec_lo, exec_lo, s41
.LBB202_41:                             ;   in Loop: Header=BB202_4 Depth=1
	s_wait_alu 0xfffe
	s_or_b32 exec_lo, exec_lo, s40
.LBB202_42:                             ;   in Loop: Header=BB202_4 Depth=1
	s_delay_alu instid0(SALU_CYCLE_1)
	s_or_b32 exec_lo, exec_lo, s39
	s_and_saveexec_b32 s7, s1
	s_cbranch_execz .LBB202_50
; %bb.43:                               ;   in Loop: Header=BB202_4 Depth=1
	v_mul_lo_u32 v16, v40, s28
	v_or_b32_e32 v15, 2, v40
	v_mul_lo_u32 v19, v17, s28
	v_or_b32_e32 v18, 3, v40
	s_delay_alu instid0(VALU_DEP_3) | instskip(NEXT) | instid1(VALU_DEP_2)
	v_mul_lo_u32 v20, v15, s28
	v_mul_lo_u32 v40, v18, s28
	v_cndmask_b32_e32 v16, 0, v16, vcc_lo
	v_cmp_gt_i32_e32 vcc_lo, s21, v17
	s_wait_alu 0xfffd
	v_cndmask_b32_e32 v17, 0, v19, vcc_lo
	v_cmp_gt_i32_e32 vcc_lo, s21, v15
	v_add_nc_u32_e32 v15, v16, v29
	s_delay_alu instid0(VALU_DEP_3)
	v_add_nc_u32_e32 v17, v17, v29
	s_wait_alu 0xfffd
	v_cndmask_b32_e32 v19, 0, v20, vcc_lo
	v_cmp_gt_i32_e32 vcc_lo, s21, v18
	v_ashrrev_i32_e32 v16, 31, v15
	s_wait_alu 0xfffd
	v_cndmask_b32_e32 v18, 0, v40, vcc_lo
	s_delay_alu instid0(VALU_DEP_2) | instskip(NEXT) | instid1(VALU_DEP_2)
	v_lshlrev_b64_e32 v[15:16], 2, v[15:16]
	v_add_nc_u32_e32 v40, v18, v29
	v_add_nc_u32_e32 v19, v19, v29
	v_ashrrev_i32_e32 v18, 31, v17
	s_delay_alu instid0(VALU_DEP_3) | instskip(NEXT) | instid1(VALU_DEP_3)
	v_ashrrev_i32_e32 v41, 31, v40
	v_ashrrev_i32_e32 v20, 31, v19
	s_delay_alu instid0(VALU_DEP_3) | instskip(NEXT) | instid1(VALU_DEP_3)
	v_lshlrev_b64_e32 v[17:18], 2, v[17:18]
	v_lshlrev_b64_e32 v[40:41], 2, v[40:41]
	s_delay_alu instid0(VALU_DEP_3)
	v_lshlrev_b64_e32 v[42:43], 2, v[19:20]
	v_add_co_u32 v19, vcc_lo, v13, v15
	s_wait_alu 0xfffd
	v_add_co_ci_u32_e64 v20, null, v14, v16, vcc_lo
	v_add_co_u32 v17, vcc_lo, v13, v17
	s_wait_alu 0xfffd
	v_add_co_ci_u32_e64 v18, null, v14, v18, vcc_lo
	;; [unrolled: 3-line block ×4, first 2 shown]
	s_clause 0x3
	flat_load_b32 v43, v[19:20]
	flat_load_b32 v41, v[17:18]
	;; [unrolled: 1-line block ×4, first 2 shown]
	s_and_saveexec_b32 s39, s3
	s_cbranch_execz .LBB202_49
; %bb.44:                               ;   in Loop: Header=BB202_4 Depth=1
	s_clause 0x3
	flat_load_b32 v47, v[19:20] offset:128
	flat_load_b32 v46, v[17:18] offset:128
	flat_load_b32 v45, v[15:16] offset:128
	flat_load_b32 v44, v[13:14] offset:128
	s_and_saveexec_b32 s40, s4
	s_cbranch_execz .LBB202_48
; %bb.45:                               ;   in Loop: Header=BB202_4 Depth=1
	s_clause 0x3
	flat_load_b32 v51, v[19:20] offset:256
	flat_load_b32 v50, v[17:18] offset:256
	flat_load_b32 v49, v[15:16] offset:256
	flat_load_b32 v48, v[13:14] offset:256
	;; [unrolled: 8-line block ×3, first 2 shown]
	s_wait_loadcnt_dscnt 0x303
	v_fmac_f32_e32 v39, v21, v19
	s_wait_loadcnt_dscnt 0x202
	s_delay_alu instid0(VALU_DEP_1) | instskip(SKIP_1) | instid1(VALU_DEP_1)
	v_fmac_f32_e32 v39, v22, v17
	s_wait_loadcnt_dscnt 0x101
	v_fmac_f32_e32 v39, v23, v15
	s_wait_loadcnt_dscnt 0x0
	s_delay_alu instid0(VALU_DEP_1)
	v_fmac_f32_e32 v39, v24, v13
.LBB202_47:                             ;   in Loop: Header=BB202_4 Depth=1
	s_wait_alu 0xfffe
	s_or_b32 exec_lo, exec_lo, s41
	s_wait_loadcnt_dscnt 0x303
	v_fmac_f32_e32 v38, v21, v51
	s_wait_loadcnt_dscnt 0x202
	s_delay_alu instid0(VALU_DEP_1) | instskip(SKIP_1) | instid1(VALU_DEP_1)
	v_fmac_f32_e32 v38, v22, v50
	s_wait_loadcnt_dscnt 0x101
	v_fmac_f32_e32 v38, v23, v49
	s_wait_loadcnt_dscnt 0x0
	s_delay_alu instid0(VALU_DEP_1)
	v_fmac_f32_e32 v38, v24, v48
.LBB202_48:                             ;   in Loop: Header=BB202_4 Depth=1
	s_wait_alu 0xfffe
	s_or_b32 exec_lo, exec_lo, s40
	s_wait_loadcnt_dscnt 0x303
	v_fmac_f32_e32 v37, v21, v47
	s_wait_loadcnt_dscnt 0x202
	s_delay_alu instid0(VALU_DEP_1) | instskip(SKIP_1) | instid1(VALU_DEP_1)
	v_fmac_f32_e32 v37, v22, v46
	s_wait_loadcnt_dscnt 0x101
	v_fmac_f32_e32 v37, v23, v45
	s_wait_loadcnt_dscnt 0x0
	s_delay_alu instid0(VALU_DEP_1)
	v_fmac_f32_e32 v37, v24, v44
.LBB202_49:                             ;   in Loop: Header=BB202_4 Depth=1
	s_or_b32 exec_lo, exec_lo, s39
	s_wait_loadcnt_dscnt 0x303
	v_fmac_f32_e32 v36, v21, v43
	s_wait_loadcnt_dscnt 0x202
	s_delay_alu instid0(VALU_DEP_1) | instskip(SKIP_1) | instid1(VALU_DEP_1)
	v_fmac_f32_e32 v36, v22, v41
	s_wait_loadcnt_dscnt 0x101
	v_fmac_f32_e32 v36, v23, v40
	s_wait_loadcnt_dscnt 0x0
	s_delay_alu instid0(VALU_DEP_1)
	v_fmac_f32_e32 v36, v24, v42
.LBB202_50:                             ;   in Loop: Header=BB202_4 Depth=1
	s_wait_alu 0xfffe
	s_or_b32 exec_lo, exec_lo, s7
.LBB202_51:                             ;   in Loop: Header=BB202_4 Depth=1
	ds_store_2addr_b32 v26, v36, v37 offset1:32
	ds_store_2addr_b32 v26, v38, v39 offset0:64 offset1:96
	s_wait_loadcnt_dscnt 0x0
	s_barrier_signal -1
	s_barrier_wait -1
	global_inv scope:SCOPE_SE
                                        ; implicit-def: $vgpr17
	s_and_saveexec_b32 s7, s0
	s_cbranch_execz .LBB202_57
; %bb.52:                               ;   in Loop: Header=BB202_4 Depth=1
	ds_load_2addr_stride64_b32 v[13:14], v27 offset1:2
	ds_load_2addr_stride64_b32 v[15:16], v27 offset0:4 offset1:6
	ds_load_2addr_stride64_b32 v[17:18], v27 offset0:8 offset1:10
	s_mov_b32 s40, s38
	s_wait_dscnt 0x2
	v_add_f32_e32 v19, v13, v14
	ds_load_2addr_stride64_b32 v[13:14], v27 offset0:12 offset1:14
	s_wait_dscnt 0x2
	v_add_f32_e32 v15, v15, v19
	s_delay_alu instid0(VALU_DEP_1) | instskip(SKIP_3) | instid1(VALU_DEP_1)
	v_add_f32_e32 v19, v16, v15
	ds_load_2addr_stride64_b32 v[15:16], v27 offset0:16 offset1:18
	s_wait_dscnt 0x2
	v_add_f32_e32 v17, v17, v19
	v_add_f32_e32 v19, v18, v17
	ds_load_2addr_stride64_b32 v[17:18], v27 offset0:20 offset1:22
	s_wait_dscnt 0x2
	v_add_f32_e32 v13, v13, v19
	s_delay_alu instid0(VALU_DEP_1) | instskip(SKIP_1) | instid1(VALU_DEP_1)
	v_add_f32_e32 v13, v14, v13
	s_wait_dscnt 0x1
	v_add_f32_e32 v15, v15, v13
	ds_load_2addr_stride64_b32 v[13:14], v27 offset0:24 offset1:26
	v_add_f32_e32 v15, v16, v15
	s_wait_dscnt 0x1
	s_delay_alu instid0(VALU_DEP_1) | instskip(SKIP_3) | instid1(VALU_DEP_1)
	v_add_f32_e32 v17, v17, v15
	ds_load_2addr_stride64_b32 v[15:16], v27 offset0:28 offset1:30
	v_add_f32_e32 v17, v18, v17
	s_wait_dscnt 0x1
	v_add_f32_e32 v13, v13, v17
                                        ; implicit-def: $vgpr17
	s_delay_alu instid0(VALU_DEP_1) | instskip(SKIP_1) | instid1(VALU_DEP_1)
	v_add_f32_e32 v13, v14, v13
	s_wait_dscnt 0x0
	v_add_f32_e32 v13, v15, v13
	s_delay_alu instid0(VALU_DEP_1)
	v_add_f32_e32 v13, v16, v13
	ds_store_b32 v27, v13
	s_and_saveexec_b32 s39, s2
	s_cbranch_execz .LBB202_56
; %bb.53:                               ;   in Loop: Header=BB202_4 Depth=1
	v_mul_f32_e32 v17, s22, v13
	s_and_not1_b32 vcc_lo, exec_lo, s33
	s_wait_alu 0xfffe
	s_cbranch_vccnz .LBB202_55
; %bb.54:                               ;   in Loop: Header=BB202_4 Depth=1
	v_add_co_u32 v13, vcc_lo, v34, v11
	s_wait_alu 0xfffd
	v_add_co_ci_u32_e64 v14, null, v35, v12, vcc_lo
	flat_load_b32 v13, v[13:14]
	s_wait_loadcnt_dscnt 0x0
	v_fmac_f32_e32 v17, s27, v13
.LBB202_55:                             ;   in Loop: Header=BB202_4 Depth=1
	s_or_b32 s40, s38, exec_lo
.LBB202_56:                             ;   in Loop: Header=BB202_4 Depth=1
	s_or_b32 exec_lo, exec_lo, s39
	s_delay_alu instid0(SALU_CYCLE_1) | instskip(SKIP_2) | instid1(SALU_CYCLE_1)
	s_and_not1_b32 s38, s38, exec_lo
	s_wait_alu 0xfffe
	s_and_b32 s39, s40, exec_lo
	s_or_b32 s38, s38, s39
.LBB202_57:                             ;   in Loop: Header=BB202_4 Depth=1
	s_wait_alu 0xfffe
	s_or_b32 exec_lo, exec_lo, s7
	v_dual_mov_b32 v14, v5 :: v_dual_mov_b32 v13, v4
	s_and_saveexec_b32 s7, s38
	s_cbranch_execz .LBB202_2
.LBB202_58:                             ;   in Loop: Header=BB202_4 Depth=1
	s_delay_alu instid0(VALU_DEP_1) | instskip(NEXT) | instid1(VALU_DEP_1)
	v_lshlrev_b64_e32 v[13:14], 2, v[13:14]
	v_add_co_u32 v13, vcc_lo, v34, v13
	s_wait_alu 0xfffd
	s_delay_alu instid0(VALU_DEP_2)
	v_add_co_ci_u32_e64 v14, null, v35, v14, vcc_lo
	flat_store_b32 v[13:14], v17
	s_branch .LBB202_2
.LBB202_59:
	s_endpgm
	.section	.rodata,"a",@progbits
	.p2align	6, 0x0
	.amdhsa_kernel _ZL20rocblas_gemvn_kernelILi32ELi16EiPKffKPfEviiT3_lPKT2_lT1_lS7_lS8_lS4_lPT4_lS8_li
		.amdhsa_group_segment_fixed_size 8192
		.amdhsa_private_segment_fixed_size 0
		.amdhsa_kernarg_size 400
		.amdhsa_user_sgpr_count 2
		.amdhsa_user_sgpr_dispatch_ptr 0
		.amdhsa_user_sgpr_queue_ptr 0
		.amdhsa_user_sgpr_kernarg_segment_ptr 1
		.amdhsa_user_sgpr_dispatch_id 0
		.amdhsa_user_sgpr_private_segment_size 0
		.amdhsa_wavefront_size32 1
		.amdhsa_uses_dynamic_stack 0
		.amdhsa_enable_private_segment 0
		.amdhsa_system_sgpr_workgroup_id_x 1
		.amdhsa_system_sgpr_workgroup_id_y 0
		.amdhsa_system_sgpr_workgroup_id_z 1
		.amdhsa_system_sgpr_workgroup_info 0
		.amdhsa_system_vgpr_workitem_id 1
		.amdhsa_next_free_vgpr 61
		.amdhsa_next_free_sgpr 45
		.amdhsa_reserve_vcc 1
		.amdhsa_float_round_mode_32 0
		.amdhsa_float_round_mode_16_64 0
		.amdhsa_float_denorm_mode_32 3
		.amdhsa_float_denorm_mode_16_64 3
		.amdhsa_fp16_overflow 0
		.amdhsa_workgroup_processor_mode 1
		.amdhsa_memory_ordered 1
		.amdhsa_forward_progress 1
		.amdhsa_inst_pref_size 27
		.amdhsa_round_robin_scheduling 0
		.amdhsa_exception_fp_ieee_invalid_op 0
		.amdhsa_exception_fp_denorm_src 0
		.amdhsa_exception_fp_ieee_div_zero 0
		.amdhsa_exception_fp_ieee_overflow 0
		.amdhsa_exception_fp_ieee_underflow 0
		.amdhsa_exception_fp_ieee_inexact 0
		.amdhsa_exception_int_div_zero 0
	.end_amdhsa_kernel
	.section	.text._ZL20rocblas_gemvn_kernelILi32ELi16EiPKffKPfEviiT3_lPKT2_lT1_lS7_lS8_lS4_lPT4_lS8_li,"axG",@progbits,_ZL20rocblas_gemvn_kernelILi32ELi16EiPKffKPfEviiT3_lPKT2_lT1_lS7_lS8_lS4_lPT4_lS8_li,comdat
.Lfunc_end202:
	.size	_ZL20rocblas_gemvn_kernelILi32ELi16EiPKffKPfEviiT3_lPKT2_lT1_lS7_lS8_lS4_lPT4_lS8_li, .Lfunc_end202-_ZL20rocblas_gemvn_kernelILi32ELi16EiPKffKPfEviiT3_lPKT2_lT1_lS7_lS8_lS4_lPT4_lS8_li
                                        ; -- End function
	.set _ZL20rocblas_gemvn_kernelILi32ELi16EiPKffKPfEviiT3_lPKT2_lT1_lS7_lS8_lS4_lPT4_lS8_li.num_vgpr, 61
	.set _ZL20rocblas_gemvn_kernelILi32ELi16EiPKffKPfEviiT3_lPKT2_lT1_lS7_lS8_lS4_lPT4_lS8_li.num_agpr, 0
	.set _ZL20rocblas_gemvn_kernelILi32ELi16EiPKffKPfEviiT3_lPKT2_lT1_lS7_lS8_lS4_lPT4_lS8_li.numbered_sgpr, 45
	.set _ZL20rocblas_gemvn_kernelILi32ELi16EiPKffKPfEviiT3_lPKT2_lT1_lS7_lS8_lS4_lPT4_lS8_li.num_named_barrier, 0
	.set _ZL20rocblas_gemvn_kernelILi32ELi16EiPKffKPfEviiT3_lPKT2_lT1_lS7_lS8_lS4_lPT4_lS8_li.private_seg_size, 0
	.set _ZL20rocblas_gemvn_kernelILi32ELi16EiPKffKPfEviiT3_lPKT2_lT1_lS7_lS8_lS4_lPT4_lS8_li.uses_vcc, 1
	.set _ZL20rocblas_gemvn_kernelILi32ELi16EiPKffKPfEviiT3_lPKT2_lT1_lS7_lS8_lS4_lPT4_lS8_li.uses_flat_scratch, 1
	.set _ZL20rocblas_gemvn_kernelILi32ELi16EiPKffKPfEviiT3_lPKT2_lT1_lS7_lS8_lS4_lPT4_lS8_li.has_dyn_sized_stack, 0
	.set _ZL20rocblas_gemvn_kernelILi32ELi16EiPKffKPfEviiT3_lPKT2_lT1_lS7_lS8_lS4_lPT4_lS8_li.has_recursion, 0
	.set _ZL20rocblas_gemvn_kernelILi32ELi16EiPKffKPfEviiT3_lPKT2_lT1_lS7_lS8_lS4_lPT4_lS8_li.has_indirect_call, 0
	.section	.AMDGPU.csdata,"",@progbits
; Kernel info:
; codeLenInByte = 3332
; TotalNumSgprs: 47
; NumVgprs: 61
; ScratchSize: 0
; MemoryBound: 0
; FloatMode: 240
; IeeeMode: 1
; LDSByteSize: 8192 bytes/workgroup (compile time only)
; SGPRBlocks: 0
; VGPRBlocks: 7
; NumSGPRsForWavesPerEU: 47
; NumVGPRsForWavesPerEU: 61
; Occupancy: 16
; WaveLimiterHint : 1
; COMPUTE_PGM_RSRC2:SCRATCH_EN: 0
; COMPUTE_PGM_RSRC2:USER_SGPR: 2
; COMPUTE_PGM_RSRC2:TRAP_HANDLER: 0
; COMPUTE_PGM_RSRC2:TGID_X_EN: 1
; COMPUTE_PGM_RSRC2:TGID_Y_EN: 0
; COMPUTE_PGM_RSRC2:TGID_Z_EN: 1
; COMPUTE_PGM_RSRC2:TIDIG_COMP_CNT: 1
	.section	.text._ZL20rocblas_gemvn_kernelILi32ELi16ElPKffKPfEviiT3_lPKT2_lT1_lS7_lS8_lS4_lPT4_lS8_li,"axG",@progbits,_ZL20rocblas_gemvn_kernelILi32ELi16ElPKffKPfEviiT3_lPKT2_lT1_lS7_lS8_lS4_lPT4_lS8_li,comdat
	.globl	_ZL20rocblas_gemvn_kernelILi32ELi16ElPKffKPfEviiT3_lPKT2_lT1_lS7_lS8_lS4_lPT4_lS8_li ; -- Begin function _ZL20rocblas_gemvn_kernelILi32ELi16ElPKffKPfEviiT3_lPKT2_lT1_lS7_lS8_lS4_lPT4_lS8_li
	.p2align	8
	.type	_ZL20rocblas_gemvn_kernelILi32ELi16ElPKffKPfEviiT3_lPKT2_lT1_lS7_lS8_lS4_lPT4_lS8_li,@function
_ZL20rocblas_gemvn_kernelILi32ELi16ElPKffKPfEviiT3_lPKT2_lT1_lS7_lS8_lS4_lPT4_lS8_li: ; @_ZL20rocblas_gemvn_kernelILi32ELi16ElPKffKPfEviiT3_lPKT2_lT1_lS7_lS8_lS4_lPT4_lS8_li
; %bb.0:
	s_clause 0x1
	s_load_b64 s[2:3], s[0:1], 0x9c
	s_load_b32 s23, s[0:1], 0x88
	s_lshr_b32 s24, ttmp7, 16
	s_wait_kmcnt 0x0
	s_lshr_b32 s4, s2, 16
	s_and_b32 s2, s2, 0xffff
	s_and_b32 s3, s3, 0xffff
	s_mul_i32 s2, s4, s2
	s_delay_alu instid0(SALU_CYCLE_1) | instskip(NEXT) | instid1(SALU_CYCLE_1)
	s_mul_i32 s2, s2, s3
	s_cmp_lg_u32 s2, 0x200
	s_cselect_b32 s2, -1, 0
	s_cmp_ge_u32 s24, s23
	s_cselect_b32 s3, -1, 0
	s_delay_alu instid0(SALU_CYCLE_1) | instskip(NEXT) | instid1(SALU_CYCLE_1)
	s_or_b32 s2, s2, s3
	s_and_b32 vcc_lo, exec_lo, s2
	s_cbranch_vccnz .LBB203_59
; %bb.1:
	s_clause 0x7
	s_load_b96 s[20:22], s[0:1], 0x0
	s_load_b32 s33, s[0:1], 0x58
	s_load_b64 s[26:27], s[0:1], 0x48
	s_load_b128 s[8:11], s[0:1], 0x18
	s_load_b64 s[28:29], s[0:1], 0x28
	s_load_b128 s[12:15], s[0:1], 0x38
	;; [unrolled: 2-line block ×3, first 2 shown]
	v_dual_mov_b32 v1, 0 :: v_dual_and_b32 v2, 0x3ff, v0
	v_bfe_u32 v26, v0, 10, 10
	s_mov_b32 s25, 0
	s_delay_alu instid0(VALU_DEP_2) | instskip(NEXT) | instid1(VALU_DEP_2)
	v_lshlrev_b32_e32 v16, 2, v2
	v_lshl_add_u32 v3, v26, 5, v2
	v_lshlrev_b32_e32 v40, 2, v26
	s_delay_alu instid0(VALU_DEP_2)
	v_cmp_gt_u32_e64 s0, 0x80, v3
	s_wait_kmcnt 0x0
	s_cmp_eq_f32 s22, 0
	v_mad_co_u64_u32 v[6:7], null, s26, v26, 0
	s_mov_b32 s2, s20
	s_cselect_b32 s36, -1, 0
	s_cmp_neq_f32 s33, 1.0
	v_or_b32_e32 v17, 3, v40
	s_cselect_b32 s1, -1, 0
	s_cmp_neq_f32 s22, 0
	s_delay_alu instid0(VALU_DEP_1)
	v_mad_co_u64_u32 v[12:13], null, s26, v17, 0
	s_cselect_b32 s4, -1, 0
	s_lshl_b32 s30, ttmp9, 7
	s_ashr_i32 s3, s20, 31
	v_add_nc_u32_e32 v0, s30, v3
	v_add_nc_u32_e32 v8, s30, v2
	s_or_b32 s37, s4, s1
	s_cmp_neq_f32 s33, 0
	v_or_b32_e32 v18, s30, v3
	v_mad_co_u64_u32 v[2:3], null, s6, v0, 0
	v_add_nc_u32_e32 v4, 32, v8
	v_cmp_gt_i64_e32 vcc_lo, s[2:3], v[0:1]
	s_cselect_b32 s38, -1, 0
	s_ashr_i32 s2, s21, 31
	v_add_nc_u32_e32 v5, 64, v8
	s_wait_alu 0xfffe
	s_lshr_b32 s2, s2, 26
	v_add_nc_u32_e32 v10, 0x60, v8
	s_wait_alu 0xfffe
	s_add_co_i32 s39, s21, s2
	v_cmp_gt_i32_e64 s2, s20, v4
	v_mad_co_u64_u32 v[3:4], null, s7, v0, v[3:4]
	v_mov_b32_e32 v0, v7
	v_cndmask_b32_e64 v42, 0, 1, s4
	v_cmp_gt_i32_e64 s4, s20, v10
	v_mad_co_u64_u32 v[10:11], null, s28, v17, 0
	s_delay_alu instid0(VALU_DEP_4)
	v_mad_co_u64_u32 v[14:15], null, s27, v26, v[0:1]
	s_and_not1_b32 s39, s39, 63
	v_mul_lo_u32 v19, s7, v18
	v_cmp_gt_i32_e64 s3, s20, v5
	s_sub_co_i32 s5, s21, s39
	v_mad_co_u64_u32 v[4:5], null, s6, v18, 0
	v_mov_b32_e32 v7, v14
	v_mad_co_u64_u32 v[14:15], null, s29, v17, v[11:12]
	s_wait_alu 0xfffe
	s_cmp_gt_i32 s5, 0
	v_lshl_add_u32 v41, v26, 9, v16
	s_cselect_b32 s40, -1, 0
	s_ashr_i32 s7, s30, 31
	v_lshl_add_u32 v0, v26, 7, v16
	s_wait_alu 0xfffe
	s_mul_i32 s7, s6, s7
	v_mov_b32_e32 v11, v14
	v_or_b32_e32 v29, 2, v40
	v_mad_co_u64_u32 v[15:16], null, s27, v17, v[13:14]
	v_cmp_gt_i32_e64 s6, s20, v18
	s_wait_alu 0xfffe
	v_add3_u32 v5, v5, s7, v19
	v_mad_co_u64_u32 v[16:17], null, s28, v26, 0
	v_mad_co_u64_u32 v[18:19], null, s28, v29, 0
	v_mov_b32_e32 v13, v15
	v_mad_co_u64_u32 v[20:21], null, s26, v29, 0
	v_mad_co_u64_u32 v[22:23], null, s26, v40, s[26:27]
	s_delay_alu instid0(VALU_DEP_4) | instskip(SKIP_3) | instid1(VALU_DEP_4)
	v_dual_mov_b32 v14, v17 :: v_dual_mov_b32 v15, v19
	v_mad_co_u64_u32 v[24:25], null, s28, v40, s[28:29]
	v_ashrrev_i32_e32 v9, 31, v8
	v_cmp_gt_i32_e64 s1, s20, v8
	v_mad_co_u64_u32 v[26:27], null, s29, v26, v[14:15]
	v_mad_co_u64_u32 v[27:28], null, s29, v29, v[15:16]
	v_dual_mov_b32 v14, v21 :: v_dual_mov_b32 v15, v23
	v_mov_b32_e32 v17, v25
	v_lshlrev_b64_e32 v[6:7], 4, v[6:7]
	v_lshlrev_b64_e32 v[8:9], 2, v[8:9]
	v_lshlrev_b64_e32 v[10:11], 2, v[10:11]
	v_mov_b32_e32 v19, v27
	v_mad_co_u64_u32 v[28:29], null, s27, v29, v[14:15]
	v_mad_co_u64_u32 v[14:15], null, s27, v40, v[15:16]
	;; [unrolled: 1-line block ×3, first 2 shown]
	v_mov_b32_e32 v17, v26
	v_lshlrev_b64_e32 v[12:13], 2, v[12:13]
	v_mov_b32_e32 v21, v28
	v_cmp_gt_i32_e64 s5, s39, v40
	v_mov_b32_e32 v23, v14
	v_lshlrev_b64_e32 v[14:15], 4, v[16:17]
	v_mov_b32_e32 v25, v29
	v_lshlrev_b64_e32 v[16:17], 2, v[18:19]
	v_lshlrev_b64_e32 v[18:19], 2, v[20:21]
	;; [unrolled: 1-line block ×3, first 2 shown]
	s_and_b32 s20, s0, vcc_lo
	v_lshlrev_b64_e32 v[22:23], 2, v[24:25]
	v_lshlrev_b64_e32 v[24:25], 2, v[2:3]
	s_lshl_b64 s[30:31], s[26:27], 8
	s_lshl_b64 s[34:35], s[28:29], 8
	;; [unrolled: 1-line block ×5, first 2 shown]
	s_branch .LBB203_4
.LBB203_2:                              ;   in Loop: Header=BB203_4 Depth=1
	s_wait_alu 0xfffe
	s_or_b32 exec_lo, exec_lo, s7
.LBB203_3:                              ;   in Loop: Header=BB203_4 Depth=1
	s_add_co_i32 s24, s24, 0x10000
	s_delay_alu instid0(SALU_CYCLE_1)
	s_cmp_lt_u32 s24, s23
	s_cbranch_scc0 .LBB203_59
.LBB203_4:                              ; =>This Loop Header: Depth=1
                                        ;     Child Loop BB203_27 Depth 2
	s_and_not1_b32 vcc_lo, exec_lo, s37
	s_wait_alu 0xfffe
	s_cbranch_vccnz .LBB203_3
; %bb.5:                                ;   in Loop: Header=BB203_4 Depth=1
	s_and_not1_b32 vcc_lo, exec_lo, s36
	s_wait_alu 0xfffe
	s_cbranch_vccnz .LBB203_7
; %bb.6:                                ;   in Loop: Header=BB203_4 Depth=1
	s_mov_b32 s7, 0
	s_branch .LBB203_8
.LBB203_7:                              ;   in Loop: Header=BB203_4 Depth=1
	s_mov_b32 s7, -1
.LBB203_8:                              ;   in Loop: Header=BB203_4 Depth=1
	v_mov_b32_e32 v28, 0
	v_dual_mov_b32 v29, 0 :: v_dual_mov_b32 v26, 0
	v_mov_b32_e32 v27, 0
	s_wait_alu 0xfffe
	s_and_not1_b32 vcc_lo, exec_lo, s7
	s_wait_alu 0xfffe
	s_cbranch_vccnz .LBB203_10
; %bb.9:                                ;   in Loop: Header=BB203_4 Depth=1
	s_lshl_b64 s[42:43], s[24:25], 3
	s_delay_alu instid0(SALU_CYCLE_1)
	s_add_nc_u64 s[42:43], s[8:9], s[42:43]
	global_load_b64 v[26:27], v1, s[42:43]
	s_wait_loadcnt 0x0
	v_add_co_u32 v26, vcc_lo, v26, s10
	s_wait_alu 0xfffd
	v_add_co_ci_u32_e64 v27, null, s11, v27, vcc_lo
.LBB203_10:                             ;   in Loop: Header=BB203_4 Depth=1
	v_cmp_ne_u32_e32 vcc_lo, 1, v42
	s_cbranch_vccnz .LBB203_12
; %bb.11:                               ;   in Loop: Header=BB203_4 Depth=1
	s_lshl_b64 s[42:43], s[24:25], 3
	s_delay_alu instid0(SALU_CYCLE_1)
	s_add_nc_u64 s[42:43], s[12:13], s[42:43]
	global_load_b64 v[28:29], v1, s[42:43]
	s_wait_loadcnt 0x0
	v_add_co_u32 v28, vcc_lo, v28, s14
	s_wait_alu 0xfffd
	v_add_co_ci_u32_e64 v29, null, s15, v29, vcc_lo
.LBB203_12:                             ;   in Loop: Header=BB203_4 Depth=1
	s_lshl_b64 s[42:43], s[24:25], 3
	s_delay_alu instid0(SALU_CYCLE_1)
	s_add_nc_u64 s[42:43], s[16:17], s[42:43]
	global_load_b64 v[30:31], v1, s[42:43]
	s_wait_loadcnt 0x0
	v_add_co_u32 v43, vcc_lo, v30, s18
	s_wait_alu 0xfffd
	v_add_co_ci_u32_e64 v44, null, s19, v31, vcc_lo
	s_and_not1_b32 vcc_lo, exec_lo, s36
	s_wait_alu 0xfffe
	s_cbranch_vccnz .LBB203_16
; %bb.13:                               ;   in Loop: Header=BB203_4 Depth=1
	s_mov_b32 s7, 0
	s_mov_b32 s41, 0
                                        ; implicit-def: $vgpr30
	s_and_saveexec_b32 s42, s20
	s_cbranch_execz .LBB203_17
; %bb.14:                               ;   in Loop: Header=BB203_4 Depth=1
	s_and_not1_b32 vcc_lo, exec_lo, s38
	s_wait_alu 0xfffe
	s_cbranch_vccnz .LBB203_19
; %bb.15:                               ;   in Loop: Header=BB203_4 Depth=1
	v_add_co_u32 v30, vcc_lo, v43, v24
	s_wait_alu 0xfffd
	v_add_co_ci_u32_e64 v31, null, v44, v25, vcc_lo
	flat_load_b32 v30, v[30:31]
	s_wait_loadcnt_dscnt 0x0
	v_mul_f32_e32 v30, s33, v30
	s_branch .LBB203_20
.LBB203_16:                             ;   in Loop: Header=BB203_4 Depth=1
	s_mov_b32 s41, 0
                                        ; implicit-def: $vgpr30
	s_cbranch_execz .LBB203_18
	s_branch .LBB203_21
.LBB203_17:                             ;   in Loop: Header=BB203_4 Depth=1
	s_or_b32 exec_lo, exec_lo, s42
	s_wait_alu 0xfffe
	s_and_b32 vcc_lo, exec_lo, s7
	s_wait_alu 0xfffe
	s_cbranch_vccnz .LBB203_21
.LBB203_18:                             ;   in Loop: Header=BB203_4 Depth=1
	v_dual_mov_b32 v27, v3 :: v_dual_mov_b32 v26, v2
	s_and_saveexec_b32 s7, s41
	s_cbranch_execz .LBB203_2
	s_branch .LBB203_58
.LBB203_19:                             ;   in Loop: Header=BB203_4 Depth=1
	v_mov_b32_e32 v30, 0
.LBB203_20:                             ;   in Loop: Header=BB203_4 Depth=1
	s_mov_b32 s41, exec_lo
	s_or_b32 exec_lo, exec_lo, s42
	s_delay_alu instid0(SALU_CYCLE_1)
	s_and_b32 vcc_lo, exec_lo, s7
	s_wait_alu 0xfffe
	s_cbranch_vccz .LBB203_18
.LBB203_21:                             ;   in Loop: Header=BB203_4 Depth=1
	v_dual_mov_b32 v45, 0 :: v_dual_mov_b32 v46, 0
	v_dual_mov_b32 v49, v40 :: v_dual_mov_b32 v48, 0
	v_mov_b32_e32 v47, 0
	s_and_saveexec_b32 s42, s5
	s_cbranch_execz .LBB203_33
; %bb.22:                               ;   in Loop: Header=BB203_4 Depth=1
	v_add_co_u32 v50, vcc_lo, v26, v10
	s_wait_alu 0xfffd
	v_add_co_ci_u32_e64 v51, null, v27, v11, vcc_lo
	v_add_co_u32 v52, vcc_lo, v26, v14
	s_wait_alu 0xfffd
	v_add_co_ci_u32_e64 v53, null, v27, v15, vcc_lo
	;; [unrolled: 3-line block ×3, first 2 shown]
	v_add_co_u32 v56, vcc_lo, v26, v22
	v_dual_mov_b32 v31, v29 :: v_dual_mov_b32 v46, 0
	s_wait_alu 0xfffd
	v_add_co_ci_u32_e64 v57, null, v27, v23, vcc_lo
	v_dual_mov_b32 v45, 0 :: v_dual_mov_b32 v30, v28
	v_dual_mov_b32 v49, v40 :: v_dual_mov_b32 v48, 0
	v_mov_b32_e32 v47, 0
	s_mov_b32 s43, 0
	s_branch .LBB203_27
.LBB203_23:                             ;   in Loop: Header=BB203_27 Depth=2
	s_or_b32 exec_lo, exec_lo, s46
	s_wait_loadcnt_dscnt 0x303
	v_fmac_f32_e32 v47, v61, v73
	s_wait_loadcnt_dscnt 0x202
	s_delay_alu instid0(VALU_DEP_1) | instskip(SKIP_1) | instid1(VALU_DEP_1)
	v_fmac_f32_e32 v47, v60, v72
	s_wait_loadcnt_dscnt 0x101
	v_fmac_f32_e32 v47, v59, v71
	s_wait_loadcnt_dscnt 0x0
	s_delay_alu instid0(VALU_DEP_1)
	v_fmac_f32_e32 v47, v58, v70
.LBB203_24:                             ;   in Loop: Header=BB203_27 Depth=2
	s_or_b32 exec_lo, exec_lo, s45
	s_wait_loadcnt_dscnt 0x303
	v_fmac_f32_e32 v46, v61, v69
	s_wait_loadcnt_dscnt 0x202
	s_delay_alu instid0(VALU_DEP_1) | instskip(SKIP_1) | instid1(VALU_DEP_1)
	v_fmac_f32_e32 v46, v60, v68
	s_wait_loadcnt_dscnt 0x101
	v_fmac_f32_e32 v46, v59, v67
	s_wait_loadcnt_dscnt 0x0
	s_delay_alu instid0(VALU_DEP_1)
	v_fmac_f32_e32 v46, v58, v66
.LBB203_25:                             ;   in Loop: Header=BB203_27 Depth=2
	s_or_b32 exec_lo, exec_lo, s44
	s_wait_loadcnt_dscnt 0x303
	v_fmac_f32_e32 v45, v61, v65
	s_wait_loadcnt_dscnt 0x202
	s_delay_alu instid0(VALU_DEP_1) | instskip(SKIP_1) | instid1(VALU_DEP_1)
	v_fmac_f32_e32 v45, v60, v63
	s_wait_loadcnt_dscnt 0x101
	v_fmac_f32_e32 v45, v59, v62
	s_wait_loadcnt_dscnt 0x0
	s_delay_alu instid0(VALU_DEP_1)
	v_fmac_f32_e32 v45, v58, v64
.LBB203_26:                             ;   in Loop: Header=BB203_27 Depth=2
	s_wait_alu 0xfffe
	s_or_b32 exec_lo, exec_lo, s7
	v_add_co_u32 v30, vcc_lo, v30, s30
	s_wait_alu 0xfffd
	v_add_co_ci_u32_e64 v31, null, s31, v31, vcc_lo
	v_add_co_u32 v50, vcc_lo, v50, s34
	v_add_nc_u32_e32 v49, 64, v49
	s_wait_alu 0xfffd
	v_add_co_ci_u32_e64 v51, null, s35, v51, vcc_lo
	v_add_co_u32 v52, vcc_lo, v52, s34
	s_wait_alu 0xfffd
	v_add_co_ci_u32_e64 v53, null, s35, v53, vcc_lo
	v_add_co_u32 v54, vcc_lo, v54, s34
	s_wait_alu 0xfffd
	v_add_co_ci_u32_e64 v55, null, s35, v55, vcc_lo
	v_cmp_le_i32_e32 vcc_lo, s39, v49
	v_add_co_u32 v56, s7, v56, s34
	s_wait_alu 0xf1ff
	v_add_co_ci_u32_e64 v57, null, s35, v57, s7
	s_or_b32 s43, vcc_lo, s43
	s_delay_alu instid0(SALU_CYCLE_1)
	s_and_not1_b32 exec_lo, exec_lo, s43
	s_cbranch_execz .LBB203_32
.LBB203_27:                             ;   Parent Loop BB203_4 Depth=1
                                        ; =>  This Inner Loop Header: Depth=2
	s_and_saveexec_b32 s7, s1
	s_cbranch_execz .LBB203_26
; %bb.28:                               ;   in Loop: Header=BB203_27 Depth=2
	v_add_co_u32 v58, vcc_lo, v30, v6
	s_wait_alu 0xfffd
	v_add_co_ci_u32_e64 v59, null, v31, v7, vcc_lo
	v_add_co_u32 v62, vcc_lo, v30, v20
	s_wait_alu 0xfffd
	v_add_co_ci_u32_e64 v63, null, v31, v21, vcc_lo
	v_add_co_u32 v64, vcc_lo, v30, v18
	s_wait_alu 0xfffd
	v_add_co_ci_u32_e64 v65, null, v31, v19, vcc_lo
	v_add_co_u32 v66, vcc_lo, v30, v12
	s_wait_alu 0xfffd
	v_add_co_ci_u32_e64 v67, null, v31, v13, vcc_lo
	v_add_co_u32 v32, vcc_lo, v52, v8
	s_wait_alu 0xfffd
	v_add_co_ci_u32_e64 v33, null, v53, v9, vcc_lo
	v_add_co_u32 v34, vcc_lo, v56, v8
	s_wait_alu 0xfffd
	v_add_co_ci_u32_e64 v35, null, v57, v9, vcc_lo
	v_add_co_u32 v36, vcc_lo, v54, v8
	s_wait_alu 0xfffd
	v_add_co_ci_u32_e64 v37, null, v55, v9, vcc_lo
	v_add_co_u32 v38, vcc_lo, v50, v8
	s_wait_alu 0xfffd
	v_add_co_ci_u32_e64 v39, null, v51, v9, vcc_lo
	s_clause 0x3
	flat_load_b32 v61, v[58:59]
	flat_load_b32 v60, v[62:63]
	;; [unrolled: 1-line block ×8, first 2 shown]
	s_and_saveexec_b32 s44, s2
	s_cbranch_execz .LBB203_25
; %bb.29:                               ;   in Loop: Header=BB203_27 Depth=2
	flat_load_b32 v69, v[32:33] offset:128
	flat_load_b32 v68, v[34:35] offset:128
	flat_load_b32 v67, v[36:37] offset:128
	flat_load_b32 v66, v[38:39] offset:128
	s_and_saveexec_b32 s45, s3
	s_cbranch_execz .LBB203_24
; %bb.30:                               ;   in Loop: Header=BB203_27 Depth=2
	flat_load_b32 v73, v[32:33] offset:256
	flat_load_b32 v72, v[34:35] offset:256
	flat_load_b32 v71, v[36:37] offset:256
	flat_load_b32 v70, v[38:39] offset:256
	;; [unrolled: 7-line block ×3, first 2 shown]
	s_wait_loadcnt_dscnt 0x303
	v_fmac_f32_e32 v48, v61, v32
	s_wait_loadcnt_dscnt 0x202
	s_delay_alu instid0(VALU_DEP_1) | instskip(SKIP_1) | instid1(VALU_DEP_1)
	v_fmac_f32_e32 v48, v60, v33
	s_wait_loadcnt_dscnt 0x101
	v_fmac_f32_e32 v48, v59, v34
	s_wait_loadcnt_dscnt 0x0
	s_delay_alu instid0(VALU_DEP_1)
	v_fmac_f32_e32 v48, v58, v35
	s_branch .LBB203_23
.LBB203_32:                             ;   in Loop: Header=BB203_4 Depth=1
	s_or_b32 exec_lo, exec_lo, s43
.LBB203_33:                             ;   in Loop: Header=BB203_4 Depth=1
	s_delay_alu instid0(SALU_CYCLE_1) | instskip(NEXT) | instid1(SALU_CYCLE_1)
	s_or_b32 exec_lo, exec_lo, s42
	s_and_not1_b32 vcc_lo, exec_lo, s40
	s_wait_alu 0xfffe
	s_cbranch_vccnz .LBB203_51
; %bb.34:                               ;   in Loop: Header=BB203_4 Depth=1
	v_cmp_gt_i32_e32 vcc_lo, s21, v49
	v_dual_mov_b32 v37, 0 :: v_dual_mov_b32 v36, 0
	v_or_b32_e32 v30, 1, v49
	v_dual_mov_b32 v35, 0 :: v_dual_mov_b32 v34, 0
	s_and_saveexec_b32 s42, vcc_lo
	s_cbranch_execz .LBB203_42
; %bb.35:                               ;   in Loop: Header=BB203_4 Depth=1
	v_mad_co_u64_u32 v[31:32], null, s26, v49, 0
	v_dual_mov_b32 v35, 0 :: v_dual_mov_b32 v36, 0
	v_mov_b32_e32 v37, 0
	s_mov_b32 s43, exec_lo
	s_delay_alu instid0(VALU_DEP_3) | instskip(NEXT) | instid1(VALU_DEP_1)
	v_mad_co_u64_u32 v[32:33], null, s27, v49, v[32:33]
	v_lshlrev_b64_e32 v[31:32], 2, v[31:32]
	s_delay_alu instid0(VALU_DEP_1) | instskip(SKIP_1) | instid1(VALU_DEP_2)
	v_add_co_u32 v31, s7, v28, v31
	s_wait_alu 0xf1ff
	v_add_co_ci_u32_e64 v32, null, v29, v32, s7
	flat_load_b32 v34, v[31:32]
	v_cmpx_gt_i32_e64 s21, v30
	s_cbranch_execz .LBB203_41
; %bb.36:                               ;   in Loop: Header=BB203_4 Depth=1
	v_mad_co_u64_u32 v[31:32], null, s26, v30, 0
	v_dual_mov_b32 v36, 0 :: v_dual_mov_b32 v37, 0
	s_mov_b32 s44, exec_lo
	s_delay_alu instid0(VALU_DEP_2) | instskip(NEXT) | instid1(VALU_DEP_1)
	v_mad_co_u64_u32 v[32:33], null, s27, v30, v[32:33]
	v_lshlrev_b64_e32 v[31:32], 2, v[31:32]
	s_delay_alu instid0(VALU_DEP_1) | instskip(SKIP_1) | instid1(VALU_DEP_2)
	v_add_co_u32 v31, s7, v28, v31
	s_wait_alu 0xf1ff
	v_add_co_ci_u32_e64 v32, null, v29, v32, s7
	flat_load_b32 v35, v[31:32]
	v_or_b32_e32 v31, 2, v49
	s_delay_alu instid0(VALU_DEP_1)
	v_cmpx_gt_i32_e64 s21, v31
	s_cbranch_execz .LBB203_40
; %bb.37:                               ;   in Loop: Header=BB203_4 Depth=1
	v_mad_co_u64_u32 v[32:33], null, s26, v31, 0
	s_mov_b32 s45, exec_lo
	s_wait_loadcnt_dscnt 0x101
	v_mad_co_u64_u32 v[36:37], null, s27, v31, v[33:34]
	v_mov_b32_e32 v37, 0
	s_delay_alu instid0(VALU_DEP_2) | instskip(NEXT) | instid1(VALU_DEP_1)
	v_mov_b32_e32 v33, v36
	v_lshlrev_b64_e32 v[31:32], 2, v[32:33]
	s_delay_alu instid0(VALU_DEP_1) | instskip(SKIP_1) | instid1(VALU_DEP_2)
	v_add_co_u32 v31, s7, v28, v31
	s_wait_alu 0xf1ff
	v_add_co_ci_u32_e64 v32, null, v29, v32, s7
	flat_load_b32 v36, v[31:32]
	v_or_b32_e32 v31, 3, v49
	s_delay_alu instid0(VALU_DEP_1)
	v_cmpx_gt_i32_e64 s21, v31
	s_cbranch_execz .LBB203_39
; %bb.38:                               ;   in Loop: Header=BB203_4 Depth=1
	v_mad_co_u64_u32 v[32:33], null, s26, v31, 0
	s_delay_alu instid0(VALU_DEP_1) | instskip(NEXT) | instid1(VALU_DEP_1)
	v_mad_co_u64_u32 v[37:38], null, s27, v31, v[33:34]
	v_mov_b32_e32 v33, v37
	s_delay_alu instid0(VALU_DEP_1) | instskip(NEXT) | instid1(VALU_DEP_1)
	v_lshlrev_b64_e32 v[31:32], 2, v[32:33]
	v_add_co_u32 v28, s7, v28, v31
	s_wait_alu 0xf1ff
	s_delay_alu instid0(VALU_DEP_2)
	v_add_co_ci_u32_e64 v29, null, v29, v32, s7
	flat_load_b32 v37, v[28:29]
.LBB203_39:                             ;   in Loop: Header=BB203_4 Depth=1
	s_or_b32 exec_lo, exec_lo, s45
.LBB203_40:                             ;   in Loop: Header=BB203_4 Depth=1
	s_delay_alu instid0(SALU_CYCLE_1)
	s_or_b32 exec_lo, exec_lo, s44
.LBB203_41:                             ;   in Loop: Header=BB203_4 Depth=1
	s_delay_alu instid0(SALU_CYCLE_1)
	s_or_b32 exec_lo, exec_lo, s43
.LBB203_42:                             ;   in Loop: Header=BB203_4 Depth=1
	s_delay_alu instid0(SALU_CYCLE_1)
	s_or_b32 exec_lo, exec_lo, s42
	s_and_saveexec_b32 s42, s1
	s_cbranch_execz .LBB203_50
; %bb.43:                               ;   in Loop: Header=BB203_4 Depth=1
	v_mad_co_u64_u32 v[28:29], null, s28, v49, 0
	v_or_b32_e32 v52, 2, v49
	v_mad_co_u64_u32 v[31:32], null, s28, v30, 0
	v_or_b32_e32 v53, 3, v49
	v_cmp_gt_i32_e64 s7, s21, v30
	s_delay_alu instid0(VALU_DEP_4) | instskip(SKIP_3) | instid1(VALU_DEP_4)
	v_mad_co_u64_u32 v[38:39], null, s28, v52, 0
	v_mad_co_u64_u32 v[49:50], null, s29, v49, v[29:30]
	;; [unrolled: 1-line block ×4, first 2 shown]
	v_mov_b32_e32 v30, v39
	s_delay_alu instid0(VALU_DEP_4)
	v_dual_cndmask_b32 v50, 0, v28 :: v_dual_cndmask_b32 v51, 0, v49
	s_wait_alu 0xf1ff
	v_cndmask_b32_e64 v28, 0, v31, s7
	v_cndmask_b32_e64 v29, 0, v29, s7
	v_mad_co_u64_u32 v[30:31], null, s29, v52, v[30:31]
	v_mov_b32_e32 v31, v33
	v_lshlrev_b64_e32 v[49:50], 2, v[50:51]
	v_cmp_gt_i32_e32 vcc_lo, s21, v52
	v_lshlrev_b64_e32 v[51:52], 2, v[28:29]
	s_wait_alu 0xfffd
	v_cndmask_b32_e32 v39, 0, v30, vcc_lo
	s_delay_alu instid0(VALU_DEP_4)
	v_add_co_u32 v28, s7, v26, v49
	s_wait_alu 0xf1ff
	v_add_co_ci_u32_e64 v29, null, v27, v50, s7
	v_mad_co_u64_u32 v[30:31], null, s29, v53, v[31:32]
	v_cndmask_b32_e32 v38, 0, v38, vcc_lo
	v_add_co_u32 v28, vcc_lo, v28, v8
	s_wait_alu 0xfffd
	v_add_co_ci_u32_e64 v29, null, v29, v9, vcc_lo
	v_cmp_gt_i32_e32 vcc_lo, s21, v53
	v_add_co_u32 v31, s7, v26, v51
	s_wait_alu 0xf1ff
	v_add_co_ci_u32_e64 v49, null, v27, v52, s7
	s_wait_alu 0xfffd
	v_dual_cndmask_b32 v32, 0, v32 :: v_dual_cndmask_b32 v33, 0, v30
	v_lshlrev_b64_e32 v[38:39], 2, v[38:39]
	v_add_co_u32 v30, vcc_lo, v31, v8
	s_wait_alu 0xfffd
	v_add_co_ci_u32_e64 v31, null, v49, v9, vcc_lo
	v_lshlrev_b64_e32 v[32:33], 2, v[32:33]
	s_delay_alu instid0(VALU_DEP_4) | instskip(SKIP_2) | instid1(VALU_DEP_3)
	v_add_co_u32 v38, vcc_lo, v26, v38
	s_wait_alu 0xfffd
	v_add_co_ci_u32_e64 v39, null, v27, v39, vcc_lo
	v_add_co_u32 v26, vcc_lo, v26, v32
	s_wait_alu 0xfffd
	v_add_co_ci_u32_e64 v27, null, v27, v33, vcc_lo
	;; [unrolled: 3-line block ×4, first 2 shown]
	s_clause 0x3
	flat_load_b32 v50, v[28:29]
	flat_load_b32 v39, v[30:31]
	;; [unrolled: 1-line block ×4, first 2 shown]
	s_and_saveexec_b32 s7, s2
	s_cbranch_execz .LBB203_49
; %bb.44:                               ;   in Loop: Header=BB203_4 Depth=1
	s_clause 0x3
	flat_load_b32 v54, v[28:29] offset:128
	flat_load_b32 v53, v[30:31] offset:128
	flat_load_b32 v52, v[32:33] offset:128
	flat_load_b32 v51, v[26:27] offset:128
	s_and_saveexec_b32 s43, s3
	s_cbranch_execz .LBB203_48
; %bb.45:                               ;   in Loop: Header=BB203_4 Depth=1
	s_clause 0x3
	flat_load_b32 v58, v[28:29] offset:256
	flat_load_b32 v57, v[30:31] offset:256
	flat_load_b32 v56, v[32:33] offset:256
	flat_load_b32 v55, v[26:27] offset:256
	;; [unrolled: 8-line block ×3, first 2 shown]
	s_wait_loadcnt_dscnt 0x303
	v_fmac_f32_e32 v48, v34, v28
	s_wait_loadcnt_dscnt 0x202
	s_delay_alu instid0(VALU_DEP_1) | instskip(SKIP_1) | instid1(VALU_DEP_1)
	v_fmac_f32_e32 v48, v35, v29
	s_wait_loadcnt_dscnt 0x101
	v_fmac_f32_e32 v48, v36, v30
	s_wait_loadcnt_dscnt 0x0
	s_delay_alu instid0(VALU_DEP_1)
	v_fmac_f32_e32 v48, v37, v26
.LBB203_47:                             ;   in Loop: Header=BB203_4 Depth=1
	s_or_b32 exec_lo, exec_lo, s44
	s_wait_loadcnt_dscnt 0x303
	v_fmac_f32_e32 v47, v34, v58
	s_wait_loadcnt_dscnt 0x202
	s_delay_alu instid0(VALU_DEP_1) | instskip(SKIP_1) | instid1(VALU_DEP_1)
	v_fmac_f32_e32 v47, v35, v57
	s_wait_loadcnt_dscnt 0x101
	v_fmac_f32_e32 v47, v36, v56
	s_wait_loadcnt_dscnt 0x0
	s_delay_alu instid0(VALU_DEP_1)
	v_fmac_f32_e32 v47, v37, v55
.LBB203_48:                             ;   in Loop: Header=BB203_4 Depth=1
	s_or_b32 exec_lo, exec_lo, s43
	s_wait_loadcnt_dscnt 0x303
	v_fmac_f32_e32 v46, v34, v54
	s_wait_loadcnt_dscnt 0x202
	s_delay_alu instid0(VALU_DEP_1) | instskip(SKIP_1) | instid1(VALU_DEP_1)
	v_fmac_f32_e32 v46, v35, v53
	s_wait_loadcnt_dscnt 0x101
	v_fmac_f32_e32 v46, v36, v52
	s_wait_loadcnt_dscnt 0x0
	s_delay_alu instid0(VALU_DEP_1)
	v_fmac_f32_e32 v46, v37, v51
.LBB203_49:                             ;   in Loop: Header=BB203_4 Depth=1
	s_wait_alu 0xfffe
	s_or_b32 exec_lo, exec_lo, s7
	s_wait_loadcnt_dscnt 0x303
	v_fmac_f32_e32 v45, v34, v50
	s_wait_loadcnt_dscnt 0x202
	s_delay_alu instid0(VALU_DEP_1) | instskip(SKIP_1) | instid1(VALU_DEP_1)
	v_fmac_f32_e32 v45, v35, v39
	s_wait_loadcnt_dscnt 0x101
	v_fmac_f32_e32 v45, v36, v38
	s_wait_loadcnt_dscnt 0x0
	s_delay_alu instid0(VALU_DEP_1)
	v_fmac_f32_e32 v45, v37, v49
.LBB203_50:                             ;   in Loop: Header=BB203_4 Depth=1
	s_or_b32 exec_lo, exec_lo, s42
.LBB203_51:                             ;   in Loop: Header=BB203_4 Depth=1
	ds_store_2addr_b32 v41, v45, v46 offset1:32
	ds_store_2addr_b32 v41, v47, v48 offset0:64 offset1:96
	s_wait_loadcnt_dscnt 0x0
	s_barrier_signal -1
	s_barrier_wait -1
	global_inv scope:SCOPE_SE
                                        ; implicit-def: $vgpr30
	s_and_saveexec_b32 s7, s0
	s_cbranch_execz .LBB203_57
; %bb.52:                               ;   in Loop: Header=BB203_4 Depth=1
	ds_load_2addr_stride64_b32 v[26:27], v0 offset1:2
	ds_load_2addr_stride64_b32 v[28:29], v0 offset0:4 offset1:6
	ds_load_2addr_stride64_b32 v[30:31], v0 offset0:8 offset1:10
	s_mov_b32 s43, s41
	s_wait_dscnt 0x2
	v_add_f32_e32 v32, v26, v27
	ds_load_2addr_stride64_b32 v[26:27], v0 offset0:12 offset1:14
	s_wait_dscnt 0x2
	v_add_f32_e32 v28, v28, v32
	s_delay_alu instid0(VALU_DEP_1) | instskip(SKIP_3) | instid1(VALU_DEP_1)
	v_add_f32_e32 v32, v29, v28
	ds_load_2addr_stride64_b32 v[28:29], v0 offset0:16 offset1:18
	s_wait_dscnt 0x2
	v_add_f32_e32 v30, v30, v32
	v_add_f32_e32 v32, v31, v30
	ds_load_2addr_stride64_b32 v[30:31], v0 offset0:20 offset1:22
	s_wait_dscnt 0x2
	v_add_f32_e32 v26, v26, v32
	s_delay_alu instid0(VALU_DEP_1) | instskip(SKIP_1) | instid1(VALU_DEP_1)
	v_add_f32_e32 v26, v27, v26
	s_wait_dscnt 0x1
	v_add_f32_e32 v28, v28, v26
	ds_load_2addr_stride64_b32 v[26:27], v0 offset0:24 offset1:26
	v_add_f32_e32 v28, v29, v28
	s_wait_dscnt 0x1
	s_delay_alu instid0(VALU_DEP_1) | instskip(SKIP_3) | instid1(VALU_DEP_1)
	v_add_f32_e32 v30, v30, v28
	ds_load_2addr_stride64_b32 v[28:29], v0 offset0:28 offset1:30
	v_add_f32_e32 v30, v31, v30
	s_wait_dscnt 0x1
	v_add_f32_e32 v26, v26, v30
                                        ; implicit-def: $vgpr30
	s_delay_alu instid0(VALU_DEP_1) | instskip(SKIP_1) | instid1(VALU_DEP_1)
	v_add_f32_e32 v26, v27, v26
	s_wait_dscnt 0x0
	v_add_f32_e32 v26, v28, v26
	s_delay_alu instid0(VALU_DEP_1)
	v_add_f32_e32 v26, v29, v26
	ds_store_b32 v0, v26
	s_and_saveexec_b32 s42, s6
	s_cbranch_execz .LBB203_56
; %bb.53:                               ;   in Loop: Header=BB203_4 Depth=1
	v_mul_f32_e32 v30, s22, v26
	s_and_not1_b32 vcc_lo, exec_lo, s38
	s_wait_alu 0xfffe
	s_cbranch_vccnz .LBB203_55
; %bb.54:                               ;   in Loop: Header=BB203_4 Depth=1
	v_lshlrev_b64_e32 v[26:27], 2, v[4:5]
	s_delay_alu instid0(VALU_DEP_1) | instskip(SKIP_1) | instid1(VALU_DEP_2)
	v_add_co_u32 v26, vcc_lo, v43, v26
	s_wait_alu 0xfffd
	v_add_co_ci_u32_e64 v27, null, v44, v27, vcc_lo
	flat_load_b32 v26, v[26:27]
	s_wait_loadcnt_dscnt 0x0
	v_fmac_f32_e32 v30, s33, v26
.LBB203_55:                             ;   in Loop: Header=BB203_4 Depth=1
	s_or_b32 s43, s41, exec_lo
.LBB203_56:                             ;   in Loop: Header=BB203_4 Depth=1
	s_or_b32 exec_lo, exec_lo, s42
	s_delay_alu instid0(SALU_CYCLE_1) | instskip(SKIP_1) | instid1(SALU_CYCLE_1)
	s_and_not1_b32 s41, s41, exec_lo
	s_and_b32 s42, s43, exec_lo
	s_or_b32 s41, s41, s42
.LBB203_57:                             ;   in Loop: Header=BB203_4 Depth=1
	s_wait_alu 0xfffe
	s_or_b32 exec_lo, exec_lo, s7
	v_dual_mov_b32 v27, v5 :: v_dual_mov_b32 v26, v4
	s_and_saveexec_b32 s7, s41
	s_cbranch_execz .LBB203_2
.LBB203_58:                             ;   in Loop: Header=BB203_4 Depth=1
	s_delay_alu instid0(VALU_DEP_1) | instskip(NEXT) | instid1(VALU_DEP_1)
	v_lshlrev_b64_e32 v[26:27], 2, v[26:27]
	v_add_co_u32 v26, vcc_lo, v43, v26
	s_wait_alu 0xfffd
	s_delay_alu instid0(VALU_DEP_2)
	v_add_co_ci_u32_e64 v27, null, v44, v27, vcc_lo
	flat_store_b32 v[26:27], v30
	s_branch .LBB203_2
.LBB203_59:
	s_endpgm
	.section	.rodata,"a",@progbits
	.p2align	6, 0x0
	.amdhsa_kernel _ZL20rocblas_gemvn_kernelILi32ELi16ElPKffKPfEviiT3_lPKT2_lT1_lS7_lS8_lS4_lPT4_lS8_li
		.amdhsa_group_segment_fixed_size 8192
		.amdhsa_private_segment_fixed_size 0
		.amdhsa_kernarg_size 400
		.amdhsa_user_sgpr_count 2
		.amdhsa_user_sgpr_dispatch_ptr 0
		.amdhsa_user_sgpr_queue_ptr 0
		.amdhsa_user_sgpr_kernarg_segment_ptr 1
		.amdhsa_user_sgpr_dispatch_id 0
		.amdhsa_user_sgpr_private_segment_size 0
		.amdhsa_wavefront_size32 1
		.amdhsa_uses_dynamic_stack 0
		.amdhsa_enable_private_segment 0
		.amdhsa_system_sgpr_workgroup_id_x 1
		.amdhsa_system_sgpr_workgroup_id_y 0
		.amdhsa_system_sgpr_workgroup_id_z 1
		.amdhsa_system_sgpr_workgroup_info 0
		.amdhsa_system_vgpr_workitem_id 1
		.amdhsa_next_free_vgpr 74
		.amdhsa_next_free_sgpr 47
		.amdhsa_reserve_vcc 1
		.amdhsa_float_round_mode_32 0
		.amdhsa_float_round_mode_16_64 0
		.amdhsa_float_denorm_mode_32 3
		.amdhsa_float_denorm_mode_16_64 3
		.amdhsa_fp16_overflow 0
		.amdhsa_workgroup_processor_mode 1
		.amdhsa_memory_ordered 1
		.amdhsa_forward_progress 1
		.amdhsa_inst_pref_size 29
		.amdhsa_round_robin_scheduling 0
		.amdhsa_exception_fp_ieee_invalid_op 0
		.amdhsa_exception_fp_denorm_src 0
		.amdhsa_exception_fp_ieee_div_zero 0
		.amdhsa_exception_fp_ieee_overflow 0
		.amdhsa_exception_fp_ieee_underflow 0
		.amdhsa_exception_fp_ieee_inexact 0
		.amdhsa_exception_int_div_zero 0
	.end_amdhsa_kernel
	.section	.text._ZL20rocblas_gemvn_kernelILi32ELi16ElPKffKPfEviiT3_lPKT2_lT1_lS7_lS8_lS4_lPT4_lS8_li,"axG",@progbits,_ZL20rocblas_gemvn_kernelILi32ELi16ElPKffKPfEviiT3_lPKT2_lT1_lS7_lS8_lS4_lPT4_lS8_li,comdat
.Lfunc_end203:
	.size	_ZL20rocblas_gemvn_kernelILi32ELi16ElPKffKPfEviiT3_lPKT2_lT1_lS7_lS8_lS4_lPT4_lS8_li, .Lfunc_end203-_ZL20rocblas_gemvn_kernelILi32ELi16ElPKffKPfEviiT3_lPKT2_lT1_lS7_lS8_lS4_lPT4_lS8_li
                                        ; -- End function
	.set _ZL20rocblas_gemvn_kernelILi32ELi16ElPKffKPfEviiT3_lPKT2_lT1_lS7_lS8_lS4_lPT4_lS8_li.num_vgpr, 74
	.set _ZL20rocblas_gemvn_kernelILi32ELi16ElPKffKPfEviiT3_lPKT2_lT1_lS7_lS8_lS4_lPT4_lS8_li.num_agpr, 0
	.set _ZL20rocblas_gemvn_kernelILi32ELi16ElPKffKPfEviiT3_lPKT2_lT1_lS7_lS8_lS4_lPT4_lS8_li.numbered_sgpr, 47
	.set _ZL20rocblas_gemvn_kernelILi32ELi16ElPKffKPfEviiT3_lPKT2_lT1_lS7_lS8_lS4_lPT4_lS8_li.num_named_barrier, 0
	.set _ZL20rocblas_gemvn_kernelILi32ELi16ElPKffKPfEviiT3_lPKT2_lT1_lS7_lS8_lS4_lPT4_lS8_li.private_seg_size, 0
	.set _ZL20rocblas_gemvn_kernelILi32ELi16ElPKffKPfEviiT3_lPKT2_lT1_lS7_lS8_lS4_lPT4_lS8_li.uses_vcc, 1
	.set _ZL20rocblas_gemvn_kernelILi32ELi16ElPKffKPfEviiT3_lPKT2_lT1_lS7_lS8_lS4_lPT4_lS8_li.uses_flat_scratch, 1
	.set _ZL20rocblas_gemvn_kernelILi32ELi16ElPKffKPfEviiT3_lPKT2_lT1_lS7_lS8_lS4_lPT4_lS8_li.has_dyn_sized_stack, 0
	.set _ZL20rocblas_gemvn_kernelILi32ELi16ElPKffKPfEviiT3_lPKT2_lT1_lS7_lS8_lS4_lPT4_lS8_li.has_recursion, 0
	.set _ZL20rocblas_gemvn_kernelILi32ELi16ElPKffKPfEviiT3_lPKT2_lT1_lS7_lS8_lS4_lPT4_lS8_li.has_indirect_call, 0
	.section	.AMDGPU.csdata,"",@progbits
; Kernel info:
; codeLenInByte = 3648
; TotalNumSgprs: 49
; NumVgprs: 74
; ScratchSize: 0
; MemoryBound: 0
; FloatMode: 240
; IeeeMode: 1
; LDSByteSize: 8192 bytes/workgroup (compile time only)
; SGPRBlocks: 0
; VGPRBlocks: 9
; NumSGPRsForWavesPerEU: 49
; NumVGPRsForWavesPerEU: 74
; Occupancy: 16
; WaveLimiterHint : 1
; COMPUTE_PGM_RSRC2:SCRATCH_EN: 0
; COMPUTE_PGM_RSRC2:USER_SGPR: 2
; COMPUTE_PGM_RSRC2:TRAP_HANDLER: 0
; COMPUTE_PGM_RSRC2:TGID_X_EN: 1
; COMPUTE_PGM_RSRC2:TGID_Y_EN: 0
; COMPUTE_PGM_RSRC2:TGID_Z_EN: 1
; COMPUTE_PGM_RSRC2:TIDIG_COMP_CNT: 1
	.section	.text._ZL20rocblas_gemvn_kernelILi64ELi16EiPKfS1_KPfEviiT3_lPKT2_lT1_lS7_lS8_lS4_lPT4_lS8_li,"axG",@progbits,_ZL20rocblas_gemvn_kernelILi64ELi16EiPKfS1_KPfEviiT3_lPKT2_lT1_lS7_lS8_lS4_lPT4_lS8_li,comdat
	.globl	_ZL20rocblas_gemvn_kernelILi64ELi16EiPKfS1_KPfEviiT3_lPKT2_lT1_lS7_lS8_lS4_lPT4_lS8_li ; -- Begin function _ZL20rocblas_gemvn_kernelILi64ELi16EiPKfS1_KPfEviiT3_lPKT2_lT1_lS7_lS8_lS4_lPT4_lS8_li
	.p2align	8
	.type	_ZL20rocblas_gemvn_kernelILi64ELi16EiPKfS1_KPfEviiT3_lPKT2_lT1_lS7_lS8_lS4_lPT4_lS8_li,@function
_ZL20rocblas_gemvn_kernelILi64ELi16EiPKfS1_KPfEviiT3_lPKT2_lT1_lS7_lS8_lS4_lPT4_lS8_li: ; @_ZL20rocblas_gemvn_kernelILi64ELi16EiPKfS1_KPfEviiT3_lPKT2_lT1_lS7_lS8_lS4_lPT4_lS8_li
; %bb.0:
	s_clause 0x1
	s_load_b64 s[2:3], s[0:1], 0x9c
	s_load_b32 s33, s[0:1], 0x88
	s_lshr_b32 s10, ttmp7, 16
	s_wait_kmcnt 0x0
	s_lshr_b32 s4, s2, 16
	s_and_b32 s2, s2, 0xffff
	s_and_b32 s3, s3, 0xffff
	s_mul_i32 s2, s4, s2
	s_delay_alu instid0(SALU_CYCLE_1) | instskip(NEXT) | instid1(SALU_CYCLE_1)
	s_mul_i32 s2, s2, s3
	s_cmp_lg_u32 s2, 0x400
	s_cselect_b32 s2, -1, 0
	s_cmp_ge_u32 s10, s33
	s_cselect_b32 s3, -1, 0
	s_delay_alu instid0(SALU_CYCLE_1) | instskip(NEXT) | instid1(SALU_CYCLE_1)
	s_or_b32 s2, s2, s3
	s_and_b32 vcc_lo, exec_lo, s2
	s_cbranch_vccnz .LBB204_56
; %bb.1:
	s_clause 0x2
	s_load_b32 s6, s[0:1], 0x78
	s_load_b64 s[8:9], s[0:1], 0x0
	s_load_b256 s[12:19], s[0:1], 0x8
	v_and_b32_e32 v9, 0x3ff, v0
	v_bfe_u32 v8, v0, 10, 10
	s_clause 0x3
	s_load_b32 s35, s[0:1], 0x28
	s_load_b128 s[28:31], s[0:1], 0x38
	s_load_b32 s34, s[0:1], 0x48
	s_load_b256 s[20:27], s[0:1], 0x58
	s_lshl_b32 s36, ttmp9, 8
	v_mov_b32_e32 v1, 0
	v_add_nc_u32_e32 v23, s36, v9
	v_lshl_add_u32 v5, v8, 6, v9
	v_lshlrev_b32_e32 v24, 2, v8
	v_lshlrev_b32_e32 v6, 2, v9
	s_mov_b32 s11, 0
	v_add_nc_u32_e32 v7, 0x80, v23
	v_add_nc_u32_e32 v0, s36, v5
	;; [unrolled: 1-line block ×3, first 2 shown]
	v_or_b32_e32 v11, s36, v5
	v_add_nc_u32_e32 v10, 0xc0, v23
	v_or_b32_e32 v12, 3, v24
	v_lshl_add_u32 v25, v8, 8, v6
	s_wait_kmcnt 0x0
	v_mad_co_u64_u32 v[2:3], null, s6, v0, 0
	s_ashr_i32 s3, s6, 31
	v_cmp_gt_i32_e64 s2, s8, v7
	v_mul_lo_u32 v7, s35, v24
	s_ashr_i32 s7, s9, 31
	v_cmp_gt_i32_e64 s1, s8, v4
	s_wait_alu 0xfffe
	s_lshr_b32 s7, s7, 26
	v_mad_co_u64_u32 v[3:4], null, s3, v0, v[3:4]
	v_mul_lo_u32 v4, s6, v11
	v_cmp_gt_i32_e64 s6, s8, v11
	v_mul_lo_u32 v11, v8, s35
	v_cmp_gt_i32_e64 s3, s8, v10
	v_or_b32_e32 v10, 2, v24
	s_wait_alu 0xfffe
	s_add_co_i32 s37, s9, s7
	v_mul_lo_u32 v13, v8, s34
	s_ashr_i32 s5, s8, 31
	s_mov_b32 s4, s8
	s_wait_alu 0xfffe
	s_and_not1_b32 s37, s37, 63
	v_cmp_gt_i64_e32 vcc_lo, s[4:5], v[0:1]
	v_lshl_add_u32 v0, v8, 10, v6
	v_add3_u32 v26, v7, s35, v9
	v_mad_co_u64_u32 v[6:7], null, s35, v10, v[9:10]
	s_wait_alu 0xfffe
	s_sub_co_i32 s5, s9, s37
	v_mad_co_u64_u32 v[7:8], null, s35, v12, v[9:10]
	v_lshl_add_u32 v27, v11, 2, v9
	v_mad_co_u64_u32 v[8:9], null, s34, v24, s[34:35]
	v_mul_lo_u32 v28, s34, v10
	v_mul_lo_u32 v29, s34, v12
	s_wait_alu 0xfffe
	s_cmp_gt_i32 s5, 0
	v_cmp_gt_u32_e64 s5, 0x100, v5
	v_lshlrev_b64_e32 v[9:10], 2, v[2:3]
	v_cmp_gt_i32_e64 s0, s8, v23
	v_cmp_gt_i32_e64 s4, s37, v24
	v_ashrrev_i32_e32 v5, 31, v4
	v_lshlrev_b32_e32 v30, 2, v13
	s_cselect_b32 s38, -1, 0
	s_and_b32 s39, s5, vcc_lo
	s_lshl_b32 s40, s35, 6
	s_lshl_b32 s41, s34, 6
	s_lshl_b64 s[18:19], s[18:19], 2
	s_lshl_b64 s[30:31], s[30:31], 2
	;; [unrolled: 1-line block ×3, first 2 shown]
	s_branch .LBB204_4
.LBB204_2:                              ;   in Loop: Header=BB204_4 Depth=1
	s_wait_alu 0xfffe
	s_or_b32 exec_lo, exec_lo, s7
.LBB204_3:                              ;   in Loop: Header=BB204_4 Depth=1
	s_add_co_i32 s10, s10, 0x10000
	s_delay_alu instid0(SALU_CYCLE_1)
	s_cmp_lt_u32 s10, s33
	s_cbranch_scc0 .LBB204_56
.LBB204_4:                              ; =>This Loop Header: Depth=1
                                        ;     Child Loop BB204_24 Depth 2
	s_mul_u64 s[42:43], s[14:15], s[10:11]
	s_mul_u64 s[44:45], s[22:23], s[10:11]
	s_wait_alu 0xfffe
	s_lshl_b64 s[42:43], s[42:43], 2
	s_lshl_b64 s[44:45], s[44:45], 2
	s_wait_alu 0xfffe
	s_add_nc_u64 s[42:43], s[12:13], s[42:43]
	s_add_nc_u64 s[44:45], s[20:21], s[44:45]
	s_clause 0x1
	global_load_b32 v31, v1, s[42:43]
	global_load_b32 v11, v1, s[44:45]
	s_wait_loadcnt 0x1
	v_cmp_eq_f32_e64 s7, 0, v31
	s_wait_loadcnt 0x0
	v_cmp_eq_f32_e32 vcc_lo, 1.0, v11
	v_readfirstlane_b32 s42, v11
	s_and_b32 s8, s7, vcc_lo
	s_wait_alu 0xfffe
	s_and_b32 vcc_lo, exec_lo, s8
	s_wait_alu 0xfffe
	s_cbranch_vccnz .LBB204_3
; %bb.5:                                ;   in Loop: Header=BB204_4 Depth=1
	v_mov_b32_e32 v13, 0
	v_dual_mov_b32 v14, 0 :: v_dual_mov_b32 v11, 0
	v_cmp_neq_f32_e64 s8, 0, v31
	v_mov_b32_e32 v12, 0
	s_and_b32 vcc_lo, exec_lo, s7
	s_wait_alu 0xfffe
	s_cbranch_vccnz .LBB204_7
; %bb.6:                                ;   in Loop: Header=BB204_4 Depth=1
	s_lshl_b64 s[44:45], s[10:11], 3
	s_wait_alu 0xfffe
	s_add_nc_u64 s[44:45], s[16:17], s[44:45]
	global_load_b64 v[11:12], v1, s[44:45]
	s_wait_loadcnt 0x0
	v_add_co_u32 v11, vcc_lo, v11, s18
	s_wait_alu 0xfffd
	v_add_co_ci_u32_e64 v12, null, s19, v12, vcc_lo
.LBB204_7:                              ;   in Loop: Header=BB204_4 Depth=1
	s_and_not1_b32 vcc_lo, exec_lo, s8
	s_wait_alu 0xfffe
	s_cbranch_vccnz .LBB204_9
; %bb.8:                                ;   in Loop: Header=BB204_4 Depth=1
	s_lshl_b64 s[44:45], s[10:11], 3
	s_wait_alu 0xfffe
	s_add_nc_u64 s[44:45], s[28:29], s[44:45]
	global_load_b64 v[13:14], v1, s[44:45]
	s_wait_loadcnt 0x0
	v_add_co_u32 v13, vcc_lo, v13, s30
	s_wait_alu 0xfffd
	v_add_co_ci_u32_e64 v14, null, s31, v14, vcc_lo
.LBB204_9:                              ;   in Loop: Header=BB204_4 Depth=1
	s_lshl_b64 s[44:45], s[10:11], 3
	s_wait_alu 0xfffe
	s_add_nc_u64 s[44:45], s[24:25], s[44:45]
	global_load_b64 v[15:16], v1, s[44:45]
	s_wait_loadcnt 0x0
	v_add_co_u32 v32, vcc_lo, v15, s26
	s_wait_alu 0xfffd
	v_add_co_ci_u32_e64 v33, null, s27, v16, vcc_lo
	s_and_not1_b32 vcc_lo, exec_lo, s7
	s_wait_alu 0xfffe
	s_cbranch_vccnz .LBB204_13
; %bb.10:                               ;   in Loop: Header=BB204_4 Depth=1
	s_mov_b32 s7, 0
	s_mov_b32 s8, 0
                                        ; implicit-def: $vgpr15
	s_and_saveexec_b32 s43, s39
	s_cbranch_execz .LBB204_14
; %bb.11:                               ;   in Loop: Header=BB204_4 Depth=1
	s_cmp_eq_f32 s42, 0
	s_cbranch_scc1 .LBB204_16
; %bb.12:                               ;   in Loop: Header=BB204_4 Depth=1
	v_add_co_u32 v15, vcc_lo, v32, v9
	s_wait_alu 0xfffd
	v_add_co_ci_u32_e64 v16, null, v33, v10, vcc_lo
	flat_load_b32 v15, v[15:16]
	s_wait_loadcnt_dscnt 0x0
	v_mul_f32_e32 v15, s42, v15
	s_branch .LBB204_17
.LBB204_13:                             ;   in Loop: Header=BB204_4 Depth=1
	s_mov_b32 s8, 0
                                        ; implicit-def: $vgpr15
	s_cbranch_execz .LBB204_15
	s_branch .LBB204_18
.LBB204_14:                             ;   in Loop: Header=BB204_4 Depth=1
	s_wait_alu 0xfffe
	s_or_b32 exec_lo, exec_lo, s43
	s_delay_alu instid0(SALU_CYCLE_1)
	s_and_b32 vcc_lo, exec_lo, s7
	s_wait_alu 0xfffe
	s_cbranch_vccnz .LBB204_18
.LBB204_15:                             ;   in Loop: Header=BB204_4 Depth=1
	v_dual_mov_b32 v12, v3 :: v_dual_mov_b32 v11, v2
	s_wait_alu 0xfffe
	s_and_saveexec_b32 s7, s8
	s_cbranch_execz .LBB204_2
	s_branch .LBB204_55
.LBB204_16:                             ;   in Loop: Header=BB204_4 Depth=1
	v_mov_b32_e32 v15, 0
.LBB204_17:                             ;   in Loop: Header=BB204_4 Depth=1
	s_mov_b32 s8, exec_lo
	s_wait_alu 0xfffe
	s_or_b32 exec_lo, exec_lo, s43
	s_delay_alu instid0(SALU_CYCLE_1)
	s_and_b32 vcc_lo, exec_lo, s7
	s_wait_alu 0xfffe
	s_cbranch_vccz .LBB204_15
.LBB204_18:                             ;   in Loop: Header=BB204_4 Depth=1
	v_dual_mov_b32 v34, 0 :: v_dual_mov_b32 v35, 0
	v_dual_mov_b32 v38, v24 :: v_dual_mov_b32 v37, 0
	v_mov_b32_e32 v36, 0
	s_and_saveexec_b32 s7, s4
	s_cbranch_execz .LBB204_30
; %bb.19:                               ;   in Loop: Header=BB204_4 Depth=1
	v_dual_mov_b32 v34, 0 :: v_dual_mov_b32 v39, v27
	v_dual_mov_b32 v40, v7 :: v_dual_mov_b32 v41, v6
	;; [unrolled: 1-line block ×4, first 2 shown]
	v_mov_b32_e32 v36, 0
	s_mov_b32 s43, 0
	s_mov_b32 s44, 0
	s_branch .LBB204_24
.LBB204_20:                             ;   in Loop: Header=BB204_24 Depth=2
	s_or_b32 exec_lo, exec_lo, s48
	s_wait_loadcnt_dscnt 0x303
	v_fmac_f32_e32 v36, v46, v58
	s_wait_loadcnt_dscnt 0x202
	s_delay_alu instid0(VALU_DEP_1) | instskip(SKIP_1) | instid1(VALU_DEP_1)
	v_fmac_f32_e32 v36, v45, v57
	s_wait_loadcnt_dscnt 0x101
	v_fmac_f32_e32 v36, v44, v56
	s_wait_loadcnt_dscnt 0x0
	s_delay_alu instid0(VALU_DEP_1)
	v_fmac_f32_e32 v36, v43, v55
.LBB204_21:                             ;   in Loop: Header=BB204_24 Depth=2
	s_or_b32 exec_lo, exec_lo, s47
	s_wait_loadcnt_dscnt 0x303
	v_fmac_f32_e32 v35, v46, v54
	s_wait_loadcnt_dscnt 0x202
	s_delay_alu instid0(VALU_DEP_1) | instskip(SKIP_1) | instid1(VALU_DEP_1)
	v_fmac_f32_e32 v35, v45, v53
	s_wait_loadcnt_dscnt 0x101
	v_fmac_f32_e32 v35, v44, v52
	s_wait_loadcnt_dscnt 0x0
	s_delay_alu instid0(VALU_DEP_1)
	v_fmac_f32_e32 v35, v43, v51
.LBB204_22:                             ;   in Loop: Header=BB204_24 Depth=2
	s_or_b32 exec_lo, exec_lo, s46
	s_wait_loadcnt_dscnt 0x303
	v_fmac_f32_e32 v34, v46, v50
	s_wait_loadcnt_dscnt 0x202
	s_delay_alu instid0(VALU_DEP_1) | instskip(SKIP_1) | instid1(VALU_DEP_1)
	v_fmac_f32_e32 v34, v45, v48
	s_wait_loadcnt_dscnt 0x101
	v_fmac_f32_e32 v34, v44, v47
	s_wait_loadcnt_dscnt 0x0
	s_delay_alu instid0(VALU_DEP_1)
	v_fmac_f32_e32 v34, v43, v49
.LBB204_23:                             ;   in Loop: Header=BB204_24 Depth=2
	s_wait_alu 0xfffe
	s_or_b32 exec_lo, exec_lo, s45
	v_add_nc_u32_e32 v38, 64, v38
	v_add_nc_u32_e32 v42, s40, v42
	;; [unrolled: 1-line block ×5, first 2 shown]
	v_cmp_le_i32_e32 vcc_lo, s37, v38
	s_add_co_i32 s44, s44, s41
	s_or_b32 s43, vcc_lo, s43
	s_wait_alu 0xfffe
	s_and_not1_b32 exec_lo, exec_lo, s43
	s_cbranch_execz .LBB204_29
.LBB204_24:                             ;   Parent Loop BB204_4 Depth=1
                                        ; =>  This Inner Loop Header: Depth=2
	s_and_saveexec_b32 s45, s0
	s_cbranch_execz .LBB204_23
; %bb.25:                               ;   in Loop: Header=BB204_24 Depth=2
	s_wait_alu 0xfffe
	v_add_nc_u32_e32 v15, s44, v30
	v_add_nc_u32_e32 v17, s44, v8
	;; [unrolled: 1-line block ×5, first 2 shown]
	v_ashrrev_i32_e32 v16, 31, v15
	v_ashrrev_i32_e32 v18, 31, v17
	;; [unrolled: 1-line block ×5, first 2 shown]
	v_lshlrev_b64_e32 v[15:16], 2, v[15:16]
	v_lshlrev_b64_e32 v[17:18], 2, v[17:18]
	;; [unrolled: 1-line block ×3, first 2 shown]
	s_delay_alu instid0(VALU_DEP_3) | instskip(SKIP_1) | instid1(VALU_DEP_4)
	v_add_co_u32 v45, vcc_lo, v13, v15
	s_wait_alu 0xfffd
	v_add_co_ci_u32_e64 v46, null, v14, v16, vcc_lo
	s_delay_alu instid0(VALU_DEP_4)
	v_add_co_u32 v47, vcc_lo, v13, v17
	v_add_nc_u32_e32 v17, s36, v42
	s_wait_alu 0xfffd
	v_add_co_ci_u32_e64 v48, null, v14, v18, vcc_lo
	v_lshlrev_b64_e32 v[15:16], 2, v[21:22]
	v_add_co_u32 v49, vcc_lo, v13, v19
	v_add_nc_u32_e32 v21, s36, v41
	s_wait_alu 0xfffd
	v_add_co_ci_u32_e64 v50, null, v14, v20, vcc_lo
	v_lshlrev_b64_e32 v[19:20], 2, v[43:44]
	v_add_nc_u32_e32 v43, s36, v40
	v_ashrrev_i32_e32 v18, 31, v17
	v_ashrrev_i32_e32 v22, 31, v21
	v_add_co_u32 v51, vcc_lo, v13, v15
	s_delay_alu instid0(VALU_DEP_4)
	v_ashrrev_i32_e32 v44, 31, v43
	s_wait_alu 0xfffd
	v_add_co_ci_u32_e64 v52, null, v14, v16, vcc_lo
	v_lshlrev_b64_e32 v[17:18], 2, v[17:18]
	v_add_co_u32 v15, vcc_lo, v11, v19
	s_wait_alu 0xfffd
	v_add_co_ci_u32_e64 v16, null, v12, v20, vcc_lo
	v_lshlrev_b64_e32 v[19:20], 2, v[21:22]
	v_lshlrev_b64_e32 v[43:44], 2, v[43:44]
	v_add_co_u32 v17, vcc_lo, v11, v17
	s_wait_alu 0xfffd
	v_add_co_ci_u32_e64 v18, null, v12, v18, vcc_lo
	s_delay_alu instid0(VALU_DEP_4)
	v_add_co_u32 v21, vcc_lo, v11, v19
	s_wait_alu 0xfffd
	v_add_co_ci_u32_e64 v22, null, v12, v20, vcc_lo
	v_add_co_u32 v19, vcc_lo, v11, v43
	s_wait_alu 0xfffd
	v_add_co_ci_u32_e64 v20, null, v12, v44, vcc_lo
	s_clause 0x3
	flat_load_b32 v46, v[45:46]
	flat_load_b32 v45, v[47:48]
	flat_load_b32 v44, v[49:50]
	flat_load_b32 v43, v[51:52]
	s_clause 0x3
	flat_load_b32 v50, v[15:16]
	flat_load_b32 v48, v[17:18]
	;; [unrolled: 1-line block ×4, first 2 shown]
	s_and_saveexec_b32 s46, s1
	s_cbranch_execz .LBB204_22
; %bb.26:                               ;   in Loop: Header=BB204_24 Depth=2
	s_clause 0x3
	flat_load_b32 v54, v[15:16] offset:256
	flat_load_b32 v53, v[17:18] offset:256
	flat_load_b32 v52, v[21:22] offset:256
	flat_load_b32 v51, v[19:20] offset:256
	s_and_saveexec_b32 s47, s2
	s_cbranch_execz .LBB204_21
; %bb.27:                               ;   in Loop: Header=BB204_24 Depth=2
	s_clause 0x3
	flat_load_b32 v58, v[15:16] offset:512
	flat_load_b32 v57, v[17:18] offset:512
	flat_load_b32 v56, v[21:22] offset:512
	flat_load_b32 v55, v[19:20] offset:512
	;; [unrolled: 8-line block ×3, first 2 shown]
	s_wait_loadcnt_dscnt 0x303
	v_fmac_f32_e32 v37, v46, v15
	s_wait_loadcnt_dscnt 0x202
	s_delay_alu instid0(VALU_DEP_1) | instskip(SKIP_1) | instid1(VALU_DEP_1)
	v_fmac_f32_e32 v37, v45, v16
	s_wait_loadcnt_dscnt 0x101
	v_fmac_f32_e32 v37, v44, v17
	s_wait_loadcnt_dscnt 0x0
	s_delay_alu instid0(VALU_DEP_1)
	v_fmac_f32_e32 v37, v43, v18
	s_branch .LBB204_20
.LBB204_29:                             ;   in Loop: Header=BB204_4 Depth=1
	s_or_b32 exec_lo, exec_lo, s43
.LBB204_30:                             ;   in Loop: Header=BB204_4 Depth=1
	s_wait_alu 0xfffe
	s_or_b32 exec_lo, exec_lo, s7
	s_delay_alu instid0(SALU_CYCLE_1)
	s_and_not1_b32 vcc_lo, exec_lo, s38
	s_wait_alu 0xfffe
	s_cbranch_vccnz .LBB204_48
; %bb.31:                               ;   in Loop: Header=BB204_4 Depth=1
	v_cmp_gt_i32_e32 vcc_lo, s9, v38
	v_dual_mov_b32 v22, 0 :: v_dual_mov_b32 v21, 0
	v_or_b32_e32 v15, 1, v38
	v_dual_mov_b32 v20, 0 :: v_dual_mov_b32 v19, 0
	s_and_saveexec_b32 s43, vcc_lo
	s_cbranch_execz .LBB204_39
; %bb.32:                               ;   in Loop: Header=BB204_4 Depth=1
	v_mul_lo_u32 v16, v38, s34
	v_dual_mov_b32 v20, 0 :: v_dual_mov_b32 v21, 0
	v_mov_b32_e32 v22, 0
	s_mov_b32 s44, exec_lo
	s_delay_alu instid0(VALU_DEP_3) | instskip(NEXT) | instid1(VALU_DEP_1)
	v_ashrrev_i32_e32 v17, 31, v16
	v_lshlrev_b64_e32 v[16:17], 2, v[16:17]
	s_delay_alu instid0(VALU_DEP_1) | instskip(SKIP_1) | instid1(VALU_DEP_2)
	v_add_co_u32 v16, s7, v13, v16
	s_wait_alu 0xf1ff
	v_add_co_ci_u32_e64 v17, null, v14, v17, s7
	flat_load_b32 v19, v[16:17]
	v_cmpx_gt_i32_e64 s9, v15
	s_cbranch_execz .LBB204_38
; %bb.33:                               ;   in Loop: Header=BB204_4 Depth=1
	v_mul_lo_u32 v16, v15, s34
	v_dual_mov_b32 v21, 0 :: v_dual_mov_b32 v22, 0
	s_mov_b32 s45, exec_lo
	s_delay_alu instid0(VALU_DEP_2) | instskip(NEXT) | instid1(VALU_DEP_1)
	v_ashrrev_i32_e32 v17, 31, v16
	v_lshlrev_b64_e32 v[16:17], 2, v[16:17]
	s_delay_alu instid0(VALU_DEP_1) | instskip(SKIP_1) | instid1(VALU_DEP_2)
	v_add_co_u32 v16, s7, v13, v16
	s_wait_alu 0xf1ff
	v_add_co_ci_u32_e64 v17, null, v14, v17, s7
	flat_load_b32 v20, v[16:17]
	v_or_b32_e32 v16, 2, v38
	s_delay_alu instid0(VALU_DEP_1)
	v_cmpx_gt_i32_e64 s9, v16
	s_cbranch_execz .LBB204_37
; %bb.34:                               ;   in Loop: Header=BB204_4 Depth=1
	v_mul_lo_u32 v16, v16, s34
	v_mov_b32_e32 v22, 0
	s_mov_b32 s46, exec_lo
	s_delay_alu instid0(VALU_DEP_2) | instskip(NEXT) | instid1(VALU_DEP_1)
	v_ashrrev_i32_e32 v17, 31, v16
	v_lshlrev_b64_e32 v[16:17], 2, v[16:17]
	s_delay_alu instid0(VALU_DEP_1) | instskip(SKIP_1) | instid1(VALU_DEP_2)
	v_add_co_u32 v16, s7, v13, v16
	s_wait_alu 0xf1ff
	v_add_co_ci_u32_e64 v17, null, v14, v17, s7
	flat_load_b32 v21, v[16:17]
	v_or_b32_e32 v16, 3, v38
	s_delay_alu instid0(VALU_DEP_1)
	v_cmpx_gt_i32_e64 s9, v16
	s_cbranch_execz .LBB204_36
; %bb.35:                               ;   in Loop: Header=BB204_4 Depth=1
	v_mul_lo_u32 v16, v16, s34
	s_delay_alu instid0(VALU_DEP_1) | instskip(NEXT) | instid1(VALU_DEP_1)
	v_ashrrev_i32_e32 v17, 31, v16
	v_lshlrev_b64_e32 v[16:17], 2, v[16:17]
	s_delay_alu instid0(VALU_DEP_1) | instskip(SKIP_1) | instid1(VALU_DEP_2)
	v_add_co_u32 v13, s7, v13, v16
	s_wait_alu 0xf1ff
	v_add_co_ci_u32_e64 v14, null, v14, v17, s7
	flat_load_b32 v22, v[13:14]
.LBB204_36:                             ;   in Loop: Header=BB204_4 Depth=1
	s_or_b32 exec_lo, exec_lo, s46
.LBB204_37:                             ;   in Loop: Header=BB204_4 Depth=1
	s_wait_alu 0xfffe
	s_or_b32 exec_lo, exec_lo, s45
.LBB204_38:                             ;   in Loop: Header=BB204_4 Depth=1
	s_wait_alu 0xfffe
	s_or_b32 exec_lo, exec_lo, s44
.LBB204_39:                             ;   in Loop: Header=BB204_4 Depth=1
	s_wait_alu 0xfffe
	s_or_b32 exec_lo, exec_lo, s43
	s_and_saveexec_b32 s7, s0
	s_cbranch_execz .LBB204_47
; %bb.40:                               ;   in Loop: Header=BB204_4 Depth=1
	v_mul_lo_u32 v14, v38, s35
	v_or_b32_e32 v13, 2, v38
	v_mul_lo_u32 v17, v15, s35
	v_or_b32_e32 v16, 3, v38
	s_delay_alu instid0(VALU_DEP_3) | instskip(NEXT) | instid1(VALU_DEP_2)
	v_mul_lo_u32 v18, v13, s35
	v_mul_lo_u32 v38, v16, s35
	v_cndmask_b32_e32 v14, 0, v14, vcc_lo
	v_cmp_gt_i32_e32 vcc_lo, s9, v15
	s_wait_alu 0xfffd
	v_cndmask_b32_e32 v15, 0, v17, vcc_lo
	v_cmp_gt_i32_e32 vcc_lo, s9, v13
	v_add_nc_u32_e32 v13, v14, v23
	s_delay_alu instid0(VALU_DEP_3)
	v_add_nc_u32_e32 v15, v15, v23
	s_wait_alu 0xfffd
	v_cndmask_b32_e32 v17, 0, v18, vcc_lo
	v_cmp_gt_i32_e32 vcc_lo, s9, v16
	v_ashrrev_i32_e32 v14, 31, v13
	s_wait_alu 0xfffd
	v_cndmask_b32_e32 v16, 0, v38, vcc_lo
	s_delay_alu instid0(VALU_DEP_2) | instskip(NEXT) | instid1(VALU_DEP_2)
	v_lshlrev_b64_e32 v[13:14], 2, v[13:14]
	v_add_nc_u32_e32 v38, v16, v23
	v_add_nc_u32_e32 v17, v17, v23
	v_ashrrev_i32_e32 v16, 31, v15
	s_delay_alu instid0(VALU_DEP_3) | instskip(NEXT) | instid1(VALU_DEP_3)
	v_ashrrev_i32_e32 v39, 31, v38
	v_ashrrev_i32_e32 v18, 31, v17
	s_delay_alu instid0(VALU_DEP_3) | instskip(NEXT) | instid1(VALU_DEP_3)
	v_lshlrev_b64_e32 v[15:16], 2, v[15:16]
	v_lshlrev_b64_e32 v[38:39], 2, v[38:39]
	s_delay_alu instid0(VALU_DEP_3)
	v_lshlrev_b64_e32 v[40:41], 2, v[17:18]
	v_add_co_u32 v17, vcc_lo, v11, v13
	s_wait_alu 0xfffd
	v_add_co_ci_u32_e64 v18, null, v12, v14, vcc_lo
	v_add_co_u32 v15, vcc_lo, v11, v15
	s_wait_alu 0xfffd
	v_add_co_ci_u32_e64 v16, null, v12, v16, vcc_lo
	;; [unrolled: 3-line block ×4, first 2 shown]
	s_clause 0x3
	flat_load_b32 v41, v[17:18]
	flat_load_b32 v39, v[15:16]
	;; [unrolled: 1-line block ×4, first 2 shown]
	s_and_saveexec_b32 s43, s1
	s_cbranch_execz .LBB204_46
; %bb.41:                               ;   in Loop: Header=BB204_4 Depth=1
	s_clause 0x3
	flat_load_b32 v45, v[17:18] offset:256
	flat_load_b32 v44, v[15:16] offset:256
	flat_load_b32 v43, v[13:14] offset:256
	flat_load_b32 v42, v[11:12] offset:256
	s_and_saveexec_b32 s44, s2
	s_cbranch_execz .LBB204_45
; %bb.42:                               ;   in Loop: Header=BB204_4 Depth=1
	s_clause 0x3
	flat_load_b32 v49, v[17:18] offset:512
	flat_load_b32 v48, v[15:16] offset:512
	flat_load_b32 v47, v[13:14] offset:512
	flat_load_b32 v46, v[11:12] offset:512
	;; [unrolled: 8-line block ×3, first 2 shown]
	s_wait_loadcnt_dscnt 0x303
	v_fmac_f32_e32 v37, v19, v17
	s_wait_loadcnt_dscnt 0x202
	s_delay_alu instid0(VALU_DEP_1) | instskip(SKIP_1) | instid1(VALU_DEP_1)
	v_fmac_f32_e32 v37, v20, v15
	s_wait_loadcnt_dscnt 0x101
	v_fmac_f32_e32 v37, v21, v13
	s_wait_loadcnt_dscnt 0x0
	s_delay_alu instid0(VALU_DEP_1)
	v_fmac_f32_e32 v37, v22, v11
.LBB204_44:                             ;   in Loop: Header=BB204_4 Depth=1
	s_wait_alu 0xfffe
	s_or_b32 exec_lo, exec_lo, s45
	s_wait_loadcnt_dscnt 0x303
	v_fmac_f32_e32 v36, v19, v49
	s_wait_loadcnt_dscnt 0x202
	s_delay_alu instid0(VALU_DEP_1) | instskip(SKIP_1) | instid1(VALU_DEP_1)
	v_fmac_f32_e32 v36, v20, v48
	s_wait_loadcnt_dscnt 0x101
	v_fmac_f32_e32 v36, v21, v47
	s_wait_loadcnt_dscnt 0x0
	s_delay_alu instid0(VALU_DEP_1)
	v_fmac_f32_e32 v36, v22, v46
.LBB204_45:                             ;   in Loop: Header=BB204_4 Depth=1
	s_wait_alu 0xfffe
	s_or_b32 exec_lo, exec_lo, s44
	s_wait_loadcnt_dscnt 0x303
	v_fmac_f32_e32 v35, v19, v45
	s_wait_loadcnt_dscnt 0x202
	s_delay_alu instid0(VALU_DEP_1) | instskip(SKIP_1) | instid1(VALU_DEP_1)
	v_fmac_f32_e32 v35, v20, v44
	s_wait_loadcnt_dscnt 0x101
	v_fmac_f32_e32 v35, v21, v43
	s_wait_loadcnt_dscnt 0x0
	s_delay_alu instid0(VALU_DEP_1)
	v_fmac_f32_e32 v35, v22, v42
.LBB204_46:                             ;   in Loop: Header=BB204_4 Depth=1
	s_wait_alu 0xfffe
	s_or_b32 exec_lo, exec_lo, s43
	s_wait_loadcnt_dscnt 0x303
	v_fmac_f32_e32 v34, v19, v41
	s_wait_loadcnt_dscnt 0x202
	s_delay_alu instid0(VALU_DEP_1) | instskip(SKIP_1) | instid1(VALU_DEP_1)
	v_fmac_f32_e32 v34, v20, v39
	s_wait_loadcnt_dscnt 0x101
	v_fmac_f32_e32 v34, v21, v38
	s_wait_loadcnt_dscnt 0x0
	s_delay_alu instid0(VALU_DEP_1)
	v_fmac_f32_e32 v34, v22, v40
.LBB204_47:                             ;   in Loop: Header=BB204_4 Depth=1
	s_wait_alu 0xfffe
	s_or_b32 exec_lo, exec_lo, s7
.LBB204_48:                             ;   in Loop: Header=BB204_4 Depth=1
	ds_store_2addr_stride64_b32 v0, v34, v35 offset1:1
	ds_store_2addr_stride64_b32 v0, v36, v37 offset0:2 offset1:3
	s_wait_loadcnt_dscnt 0x0
	s_barrier_signal -1
	s_barrier_wait -1
	global_inv scope:SCOPE_SE
                                        ; implicit-def: $vgpr15
	s_and_saveexec_b32 s7, s5
	s_cbranch_execz .LBB204_54
; %bb.49:                               ;   in Loop: Header=BB204_4 Depth=1
	ds_load_2addr_stride64_b32 v[11:12], v25 offset1:4
	ds_load_2addr_stride64_b32 v[13:14], v25 offset0:8 offset1:12
	ds_load_2addr_stride64_b32 v[15:16], v25 offset0:16 offset1:20
	s_mov_b32 s44, s8
	s_wait_dscnt 0x2
	v_add_f32_e32 v17, v11, v12
	ds_load_2addr_stride64_b32 v[11:12], v25 offset0:24 offset1:28
	s_wait_dscnt 0x2
	v_add_f32_e32 v13, v13, v17
	s_delay_alu instid0(VALU_DEP_1) | instskip(SKIP_3) | instid1(VALU_DEP_1)
	v_add_f32_e32 v17, v14, v13
	ds_load_2addr_stride64_b32 v[13:14], v25 offset0:32 offset1:36
	s_wait_dscnt 0x2
	v_add_f32_e32 v15, v15, v17
	v_add_f32_e32 v17, v16, v15
	ds_load_2addr_stride64_b32 v[15:16], v25 offset0:40 offset1:44
	s_wait_dscnt 0x2
	v_add_f32_e32 v11, v11, v17
	s_delay_alu instid0(VALU_DEP_1) | instskip(SKIP_1) | instid1(VALU_DEP_1)
	v_add_f32_e32 v11, v12, v11
	s_wait_dscnt 0x1
	v_add_f32_e32 v13, v13, v11
	ds_load_2addr_stride64_b32 v[11:12], v25 offset0:48 offset1:52
	v_add_f32_e32 v13, v14, v13
	s_wait_dscnt 0x1
	s_delay_alu instid0(VALU_DEP_1) | instskip(SKIP_3) | instid1(VALU_DEP_1)
	v_add_f32_e32 v15, v15, v13
	ds_load_2addr_stride64_b32 v[13:14], v25 offset0:56 offset1:60
	v_add_f32_e32 v15, v16, v15
	s_wait_dscnt 0x1
	v_add_f32_e32 v11, v11, v15
                                        ; implicit-def: $vgpr15
	s_delay_alu instid0(VALU_DEP_1) | instskip(SKIP_1) | instid1(VALU_DEP_1)
	v_add_f32_e32 v11, v12, v11
	s_wait_dscnt 0x0
	v_add_f32_e32 v11, v13, v11
	s_delay_alu instid0(VALU_DEP_1)
	v_add_f32_e32 v11, v14, v11
	ds_store_b32 v25, v11
	s_and_saveexec_b32 s43, s6
	s_cbranch_execz .LBB204_53
; %bb.50:                               ;   in Loop: Header=BB204_4 Depth=1
	v_mul_f32_e32 v15, v31, v11
	s_cmp_eq_f32 s42, 0
	s_cbranch_scc1 .LBB204_52
; %bb.51:                               ;   in Loop: Header=BB204_4 Depth=1
	v_lshlrev_b64_e32 v[11:12], 2, v[4:5]
	s_delay_alu instid0(VALU_DEP_1) | instskip(SKIP_1) | instid1(VALU_DEP_2)
	v_add_co_u32 v11, vcc_lo, v32, v11
	s_wait_alu 0xfffd
	v_add_co_ci_u32_e64 v12, null, v33, v12, vcc_lo
	flat_load_b32 v11, v[11:12]
	s_wait_loadcnt_dscnt 0x0
	v_fmac_f32_e32 v15, s42, v11
.LBB204_52:                             ;   in Loop: Header=BB204_4 Depth=1
	s_or_b32 s44, s8, exec_lo
.LBB204_53:                             ;   in Loop: Header=BB204_4 Depth=1
	s_wait_alu 0xfffe
	s_or_b32 exec_lo, exec_lo, s43
	s_delay_alu instid0(SALU_CYCLE_1)
	s_and_not1_b32 s8, s8, exec_lo
	s_and_b32 s42, s44, exec_lo
	s_wait_alu 0xfffe
	s_or_b32 s8, s8, s42
.LBB204_54:                             ;   in Loop: Header=BB204_4 Depth=1
	s_wait_alu 0xfffe
	s_or_b32 exec_lo, exec_lo, s7
	v_dual_mov_b32 v12, v5 :: v_dual_mov_b32 v11, v4
	s_and_saveexec_b32 s7, s8
	s_cbranch_execz .LBB204_2
.LBB204_55:                             ;   in Loop: Header=BB204_4 Depth=1
	s_delay_alu instid0(VALU_DEP_1) | instskip(NEXT) | instid1(VALU_DEP_1)
	v_lshlrev_b64_e32 v[11:12], 2, v[11:12]
	v_add_co_u32 v11, vcc_lo, v32, v11
	s_wait_alu 0xfffd
	s_delay_alu instid0(VALU_DEP_2)
	v_add_co_ci_u32_e64 v12, null, v33, v12, vcc_lo
	flat_store_b32 v[11:12], v15
	s_branch .LBB204_2
.LBB204_56:
	s_endpgm
	.section	.rodata,"a",@progbits
	.p2align	6, 0x0
	.amdhsa_kernel _ZL20rocblas_gemvn_kernelILi64ELi16EiPKfS1_KPfEviiT3_lPKT2_lT1_lS7_lS8_lS4_lPT4_lS8_li
		.amdhsa_group_segment_fixed_size 16384
		.amdhsa_private_segment_fixed_size 0
		.amdhsa_kernarg_size 400
		.amdhsa_user_sgpr_count 2
		.amdhsa_user_sgpr_dispatch_ptr 0
		.amdhsa_user_sgpr_queue_ptr 0
		.amdhsa_user_sgpr_kernarg_segment_ptr 1
		.amdhsa_user_sgpr_dispatch_id 0
		.amdhsa_user_sgpr_private_segment_size 0
		.amdhsa_wavefront_size32 1
		.amdhsa_uses_dynamic_stack 0
		.amdhsa_enable_private_segment 0
		.amdhsa_system_sgpr_workgroup_id_x 1
		.amdhsa_system_sgpr_workgroup_id_y 0
		.amdhsa_system_sgpr_workgroup_id_z 1
		.amdhsa_system_sgpr_workgroup_info 0
		.amdhsa_system_vgpr_workitem_id 1
		.amdhsa_next_free_vgpr 59
		.amdhsa_next_free_sgpr 49
		.amdhsa_reserve_vcc 1
		.amdhsa_float_round_mode_32 0
		.amdhsa_float_round_mode_16_64 0
		.amdhsa_float_denorm_mode_32 3
		.amdhsa_float_denorm_mode_16_64 3
		.amdhsa_fp16_overflow 0
		.amdhsa_workgroup_processor_mode 1
		.amdhsa_memory_ordered 1
		.amdhsa_forward_progress 1
		.amdhsa_inst_pref_size 27
		.amdhsa_round_robin_scheduling 0
		.amdhsa_exception_fp_ieee_invalid_op 0
		.amdhsa_exception_fp_denorm_src 0
		.amdhsa_exception_fp_ieee_div_zero 0
		.amdhsa_exception_fp_ieee_overflow 0
		.amdhsa_exception_fp_ieee_underflow 0
		.amdhsa_exception_fp_ieee_inexact 0
		.amdhsa_exception_int_div_zero 0
	.end_amdhsa_kernel
	.section	.text._ZL20rocblas_gemvn_kernelILi64ELi16EiPKfS1_KPfEviiT3_lPKT2_lT1_lS7_lS8_lS4_lPT4_lS8_li,"axG",@progbits,_ZL20rocblas_gemvn_kernelILi64ELi16EiPKfS1_KPfEviiT3_lPKT2_lT1_lS7_lS8_lS4_lPT4_lS8_li,comdat
.Lfunc_end204:
	.size	_ZL20rocblas_gemvn_kernelILi64ELi16EiPKfS1_KPfEviiT3_lPKT2_lT1_lS7_lS8_lS4_lPT4_lS8_li, .Lfunc_end204-_ZL20rocblas_gemvn_kernelILi64ELi16EiPKfS1_KPfEviiT3_lPKT2_lT1_lS7_lS8_lS4_lPT4_lS8_li
                                        ; -- End function
	.set _ZL20rocblas_gemvn_kernelILi64ELi16EiPKfS1_KPfEviiT3_lPKT2_lT1_lS7_lS8_lS4_lPT4_lS8_li.num_vgpr, 59
	.set _ZL20rocblas_gemvn_kernelILi64ELi16EiPKfS1_KPfEviiT3_lPKT2_lT1_lS7_lS8_lS4_lPT4_lS8_li.num_agpr, 0
	.set _ZL20rocblas_gemvn_kernelILi64ELi16EiPKfS1_KPfEviiT3_lPKT2_lT1_lS7_lS8_lS4_lPT4_lS8_li.numbered_sgpr, 49
	.set _ZL20rocblas_gemvn_kernelILi64ELi16EiPKfS1_KPfEviiT3_lPKT2_lT1_lS7_lS8_lS4_lPT4_lS8_li.num_named_barrier, 0
	.set _ZL20rocblas_gemvn_kernelILi64ELi16EiPKfS1_KPfEviiT3_lPKT2_lT1_lS7_lS8_lS4_lPT4_lS8_li.private_seg_size, 0
	.set _ZL20rocblas_gemvn_kernelILi64ELi16EiPKfS1_KPfEviiT3_lPKT2_lT1_lS7_lS8_lS4_lPT4_lS8_li.uses_vcc, 1
	.set _ZL20rocblas_gemvn_kernelILi64ELi16EiPKfS1_KPfEviiT3_lPKT2_lT1_lS7_lS8_lS4_lPT4_lS8_li.uses_flat_scratch, 1
	.set _ZL20rocblas_gemvn_kernelILi64ELi16EiPKfS1_KPfEviiT3_lPKT2_lT1_lS7_lS8_lS4_lPT4_lS8_li.has_dyn_sized_stack, 0
	.set _ZL20rocblas_gemvn_kernelILi64ELi16EiPKfS1_KPfEviiT3_lPKT2_lT1_lS7_lS8_lS4_lPT4_lS8_li.has_recursion, 0
	.set _ZL20rocblas_gemvn_kernelILi64ELi16EiPKfS1_KPfEviiT3_lPKT2_lT1_lS7_lS8_lS4_lPT4_lS8_li.has_indirect_call, 0
	.section	.AMDGPU.csdata,"",@progbits
; Kernel info:
; codeLenInByte = 3376
; TotalNumSgprs: 51
; NumVgprs: 59
; ScratchSize: 0
; MemoryBound: 0
; FloatMode: 240
; IeeeMode: 1
; LDSByteSize: 16384 bytes/workgroup (compile time only)
; SGPRBlocks: 0
; VGPRBlocks: 7
; NumSGPRsForWavesPerEU: 51
; NumVGPRsForWavesPerEU: 59
; Occupancy: 16
; WaveLimiterHint : 1
; COMPUTE_PGM_RSRC2:SCRATCH_EN: 0
; COMPUTE_PGM_RSRC2:USER_SGPR: 2
; COMPUTE_PGM_RSRC2:TRAP_HANDLER: 0
; COMPUTE_PGM_RSRC2:TGID_X_EN: 1
; COMPUTE_PGM_RSRC2:TGID_Y_EN: 0
; COMPUTE_PGM_RSRC2:TGID_Z_EN: 1
; COMPUTE_PGM_RSRC2:TIDIG_COMP_CNT: 1
	.section	.text._ZL20rocblas_gemvn_kernelILi64ELi16ElPKfS1_KPfEviiT3_lPKT2_lT1_lS7_lS8_lS4_lPT4_lS8_li,"axG",@progbits,_ZL20rocblas_gemvn_kernelILi64ELi16ElPKfS1_KPfEviiT3_lPKT2_lT1_lS7_lS8_lS4_lPT4_lS8_li,comdat
	.globl	_ZL20rocblas_gemvn_kernelILi64ELi16ElPKfS1_KPfEviiT3_lPKT2_lT1_lS7_lS8_lS4_lPT4_lS8_li ; -- Begin function _ZL20rocblas_gemvn_kernelILi64ELi16ElPKfS1_KPfEviiT3_lPKT2_lT1_lS7_lS8_lS4_lPT4_lS8_li
	.p2align	8
	.type	_ZL20rocblas_gemvn_kernelILi64ELi16ElPKfS1_KPfEviiT3_lPKT2_lT1_lS7_lS8_lS4_lPT4_lS8_li,@function
_ZL20rocblas_gemvn_kernelILi64ELi16ElPKfS1_KPfEviiT3_lPKT2_lT1_lS7_lS8_lS4_lPT4_lS8_li: ; @_ZL20rocblas_gemvn_kernelILi64ELi16ElPKfS1_KPfEviiT3_lPKT2_lT1_lS7_lS8_lS4_lPT4_lS8_li
; %bb.0:
	s_clause 0x1
	s_load_b64 s[2:3], s[0:1], 0x9c
	s_load_b32 s33, s[0:1], 0x88
	s_lshr_b32 s10, ttmp7, 16
	s_wait_kmcnt 0x0
	s_lshr_b32 s4, s2, 16
	s_and_b32 s2, s2, 0xffff
	s_and_b32 s3, s3, 0xffff
	s_mul_i32 s2, s4, s2
	s_delay_alu instid0(SALU_CYCLE_1) | instskip(NEXT) | instid1(SALU_CYCLE_1)
	s_mul_i32 s2, s2, s3
	s_cmp_lg_u32 s2, 0x400
	s_cselect_b32 s2, -1, 0
	s_cmp_ge_u32 s10, s33
	s_cselect_b32 s3, -1, 0
	s_delay_alu instid0(SALU_CYCLE_1) | instskip(NEXT) | instid1(SALU_CYCLE_1)
	s_or_b32 s2, s2, s3
	s_and_b32 vcc_lo, exec_lo, s2
	s_cbranch_vccnz .LBB205_56
; %bb.1:
	s_clause 0x6
	s_load_b64 s[38:39], s[0:1], 0x78
	s_load_b64 s[8:9], s[0:1], 0x0
	s_load_b256 s[12:19], s[0:1], 0x8
	s_load_b64 s[34:35], s[0:1], 0x28
	s_load_b128 s[28:31], s[0:1], 0x38
	s_load_b64 s[36:37], s[0:1], 0x48
	s_load_b256 s[20:27], s[0:1], 0x58
	v_dual_mov_b32 v1, 0 :: v_dual_and_b32 v2, 0x3ff, v0
	s_lshl_b32 s6, ttmp9, 8
	v_bfe_u32 v26, v0, 10, 10
	s_mov_b32 s11, 0
	s_delay_alu instid0(VALU_DEP_2) | instskip(SKIP_1) | instid1(VALU_DEP_3)
	v_add_nc_u32_e32 v8, s6, v2
	v_lshlrev_b32_e32 v16, 2, v2
	v_lshlrev_b32_e32 v40, 2, v26
	v_lshl_add_u32 v5, v26, 6, v2
	s_delay_alu instid0(VALU_DEP_4)
	v_add_nc_u32_e32 v6, 0x80, v8
	v_add_nc_u32_e32 v7, 0xc0, v8
	v_lshl_add_u32 v41, v26, 8, v16
	v_or_b32_e32 v19, 3, v40
	v_add_nc_u32_e32 v0, s6, v5
	v_or_b32_e32 v17, s6, v5
	s_wait_kmcnt 0x0
	s_ashr_i32 s3, s9, 31
	v_cmp_gt_i32_e64 s2, s8, v6
	s_lshr_b32 s3, s3, 26
	v_mad_co_u64_u32 v[10:11], null, s34, v19, 0
	s_add_co_i32 s42, s9, s3
	v_cmp_gt_i32_e64 s3, s8, v7
	v_mad_co_u64_u32 v[6:7], null, s36, v26, 0
	v_mad_co_u64_u32 v[12:13], null, s36, v19, 0
	;; [unrolled: 1-line block ×3, first 2 shown]
	s_ashr_i32 s5, s8, 31
	s_mov_b32 s4, s8
	v_mad_co_u64_u32 v[14:15], null, s37, v26, v[7:8]
	s_and_not1_b32 s42, s42, 63
	v_cmp_gt_i64_e32 vcc_lo, s[4:5], v[0:1]
	s_sub_co_i32 s5, s9, s42
	v_mul_lo_u32 v18, s39, v17
	s_wait_alu 0xfffe
	s_cmp_gt_i32 s5, 0
	v_cmp_gt_u32_e64 s5, 0x100, v5
	v_mov_b32_e32 v7, v14
	v_mad_co_u64_u32 v[14:15], null, s35, v19, v[11:12]
	s_cselect_b32 s43, -1, 0
	s_ashr_i32 s7, s6, 31
	v_cmp_gt_i32_e64 s6, s8, v17
	s_wait_alu 0xfffe
	s_mul_i32 s7, s38, s7
	v_ashrrev_i32_e32 v9, 31, v8
	v_cmp_gt_i32_e64 s0, s8, v8
	v_mov_b32_e32 v11, v14
	v_mad_co_u64_u32 v[22:23], null, s36, v40, s[36:37]
	v_add_nc_u32_e32 v4, 64, v8
	v_or_b32_e32 v29, 2, v40
	v_mad_co_u64_u32 v[24:25], null, s34, v40, s[34:35]
	v_lshlrev_b64_e32 v[6:7], 4, v[6:7]
	s_delay_alu instid0(VALU_DEP_4)
	v_cmp_gt_i32_e64 s1, s8, v4
	v_mad_co_u64_u32 v[3:4], null, s39, v0, v[3:4]
	v_mad_co_u64_u32 v[4:5], null, s38, v17, 0
	v_lshl_add_u32 v0, v26, 10, v16
	v_mad_co_u64_u32 v[15:16], null, s37, v19, v[13:14]
	v_mad_co_u64_u32 v[16:17], null, s34, v26, 0
	;; [unrolled: 1-line block ×3, first 2 shown]
	s_wait_alu 0xfffe
	v_add3_u32 v5, v5, s7, v18
	v_mad_co_u64_u32 v[18:19], null, s34, v29, 0
	s_delay_alu instid0(VALU_DEP_4) | instskip(SKIP_3) | instid1(VALU_DEP_4)
	v_dual_mov_b32 v13, v15 :: v_dual_mov_b32 v14, v17
	v_mov_b32_e32 v17, v25
	v_lshlrev_b64_e32 v[8:9], 2, v[8:9]
	v_lshlrev_b64_e32 v[10:11], 2, v[10:11]
	;; [unrolled: 1-line block ×3, first 2 shown]
	v_mov_b32_e32 v15, v19
	v_cmp_gt_i32_e64 s4, s42, v40
	s_and_b32 s44, s5, vcc_lo
	s_lshl_b64 s[38:39], s[36:37], 8
	s_lshl_b64 s[40:41], s[34:35], 8
	v_mad_co_u64_u32 v[26:27], null, s35, v26, v[14:15]
	v_mov_b32_e32 v14, v21
	v_mad_co_u64_u32 v[27:28], null, s35, v29, v[15:16]
	v_mov_b32_e32 v15, v23
	s_lshl_b64 s[18:19], s[18:19], 2
	s_lshl_b64 s[30:31], s[30:31], 2
	s_lshl_b64 s[26:27], s[26:27], 2
	s_delay_alu instid0(VALU_DEP_1)
	v_mad_co_u64_u32 v[28:29], null, s37, v29, v[14:15]
	v_mad_co_u64_u32 v[14:15], null, s37, v40, v[15:16]
	;; [unrolled: 1-line block ×3, first 2 shown]
	v_mov_b32_e32 v17, v26
	v_mov_b32_e32 v19, v27
	;; [unrolled: 1-line block ×4, first 2 shown]
	s_delay_alu instid0(VALU_DEP_4) | instskip(SKIP_4) | instid1(VALU_DEP_4)
	v_lshlrev_b64_e32 v[14:15], 4, v[16:17]
	v_mov_b32_e32 v25, v29
	v_lshlrev_b64_e32 v[16:17], 2, v[18:19]
	v_lshlrev_b64_e32 v[18:19], 2, v[20:21]
	;; [unrolled: 1-line block ×5, first 2 shown]
	s_branch .LBB205_4
.LBB205_2:                              ;   in Loop: Header=BB205_4 Depth=1
	s_wait_alu 0xfffe
	s_or_b32 exec_lo, exec_lo, s7
.LBB205_3:                              ;   in Loop: Header=BB205_4 Depth=1
	s_add_co_i32 s10, s10, 0x10000
	s_delay_alu instid0(SALU_CYCLE_1)
	s_cmp_lt_u32 s10, s33
	s_cbranch_scc0 .LBB205_56
.LBB205_4:                              ; =>This Loop Header: Depth=1
                                        ;     Child Loop BB205_24 Depth 2
	s_mul_u64 s[46:47], s[14:15], s[10:11]
	s_mul_u64 s[48:49], s[22:23], s[10:11]
	s_lshl_b64 s[46:47], s[46:47], 2
	s_lshl_b64 s[48:49], s[48:49], 2
	s_add_nc_u64 s[46:47], s[12:13], s[46:47]
	s_add_nc_u64 s[48:49], s[20:21], s[48:49]
	s_clause 0x1
	global_load_b32 v42, v1, s[46:47]
	global_load_b32 v26, v1, s[48:49]
	s_wait_loadcnt 0x1
	v_cmp_eq_f32_e64 s7, 0, v42
	s_wait_loadcnt 0x0
	v_cmp_eq_f32_e32 vcc_lo, 1.0, v26
	v_readfirstlane_b32 s45, v26
	s_and_b32 s8, s7, vcc_lo
	s_wait_alu 0xfffe
	s_and_b32 vcc_lo, exec_lo, s8
	s_wait_alu 0xfffe
	s_cbranch_vccnz .LBB205_3
; %bb.5:                                ;   in Loop: Header=BB205_4 Depth=1
	v_mov_b32_e32 v28, 0
	v_dual_mov_b32 v29, 0 :: v_dual_mov_b32 v26, 0
	v_cmp_neq_f32_e64 s8, 0, v42
	v_mov_b32_e32 v27, 0
	s_and_b32 vcc_lo, exec_lo, s7
	s_wait_alu 0xfffe
	s_cbranch_vccnz .LBB205_7
; %bb.6:                                ;   in Loop: Header=BB205_4 Depth=1
	s_lshl_b64 s[46:47], s[10:11], 3
	s_delay_alu instid0(SALU_CYCLE_1)
	s_add_nc_u64 s[46:47], s[16:17], s[46:47]
	global_load_b64 v[26:27], v1, s[46:47]
	s_wait_loadcnt 0x0
	v_add_co_u32 v26, vcc_lo, v26, s18
	s_wait_alu 0xfffd
	v_add_co_ci_u32_e64 v27, null, s19, v27, vcc_lo
.LBB205_7:                              ;   in Loop: Header=BB205_4 Depth=1
	s_and_not1_b32 vcc_lo, exec_lo, s8
	s_wait_alu 0xfffe
	s_cbranch_vccnz .LBB205_9
; %bb.8:                                ;   in Loop: Header=BB205_4 Depth=1
	s_lshl_b64 s[46:47], s[10:11], 3
	s_delay_alu instid0(SALU_CYCLE_1)
	s_add_nc_u64 s[46:47], s[28:29], s[46:47]
	global_load_b64 v[28:29], v1, s[46:47]
	s_wait_loadcnt 0x0
	v_add_co_u32 v28, vcc_lo, v28, s30
	s_wait_alu 0xfffd
	v_add_co_ci_u32_e64 v29, null, s31, v29, vcc_lo
.LBB205_9:                              ;   in Loop: Header=BB205_4 Depth=1
	s_lshl_b64 s[46:47], s[10:11], 3
	s_delay_alu instid0(SALU_CYCLE_1)
	s_add_nc_u64 s[46:47], s[24:25], s[46:47]
	global_load_b64 v[30:31], v1, s[46:47]
	s_wait_loadcnt 0x0
	v_add_co_u32 v43, vcc_lo, v30, s26
	s_wait_alu 0xfffd
	v_add_co_ci_u32_e64 v44, null, s27, v31, vcc_lo
	s_and_not1_b32 vcc_lo, exec_lo, s7
	s_wait_alu 0xfffe
	s_cbranch_vccnz .LBB205_13
; %bb.10:                               ;   in Loop: Header=BB205_4 Depth=1
	s_mov_b32 s7, 0
	s_mov_b32 s8, 0
                                        ; implicit-def: $vgpr30
	s_and_saveexec_b32 s46, s44
	s_cbranch_execz .LBB205_14
; %bb.11:                               ;   in Loop: Header=BB205_4 Depth=1
	s_cmp_eq_f32 s45, 0
	s_cbranch_scc1 .LBB205_16
; %bb.12:                               ;   in Loop: Header=BB205_4 Depth=1
	v_add_co_u32 v30, vcc_lo, v43, v24
	s_wait_alu 0xfffd
	v_add_co_ci_u32_e64 v31, null, v44, v25, vcc_lo
	flat_load_b32 v30, v[30:31]
	s_wait_loadcnt_dscnt 0x0
	v_mul_f32_e32 v30, s45, v30
	s_branch .LBB205_17
.LBB205_13:                             ;   in Loop: Header=BB205_4 Depth=1
	s_mov_b32 s8, 0
                                        ; implicit-def: $vgpr30
	s_cbranch_execz .LBB205_15
	s_branch .LBB205_18
.LBB205_14:                             ;   in Loop: Header=BB205_4 Depth=1
	s_or_b32 exec_lo, exec_lo, s46
	s_wait_alu 0xfffe
	s_and_b32 vcc_lo, exec_lo, s7
	s_wait_alu 0xfffe
	s_cbranch_vccnz .LBB205_18
.LBB205_15:                             ;   in Loop: Header=BB205_4 Depth=1
	v_dual_mov_b32 v27, v3 :: v_dual_mov_b32 v26, v2
	s_wait_alu 0xfffe
	s_and_saveexec_b32 s7, s8
	s_cbranch_execz .LBB205_2
	s_branch .LBB205_55
.LBB205_16:                             ;   in Loop: Header=BB205_4 Depth=1
	v_mov_b32_e32 v30, 0
.LBB205_17:                             ;   in Loop: Header=BB205_4 Depth=1
	s_mov_b32 s8, exec_lo
	s_or_b32 exec_lo, exec_lo, s46
	s_wait_alu 0xfffe
	s_and_b32 vcc_lo, exec_lo, s7
	s_wait_alu 0xfffe
	s_cbranch_vccz .LBB205_15
.LBB205_18:                             ;   in Loop: Header=BB205_4 Depth=1
	v_dual_mov_b32 v45, 0 :: v_dual_mov_b32 v46, 0
	v_dual_mov_b32 v49, v40 :: v_dual_mov_b32 v48, 0
	v_mov_b32_e32 v47, 0
	s_and_saveexec_b32 s46, s4
	s_cbranch_execz .LBB205_30
; %bb.19:                               ;   in Loop: Header=BB205_4 Depth=1
	v_add_co_u32 v50, vcc_lo, v26, v10
	s_wait_alu 0xfffd
	v_add_co_ci_u32_e64 v51, null, v27, v11, vcc_lo
	v_add_co_u32 v52, vcc_lo, v26, v14
	s_wait_alu 0xfffd
	v_add_co_ci_u32_e64 v53, null, v27, v15, vcc_lo
	;; [unrolled: 3-line block ×3, first 2 shown]
	v_add_co_u32 v56, vcc_lo, v26, v22
	v_dual_mov_b32 v31, v29 :: v_dual_mov_b32 v46, 0
	s_wait_alu 0xfffd
	v_add_co_ci_u32_e64 v57, null, v27, v23, vcc_lo
	v_dual_mov_b32 v45, 0 :: v_dual_mov_b32 v30, v28
	v_dual_mov_b32 v49, v40 :: v_dual_mov_b32 v48, 0
	v_mov_b32_e32 v47, 0
	s_mov_b32 s47, 0
	s_branch .LBB205_24
.LBB205_20:                             ;   in Loop: Header=BB205_24 Depth=2
	s_or_b32 exec_lo, exec_lo, s50
	s_wait_loadcnt_dscnt 0x303
	v_fmac_f32_e32 v47, v61, v73
	s_wait_loadcnt_dscnt 0x202
	s_delay_alu instid0(VALU_DEP_1) | instskip(SKIP_1) | instid1(VALU_DEP_1)
	v_fmac_f32_e32 v47, v60, v72
	s_wait_loadcnt_dscnt 0x101
	v_fmac_f32_e32 v47, v59, v71
	s_wait_loadcnt_dscnt 0x0
	s_delay_alu instid0(VALU_DEP_1)
	v_fmac_f32_e32 v47, v58, v70
.LBB205_21:                             ;   in Loop: Header=BB205_24 Depth=2
	s_or_b32 exec_lo, exec_lo, s49
	s_wait_loadcnt_dscnt 0x303
	v_fmac_f32_e32 v46, v61, v69
	s_wait_loadcnt_dscnt 0x202
	s_delay_alu instid0(VALU_DEP_1) | instskip(SKIP_1) | instid1(VALU_DEP_1)
	v_fmac_f32_e32 v46, v60, v68
	s_wait_loadcnt_dscnt 0x101
	v_fmac_f32_e32 v46, v59, v67
	s_wait_loadcnt_dscnt 0x0
	s_delay_alu instid0(VALU_DEP_1)
	v_fmac_f32_e32 v46, v58, v66
.LBB205_22:                             ;   in Loop: Header=BB205_24 Depth=2
	s_or_b32 exec_lo, exec_lo, s48
	s_wait_loadcnt_dscnt 0x303
	v_fmac_f32_e32 v45, v61, v65
	s_wait_loadcnt_dscnt 0x202
	s_delay_alu instid0(VALU_DEP_1) | instskip(SKIP_1) | instid1(VALU_DEP_1)
	v_fmac_f32_e32 v45, v60, v63
	s_wait_loadcnt_dscnt 0x101
	v_fmac_f32_e32 v45, v59, v62
	s_wait_loadcnt_dscnt 0x0
	s_delay_alu instid0(VALU_DEP_1)
	v_fmac_f32_e32 v45, v58, v64
.LBB205_23:                             ;   in Loop: Header=BB205_24 Depth=2
	s_wait_alu 0xfffe
	s_or_b32 exec_lo, exec_lo, s7
	v_add_co_u32 v30, vcc_lo, v30, s38
	s_wait_alu 0xfffd
	v_add_co_ci_u32_e64 v31, null, s39, v31, vcc_lo
	v_add_co_u32 v50, vcc_lo, v50, s40
	v_add_nc_u32_e32 v49, 64, v49
	s_wait_alu 0xfffd
	v_add_co_ci_u32_e64 v51, null, s41, v51, vcc_lo
	v_add_co_u32 v52, vcc_lo, v52, s40
	s_wait_alu 0xfffd
	v_add_co_ci_u32_e64 v53, null, s41, v53, vcc_lo
	v_add_co_u32 v54, vcc_lo, v54, s40
	s_wait_alu 0xfffd
	v_add_co_ci_u32_e64 v55, null, s41, v55, vcc_lo
	v_cmp_le_i32_e32 vcc_lo, s42, v49
	v_add_co_u32 v56, s7, v56, s40
	s_wait_alu 0xf1ff
	v_add_co_ci_u32_e64 v57, null, s41, v57, s7
	s_or_b32 s47, vcc_lo, s47
	s_delay_alu instid0(SALU_CYCLE_1)
	s_and_not1_b32 exec_lo, exec_lo, s47
	s_cbranch_execz .LBB205_29
.LBB205_24:                             ;   Parent Loop BB205_4 Depth=1
                                        ; =>  This Inner Loop Header: Depth=2
	s_and_saveexec_b32 s7, s0
	s_cbranch_execz .LBB205_23
; %bb.25:                               ;   in Loop: Header=BB205_24 Depth=2
	v_add_co_u32 v58, vcc_lo, v30, v6
	s_wait_alu 0xfffd
	v_add_co_ci_u32_e64 v59, null, v31, v7, vcc_lo
	v_add_co_u32 v62, vcc_lo, v30, v20
	s_wait_alu 0xfffd
	v_add_co_ci_u32_e64 v63, null, v31, v21, vcc_lo
	;; [unrolled: 3-line block ×8, first 2 shown]
	s_clause 0x3
	flat_load_b32 v61, v[58:59]
	flat_load_b32 v60, v[62:63]
	;; [unrolled: 1-line block ×8, first 2 shown]
	s_and_saveexec_b32 s48, s1
	s_cbranch_execz .LBB205_22
; %bb.26:                               ;   in Loop: Header=BB205_24 Depth=2
	flat_load_b32 v69, v[32:33] offset:256
	flat_load_b32 v68, v[34:35] offset:256
	flat_load_b32 v67, v[36:37] offset:256
	flat_load_b32 v66, v[38:39] offset:256
	s_and_saveexec_b32 s49, s2
	s_cbranch_execz .LBB205_21
; %bb.27:                               ;   in Loop: Header=BB205_24 Depth=2
	flat_load_b32 v73, v[32:33] offset:512
	flat_load_b32 v72, v[34:35] offset:512
	flat_load_b32 v71, v[36:37] offset:512
	flat_load_b32 v70, v[38:39] offset:512
	;; [unrolled: 7-line block ×3, first 2 shown]
	s_wait_loadcnt_dscnt 0x303
	v_fmac_f32_e32 v48, v61, v32
	s_wait_loadcnt_dscnt 0x202
	s_delay_alu instid0(VALU_DEP_1) | instskip(SKIP_1) | instid1(VALU_DEP_1)
	v_fmac_f32_e32 v48, v60, v33
	s_wait_loadcnt_dscnt 0x101
	v_fmac_f32_e32 v48, v59, v34
	s_wait_loadcnt_dscnt 0x0
	s_delay_alu instid0(VALU_DEP_1)
	v_fmac_f32_e32 v48, v58, v35
	s_branch .LBB205_20
.LBB205_29:                             ;   in Loop: Header=BB205_4 Depth=1
	s_or_b32 exec_lo, exec_lo, s47
.LBB205_30:                             ;   in Loop: Header=BB205_4 Depth=1
	s_delay_alu instid0(SALU_CYCLE_1) | instskip(NEXT) | instid1(SALU_CYCLE_1)
	s_or_b32 exec_lo, exec_lo, s46
	s_and_not1_b32 vcc_lo, exec_lo, s43
	s_wait_alu 0xfffe
	s_cbranch_vccnz .LBB205_48
; %bb.31:                               ;   in Loop: Header=BB205_4 Depth=1
	v_cmp_gt_i32_e32 vcc_lo, s9, v49
	v_dual_mov_b32 v37, 0 :: v_dual_mov_b32 v36, 0
	v_or_b32_e32 v30, 1, v49
	v_dual_mov_b32 v35, 0 :: v_dual_mov_b32 v34, 0
	s_and_saveexec_b32 s46, vcc_lo
	s_cbranch_execz .LBB205_39
; %bb.32:                               ;   in Loop: Header=BB205_4 Depth=1
	v_mad_co_u64_u32 v[31:32], null, s36, v49, 0
	v_dual_mov_b32 v35, 0 :: v_dual_mov_b32 v36, 0
	v_mov_b32_e32 v37, 0
	s_mov_b32 s47, exec_lo
	s_delay_alu instid0(VALU_DEP_3) | instskip(NEXT) | instid1(VALU_DEP_1)
	v_mad_co_u64_u32 v[32:33], null, s37, v49, v[32:33]
	v_lshlrev_b64_e32 v[31:32], 2, v[31:32]
	s_delay_alu instid0(VALU_DEP_1) | instskip(SKIP_1) | instid1(VALU_DEP_2)
	v_add_co_u32 v31, s7, v28, v31
	s_wait_alu 0xf1ff
	v_add_co_ci_u32_e64 v32, null, v29, v32, s7
	flat_load_b32 v34, v[31:32]
	v_cmpx_gt_i32_e64 s9, v30
	s_cbranch_execz .LBB205_38
; %bb.33:                               ;   in Loop: Header=BB205_4 Depth=1
	v_mad_co_u64_u32 v[31:32], null, s36, v30, 0
	v_dual_mov_b32 v36, 0 :: v_dual_mov_b32 v37, 0
	s_mov_b32 s48, exec_lo
	s_delay_alu instid0(VALU_DEP_2) | instskip(NEXT) | instid1(VALU_DEP_1)
	v_mad_co_u64_u32 v[32:33], null, s37, v30, v[32:33]
	v_lshlrev_b64_e32 v[31:32], 2, v[31:32]
	s_delay_alu instid0(VALU_DEP_1) | instskip(SKIP_1) | instid1(VALU_DEP_2)
	v_add_co_u32 v31, s7, v28, v31
	s_wait_alu 0xf1ff
	v_add_co_ci_u32_e64 v32, null, v29, v32, s7
	flat_load_b32 v35, v[31:32]
	v_or_b32_e32 v31, 2, v49
	s_delay_alu instid0(VALU_DEP_1)
	v_cmpx_gt_i32_e64 s9, v31
	s_cbranch_execz .LBB205_37
; %bb.34:                               ;   in Loop: Header=BB205_4 Depth=1
	v_mad_co_u64_u32 v[32:33], null, s36, v31, 0
	s_mov_b32 s49, exec_lo
	s_wait_loadcnt_dscnt 0x101
	v_mad_co_u64_u32 v[36:37], null, s37, v31, v[33:34]
	v_mov_b32_e32 v37, 0
	s_delay_alu instid0(VALU_DEP_2) | instskip(NEXT) | instid1(VALU_DEP_1)
	v_mov_b32_e32 v33, v36
	v_lshlrev_b64_e32 v[31:32], 2, v[32:33]
	s_delay_alu instid0(VALU_DEP_1) | instskip(SKIP_1) | instid1(VALU_DEP_2)
	v_add_co_u32 v31, s7, v28, v31
	s_wait_alu 0xf1ff
	v_add_co_ci_u32_e64 v32, null, v29, v32, s7
	flat_load_b32 v36, v[31:32]
	v_or_b32_e32 v31, 3, v49
	s_delay_alu instid0(VALU_DEP_1)
	v_cmpx_gt_i32_e64 s9, v31
	s_cbranch_execz .LBB205_36
; %bb.35:                               ;   in Loop: Header=BB205_4 Depth=1
	v_mad_co_u64_u32 v[32:33], null, s36, v31, 0
	s_delay_alu instid0(VALU_DEP_1) | instskip(NEXT) | instid1(VALU_DEP_1)
	v_mad_co_u64_u32 v[37:38], null, s37, v31, v[33:34]
	v_mov_b32_e32 v33, v37
	s_delay_alu instid0(VALU_DEP_1) | instskip(NEXT) | instid1(VALU_DEP_1)
	v_lshlrev_b64_e32 v[31:32], 2, v[32:33]
	v_add_co_u32 v28, s7, v28, v31
	s_wait_alu 0xf1ff
	s_delay_alu instid0(VALU_DEP_2)
	v_add_co_ci_u32_e64 v29, null, v29, v32, s7
	flat_load_b32 v37, v[28:29]
.LBB205_36:                             ;   in Loop: Header=BB205_4 Depth=1
	s_or_b32 exec_lo, exec_lo, s49
.LBB205_37:                             ;   in Loop: Header=BB205_4 Depth=1
	s_delay_alu instid0(SALU_CYCLE_1)
	s_or_b32 exec_lo, exec_lo, s48
.LBB205_38:                             ;   in Loop: Header=BB205_4 Depth=1
	s_delay_alu instid0(SALU_CYCLE_1)
	s_or_b32 exec_lo, exec_lo, s47
.LBB205_39:                             ;   in Loop: Header=BB205_4 Depth=1
	s_delay_alu instid0(SALU_CYCLE_1)
	s_or_b32 exec_lo, exec_lo, s46
	s_and_saveexec_b32 s46, s0
	s_cbranch_execz .LBB205_47
; %bb.40:                               ;   in Loop: Header=BB205_4 Depth=1
	v_mad_co_u64_u32 v[28:29], null, s34, v49, 0
	v_or_b32_e32 v52, 2, v49
	v_mad_co_u64_u32 v[31:32], null, s34, v30, 0
	v_or_b32_e32 v53, 3, v49
	v_cmp_gt_i32_e64 s7, s9, v30
	s_delay_alu instid0(VALU_DEP_4) | instskip(SKIP_3) | instid1(VALU_DEP_4)
	v_mad_co_u64_u32 v[38:39], null, s34, v52, 0
	v_mad_co_u64_u32 v[49:50], null, s35, v49, v[29:30]
	;; [unrolled: 1-line block ×4, first 2 shown]
	v_mov_b32_e32 v30, v39
	s_delay_alu instid0(VALU_DEP_4)
	v_dual_cndmask_b32 v50, 0, v28 :: v_dual_cndmask_b32 v51, 0, v49
	s_wait_alu 0xf1ff
	v_cndmask_b32_e64 v28, 0, v31, s7
	v_cndmask_b32_e64 v29, 0, v29, s7
	v_mad_co_u64_u32 v[30:31], null, s35, v52, v[30:31]
	v_mov_b32_e32 v31, v33
	v_lshlrev_b64_e32 v[49:50], 2, v[50:51]
	v_cmp_gt_i32_e32 vcc_lo, s9, v52
	v_lshlrev_b64_e32 v[51:52], 2, v[28:29]
	s_wait_alu 0xfffd
	v_cndmask_b32_e32 v39, 0, v30, vcc_lo
	s_delay_alu instid0(VALU_DEP_4)
	v_add_co_u32 v28, s7, v26, v49
	s_wait_alu 0xf1ff
	v_add_co_ci_u32_e64 v29, null, v27, v50, s7
	v_mad_co_u64_u32 v[30:31], null, s35, v53, v[31:32]
	v_cndmask_b32_e32 v38, 0, v38, vcc_lo
	v_add_co_u32 v28, vcc_lo, v28, v8
	s_wait_alu 0xfffd
	v_add_co_ci_u32_e64 v29, null, v29, v9, vcc_lo
	v_cmp_gt_i32_e32 vcc_lo, s9, v53
	v_add_co_u32 v31, s7, v26, v51
	s_wait_alu 0xf1ff
	v_add_co_ci_u32_e64 v49, null, v27, v52, s7
	s_wait_alu 0xfffd
	v_dual_cndmask_b32 v32, 0, v32 :: v_dual_cndmask_b32 v33, 0, v30
	v_lshlrev_b64_e32 v[38:39], 2, v[38:39]
	v_add_co_u32 v30, vcc_lo, v31, v8
	s_wait_alu 0xfffd
	v_add_co_ci_u32_e64 v31, null, v49, v9, vcc_lo
	v_lshlrev_b64_e32 v[32:33], 2, v[32:33]
	s_delay_alu instid0(VALU_DEP_4) | instskip(SKIP_2) | instid1(VALU_DEP_3)
	v_add_co_u32 v38, vcc_lo, v26, v38
	s_wait_alu 0xfffd
	v_add_co_ci_u32_e64 v39, null, v27, v39, vcc_lo
	v_add_co_u32 v26, vcc_lo, v26, v32
	s_wait_alu 0xfffd
	v_add_co_ci_u32_e64 v27, null, v27, v33, vcc_lo
	;; [unrolled: 3-line block ×4, first 2 shown]
	s_clause 0x3
	flat_load_b32 v50, v[28:29]
	flat_load_b32 v39, v[30:31]
	;; [unrolled: 1-line block ×4, first 2 shown]
	s_and_saveexec_b32 s7, s1
	s_cbranch_execz .LBB205_46
; %bb.41:                               ;   in Loop: Header=BB205_4 Depth=1
	s_clause 0x3
	flat_load_b32 v54, v[28:29] offset:256
	flat_load_b32 v53, v[30:31] offset:256
	flat_load_b32 v52, v[32:33] offset:256
	flat_load_b32 v51, v[26:27] offset:256
	s_and_saveexec_b32 s47, s2
	s_cbranch_execz .LBB205_45
; %bb.42:                               ;   in Loop: Header=BB205_4 Depth=1
	s_clause 0x3
	flat_load_b32 v58, v[28:29] offset:512
	flat_load_b32 v57, v[30:31] offset:512
	flat_load_b32 v56, v[32:33] offset:512
	flat_load_b32 v55, v[26:27] offset:512
	;; [unrolled: 8-line block ×3, first 2 shown]
	s_wait_loadcnt_dscnt 0x303
	v_fmac_f32_e32 v48, v34, v28
	s_wait_loadcnt_dscnt 0x202
	s_delay_alu instid0(VALU_DEP_1) | instskip(SKIP_1) | instid1(VALU_DEP_1)
	v_fmac_f32_e32 v48, v35, v29
	s_wait_loadcnt_dscnt 0x101
	v_fmac_f32_e32 v48, v36, v30
	s_wait_loadcnt_dscnt 0x0
	s_delay_alu instid0(VALU_DEP_1)
	v_fmac_f32_e32 v48, v37, v26
.LBB205_44:                             ;   in Loop: Header=BB205_4 Depth=1
	s_or_b32 exec_lo, exec_lo, s48
	s_wait_loadcnt_dscnt 0x303
	v_fmac_f32_e32 v47, v34, v58
	s_wait_loadcnt_dscnt 0x202
	s_delay_alu instid0(VALU_DEP_1) | instskip(SKIP_1) | instid1(VALU_DEP_1)
	v_fmac_f32_e32 v47, v35, v57
	s_wait_loadcnt_dscnt 0x101
	v_fmac_f32_e32 v47, v36, v56
	s_wait_loadcnt_dscnt 0x0
	s_delay_alu instid0(VALU_DEP_1)
	v_fmac_f32_e32 v47, v37, v55
.LBB205_45:                             ;   in Loop: Header=BB205_4 Depth=1
	s_or_b32 exec_lo, exec_lo, s47
	s_wait_loadcnt_dscnt 0x303
	v_fmac_f32_e32 v46, v34, v54
	s_wait_loadcnt_dscnt 0x202
	s_delay_alu instid0(VALU_DEP_1) | instskip(SKIP_1) | instid1(VALU_DEP_1)
	v_fmac_f32_e32 v46, v35, v53
	s_wait_loadcnt_dscnt 0x101
	v_fmac_f32_e32 v46, v36, v52
	s_wait_loadcnt_dscnt 0x0
	s_delay_alu instid0(VALU_DEP_1)
	v_fmac_f32_e32 v46, v37, v51
.LBB205_46:                             ;   in Loop: Header=BB205_4 Depth=1
	s_wait_alu 0xfffe
	s_or_b32 exec_lo, exec_lo, s7
	s_wait_loadcnt_dscnt 0x303
	v_fmac_f32_e32 v45, v34, v50
	s_wait_loadcnt_dscnt 0x202
	s_delay_alu instid0(VALU_DEP_1) | instskip(SKIP_1) | instid1(VALU_DEP_1)
	v_fmac_f32_e32 v45, v35, v39
	s_wait_loadcnt_dscnt 0x101
	v_fmac_f32_e32 v45, v36, v38
	s_wait_loadcnt_dscnt 0x0
	s_delay_alu instid0(VALU_DEP_1)
	v_fmac_f32_e32 v45, v37, v49
.LBB205_47:                             ;   in Loop: Header=BB205_4 Depth=1
	s_or_b32 exec_lo, exec_lo, s46
.LBB205_48:                             ;   in Loop: Header=BB205_4 Depth=1
	ds_store_2addr_stride64_b32 v0, v45, v46 offset1:1
	ds_store_2addr_stride64_b32 v0, v47, v48 offset0:2 offset1:3
	s_wait_loadcnt_dscnt 0x0
	s_barrier_signal -1
	s_barrier_wait -1
	global_inv scope:SCOPE_SE
                                        ; implicit-def: $vgpr30
	s_and_saveexec_b32 s7, s5
	s_cbranch_execz .LBB205_54
; %bb.49:                               ;   in Loop: Header=BB205_4 Depth=1
	ds_load_2addr_stride64_b32 v[26:27], v41 offset1:4
	ds_load_2addr_stride64_b32 v[28:29], v41 offset0:8 offset1:12
	ds_load_2addr_stride64_b32 v[30:31], v41 offset0:16 offset1:20
	s_mov_b32 s47, s8
	s_wait_dscnt 0x2
	v_add_f32_e32 v32, v26, v27
	ds_load_2addr_stride64_b32 v[26:27], v41 offset0:24 offset1:28
	s_wait_dscnt 0x2
	v_add_f32_e32 v28, v28, v32
	s_delay_alu instid0(VALU_DEP_1) | instskip(SKIP_3) | instid1(VALU_DEP_1)
	v_add_f32_e32 v32, v29, v28
	ds_load_2addr_stride64_b32 v[28:29], v41 offset0:32 offset1:36
	s_wait_dscnt 0x2
	v_add_f32_e32 v30, v30, v32
	v_add_f32_e32 v32, v31, v30
	ds_load_2addr_stride64_b32 v[30:31], v41 offset0:40 offset1:44
	s_wait_dscnt 0x2
	v_add_f32_e32 v26, v26, v32
	s_delay_alu instid0(VALU_DEP_1) | instskip(SKIP_1) | instid1(VALU_DEP_1)
	v_add_f32_e32 v26, v27, v26
	s_wait_dscnt 0x1
	v_add_f32_e32 v28, v28, v26
	ds_load_2addr_stride64_b32 v[26:27], v41 offset0:48 offset1:52
	v_add_f32_e32 v28, v29, v28
	s_wait_dscnt 0x1
	s_delay_alu instid0(VALU_DEP_1) | instskip(SKIP_3) | instid1(VALU_DEP_1)
	v_add_f32_e32 v30, v30, v28
	ds_load_2addr_stride64_b32 v[28:29], v41 offset0:56 offset1:60
	v_add_f32_e32 v30, v31, v30
	s_wait_dscnt 0x1
	v_add_f32_e32 v26, v26, v30
                                        ; implicit-def: $vgpr30
	s_delay_alu instid0(VALU_DEP_1) | instskip(SKIP_1) | instid1(VALU_DEP_1)
	v_add_f32_e32 v26, v27, v26
	s_wait_dscnt 0x0
	v_add_f32_e32 v26, v28, v26
	s_delay_alu instid0(VALU_DEP_1)
	v_add_f32_e32 v26, v29, v26
	ds_store_b32 v41, v26
	s_and_saveexec_b32 s46, s6
	s_cbranch_execz .LBB205_53
; %bb.50:                               ;   in Loop: Header=BB205_4 Depth=1
	v_mul_f32_e32 v30, v42, v26
	s_cmp_eq_f32 s45, 0
	s_cbranch_scc1 .LBB205_52
; %bb.51:                               ;   in Loop: Header=BB205_4 Depth=1
	v_lshlrev_b64_e32 v[26:27], 2, v[4:5]
	s_delay_alu instid0(VALU_DEP_1) | instskip(SKIP_1) | instid1(VALU_DEP_2)
	v_add_co_u32 v26, vcc_lo, v43, v26
	s_wait_alu 0xfffd
	v_add_co_ci_u32_e64 v27, null, v44, v27, vcc_lo
	flat_load_b32 v26, v[26:27]
	s_wait_loadcnt_dscnt 0x0
	v_fmac_f32_e32 v30, s45, v26
.LBB205_52:                             ;   in Loop: Header=BB205_4 Depth=1
	s_or_b32 s47, s8, exec_lo
.LBB205_53:                             ;   in Loop: Header=BB205_4 Depth=1
	s_or_b32 exec_lo, exec_lo, s46
	s_delay_alu instid0(SALU_CYCLE_1)
	s_and_not1_b32 s8, s8, exec_lo
	s_and_b32 s45, s47, exec_lo
	s_wait_alu 0xfffe
	s_or_b32 s8, s8, s45
.LBB205_54:                             ;   in Loop: Header=BB205_4 Depth=1
	s_wait_alu 0xfffe
	s_or_b32 exec_lo, exec_lo, s7
	v_dual_mov_b32 v27, v5 :: v_dual_mov_b32 v26, v4
	s_and_saveexec_b32 s7, s8
	s_cbranch_execz .LBB205_2
.LBB205_55:                             ;   in Loop: Header=BB205_4 Depth=1
	s_delay_alu instid0(VALU_DEP_1) | instskip(NEXT) | instid1(VALU_DEP_1)
	v_lshlrev_b64_e32 v[26:27], 2, v[26:27]
	v_add_co_u32 v26, vcc_lo, v43, v26
	s_wait_alu 0xfffd
	s_delay_alu instid0(VALU_DEP_2)
	v_add_co_ci_u32_e64 v27, null, v44, v27, vcc_lo
	flat_store_b32 v[26:27], v30
	s_branch .LBB205_2
.LBB205_56:
	s_endpgm
	.section	.rodata,"a",@progbits
	.p2align	6, 0x0
	.amdhsa_kernel _ZL20rocblas_gemvn_kernelILi64ELi16ElPKfS1_KPfEviiT3_lPKT2_lT1_lS7_lS8_lS4_lPT4_lS8_li
		.amdhsa_group_segment_fixed_size 16384
		.amdhsa_private_segment_fixed_size 0
		.amdhsa_kernarg_size 400
		.amdhsa_user_sgpr_count 2
		.amdhsa_user_sgpr_dispatch_ptr 0
		.amdhsa_user_sgpr_queue_ptr 0
		.amdhsa_user_sgpr_kernarg_segment_ptr 1
		.amdhsa_user_sgpr_dispatch_id 0
		.amdhsa_user_sgpr_private_segment_size 0
		.amdhsa_wavefront_size32 1
		.amdhsa_uses_dynamic_stack 0
		.amdhsa_enable_private_segment 0
		.amdhsa_system_sgpr_workgroup_id_x 1
		.amdhsa_system_sgpr_workgroup_id_y 0
		.amdhsa_system_sgpr_workgroup_id_z 1
		.amdhsa_system_sgpr_workgroup_info 0
		.amdhsa_system_vgpr_workitem_id 1
		.amdhsa_next_free_vgpr 74
		.amdhsa_next_free_sgpr 51
		.amdhsa_reserve_vcc 1
		.amdhsa_float_round_mode_32 0
		.amdhsa_float_round_mode_16_64 0
		.amdhsa_float_denorm_mode_32 3
		.amdhsa_float_denorm_mode_16_64 3
		.amdhsa_fp16_overflow 0
		.amdhsa_workgroup_processor_mode 1
		.amdhsa_memory_ordered 1
		.amdhsa_forward_progress 1
		.amdhsa_inst_pref_size 29
		.amdhsa_round_robin_scheduling 0
		.amdhsa_exception_fp_ieee_invalid_op 0
		.amdhsa_exception_fp_denorm_src 0
		.amdhsa_exception_fp_ieee_div_zero 0
		.amdhsa_exception_fp_ieee_overflow 0
		.amdhsa_exception_fp_ieee_underflow 0
		.amdhsa_exception_fp_ieee_inexact 0
		.amdhsa_exception_int_div_zero 0
	.end_amdhsa_kernel
	.section	.text._ZL20rocblas_gemvn_kernelILi64ELi16ElPKfS1_KPfEviiT3_lPKT2_lT1_lS7_lS8_lS4_lPT4_lS8_li,"axG",@progbits,_ZL20rocblas_gemvn_kernelILi64ELi16ElPKfS1_KPfEviiT3_lPKT2_lT1_lS7_lS8_lS4_lPT4_lS8_li,comdat
.Lfunc_end205:
	.size	_ZL20rocblas_gemvn_kernelILi64ELi16ElPKfS1_KPfEviiT3_lPKT2_lT1_lS7_lS8_lS4_lPT4_lS8_li, .Lfunc_end205-_ZL20rocblas_gemvn_kernelILi64ELi16ElPKfS1_KPfEviiT3_lPKT2_lT1_lS7_lS8_lS4_lPT4_lS8_li
                                        ; -- End function
	.set _ZL20rocblas_gemvn_kernelILi64ELi16ElPKfS1_KPfEviiT3_lPKT2_lT1_lS7_lS8_lS4_lPT4_lS8_li.num_vgpr, 74
	.set _ZL20rocblas_gemvn_kernelILi64ELi16ElPKfS1_KPfEviiT3_lPKT2_lT1_lS7_lS8_lS4_lPT4_lS8_li.num_agpr, 0
	.set _ZL20rocblas_gemvn_kernelILi64ELi16ElPKfS1_KPfEviiT3_lPKT2_lT1_lS7_lS8_lS4_lPT4_lS8_li.numbered_sgpr, 51
	.set _ZL20rocblas_gemvn_kernelILi64ELi16ElPKfS1_KPfEviiT3_lPKT2_lT1_lS7_lS8_lS4_lPT4_lS8_li.num_named_barrier, 0
	.set _ZL20rocblas_gemvn_kernelILi64ELi16ElPKfS1_KPfEviiT3_lPKT2_lT1_lS7_lS8_lS4_lPT4_lS8_li.private_seg_size, 0
	.set _ZL20rocblas_gemvn_kernelILi64ELi16ElPKfS1_KPfEviiT3_lPKT2_lT1_lS7_lS8_lS4_lPT4_lS8_li.uses_vcc, 1
	.set _ZL20rocblas_gemvn_kernelILi64ELi16ElPKfS1_KPfEviiT3_lPKT2_lT1_lS7_lS8_lS4_lPT4_lS8_li.uses_flat_scratch, 1
	.set _ZL20rocblas_gemvn_kernelILi64ELi16ElPKfS1_KPfEviiT3_lPKT2_lT1_lS7_lS8_lS4_lPT4_lS8_li.has_dyn_sized_stack, 0
	.set _ZL20rocblas_gemvn_kernelILi64ELi16ElPKfS1_KPfEviiT3_lPKT2_lT1_lS7_lS8_lS4_lPT4_lS8_li.has_recursion, 0
	.set _ZL20rocblas_gemvn_kernelILi64ELi16ElPKfS1_KPfEviiT3_lPKT2_lT1_lS7_lS8_lS4_lPT4_lS8_li.has_indirect_call, 0
	.section	.AMDGPU.csdata,"",@progbits
; Kernel info:
; codeLenInByte = 3660
; TotalNumSgprs: 53
; NumVgprs: 74
; ScratchSize: 0
; MemoryBound: 0
; FloatMode: 240
; IeeeMode: 1
; LDSByteSize: 16384 bytes/workgroup (compile time only)
; SGPRBlocks: 0
; VGPRBlocks: 9
; NumSGPRsForWavesPerEU: 53
; NumVGPRsForWavesPerEU: 74
; Occupancy: 16
; WaveLimiterHint : 1
; COMPUTE_PGM_RSRC2:SCRATCH_EN: 0
; COMPUTE_PGM_RSRC2:USER_SGPR: 2
; COMPUTE_PGM_RSRC2:TRAP_HANDLER: 0
; COMPUTE_PGM_RSRC2:TGID_X_EN: 1
; COMPUTE_PGM_RSRC2:TGID_Y_EN: 0
; COMPUTE_PGM_RSRC2:TGID_Z_EN: 1
; COMPUTE_PGM_RSRC2:TIDIG_COMP_CNT: 1
	.section	.text._ZL20rocblas_gemvn_kernelILi64ELi16EiPKffKPfEviiT3_lPKT2_lT1_lS7_lS8_lS4_lPT4_lS8_li,"axG",@progbits,_ZL20rocblas_gemvn_kernelILi64ELi16EiPKffKPfEviiT3_lPKT2_lT1_lS7_lS8_lS4_lPT4_lS8_li,comdat
	.globl	_ZL20rocblas_gemvn_kernelILi64ELi16EiPKffKPfEviiT3_lPKT2_lT1_lS7_lS8_lS4_lPT4_lS8_li ; -- Begin function _ZL20rocblas_gemvn_kernelILi64ELi16EiPKffKPfEviiT3_lPKT2_lT1_lS7_lS8_lS4_lPT4_lS8_li
	.p2align	8
	.type	_ZL20rocblas_gemvn_kernelILi64ELi16EiPKffKPfEviiT3_lPKT2_lT1_lS7_lS8_lS4_lPT4_lS8_li,@function
_ZL20rocblas_gemvn_kernelILi64ELi16EiPKffKPfEviiT3_lPKT2_lT1_lS7_lS8_lS4_lPT4_lS8_li: ; @_ZL20rocblas_gemvn_kernelILi64ELi16EiPKffKPfEviiT3_lPKT2_lT1_lS7_lS8_lS4_lPT4_lS8_li
; %bb.0:
	s_clause 0x1
	s_load_b64 s[2:3], s[0:1], 0x9c
	s_load_b32 s23, s[0:1], 0x88
	s_lshr_b32 s24, ttmp7, 16
	s_wait_kmcnt 0x0
	s_lshr_b32 s4, s2, 16
	s_and_b32 s2, s2, 0xffff
	s_and_b32 s3, s3, 0xffff
	s_mul_i32 s2, s4, s2
	s_delay_alu instid0(SALU_CYCLE_1) | instskip(NEXT) | instid1(SALU_CYCLE_1)
	s_mul_i32 s2, s2, s3
	s_cmp_lg_u32 s2, 0x400
	s_cselect_b32 s2, -1, 0
	s_cmp_ge_u32 s24, s23
	s_cselect_b32 s3, -1, 0
	s_delay_alu instid0(SALU_CYCLE_1) | instskip(NEXT) | instid1(SALU_CYCLE_1)
	s_or_b32 s2, s2, s3
	s_and_b32 vcc_lo, exec_lo, s2
	s_cbranch_vccnz .LBB206_59
; %bb.1:
	s_clause 0x7
	s_load_b32 s4, s[0:1], 0x78
	s_load_b96 s[20:22], s[0:1], 0x0
	s_load_b32 s27, s[0:1], 0x58
	s_load_b32 s28, s[0:1], 0x28
	s_load_b128 s[8:11], s[0:1], 0x38
	s_load_b32 s26, s[0:1], 0x48
	s_load_b128 s[12:15], s[0:1], 0x68
	s_load_b128 s[16:19], s[0:1], 0x18
	v_and_b32_e32 v9, 0x3ff, v0
	v_bfe_u32 v8, v0, 10, 10
	v_mov_b32_e32 v1, 0
	s_mov_b32 s25, 0
	s_delay_alu instid0(VALU_DEP_3) | instskip(NEXT) | instid1(VALU_DEP_3)
	v_lshlrev_b32_e32 v0, 2, v9
	v_lshl_add_u32 v2, v8, 6, v9
	v_lshlrev_b32_e32 v23, 2, v8
	s_delay_alu instid0(VALU_DEP_3)
	v_lshl_add_u32 v24, v8, 10, v0
	v_lshl_add_u32 v25, v8, 8, v0
	s_wait_kmcnt 0x0
	s_ashr_i32 s5, s4, 31
	s_cmp_eq_f32 s22, 0
	s_mov_b32 s2, s20
	v_cmp_gt_u32_e64 s0, 0x100, v2
	v_mul_lo_u32 v10, s28, v23
	s_cselect_b32 s29, -1, 0
	s_cmp_neq_f32 s27, 1.0
	v_or_b32_e32 v12, 3, v23
	v_mul_lo_u32 v13, v8, s26
	s_cselect_b32 s1, -1, 0
	s_cmp_neq_f32 s22, 0
	s_delay_alu instid0(VALU_DEP_2)
	v_mul_lo_u32 v30, s26, v12
	s_cselect_b32 s6, -1, 0
	s_lshl_b32 s30, ttmp9, 8
	s_ashr_i32 s3, s20, 31
	v_add_nc_u32_e32 v0, s30, v2
	v_or_b32_e32 v4, s30, v2
	v_add_nc_u32_e32 v27, s30, v9
	s_or_b32 s31, s6, s1
	s_cmp_neq_f32 s27, 0
	v_cmp_gt_i64_e32 vcc_lo, s[2:3], v[0:1]
	v_mad_co_u64_u32 v[2:3], null, s4, v0, 0
	v_cmp_gt_i32_e64 s2, s20, v4
	v_mul_lo_u32 v4, s4, v4
	v_add_nc_u32_e32 v6, 0x80, v27
	v_add_nc_u32_e32 v11, 0xc0, v27
	s_cselect_b32 s33, -1, 0
	s_ashr_i32 s3, s21, 31
	v_add_nc_u32_e32 v5, 64, v27
	v_cmp_gt_i32_e64 s4, s20, v6
	s_wait_alu 0xfffe
	s_lshr_b32 s3, s3, 26
	v_mad_co_u64_u32 v[6:7], null, s5, v0, v[3:4]
	v_cmp_gt_i32_e64 s5, s20, v11
	v_mul_lo_u32 v11, v8, s28
	v_add3_u32 v0, v10, s28, v9
	v_or_b32_e32 v10, 2, v23
	s_wait_alu 0xfffe
	s_add_co_i32 s34, s21, s3
	v_cndmask_b32_e64 v26, 0, 1, s6
	v_mov_b32_e32 v3, v6
	s_and_not1_b32 s34, s34, 63
	v_mad_co_u64_u32 v[6:7], null, s28, v10, v[9:10]
	v_mad_co_u64_u32 v[7:8], null, s28, v12, v[9:10]
	v_lshl_add_u32 v28, v11, 2, v9
	v_mad_co_u64_u32 v[8:9], null, s26, v23, s[26:27]
	v_mul_lo_u32 v29, s26, v10
	s_sub_co_i32 s7, s21, s34
	v_lshlrev_b64_e32 v[9:10], 2, v[2:3]
	v_cmp_gt_i32_e64 s1, s20, v27
	v_cmp_gt_i32_e64 s3, s20, v5
	;; [unrolled: 1-line block ×3, first 2 shown]
	v_ashrrev_i32_e32 v5, 31, v4
	v_lshlrev_b32_e32 v31, 2, v13
	s_wait_alu 0xfffe
	s_cmp_gt_i32 s7, 0
	s_cselect_b32 s20, -1, 0
	s_and_b32 s35, s0, vcc_lo
	s_lshl_b32 s36, s28, 6
	s_lshl_b32 s37, s26, 6
	s_lshl_b64 s[18:19], s[18:19], 2
	s_lshl_b64 s[10:11], s[10:11], 2
	;; [unrolled: 1-line block ×3, first 2 shown]
	s_branch .LBB206_4
.LBB206_2:                              ;   in Loop: Header=BB206_4 Depth=1
	s_wait_alu 0xfffe
	s_or_b32 exec_lo, exec_lo, s7
.LBB206_3:                              ;   in Loop: Header=BB206_4 Depth=1
	s_add_co_i32 s24, s24, 0x10000
	s_delay_alu instid0(SALU_CYCLE_1)
	s_cmp_lt_u32 s24, s23
	s_cbranch_scc0 .LBB206_59
.LBB206_4:                              ; =>This Loop Header: Depth=1
                                        ;     Child Loop BB206_27 Depth 2
	s_and_not1_b32 vcc_lo, exec_lo, s31
	s_wait_alu 0xfffe
	s_cbranch_vccnz .LBB206_3
; %bb.5:                                ;   in Loop: Header=BB206_4 Depth=1
	s_and_not1_b32 vcc_lo, exec_lo, s29
	s_wait_alu 0xfffe
	s_cbranch_vccnz .LBB206_7
; %bb.6:                                ;   in Loop: Header=BB206_4 Depth=1
	s_mov_b32 s7, 0
	s_branch .LBB206_8
.LBB206_7:                              ;   in Loop: Header=BB206_4 Depth=1
	s_mov_b32 s7, -1
.LBB206_8:                              ;   in Loop: Header=BB206_4 Depth=1
	v_mov_b32_e32 v13, 0
	v_dual_mov_b32 v14, 0 :: v_dual_mov_b32 v11, 0
	v_mov_b32_e32 v12, 0
	s_wait_alu 0xfffe
	s_and_not1_b32 vcc_lo, exec_lo, s7
	s_wait_alu 0xfffe
	s_cbranch_vccnz .LBB206_10
; %bb.9:                                ;   in Loop: Header=BB206_4 Depth=1
	s_lshl_b64 s[38:39], s[24:25], 3
	s_delay_alu instid0(SALU_CYCLE_1)
	s_add_nc_u64 s[38:39], s[16:17], s[38:39]
	global_load_b64 v[11:12], v1, s[38:39]
	s_wait_loadcnt 0x0
	v_add_co_u32 v11, vcc_lo, v11, s18
	s_wait_alu 0xfffd
	v_add_co_ci_u32_e64 v12, null, s19, v12, vcc_lo
.LBB206_10:                             ;   in Loop: Header=BB206_4 Depth=1
	v_cmp_ne_u32_e32 vcc_lo, 1, v26
	s_cbranch_vccnz .LBB206_12
; %bb.11:                               ;   in Loop: Header=BB206_4 Depth=1
	s_lshl_b64 s[38:39], s[24:25], 3
	s_delay_alu instid0(SALU_CYCLE_1)
	s_add_nc_u64 s[38:39], s[8:9], s[38:39]
	global_load_b64 v[13:14], v1, s[38:39]
	s_wait_loadcnt 0x0
	v_add_co_u32 v13, vcc_lo, v13, s10
	s_wait_alu 0xfffd
	v_add_co_ci_u32_e64 v14, null, s11, v14, vcc_lo
.LBB206_12:                             ;   in Loop: Header=BB206_4 Depth=1
	s_lshl_b64 s[38:39], s[24:25], 3
	s_delay_alu instid0(SALU_CYCLE_1)
	s_add_nc_u64 s[38:39], s[12:13], s[38:39]
	global_load_b64 v[15:16], v1, s[38:39]
	s_wait_loadcnt 0x0
	v_add_co_u32 v32, vcc_lo, v15, s14
	s_wait_alu 0xfffd
	v_add_co_ci_u32_e64 v33, null, s15, v16, vcc_lo
	s_and_not1_b32 vcc_lo, exec_lo, s29
	s_wait_alu 0xfffe
	s_cbranch_vccnz .LBB206_16
; %bb.13:                               ;   in Loop: Header=BB206_4 Depth=1
	s_mov_b32 s7, 0
	s_mov_b32 s38, 0
                                        ; implicit-def: $vgpr15
	s_and_saveexec_b32 s39, s35
	s_cbranch_execz .LBB206_17
; %bb.14:                               ;   in Loop: Header=BB206_4 Depth=1
	s_and_not1_b32 vcc_lo, exec_lo, s33
	s_wait_alu 0xfffe
	s_cbranch_vccnz .LBB206_19
; %bb.15:                               ;   in Loop: Header=BB206_4 Depth=1
	v_add_co_u32 v15, vcc_lo, v32, v9
	s_wait_alu 0xfffd
	v_add_co_ci_u32_e64 v16, null, v33, v10, vcc_lo
	flat_load_b32 v15, v[15:16]
	s_wait_loadcnt_dscnt 0x0
	v_mul_f32_e32 v15, s27, v15
	s_branch .LBB206_20
.LBB206_16:                             ;   in Loop: Header=BB206_4 Depth=1
	s_mov_b32 s38, 0
                                        ; implicit-def: $vgpr15
	s_cbranch_execz .LBB206_18
	s_branch .LBB206_21
.LBB206_17:                             ;   in Loop: Header=BB206_4 Depth=1
	s_or_b32 exec_lo, exec_lo, s39
	s_wait_alu 0xfffe
	s_and_b32 vcc_lo, exec_lo, s7
	s_wait_alu 0xfffe
	s_cbranch_vccnz .LBB206_21
.LBB206_18:                             ;   in Loop: Header=BB206_4 Depth=1
	v_dual_mov_b32 v12, v3 :: v_dual_mov_b32 v11, v2
	s_and_saveexec_b32 s7, s38
	s_cbranch_execz .LBB206_2
	s_branch .LBB206_58
.LBB206_19:                             ;   in Loop: Header=BB206_4 Depth=1
	v_mov_b32_e32 v15, 0
.LBB206_20:                             ;   in Loop: Header=BB206_4 Depth=1
	s_mov_b32 s38, exec_lo
	s_or_b32 exec_lo, exec_lo, s39
	s_delay_alu instid0(SALU_CYCLE_1)
	s_and_b32 vcc_lo, exec_lo, s7
	s_wait_alu 0xfffe
	s_cbranch_vccz .LBB206_18
.LBB206_21:                             ;   in Loop: Header=BB206_4 Depth=1
	v_dual_mov_b32 v34, 0 :: v_dual_mov_b32 v35, 0
	v_dual_mov_b32 v38, v23 :: v_dual_mov_b32 v37, 0
	v_mov_b32_e32 v36, 0
	s_and_saveexec_b32 s7, s6
	s_cbranch_execz .LBB206_33
; %bb.22:                               ;   in Loop: Header=BB206_4 Depth=1
	v_dual_mov_b32 v34, 0 :: v_dual_mov_b32 v39, v28
	v_dual_mov_b32 v40, v7 :: v_dual_mov_b32 v41, v6
	;; [unrolled: 1-line block ×4, first 2 shown]
	v_mov_b32_e32 v36, 0
	s_mov_b32 s39, 0
	s_mov_b32 s40, 0
	s_branch .LBB206_27
.LBB206_23:                             ;   in Loop: Header=BB206_27 Depth=2
	s_or_b32 exec_lo, exec_lo, s44
	s_wait_loadcnt_dscnt 0x303
	v_fmac_f32_e32 v36, v46, v58
	s_wait_loadcnt_dscnt 0x202
	s_delay_alu instid0(VALU_DEP_1) | instskip(SKIP_1) | instid1(VALU_DEP_1)
	v_fmac_f32_e32 v36, v45, v57
	s_wait_loadcnt_dscnt 0x101
	v_fmac_f32_e32 v36, v44, v56
	s_wait_loadcnt_dscnt 0x0
	s_delay_alu instid0(VALU_DEP_1)
	v_fmac_f32_e32 v36, v43, v55
.LBB206_24:                             ;   in Loop: Header=BB206_27 Depth=2
	s_or_b32 exec_lo, exec_lo, s43
	s_wait_loadcnt_dscnt 0x303
	v_fmac_f32_e32 v35, v46, v54
	s_wait_loadcnt_dscnt 0x202
	s_delay_alu instid0(VALU_DEP_1) | instskip(SKIP_1) | instid1(VALU_DEP_1)
	v_fmac_f32_e32 v35, v45, v53
	s_wait_loadcnt_dscnt 0x101
	v_fmac_f32_e32 v35, v44, v52
	s_wait_loadcnt_dscnt 0x0
	s_delay_alu instid0(VALU_DEP_1)
	v_fmac_f32_e32 v35, v43, v51
.LBB206_25:                             ;   in Loop: Header=BB206_27 Depth=2
	s_or_b32 exec_lo, exec_lo, s42
	s_wait_loadcnt_dscnt 0x303
	v_fmac_f32_e32 v34, v46, v50
	s_wait_loadcnt_dscnt 0x202
	s_delay_alu instid0(VALU_DEP_1) | instskip(SKIP_1) | instid1(VALU_DEP_1)
	v_fmac_f32_e32 v34, v45, v48
	s_wait_loadcnt_dscnt 0x101
	v_fmac_f32_e32 v34, v44, v47
	s_wait_loadcnt_dscnt 0x0
	s_delay_alu instid0(VALU_DEP_1)
	v_fmac_f32_e32 v34, v43, v49
.LBB206_26:                             ;   in Loop: Header=BB206_27 Depth=2
	s_wait_alu 0xfffe
	s_or_b32 exec_lo, exec_lo, s41
	v_add_nc_u32_e32 v38, 64, v38
	v_add_nc_u32_e32 v42, s36, v42
	;; [unrolled: 1-line block ×5, first 2 shown]
	v_cmp_le_i32_e32 vcc_lo, s34, v38
	s_add_co_i32 s40, s40, s37
	s_or_b32 s39, vcc_lo, s39
	s_delay_alu instid0(SALU_CYCLE_1)
	s_and_not1_b32 exec_lo, exec_lo, s39
	s_cbranch_execz .LBB206_32
.LBB206_27:                             ;   Parent Loop BB206_4 Depth=1
                                        ; =>  This Inner Loop Header: Depth=2
	s_and_saveexec_b32 s41, s1
	s_cbranch_execz .LBB206_26
; %bb.28:                               ;   in Loop: Header=BB206_27 Depth=2
	s_wait_alu 0xfffe
	v_add_nc_u32_e32 v15, s40, v31
	v_add_nc_u32_e32 v17, s40, v8
	v_add_nc_u32_e32 v19, s40, v29
	v_add_nc_u32_e32 v21, s40, v30
	v_add_nc_u32_e32 v43, s30, v39
	v_ashrrev_i32_e32 v16, 31, v15
	v_ashrrev_i32_e32 v18, 31, v17
	;; [unrolled: 1-line block ×5, first 2 shown]
	v_lshlrev_b64_e32 v[15:16], 2, v[15:16]
	v_lshlrev_b64_e32 v[17:18], 2, v[17:18]
	v_lshlrev_b64_e32 v[19:20], 2, v[19:20]
	s_delay_alu instid0(VALU_DEP_3) | instskip(SKIP_1) | instid1(VALU_DEP_4)
	v_add_co_u32 v45, vcc_lo, v13, v15
	s_wait_alu 0xfffd
	v_add_co_ci_u32_e64 v46, null, v14, v16, vcc_lo
	s_delay_alu instid0(VALU_DEP_4)
	v_add_co_u32 v47, vcc_lo, v13, v17
	v_add_nc_u32_e32 v17, s30, v42
	s_wait_alu 0xfffd
	v_add_co_ci_u32_e64 v48, null, v14, v18, vcc_lo
	v_lshlrev_b64_e32 v[15:16], 2, v[21:22]
	v_add_co_u32 v49, vcc_lo, v13, v19
	v_add_nc_u32_e32 v21, s30, v41
	s_wait_alu 0xfffd
	v_add_co_ci_u32_e64 v50, null, v14, v20, vcc_lo
	v_lshlrev_b64_e32 v[19:20], 2, v[43:44]
	v_add_nc_u32_e32 v43, s30, v40
	v_ashrrev_i32_e32 v18, 31, v17
	v_ashrrev_i32_e32 v22, 31, v21
	v_add_co_u32 v51, vcc_lo, v13, v15
	s_delay_alu instid0(VALU_DEP_4)
	v_ashrrev_i32_e32 v44, 31, v43
	s_wait_alu 0xfffd
	v_add_co_ci_u32_e64 v52, null, v14, v16, vcc_lo
	v_lshlrev_b64_e32 v[17:18], 2, v[17:18]
	v_add_co_u32 v15, vcc_lo, v11, v19
	s_wait_alu 0xfffd
	v_add_co_ci_u32_e64 v16, null, v12, v20, vcc_lo
	v_lshlrev_b64_e32 v[19:20], 2, v[21:22]
	v_lshlrev_b64_e32 v[43:44], 2, v[43:44]
	v_add_co_u32 v17, vcc_lo, v11, v17
	s_wait_alu 0xfffd
	v_add_co_ci_u32_e64 v18, null, v12, v18, vcc_lo
	s_delay_alu instid0(VALU_DEP_4)
	v_add_co_u32 v21, vcc_lo, v11, v19
	s_wait_alu 0xfffd
	v_add_co_ci_u32_e64 v22, null, v12, v20, vcc_lo
	v_add_co_u32 v19, vcc_lo, v11, v43
	s_wait_alu 0xfffd
	v_add_co_ci_u32_e64 v20, null, v12, v44, vcc_lo
	s_clause 0x3
	flat_load_b32 v46, v[45:46]
	flat_load_b32 v45, v[47:48]
	;; [unrolled: 1-line block ×4, first 2 shown]
	s_clause 0x3
	flat_load_b32 v50, v[15:16]
	flat_load_b32 v48, v[17:18]
	;; [unrolled: 1-line block ×4, first 2 shown]
	s_and_saveexec_b32 s42, s3
	s_cbranch_execz .LBB206_25
; %bb.29:                               ;   in Loop: Header=BB206_27 Depth=2
	s_clause 0x3
	flat_load_b32 v54, v[15:16] offset:256
	flat_load_b32 v53, v[17:18] offset:256
	flat_load_b32 v52, v[21:22] offset:256
	flat_load_b32 v51, v[19:20] offset:256
	s_and_saveexec_b32 s43, s4
	s_cbranch_execz .LBB206_24
; %bb.30:                               ;   in Loop: Header=BB206_27 Depth=2
	s_clause 0x3
	flat_load_b32 v58, v[15:16] offset:512
	flat_load_b32 v57, v[17:18] offset:512
	flat_load_b32 v56, v[21:22] offset:512
	flat_load_b32 v55, v[19:20] offset:512
	;; [unrolled: 8-line block ×3, first 2 shown]
	s_wait_loadcnt_dscnt 0x303
	v_fmac_f32_e32 v37, v46, v15
	s_wait_loadcnt_dscnt 0x202
	s_delay_alu instid0(VALU_DEP_1) | instskip(SKIP_1) | instid1(VALU_DEP_1)
	v_fmac_f32_e32 v37, v45, v16
	s_wait_loadcnt_dscnt 0x101
	v_fmac_f32_e32 v37, v44, v17
	s_wait_loadcnt_dscnt 0x0
	s_delay_alu instid0(VALU_DEP_1)
	v_fmac_f32_e32 v37, v43, v18
	s_branch .LBB206_23
.LBB206_32:                             ;   in Loop: Header=BB206_4 Depth=1
	s_or_b32 exec_lo, exec_lo, s39
.LBB206_33:                             ;   in Loop: Header=BB206_4 Depth=1
	s_wait_alu 0xfffe
	s_or_b32 exec_lo, exec_lo, s7
	s_delay_alu instid0(SALU_CYCLE_1)
	s_and_not1_b32 vcc_lo, exec_lo, s20
	s_wait_alu 0xfffe
	s_cbranch_vccnz .LBB206_51
; %bb.34:                               ;   in Loop: Header=BB206_4 Depth=1
	v_cmp_gt_i32_e32 vcc_lo, s21, v38
	v_dual_mov_b32 v22, 0 :: v_dual_mov_b32 v21, 0
	v_or_b32_e32 v15, 1, v38
	v_dual_mov_b32 v20, 0 :: v_dual_mov_b32 v19, 0
	s_and_saveexec_b32 s39, vcc_lo
	s_cbranch_execz .LBB206_42
; %bb.35:                               ;   in Loop: Header=BB206_4 Depth=1
	v_mul_lo_u32 v16, v38, s26
	v_dual_mov_b32 v20, 0 :: v_dual_mov_b32 v21, 0
	v_mov_b32_e32 v22, 0
	s_mov_b32 s40, exec_lo
	s_delay_alu instid0(VALU_DEP_3) | instskip(NEXT) | instid1(VALU_DEP_1)
	v_ashrrev_i32_e32 v17, 31, v16
	v_lshlrev_b64_e32 v[16:17], 2, v[16:17]
	s_delay_alu instid0(VALU_DEP_1) | instskip(SKIP_1) | instid1(VALU_DEP_2)
	v_add_co_u32 v16, s7, v13, v16
	s_wait_alu 0xf1ff
	v_add_co_ci_u32_e64 v17, null, v14, v17, s7
	flat_load_b32 v19, v[16:17]
	v_cmpx_gt_i32_e64 s21, v15
	s_cbranch_execz .LBB206_41
; %bb.36:                               ;   in Loop: Header=BB206_4 Depth=1
	v_mul_lo_u32 v16, v15, s26
	v_dual_mov_b32 v21, 0 :: v_dual_mov_b32 v22, 0
	s_mov_b32 s41, exec_lo
	s_delay_alu instid0(VALU_DEP_2) | instskip(NEXT) | instid1(VALU_DEP_1)
	v_ashrrev_i32_e32 v17, 31, v16
	v_lshlrev_b64_e32 v[16:17], 2, v[16:17]
	s_delay_alu instid0(VALU_DEP_1) | instskip(SKIP_1) | instid1(VALU_DEP_2)
	v_add_co_u32 v16, s7, v13, v16
	s_wait_alu 0xf1ff
	v_add_co_ci_u32_e64 v17, null, v14, v17, s7
	flat_load_b32 v20, v[16:17]
	v_or_b32_e32 v16, 2, v38
	s_delay_alu instid0(VALU_DEP_1)
	v_cmpx_gt_i32_e64 s21, v16
	s_cbranch_execz .LBB206_40
; %bb.37:                               ;   in Loop: Header=BB206_4 Depth=1
	v_mul_lo_u32 v16, v16, s26
	v_mov_b32_e32 v22, 0
	s_mov_b32 s42, exec_lo
	s_delay_alu instid0(VALU_DEP_2) | instskip(NEXT) | instid1(VALU_DEP_1)
	v_ashrrev_i32_e32 v17, 31, v16
	v_lshlrev_b64_e32 v[16:17], 2, v[16:17]
	s_delay_alu instid0(VALU_DEP_1) | instskip(SKIP_1) | instid1(VALU_DEP_2)
	v_add_co_u32 v16, s7, v13, v16
	s_wait_alu 0xf1ff
	v_add_co_ci_u32_e64 v17, null, v14, v17, s7
	flat_load_b32 v21, v[16:17]
	v_or_b32_e32 v16, 3, v38
	s_delay_alu instid0(VALU_DEP_1)
	v_cmpx_gt_i32_e64 s21, v16
	s_cbranch_execz .LBB206_39
; %bb.38:                               ;   in Loop: Header=BB206_4 Depth=1
	v_mul_lo_u32 v16, v16, s26
	s_delay_alu instid0(VALU_DEP_1) | instskip(NEXT) | instid1(VALU_DEP_1)
	v_ashrrev_i32_e32 v17, 31, v16
	v_lshlrev_b64_e32 v[16:17], 2, v[16:17]
	s_delay_alu instid0(VALU_DEP_1) | instskip(SKIP_1) | instid1(VALU_DEP_2)
	v_add_co_u32 v13, s7, v13, v16
	s_wait_alu 0xf1ff
	v_add_co_ci_u32_e64 v14, null, v14, v17, s7
	flat_load_b32 v22, v[13:14]
.LBB206_39:                             ;   in Loop: Header=BB206_4 Depth=1
	s_or_b32 exec_lo, exec_lo, s42
.LBB206_40:                             ;   in Loop: Header=BB206_4 Depth=1
	s_wait_alu 0xfffe
	s_or_b32 exec_lo, exec_lo, s41
.LBB206_41:                             ;   in Loop: Header=BB206_4 Depth=1
	s_wait_alu 0xfffe
	s_or_b32 exec_lo, exec_lo, s40
.LBB206_42:                             ;   in Loop: Header=BB206_4 Depth=1
	s_delay_alu instid0(SALU_CYCLE_1)
	s_or_b32 exec_lo, exec_lo, s39
	s_and_saveexec_b32 s7, s1
	s_cbranch_execz .LBB206_50
; %bb.43:                               ;   in Loop: Header=BB206_4 Depth=1
	v_mul_lo_u32 v14, v38, s28
	v_or_b32_e32 v13, 2, v38
	v_mul_lo_u32 v17, v15, s28
	v_or_b32_e32 v16, 3, v38
	s_delay_alu instid0(VALU_DEP_3) | instskip(NEXT) | instid1(VALU_DEP_2)
	v_mul_lo_u32 v18, v13, s28
	v_mul_lo_u32 v38, v16, s28
	v_cndmask_b32_e32 v14, 0, v14, vcc_lo
	v_cmp_gt_i32_e32 vcc_lo, s21, v15
	s_wait_alu 0xfffd
	v_cndmask_b32_e32 v15, 0, v17, vcc_lo
	v_cmp_gt_i32_e32 vcc_lo, s21, v13
	v_add_nc_u32_e32 v13, v14, v27
	s_delay_alu instid0(VALU_DEP_3)
	v_add_nc_u32_e32 v15, v15, v27
	s_wait_alu 0xfffd
	v_cndmask_b32_e32 v17, 0, v18, vcc_lo
	v_cmp_gt_i32_e32 vcc_lo, s21, v16
	v_ashrrev_i32_e32 v14, 31, v13
	s_wait_alu 0xfffd
	v_cndmask_b32_e32 v16, 0, v38, vcc_lo
	s_delay_alu instid0(VALU_DEP_2) | instskip(NEXT) | instid1(VALU_DEP_2)
	v_lshlrev_b64_e32 v[13:14], 2, v[13:14]
	v_add_nc_u32_e32 v38, v16, v27
	v_add_nc_u32_e32 v17, v17, v27
	v_ashrrev_i32_e32 v16, 31, v15
	s_delay_alu instid0(VALU_DEP_3) | instskip(NEXT) | instid1(VALU_DEP_3)
	v_ashrrev_i32_e32 v39, 31, v38
	v_ashrrev_i32_e32 v18, 31, v17
	s_delay_alu instid0(VALU_DEP_3) | instskip(NEXT) | instid1(VALU_DEP_3)
	v_lshlrev_b64_e32 v[15:16], 2, v[15:16]
	v_lshlrev_b64_e32 v[38:39], 2, v[38:39]
	s_delay_alu instid0(VALU_DEP_3)
	v_lshlrev_b64_e32 v[40:41], 2, v[17:18]
	v_add_co_u32 v17, vcc_lo, v11, v13
	s_wait_alu 0xfffd
	v_add_co_ci_u32_e64 v18, null, v12, v14, vcc_lo
	v_add_co_u32 v15, vcc_lo, v11, v15
	s_wait_alu 0xfffd
	v_add_co_ci_u32_e64 v16, null, v12, v16, vcc_lo
	;; [unrolled: 3-line block ×4, first 2 shown]
	s_clause 0x3
	flat_load_b32 v41, v[17:18]
	flat_load_b32 v39, v[15:16]
	;; [unrolled: 1-line block ×4, first 2 shown]
	s_and_saveexec_b32 s39, s3
	s_cbranch_execz .LBB206_49
; %bb.44:                               ;   in Loop: Header=BB206_4 Depth=1
	s_clause 0x3
	flat_load_b32 v45, v[17:18] offset:256
	flat_load_b32 v44, v[15:16] offset:256
	flat_load_b32 v43, v[13:14] offset:256
	flat_load_b32 v42, v[11:12] offset:256
	s_and_saveexec_b32 s40, s4
	s_cbranch_execz .LBB206_48
; %bb.45:                               ;   in Loop: Header=BB206_4 Depth=1
	s_clause 0x3
	flat_load_b32 v49, v[17:18] offset:512
	flat_load_b32 v48, v[15:16] offset:512
	flat_load_b32 v47, v[13:14] offset:512
	flat_load_b32 v46, v[11:12] offset:512
	;; [unrolled: 8-line block ×3, first 2 shown]
	s_wait_loadcnt_dscnt 0x303
	v_fmac_f32_e32 v37, v19, v17
	s_wait_loadcnt_dscnt 0x202
	s_delay_alu instid0(VALU_DEP_1) | instskip(SKIP_1) | instid1(VALU_DEP_1)
	v_fmac_f32_e32 v37, v20, v15
	s_wait_loadcnt_dscnt 0x101
	v_fmac_f32_e32 v37, v21, v13
	s_wait_loadcnt_dscnt 0x0
	s_delay_alu instid0(VALU_DEP_1)
	v_fmac_f32_e32 v37, v22, v11
.LBB206_47:                             ;   in Loop: Header=BB206_4 Depth=1
	s_wait_alu 0xfffe
	s_or_b32 exec_lo, exec_lo, s41
	s_wait_loadcnt_dscnt 0x303
	v_fmac_f32_e32 v36, v19, v49
	s_wait_loadcnt_dscnt 0x202
	s_delay_alu instid0(VALU_DEP_1) | instskip(SKIP_1) | instid1(VALU_DEP_1)
	v_fmac_f32_e32 v36, v20, v48
	s_wait_loadcnt_dscnt 0x101
	v_fmac_f32_e32 v36, v21, v47
	s_wait_loadcnt_dscnt 0x0
	s_delay_alu instid0(VALU_DEP_1)
	v_fmac_f32_e32 v36, v22, v46
.LBB206_48:                             ;   in Loop: Header=BB206_4 Depth=1
	s_wait_alu 0xfffe
	s_or_b32 exec_lo, exec_lo, s40
	s_wait_loadcnt_dscnt 0x303
	v_fmac_f32_e32 v35, v19, v45
	s_wait_loadcnt_dscnt 0x202
	s_delay_alu instid0(VALU_DEP_1) | instskip(SKIP_1) | instid1(VALU_DEP_1)
	v_fmac_f32_e32 v35, v20, v44
	s_wait_loadcnt_dscnt 0x101
	v_fmac_f32_e32 v35, v21, v43
	s_wait_loadcnt_dscnt 0x0
	s_delay_alu instid0(VALU_DEP_1)
	v_fmac_f32_e32 v35, v22, v42
.LBB206_49:                             ;   in Loop: Header=BB206_4 Depth=1
	s_or_b32 exec_lo, exec_lo, s39
	s_wait_loadcnt_dscnt 0x303
	v_fmac_f32_e32 v34, v19, v41
	s_wait_loadcnt_dscnt 0x202
	s_delay_alu instid0(VALU_DEP_1) | instskip(SKIP_1) | instid1(VALU_DEP_1)
	v_fmac_f32_e32 v34, v20, v39
	s_wait_loadcnt_dscnt 0x101
	v_fmac_f32_e32 v34, v21, v38
	s_wait_loadcnt_dscnt 0x0
	s_delay_alu instid0(VALU_DEP_1)
	v_fmac_f32_e32 v34, v22, v40
.LBB206_50:                             ;   in Loop: Header=BB206_4 Depth=1
	s_wait_alu 0xfffe
	s_or_b32 exec_lo, exec_lo, s7
.LBB206_51:                             ;   in Loop: Header=BB206_4 Depth=1
	ds_store_2addr_stride64_b32 v24, v34, v35 offset1:1
	ds_store_2addr_stride64_b32 v24, v36, v37 offset0:2 offset1:3
	s_wait_loadcnt_dscnt 0x0
	s_barrier_signal -1
	s_barrier_wait -1
	global_inv scope:SCOPE_SE
                                        ; implicit-def: $vgpr15
	s_and_saveexec_b32 s7, s0
	s_cbranch_execz .LBB206_57
; %bb.52:                               ;   in Loop: Header=BB206_4 Depth=1
	ds_load_2addr_stride64_b32 v[11:12], v25 offset1:4
	ds_load_2addr_stride64_b32 v[13:14], v25 offset0:8 offset1:12
	ds_load_2addr_stride64_b32 v[15:16], v25 offset0:16 offset1:20
	s_mov_b32 s40, s38
	s_wait_dscnt 0x2
	v_add_f32_e32 v17, v11, v12
	ds_load_2addr_stride64_b32 v[11:12], v25 offset0:24 offset1:28
	s_wait_dscnt 0x2
	v_add_f32_e32 v13, v13, v17
	s_delay_alu instid0(VALU_DEP_1) | instskip(SKIP_3) | instid1(VALU_DEP_1)
	v_add_f32_e32 v17, v14, v13
	ds_load_2addr_stride64_b32 v[13:14], v25 offset0:32 offset1:36
	s_wait_dscnt 0x2
	v_add_f32_e32 v15, v15, v17
	v_add_f32_e32 v17, v16, v15
	ds_load_2addr_stride64_b32 v[15:16], v25 offset0:40 offset1:44
	s_wait_dscnt 0x2
	v_add_f32_e32 v11, v11, v17
	s_delay_alu instid0(VALU_DEP_1) | instskip(SKIP_1) | instid1(VALU_DEP_1)
	v_add_f32_e32 v11, v12, v11
	s_wait_dscnt 0x1
	v_add_f32_e32 v13, v13, v11
	ds_load_2addr_stride64_b32 v[11:12], v25 offset0:48 offset1:52
	v_add_f32_e32 v13, v14, v13
	s_wait_dscnt 0x1
	s_delay_alu instid0(VALU_DEP_1) | instskip(SKIP_3) | instid1(VALU_DEP_1)
	v_add_f32_e32 v15, v15, v13
	ds_load_2addr_stride64_b32 v[13:14], v25 offset0:56 offset1:60
	v_add_f32_e32 v15, v16, v15
	s_wait_dscnt 0x1
	v_add_f32_e32 v11, v11, v15
                                        ; implicit-def: $vgpr15
	s_delay_alu instid0(VALU_DEP_1) | instskip(SKIP_1) | instid1(VALU_DEP_1)
	v_add_f32_e32 v11, v12, v11
	s_wait_dscnt 0x0
	v_add_f32_e32 v11, v13, v11
	s_delay_alu instid0(VALU_DEP_1)
	v_add_f32_e32 v11, v14, v11
	ds_store_b32 v25, v11
	s_and_saveexec_b32 s39, s2
	s_cbranch_execz .LBB206_56
; %bb.53:                               ;   in Loop: Header=BB206_4 Depth=1
	v_mul_f32_e32 v15, s22, v11
	s_and_not1_b32 vcc_lo, exec_lo, s33
	s_wait_alu 0xfffe
	s_cbranch_vccnz .LBB206_55
; %bb.54:                               ;   in Loop: Header=BB206_4 Depth=1
	v_lshlrev_b64_e32 v[11:12], 2, v[4:5]
	s_delay_alu instid0(VALU_DEP_1) | instskip(SKIP_1) | instid1(VALU_DEP_2)
	v_add_co_u32 v11, vcc_lo, v32, v11
	s_wait_alu 0xfffd
	v_add_co_ci_u32_e64 v12, null, v33, v12, vcc_lo
	flat_load_b32 v11, v[11:12]
	s_wait_loadcnt_dscnt 0x0
	v_fmac_f32_e32 v15, s27, v11
.LBB206_55:                             ;   in Loop: Header=BB206_4 Depth=1
	s_or_b32 s40, s38, exec_lo
.LBB206_56:                             ;   in Loop: Header=BB206_4 Depth=1
	s_or_b32 exec_lo, exec_lo, s39
	s_delay_alu instid0(SALU_CYCLE_1) | instskip(SKIP_2) | instid1(SALU_CYCLE_1)
	s_and_not1_b32 s38, s38, exec_lo
	s_wait_alu 0xfffe
	s_and_b32 s39, s40, exec_lo
	s_or_b32 s38, s38, s39
.LBB206_57:                             ;   in Loop: Header=BB206_4 Depth=1
	s_wait_alu 0xfffe
	s_or_b32 exec_lo, exec_lo, s7
	v_dual_mov_b32 v12, v5 :: v_dual_mov_b32 v11, v4
	s_and_saveexec_b32 s7, s38
	s_cbranch_execz .LBB206_2
.LBB206_58:                             ;   in Loop: Header=BB206_4 Depth=1
	s_delay_alu instid0(VALU_DEP_1) | instskip(NEXT) | instid1(VALU_DEP_1)
	v_lshlrev_b64_e32 v[11:12], 2, v[11:12]
	v_add_co_u32 v11, vcc_lo, v32, v11
	s_wait_alu 0xfffd
	s_delay_alu instid0(VALU_DEP_2)
	v_add_co_ci_u32_e64 v12, null, v33, v12, vcc_lo
	flat_store_b32 v[11:12], v15
	s_branch .LBB206_2
.LBB206_59:
	s_endpgm
	.section	.rodata,"a",@progbits
	.p2align	6, 0x0
	.amdhsa_kernel _ZL20rocblas_gemvn_kernelILi64ELi16EiPKffKPfEviiT3_lPKT2_lT1_lS7_lS8_lS4_lPT4_lS8_li
		.amdhsa_group_segment_fixed_size 16384
		.amdhsa_private_segment_fixed_size 0
		.amdhsa_kernarg_size 400
		.amdhsa_user_sgpr_count 2
		.amdhsa_user_sgpr_dispatch_ptr 0
		.amdhsa_user_sgpr_queue_ptr 0
		.amdhsa_user_sgpr_kernarg_segment_ptr 1
		.amdhsa_user_sgpr_dispatch_id 0
		.amdhsa_user_sgpr_private_segment_size 0
		.amdhsa_wavefront_size32 1
		.amdhsa_uses_dynamic_stack 0
		.amdhsa_enable_private_segment 0
		.amdhsa_system_sgpr_workgroup_id_x 1
		.amdhsa_system_sgpr_workgroup_id_y 0
		.amdhsa_system_sgpr_workgroup_id_z 1
		.amdhsa_system_sgpr_workgroup_info 0
		.amdhsa_system_vgpr_workitem_id 1
		.amdhsa_next_free_vgpr 59
		.amdhsa_next_free_sgpr 45
		.amdhsa_reserve_vcc 1
		.amdhsa_float_round_mode_32 0
		.amdhsa_float_round_mode_16_64 0
		.amdhsa_float_denorm_mode_32 3
		.amdhsa_float_denorm_mode_16_64 3
		.amdhsa_fp16_overflow 0
		.amdhsa_workgroup_processor_mode 1
		.amdhsa_memory_ordered 1
		.amdhsa_forward_progress 1
		.amdhsa_inst_pref_size 27
		.amdhsa_round_robin_scheduling 0
		.amdhsa_exception_fp_ieee_invalid_op 0
		.amdhsa_exception_fp_denorm_src 0
		.amdhsa_exception_fp_ieee_div_zero 0
		.amdhsa_exception_fp_ieee_overflow 0
		.amdhsa_exception_fp_ieee_underflow 0
		.amdhsa_exception_fp_ieee_inexact 0
		.amdhsa_exception_int_div_zero 0
	.end_amdhsa_kernel
	.section	.text._ZL20rocblas_gemvn_kernelILi64ELi16EiPKffKPfEviiT3_lPKT2_lT1_lS7_lS8_lS4_lPT4_lS8_li,"axG",@progbits,_ZL20rocblas_gemvn_kernelILi64ELi16EiPKffKPfEviiT3_lPKT2_lT1_lS7_lS8_lS4_lPT4_lS8_li,comdat
.Lfunc_end206:
	.size	_ZL20rocblas_gemvn_kernelILi64ELi16EiPKffKPfEviiT3_lPKT2_lT1_lS7_lS8_lS4_lPT4_lS8_li, .Lfunc_end206-_ZL20rocblas_gemvn_kernelILi64ELi16EiPKffKPfEviiT3_lPKT2_lT1_lS7_lS8_lS4_lPT4_lS8_li
                                        ; -- End function
	.set _ZL20rocblas_gemvn_kernelILi64ELi16EiPKffKPfEviiT3_lPKT2_lT1_lS7_lS8_lS4_lPT4_lS8_li.num_vgpr, 59
	.set _ZL20rocblas_gemvn_kernelILi64ELi16EiPKffKPfEviiT3_lPKT2_lT1_lS7_lS8_lS4_lPT4_lS8_li.num_agpr, 0
	.set _ZL20rocblas_gemvn_kernelILi64ELi16EiPKffKPfEviiT3_lPKT2_lT1_lS7_lS8_lS4_lPT4_lS8_li.numbered_sgpr, 45
	.set _ZL20rocblas_gemvn_kernelILi64ELi16EiPKffKPfEviiT3_lPKT2_lT1_lS7_lS8_lS4_lPT4_lS8_li.num_named_barrier, 0
	.set _ZL20rocblas_gemvn_kernelILi64ELi16EiPKffKPfEviiT3_lPKT2_lT1_lS7_lS8_lS4_lPT4_lS8_li.private_seg_size, 0
	.set _ZL20rocblas_gemvn_kernelILi64ELi16EiPKffKPfEviiT3_lPKT2_lT1_lS7_lS8_lS4_lPT4_lS8_li.uses_vcc, 1
	.set _ZL20rocblas_gemvn_kernelILi64ELi16EiPKffKPfEviiT3_lPKT2_lT1_lS7_lS8_lS4_lPT4_lS8_li.uses_flat_scratch, 1
	.set _ZL20rocblas_gemvn_kernelILi64ELi16EiPKffKPfEviiT3_lPKT2_lT1_lS7_lS8_lS4_lPT4_lS8_li.has_dyn_sized_stack, 0
	.set _ZL20rocblas_gemvn_kernelILi64ELi16EiPKffKPfEviiT3_lPKT2_lT1_lS7_lS8_lS4_lPT4_lS8_li.has_recursion, 0
	.set _ZL20rocblas_gemvn_kernelILi64ELi16EiPKffKPfEviiT3_lPKT2_lT1_lS7_lS8_lS4_lPT4_lS8_li.has_indirect_call, 0
	.section	.AMDGPU.csdata,"",@progbits
; Kernel info:
; codeLenInByte = 3344
; TotalNumSgprs: 47
; NumVgprs: 59
; ScratchSize: 0
; MemoryBound: 0
; FloatMode: 240
; IeeeMode: 1
; LDSByteSize: 16384 bytes/workgroup (compile time only)
; SGPRBlocks: 0
; VGPRBlocks: 7
; NumSGPRsForWavesPerEU: 47
; NumVGPRsForWavesPerEU: 59
; Occupancy: 16
; WaveLimiterHint : 1
; COMPUTE_PGM_RSRC2:SCRATCH_EN: 0
; COMPUTE_PGM_RSRC2:USER_SGPR: 2
; COMPUTE_PGM_RSRC2:TRAP_HANDLER: 0
; COMPUTE_PGM_RSRC2:TGID_X_EN: 1
; COMPUTE_PGM_RSRC2:TGID_Y_EN: 0
; COMPUTE_PGM_RSRC2:TGID_Z_EN: 1
; COMPUTE_PGM_RSRC2:TIDIG_COMP_CNT: 1
	.section	.text._ZL20rocblas_gemvn_kernelILi64ELi16ElPKffKPfEviiT3_lPKT2_lT1_lS7_lS8_lS4_lPT4_lS8_li,"axG",@progbits,_ZL20rocblas_gemvn_kernelILi64ELi16ElPKffKPfEviiT3_lPKT2_lT1_lS7_lS8_lS4_lPT4_lS8_li,comdat
	.globl	_ZL20rocblas_gemvn_kernelILi64ELi16ElPKffKPfEviiT3_lPKT2_lT1_lS7_lS8_lS4_lPT4_lS8_li ; -- Begin function _ZL20rocblas_gemvn_kernelILi64ELi16ElPKffKPfEviiT3_lPKT2_lT1_lS7_lS8_lS4_lPT4_lS8_li
	.p2align	8
	.type	_ZL20rocblas_gemvn_kernelILi64ELi16ElPKffKPfEviiT3_lPKT2_lT1_lS7_lS8_lS4_lPT4_lS8_li,@function
_ZL20rocblas_gemvn_kernelILi64ELi16ElPKffKPfEviiT3_lPKT2_lT1_lS7_lS8_lS4_lPT4_lS8_li: ; @_ZL20rocblas_gemvn_kernelILi64ELi16ElPKffKPfEviiT3_lPKT2_lT1_lS7_lS8_lS4_lPT4_lS8_li
; %bb.0:
	s_clause 0x1
	s_load_b64 s[2:3], s[0:1], 0x9c
	s_load_b32 s23, s[0:1], 0x88
	s_lshr_b32 s24, ttmp7, 16
	s_wait_kmcnt 0x0
	s_lshr_b32 s4, s2, 16
	s_and_b32 s2, s2, 0xffff
	s_and_b32 s3, s3, 0xffff
	s_mul_i32 s2, s4, s2
	s_delay_alu instid0(SALU_CYCLE_1) | instskip(NEXT) | instid1(SALU_CYCLE_1)
	s_mul_i32 s2, s2, s3
	s_cmp_lg_u32 s2, 0x400
	s_cselect_b32 s2, -1, 0
	s_cmp_ge_u32 s24, s23
	s_cselect_b32 s3, -1, 0
	s_delay_alu instid0(SALU_CYCLE_1) | instskip(NEXT) | instid1(SALU_CYCLE_1)
	s_or_b32 s2, s2, s3
	s_and_b32 vcc_lo, exec_lo, s2
	s_cbranch_vccnz .LBB207_59
; %bb.1:
	s_clause 0x7
	s_load_b96 s[20:22], s[0:1], 0x0
	s_load_b32 s33, s[0:1], 0x58
	s_load_b64 s[26:27], s[0:1], 0x48
	s_load_b128 s[8:11], s[0:1], 0x18
	s_load_b64 s[28:29], s[0:1], 0x28
	s_load_b128 s[12:15], s[0:1], 0x38
	;; [unrolled: 2-line block ×3, first 2 shown]
	v_dual_mov_b32 v1, 0 :: v_dual_and_b32 v2, 0x3ff, v0
	v_bfe_u32 v26, v0, 10, 10
	s_mov_b32 s25, 0
	s_delay_alu instid0(VALU_DEP_2) | instskip(NEXT) | instid1(VALU_DEP_2)
	v_lshlrev_b32_e32 v16, 2, v2
	v_lshl_add_u32 v3, v26, 6, v2
	v_lshlrev_b32_e32 v40, 2, v26
	s_delay_alu instid0(VALU_DEP_2)
	v_cmp_gt_u32_e64 s0, 0x100, v3
	s_wait_kmcnt 0x0
	s_cmp_eq_f32 s22, 0
	v_mad_co_u64_u32 v[6:7], null, s26, v26, 0
	s_mov_b32 s2, s20
	s_cselect_b32 s36, -1, 0
	s_cmp_neq_f32 s33, 1.0
	v_or_b32_e32 v17, 3, v40
	s_cselect_b32 s1, -1, 0
	s_cmp_neq_f32 s22, 0
	s_delay_alu instid0(VALU_DEP_1)
	v_mad_co_u64_u32 v[12:13], null, s26, v17, 0
	s_cselect_b32 s4, -1, 0
	s_lshl_b32 s30, ttmp9, 8
	s_ashr_i32 s3, s20, 31
	v_add_nc_u32_e32 v0, s30, v3
	v_add_nc_u32_e32 v8, s30, v2
	s_or_b32 s37, s4, s1
	s_cmp_neq_f32 s33, 0
	v_or_b32_e32 v18, s30, v3
	v_mad_co_u64_u32 v[2:3], null, s6, v0, 0
	v_add_nc_u32_e32 v4, 64, v8
	v_cmp_gt_i64_e32 vcc_lo, s[2:3], v[0:1]
	s_cselect_b32 s38, -1, 0
	s_ashr_i32 s2, s21, 31
	v_add_nc_u32_e32 v5, 0x80, v8
	s_wait_alu 0xfffe
	s_lshr_b32 s2, s2, 26
	v_add_nc_u32_e32 v10, 0xc0, v8
	s_wait_alu 0xfffe
	s_add_co_i32 s39, s21, s2
	v_cmp_gt_i32_e64 s2, s20, v4
	v_mad_co_u64_u32 v[3:4], null, s7, v0, v[3:4]
	v_mov_b32_e32 v0, v7
	v_cndmask_b32_e64 v42, 0, 1, s4
	v_cmp_gt_i32_e64 s4, s20, v10
	v_mad_co_u64_u32 v[10:11], null, s28, v17, 0
	s_delay_alu instid0(VALU_DEP_4)
	v_mad_co_u64_u32 v[14:15], null, s27, v26, v[0:1]
	s_and_not1_b32 s39, s39, 63
	v_mul_lo_u32 v19, s7, v18
	v_cmp_gt_i32_e64 s3, s20, v5
	s_sub_co_i32 s5, s21, s39
	v_mad_co_u64_u32 v[4:5], null, s6, v18, 0
	v_mov_b32_e32 v7, v14
	v_mad_co_u64_u32 v[14:15], null, s29, v17, v[11:12]
	s_wait_alu 0xfffe
	s_cmp_gt_i32 s5, 0
	v_lshl_add_u32 v41, v26, 10, v16
	s_cselect_b32 s40, -1, 0
	s_ashr_i32 s7, s30, 31
	v_lshl_add_u32 v0, v26, 8, v16
	s_wait_alu 0xfffe
	s_mul_i32 s7, s6, s7
	v_mov_b32_e32 v11, v14
	v_or_b32_e32 v29, 2, v40
	v_mad_co_u64_u32 v[15:16], null, s27, v17, v[13:14]
	v_cmp_gt_i32_e64 s6, s20, v18
	s_wait_alu 0xfffe
	v_add3_u32 v5, v5, s7, v19
	v_mad_co_u64_u32 v[16:17], null, s28, v26, 0
	v_mad_co_u64_u32 v[18:19], null, s28, v29, 0
	v_mov_b32_e32 v13, v15
	v_mad_co_u64_u32 v[20:21], null, s26, v29, 0
	v_mad_co_u64_u32 v[22:23], null, s26, v40, s[26:27]
	s_delay_alu instid0(VALU_DEP_4) | instskip(SKIP_3) | instid1(VALU_DEP_4)
	v_dual_mov_b32 v14, v17 :: v_dual_mov_b32 v15, v19
	v_mad_co_u64_u32 v[24:25], null, s28, v40, s[28:29]
	v_ashrrev_i32_e32 v9, 31, v8
	v_cmp_gt_i32_e64 s1, s20, v8
	v_mad_co_u64_u32 v[26:27], null, s29, v26, v[14:15]
	v_mad_co_u64_u32 v[27:28], null, s29, v29, v[15:16]
	v_dual_mov_b32 v14, v21 :: v_dual_mov_b32 v15, v23
	v_mov_b32_e32 v17, v25
	v_lshlrev_b64_e32 v[6:7], 4, v[6:7]
	v_lshlrev_b64_e32 v[8:9], 2, v[8:9]
	;; [unrolled: 1-line block ×3, first 2 shown]
	v_mov_b32_e32 v19, v27
	v_mad_co_u64_u32 v[28:29], null, s27, v29, v[14:15]
	v_mad_co_u64_u32 v[14:15], null, s27, v40, v[15:16]
	;; [unrolled: 1-line block ×3, first 2 shown]
	v_mov_b32_e32 v17, v26
	v_lshlrev_b64_e32 v[12:13], 2, v[12:13]
	v_mov_b32_e32 v21, v28
	v_cmp_gt_i32_e64 s5, s39, v40
	v_mov_b32_e32 v23, v14
	v_lshlrev_b64_e32 v[14:15], 4, v[16:17]
	v_mov_b32_e32 v25, v29
	v_lshlrev_b64_e32 v[16:17], 2, v[18:19]
	v_lshlrev_b64_e32 v[18:19], 2, v[20:21]
	;; [unrolled: 1-line block ×3, first 2 shown]
	s_and_b32 s20, s0, vcc_lo
	v_lshlrev_b64_e32 v[22:23], 2, v[24:25]
	v_lshlrev_b64_e32 v[24:25], 2, v[2:3]
	s_lshl_b64 s[30:31], s[26:27], 8
	s_lshl_b64 s[34:35], s[28:29], 8
	;; [unrolled: 1-line block ×5, first 2 shown]
	s_branch .LBB207_4
.LBB207_2:                              ;   in Loop: Header=BB207_4 Depth=1
	s_wait_alu 0xfffe
	s_or_b32 exec_lo, exec_lo, s7
.LBB207_3:                              ;   in Loop: Header=BB207_4 Depth=1
	s_add_co_i32 s24, s24, 0x10000
	s_delay_alu instid0(SALU_CYCLE_1)
	s_cmp_lt_u32 s24, s23
	s_cbranch_scc0 .LBB207_59
.LBB207_4:                              ; =>This Loop Header: Depth=1
                                        ;     Child Loop BB207_27 Depth 2
	s_and_not1_b32 vcc_lo, exec_lo, s37
	s_wait_alu 0xfffe
	s_cbranch_vccnz .LBB207_3
; %bb.5:                                ;   in Loop: Header=BB207_4 Depth=1
	s_and_not1_b32 vcc_lo, exec_lo, s36
	s_wait_alu 0xfffe
	s_cbranch_vccnz .LBB207_7
; %bb.6:                                ;   in Loop: Header=BB207_4 Depth=1
	s_mov_b32 s7, 0
	s_branch .LBB207_8
.LBB207_7:                              ;   in Loop: Header=BB207_4 Depth=1
	s_mov_b32 s7, -1
.LBB207_8:                              ;   in Loop: Header=BB207_4 Depth=1
	v_mov_b32_e32 v28, 0
	v_dual_mov_b32 v29, 0 :: v_dual_mov_b32 v26, 0
	v_mov_b32_e32 v27, 0
	s_wait_alu 0xfffe
	s_and_not1_b32 vcc_lo, exec_lo, s7
	s_wait_alu 0xfffe
	s_cbranch_vccnz .LBB207_10
; %bb.9:                                ;   in Loop: Header=BB207_4 Depth=1
	s_lshl_b64 s[42:43], s[24:25], 3
	s_delay_alu instid0(SALU_CYCLE_1)
	s_add_nc_u64 s[42:43], s[8:9], s[42:43]
	global_load_b64 v[26:27], v1, s[42:43]
	s_wait_loadcnt 0x0
	v_add_co_u32 v26, vcc_lo, v26, s10
	s_wait_alu 0xfffd
	v_add_co_ci_u32_e64 v27, null, s11, v27, vcc_lo
.LBB207_10:                             ;   in Loop: Header=BB207_4 Depth=1
	v_cmp_ne_u32_e32 vcc_lo, 1, v42
	s_cbranch_vccnz .LBB207_12
; %bb.11:                               ;   in Loop: Header=BB207_4 Depth=1
	s_lshl_b64 s[42:43], s[24:25], 3
	s_delay_alu instid0(SALU_CYCLE_1)
	s_add_nc_u64 s[42:43], s[12:13], s[42:43]
	global_load_b64 v[28:29], v1, s[42:43]
	s_wait_loadcnt 0x0
	v_add_co_u32 v28, vcc_lo, v28, s14
	s_wait_alu 0xfffd
	v_add_co_ci_u32_e64 v29, null, s15, v29, vcc_lo
.LBB207_12:                             ;   in Loop: Header=BB207_4 Depth=1
	s_lshl_b64 s[42:43], s[24:25], 3
	s_delay_alu instid0(SALU_CYCLE_1)
	s_add_nc_u64 s[42:43], s[16:17], s[42:43]
	global_load_b64 v[30:31], v1, s[42:43]
	s_wait_loadcnt 0x0
	v_add_co_u32 v43, vcc_lo, v30, s18
	s_wait_alu 0xfffd
	v_add_co_ci_u32_e64 v44, null, s19, v31, vcc_lo
	s_and_not1_b32 vcc_lo, exec_lo, s36
	s_wait_alu 0xfffe
	s_cbranch_vccnz .LBB207_16
; %bb.13:                               ;   in Loop: Header=BB207_4 Depth=1
	s_mov_b32 s7, 0
	s_mov_b32 s41, 0
                                        ; implicit-def: $vgpr30
	s_and_saveexec_b32 s42, s20
	s_cbranch_execz .LBB207_17
; %bb.14:                               ;   in Loop: Header=BB207_4 Depth=1
	s_and_not1_b32 vcc_lo, exec_lo, s38
	s_wait_alu 0xfffe
	s_cbranch_vccnz .LBB207_19
; %bb.15:                               ;   in Loop: Header=BB207_4 Depth=1
	v_add_co_u32 v30, vcc_lo, v43, v24
	s_wait_alu 0xfffd
	v_add_co_ci_u32_e64 v31, null, v44, v25, vcc_lo
	flat_load_b32 v30, v[30:31]
	s_wait_loadcnt_dscnt 0x0
	v_mul_f32_e32 v30, s33, v30
	s_branch .LBB207_20
.LBB207_16:                             ;   in Loop: Header=BB207_4 Depth=1
	s_mov_b32 s41, 0
                                        ; implicit-def: $vgpr30
	s_cbranch_execz .LBB207_18
	s_branch .LBB207_21
.LBB207_17:                             ;   in Loop: Header=BB207_4 Depth=1
	s_or_b32 exec_lo, exec_lo, s42
	s_wait_alu 0xfffe
	s_and_b32 vcc_lo, exec_lo, s7
	s_wait_alu 0xfffe
	s_cbranch_vccnz .LBB207_21
.LBB207_18:                             ;   in Loop: Header=BB207_4 Depth=1
	v_dual_mov_b32 v27, v3 :: v_dual_mov_b32 v26, v2
	s_and_saveexec_b32 s7, s41
	s_cbranch_execz .LBB207_2
	s_branch .LBB207_58
.LBB207_19:                             ;   in Loop: Header=BB207_4 Depth=1
	v_mov_b32_e32 v30, 0
.LBB207_20:                             ;   in Loop: Header=BB207_4 Depth=1
	s_mov_b32 s41, exec_lo
	s_or_b32 exec_lo, exec_lo, s42
	s_delay_alu instid0(SALU_CYCLE_1)
	s_and_b32 vcc_lo, exec_lo, s7
	s_wait_alu 0xfffe
	s_cbranch_vccz .LBB207_18
.LBB207_21:                             ;   in Loop: Header=BB207_4 Depth=1
	v_dual_mov_b32 v45, 0 :: v_dual_mov_b32 v46, 0
	v_dual_mov_b32 v49, v40 :: v_dual_mov_b32 v48, 0
	v_mov_b32_e32 v47, 0
	s_and_saveexec_b32 s42, s5
	s_cbranch_execz .LBB207_33
; %bb.22:                               ;   in Loop: Header=BB207_4 Depth=1
	v_add_co_u32 v50, vcc_lo, v26, v10
	s_wait_alu 0xfffd
	v_add_co_ci_u32_e64 v51, null, v27, v11, vcc_lo
	v_add_co_u32 v52, vcc_lo, v26, v14
	s_wait_alu 0xfffd
	v_add_co_ci_u32_e64 v53, null, v27, v15, vcc_lo
	;; [unrolled: 3-line block ×3, first 2 shown]
	v_add_co_u32 v56, vcc_lo, v26, v22
	v_dual_mov_b32 v31, v29 :: v_dual_mov_b32 v46, 0
	s_wait_alu 0xfffd
	v_add_co_ci_u32_e64 v57, null, v27, v23, vcc_lo
	v_dual_mov_b32 v45, 0 :: v_dual_mov_b32 v30, v28
	v_dual_mov_b32 v49, v40 :: v_dual_mov_b32 v48, 0
	v_mov_b32_e32 v47, 0
	s_mov_b32 s43, 0
	s_branch .LBB207_27
.LBB207_23:                             ;   in Loop: Header=BB207_27 Depth=2
	s_or_b32 exec_lo, exec_lo, s46
	s_wait_loadcnt_dscnt 0x303
	v_fmac_f32_e32 v47, v61, v73
	s_wait_loadcnt_dscnt 0x202
	s_delay_alu instid0(VALU_DEP_1) | instskip(SKIP_1) | instid1(VALU_DEP_1)
	v_fmac_f32_e32 v47, v60, v72
	s_wait_loadcnt_dscnt 0x101
	v_fmac_f32_e32 v47, v59, v71
	s_wait_loadcnt_dscnt 0x0
	s_delay_alu instid0(VALU_DEP_1)
	v_fmac_f32_e32 v47, v58, v70
.LBB207_24:                             ;   in Loop: Header=BB207_27 Depth=2
	s_or_b32 exec_lo, exec_lo, s45
	s_wait_loadcnt_dscnt 0x303
	v_fmac_f32_e32 v46, v61, v69
	s_wait_loadcnt_dscnt 0x202
	s_delay_alu instid0(VALU_DEP_1) | instskip(SKIP_1) | instid1(VALU_DEP_1)
	v_fmac_f32_e32 v46, v60, v68
	s_wait_loadcnt_dscnt 0x101
	v_fmac_f32_e32 v46, v59, v67
	s_wait_loadcnt_dscnt 0x0
	s_delay_alu instid0(VALU_DEP_1)
	v_fmac_f32_e32 v46, v58, v66
.LBB207_25:                             ;   in Loop: Header=BB207_27 Depth=2
	s_or_b32 exec_lo, exec_lo, s44
	s_wait_loadcnt_dscnt 0x303
	v_fmac_f32_e32 v45, v61, v65
	s_wait_loadcnt_dscnt 0x202
	s_delay_alu instid0(VALU_DEP_1) | instskip(SKIP_1) | instid1(VALU_DEP_1)
	v_fmac_f32_e32 v45, v60, v63
	s_wait_loadcnt_dscnt 0x101
	v_fmac_f32_e32 v45, v59, v62
	s_wait_loadcnt_dscnt 0x0
	s_delay_alu instid0(VALU_DEP_1)
	v_fmac_f32_e32 v45, v58, v64
.LBB207_26:                             ;   in Loop: Header=BB207_27 Depth=2
	s_wait_alu 0xfffe
	s_or_b32 exec_lo, exec_lo, s7
	v_add_co_u32 v30, vcc_lo, v30, s30
	s_wait_alu 0xfffd
	v_add_co_ci_u32_e64 v31, null, s31, v31, vcc_lo
	v_add_co_u32 v50, vcc_lo, v50, s34
	v_add_nc_u32_e32 v49, 64, v49
	s_wait_alu 0xfffd
	v_add_co_ci_u32_e64 v51, null, s35, v51, vcc_lo
	v_add_co_u32 v52, vcc_lo, v52, s34
	s_wait_alu 0xfffd
	v_add_co_ci_u32_e64 v53, null, s35, v53, vcc_lo
	v_add_co_u32 v54, vcc_lo, v54, s34
	s_wait_alu 0xfffd
	v_add_co_ci_u32_e64 v55, null, s35, v55, vcc_lo
	v_cmp_le_i32_e32 vcc_lo, s39, v49
	v_add_co_u32 v56, s7, v56, s34
	s_wait_alu 0xf1ff
	v_add_co_ci_u32_e64 v57, null, s35, v57, s7
	s_or_b32 s43, vcc_lo, s43
	s_delay_alu instid0(SALU_CYCLE_1)
	s_and_not1_b32 exec_lo, exec_lo, s43
	s_cbranch_execz .LBB207_32
.LBB207_27:                             ;   Parent Loop BB207_4 Depth=1
                                        ; =>  This Inner Loop Header: Depth=2
	s_and_saveexec_b32 s7, s1
	s_cbranch_execz .LBB207_26
; %bb.28:                               ;   in Loop: Header=BB207_27 Depth=2
	v_add_co_u32 v58, vcc_lo, v30, v6
	s_wait_alu 0xfffd
	v_add_co_ci_u32_e64 v59, null, v31, v7, vcc_lo
	v_add_co_u32 v62, vcc_lo, v30, v20
	s_wait_alu 0xfffd
	v_add_co_ci_u32_e64 v63, null, v31, v21, vcc_lo
	v_add_co_u32 v64, vcc_lo, v30, v18
	s_wait_alu 0xfffd
	v_add_co_ci_u32_e64 v65, null, v31, v19, vcc_lo
	v_add_co_u32 v66, vcc_lo, v30, v12
	s_wait_alu 0xfffd
	v_add_co_ci_u32_e64 v67, null, v31, v13, vcc_lo
	v_add_co_u32 v32, vcc_lo, v52, v8
	s_wait_alu 0xfffd
	v_add_co_ci_u32_e64 v33, null, v53, v9, vcc_lo
	v_add_co_u32 v34, vcc_lo, v56, v8
	s_wait_alu 0xfffd
	v_add_co_ci_u32_e64 v35, null, v57, v9, vcc_lo
	v_add_co_u32 v36, vcc_lo, v54, v8
	s_wait_alu 0xfffd
	v_add_co_ci_u32_e64 v37, null, v55, v9, vcc_lo
	v_add_co_u32 v38, vcc_lo, v50, v8
	s_wait_alu 0xfffd
	v_add_co_ci_u32_e64 v39, null, v51, v9, vcc_lo
	s_clause 0x3
	flat_load_b32 v61, v[58:59]
	flat_load_b32 v60, v[62:63]
	;; [unrolled: 1-line block ×8, first 2 shown]
	s_and_saveexec_b32 s44, s2
	s_cbranch_execz .LBB207_25
; %bb.29:                               ;   in Loop: Header=BB207_27 Depth=2
	flat_load_b32 v69, v[32:33] offset:256
	flat_load_b32 v68, v[34:35] offset:256
	flat_load_b32 v67, v[36:37] offset:256
	flat_load_b32 v66, v[38:39] offset:256
	s_and_saveexec_b32 s45, s3
	s_cbranch_execz .LBB207_24
; %bb.30:                               ;   in Loop: Header=BB207_27 Depth=2
	flat_load_b32 v73, v[32:33] offset:512
	flat_load_b32 v72, v[34:35] offset:512
	flat_load_b32 v71, v[36:37] offset:512
	flat_load_b32 v70, v[38:39] offset:512
	;; [unrolled: 7-line block ×3, first 2 shown]
	s_wait_loadcnt_dscnt 0x303
	v_fmac_f32_e32 v48, v61, v32
	s_wait_loadcnt_dscnt 0x202
	s_delay_alu instid0(VALU_DEP_1) | instskip(SKIP_1) | instid1(VALU_DEP_1)
	v_fmac_f32_e32 v48, v60, v33
	s_wait_loadcnt_dscnt 0x101
	v_fmac_f32_e32 v48, v59, v34
	s_wait_loadcnt_dscnt 0x0
	s_delay_alu instid0(VALU_DEP_1)
	v_fmac_f32_e32 v48, v58, v35
	s_branch .LBB207_23
.LBB207_32:                             ;   in Loop: Header=BB207_4 Depth=1
	s_or_b32 exec_lo, exec_lo, s43
.LBB207_33:                             ;   in Loop: Header=BB207_4 Depth=1
	s_delay_alu instid0(SALU_CYCLE_1) | instskip(NEXT) | instid1(SALU_CYCLE_1)
	s_or_b32 exec_lo, exec_lo, s42
	s_and_not1_b32 vcc_lo, exec_lo, s40
	s_wait_alu 0xfffe
	s_cbranch_vccnz .LBB207_51
; %bb.34:                               ;   in Loop: Header=BB207_4 Depth=1
	v_cmp_gt_i32_e32 vcc_lo, s21, v49
	v_dual_mov_b32 v37, 0 :: v_dual_mov_b32 v36, 0
	v_or_b32_e32 v30, 1, v49
	v_dual_mov_b32 v35, 0 :: v_dual_mov_b32 v34, 0
	s_and_saveexec_b32 s42, vcc_lo
	s_cbranch_execz .LBB207_42
; %bb.35:                               ;   in Loop: Header=BB207_4 Depth=1
	v_mad_co_u64_u32 v[31:32], null, s26, v49, 0
	v_dual_mov_b32 v35, 0 :: v_dual_mov_b32 v36, 0
	v_mov_b32_e32 v37, 0
	s_mov_b32 s43, exec_lo
	s_delay_alu instid0(VALU_DEP_3) | instskip(NEXT) | instid1(VALU_DEP_1)
	v_mad_co_u64_u32 v[32:33], null, s27, v49, v[32:33]
	v_lshlrev_b64_e32 v[31:32], 2, v[31:32]
	s_delay_alu instid0(VALU_DEP_1) | instskip(SKIP_1) | instid1(VALU_DEP_2)
	v_add_co_u32 v31, s7, v28, v31
	s_wait_alu 0xf1ff
	v_add_co_ci_u32_e64 v32, null, v29, v32, s7
	flat_load_b32 v34, v[31:32]
	v_cmpx_gt_i32_e64 s21, v30
	s_cbranch_execz .LBB207_41
; %bb.36:                               ;   in Loop: Header=BB207_4 Depth=1
	v_mad_co_u64_u32 v[31:32], null, s26, v30, 0
	v_dual_mov_b32 v36, 0 :: v_dual_mov_b32 v37, 0
	s_mov_b32 s44, exec_lo
	s_delay_alu instid0(VALU_DEP_2) | instskip(NEXT) | instid1(VALU_DEP_1)
	v_mad_co_u64_u32 v[32:33], null, s27, v30, v[32:33]
	v_lshlrev_b64_e32 v[31:32], 2, v[31:32]
	s_delay_alu instid0(VALU_DEP_1) | instskip(SKIP_1) | instid1(VALU_DEP_2)
	v_add_co_u32 v31, s7, v28, v31
	s_wait_alu 0xf1ff
	v_add_co_ci_u32_e64 v32, null, v29, v32, s7
	flat_load_b32 v35, v[31:32]
	v_or_b32_e32 v31, 2, v49
	s_delay_alu instid0(VALU_DEP_1)
	v_cmpx_gt_i32_e64 s21, v31
	s_cbranch_execz .LBB207_40
; %bb.37:                               ;   in Loop: Header=BB207_4 Depth=1
	v_mad_co_u64_u32 v[32:33], null, s26, v31, 0
	s_mov_b32 s45, exec_lo
	s_wait_loadcnt_dscnt 0x101
	v_mad_co_u64_u32 v[36:37], null, s27, v31, v[33:34]
	v_mov_b32_e32 v37, 0
	s_delay_alu instid0(VALU_DEP_2) | instskip(NEXT) | instid1(VALU_DEP_1)
	v_mov_b32_e32 v33, v36
	v_lshlrev_b64_e32 v[31:32], 2, v[32:33]
	s_delay_alu instid0(VALU_DEP_1) | instskip(SKIP_1) | instid1(VALU_DEP_2)
	v_add_co_u32 v31, s7, v28, v31
	s_wait_alu 0xf1ff
	v_add_co_ci_u32_e64 v32, null, v29, v32, s7
	flat_load_b32 v36, v[31:32]
	v_or_b32_e32 v31, 3, v49
	s_delay_alu instid0(VALU_DEP_1)
	v_cmpx_gt_i32_e64 s21, v31
	s_cbranch_execz .LBB207_39
; %bb.38:                               ;   in Loop: Header=BB207_4 Depth=1
	v_mad_co_u64_u32 v[32:33], null, s26, v31, 0
	s_delay_alu instid0(VALU_DEP_1) | instskip(NEXT) | instid1(VALU_DEP_1)
	v_mad_co_u64_u32 v[37:38], null, s27, v31, v[33:34]
	v_mov_b32_e32 v33, v37
	s_delay_alu instid0(VALU_DEP_1) | instskip(NEXT) | instid1(VALU_DEP_1)
	v_lshlrev_b64_e32 v[31:32], 2, v[32:33]
	v_add_co_u32 v28, s7, v28, v31
	s_wait_alu 0xf1ff
	s_delay_alu instid0(VALU_DEP_2)
	v_add_co_ci_u32_e64 v29, null, v29, v32, s7
	flat_load_b32 v37, v[28:29]
.LBB207_39:                             ;   in Loop: Header=BB207_4 Depth=1
	s_or_b32 exec_lo, exec_lo, s45
.LBB207_40:                             ;   in Loop: Header=BB207_4 Depth=1
	s_delay_alu instid0(SALU_CYCLE_1)
	s_or_b32 exec_lo, exec_lo, s44
.LBB207_41:                             ;   in Loop: Header=BB207_4 Depth=1
	s_delay_alu instid0(SALU_CYCLE_1)
	s_or_b32 exec_lo, exec_lo, s43
.LBB207_42:                             ;   in Loop: Header=BB207_4 Depth=1
	s_delay_alu instid0(SALU_CYCLE_1)
	s_or_b32 exec_lo, exec_lo, s42
	s_and_saveexec_b32 s42, s1
	s_cbranch_execz .LBB207_50
; %bb.43:                               ;   in Loop: Header=BB207_4 Depth=1
	v_mad_co_u64_u32 v[28:29], null, s28, v49, 0
	v_or_b32_e32 v52, 2, v49
	v_mad_co_u64_u32 v[31:32], null, s28, v30, 0
	v_or_b32_e32 v53, 3, v49
	v_cmp_gt_i32_e64 s7, s21, v30
	s_delay_alu instid0(VALU_DEP_4) | instskip(SKIP_3) | instid1(VALU_DEP_4)
	v_mad_co_u64_u32 v[38:39], null, s28, v52, 0
	v_mad_co_u64_u32 v[49:50], null, s29, v49, v[29:30]
	;; [unrolled: 1-line block ×4, first 2 shown]
	v_mov_b32_e32 v30, v39
	s_delay_alu instid0(VALU_DEP_4)
	v_dual_cndmask_b32 v50, 0, v28 :: v_dual_cndmask_b32 v51, 0, v49
	s_wait_alu 0xf1ff
	v_cndmask_b32_e64 v28, 0, v31, s7
	v_cndmask_b32_e64 v29, 0, v29, s7
	v_mad_co_u64_u32 v[30:31], null, s29, v52, v[30:31]
	v_mov_b32_e32 v31, v33
	v_lshlrev_b64_e32 v[49:50], 2, v[50:51]
	v_cmp_gt_i32_e32 vcc_lo, s21, v52
	v_lshlrev_b64_e32 v[51:52], 2, v[28:29]
	s_wait_alu 0xfffd
	v_cndmask_b32_e32 v39, 0, v30, vcc_lo
	s_delay_alu instid0(VALU_DEP_4)
	v_add_co_u32 v28, s7, v26, v49
	s_wait_alu 0xf1ff
	v_add_co_ci_u32_e64 v29, null, v27, v50, s7
	v_mad_co_u64_u32 v[30:31], null, s29, v53, v[31:32]
	v_cndmask_b32_e32 v38, 0, v38, vcc_lo
	v_add_co_u32 v28, vcc_lo, v28, v8
	s_wait_alu 0xfffd
	v_add_co_ci_u32_e64 v29, null, v29, v9, vcc_lo
	v_cmp_gt_i32_e32 vcc_lo, s21, v53
	v_add_co_u32 v31, s7, v26, v51
	s_wait_alu 0xf1ff
	v_add_co_ci_u32_e64 v49, null, v27, v52, s7
	s_wait_alu 0xfffd
	v_dual_cndmask_b32 v32, 0, v32 :: v_dual_cndmask_b32 v33, 0, v30
	v_lshlrev_b64_e32 v[38:39], 2, v[38:39]
	v_add_co_u32 v30, vcc_lo, v31, v8
	s_wait_alu 0xfffd
	v_add_co_ci_u32_e64 v31, null, v49, v9, vcc_lo
	v_lshlrev_b64_e32 v[32:33], 2, v[32:33]
	s_delay_alu instid0(VALU_DEP_4) | instskip(SKIP_2) | instid1(VALU_DEP_3)
	v_add_co_u32 v38, vcc_lo, v26, v38
	s_wait_alu 0xfffd
	v_add_co_ci_u32_e64 v39, null, v27, v39, vcc_lo
	v_add_co_u32 v26, vcc_lo, v26, v32
	s_wait_alu 0xfffd
	v_add_co_ci_u32_e64 v27, null, v27, v33, vcc_lo
	;; [unrolled: 3-line block ×4, first 2 shown]
	s_clause 0x3
	flat_load_b32 v50, v[28:29]
	flat_load_b32 v39, v[30:31]
	;; [unrolled: 1-line block ×4, first 2 shown]
	s_and_saveexec_b32 s7, s2
	s_cbranch_execz .LBB207_49
; %bb.44:                               ;   in Loop: Header=BB207_4 Depth=1
	s_clause 0x3
	flat_load_b32 v54, v[28:29] offset:256
	flat_load_b32 v53, v[30:31] offset:256
	flat_load_b32 v52, v[32:33] offset:256
	flat_load_b32 v51, v[26:27] offset:256
	s_and_saveexec_b32 s43, s3
	s_cbranch_execz .LBB207_48
; %bb.45:                               ;   in Loop: Header=BB207_4 Depth=1
	s_clause 0x3
	flat_load_b32 v58, v[28:29] offset:512
	flat_load_b32 v57, v[30:31] offset:512
	flat_load_b32 v56, v[32:33] offset:512
	flat_load_b32 v55, v[26:27] offset:512
	;; [unrolled: 8-line block ×3, first 2 shown]
	s_wait_loadcnt_dscnt 0x303
	v_fmac_f32_e32 v48, v34, v28
	s_wait_loadcnt_dscnt 0x202
	s_delay_alu instid0(VALU_DEP_1) | instskip(SKIP_1) | instid1(VALU_DEP_1)
	v_fmac_f32_e32 v48, v35, v29
	s_wait_loadcnt_dscnt 0x101
	v_fmac_f32_e32 v48, v36, v30
	s_wait_loadcnt_dscnt 0x0
	s_delay_alu instid0(VALU_DEP_1)
	v_fmac_f32_e32 v48, v37, v26
.LBB207_47:                             ;   in Loop: Header=BB207_4 Depth=1
	s_or_b32 exec_lo, exec_lo, s44
	s_wait_loadcnt_dscnt 0x303
	v_fmac_f32_e32 v47, v34, v58
	s_wait_loadcnt_dscnt 0x202
	s_delay_alu instid0(VALU_DEP_1) | instskip(SKIP_1) | instid1(VALU_DEP_1)
	v_fmac_f32_e32 v47, v35, v57
	s_wait_loadcnt_dscnt 0x101
	v_fmac_f32_e32 v47, v36, v56
	s_wait_loadcnt_dscnt 0x0
	s_delay_alu instid0(VALU_DEP_1)
	v_fmac_f32_e32 v47, v37, v55
.LBB207_48:                             ;   in Loop: Header=BB207_4 Depth=1
	s_or_b32 exec_lo, exec_lo, s43
	s_wait_loadcnt_dscnt 0x303
	v_fmac_f32_e32 v46, v34, v54
	s_wait_loadcnt_dscnt 0x202
	s_delay_alu instid0(VALU_DEP_1) | instskip(SKIP_1) | instid1(VALU_DEP_1)
	v_fmac_f32_e32 v46, v35, v53
	s_wait_loadcnt_dscnt 0x101
	v_fmac_f32_e32 v46, v36, v52
	s_wait_loadcnt_dscnt 0x0
	s_delay_alu instid0(VALU_DEP_1)
	v_fmac_f32_e32 v46, v37, v51
.LBB207_49:                             ;   in Loop: Header=BB207_4 Depth=1
	s_wait_alu 0xfffe
	s_or_b32 exec_lo, exec_lo, s7
	s_wait_loadcnt_dscnt 0x303
	v_fmac_f32_e32 v45, v34, v50
	s_wait_loadcnt_dscnt 0x202
	s_delay_alu instid0(VALU_DEP_1) | instskip(SKIP_1) | instid1(VALU_DEP_1)
	v_fmac_f32_e32 v45, v35, v39
	s_wait_loadcnt_dscnt 0x101
	v_fmac_f32_e32 v45, v36, v38
	s_wait_loadcnt_dscnt 0x0
	s_delay_alu instid0(VALU_DEP_1)
	v_fmac_f32_e32 v45, v37, v49
.LBB207_50:                             ;   in Loop: Header=BB207_4 Depth=1
	s_or_b32 exec_lo, exec_lo, s42
.LBB207_51:                             ;   in Loop: Header=BB207_4 Depth=1
	ds_store_2addr_stride64_b32 v41, v45, v46 offset1:1
	ds_store_2addr_stride64_b32 v41, v47, v48 offset0:2 offset1:3
	s_wait_loadcnt_dscnt 0x0
	s_barrier_signal -1
	s_barrier_wait -1
	global_inv scope:SCOPE_SE
                                        ; implicit-def: $vgpr30
	s_and_saveexec_b32 s7, s0
	s_cbranch_execz .LBB207_57
; %bb.52:                               ;   in Loop: Header=BB207_4 Depth=1
	ds_load_2addr_stride64_b32 v[26:27], v0 offset1:4
	ds_load_2addr_stride64_b32 v[28:29], v0 offset0:8 offset1:12
	ds_load_2addr_stride64_b32 v[30:31], v0 offset0:16 offset1:20
	s_mov_b32 s43, s41
	s_wait_dscnt 0x2
	v_add_f32_e32 v32, v26, v27
	ds_load_2addr_stride64_b32 v[26:27], v0 offset0:24 offset1:28
	s_wait_dscnt 0x2
	v_add_f32_e32 v28, v28, v32
	s_delay_alu instid0(VALU_DEP_1) | instskip(SKIP_3) | instid1(VALU_DEP_1)
	v_add_f32_e32 v32, v29, v28
	ds_load_2addr_stride64_b32 v[28:29], v0 offset0:32 offset1:36
	s_wait_dscnt 0x2
	v_add_f32_e32 v30, v30, v32
	v_add_f32_e32 v32, v31, v30
	ds_load_2addr_stride64_b32 v[30:31], v0 offset0:40 offset1:44
	s_wait_dscnt 0x2
	v_add_f32_e32 v26, v26, v32
	s_delay_alu instid0(VALU_DEP_1) | instskip(SKIP_1) | instid1(VALU_DEP_1)
	v_add_f32_e32 v26, v27, v26
	s_wait_dscnt 0x1
	v_add_f32_e32 v28, v28, v26
	ds_load_2addr_stride64_b32 v[26:27], v0 offset0:48 offset1:52
	v_add_f32_e32 v28, v29, v28
	s_wait_dscnt 0x1
	s_delay_alu instid0(VALU_DEP_1) | instskip(SKIP_3) | instid1(VALU_DEP_1)
	v_add_f32_e32 v30, v30, v28
	ds_load_2addr_stride64_b32 v[28:29], v0 offset0:56 offset1:60
	v_add_f32_e32 v30, v31, v30
	s_wait_dscnt 0x1
	v_add_f32_e32 v26, v26, v30
                                        ; implicit-def: $vgpr30
	s_delay_alu instid0(VALU_DEP_1) | instskip(SKIP_1) | instid1(VALU_DEP_1)
	v_add_f32_e32 v26, v27, v26
	s_wait_dscnt 0x0
	v_add_f32_e32 v26, v28, v26
	s_delay_alu instid0(VALU_DEP_1)
	v_add_f32_e32 v26, v29, v26
	ds_store_b32 v0, v26
	s_and_saveexec_b32 s42, s6
	s_cbranch_execz .LBB207_56
; %bb.53:                               ;   in Loop: Header=BB207_4 Depth=1
	v_mul_f32_e32 v30, s22, v26
	s_and_not1_b32 vcc_lo, exec_lo, s38
	s_wait_alu 0xfffe
	s_cbranch_vccnz .LBB207_55
; %bb.54:                               ;   in Loop: Header=BB207_4 Depth=1
	v_lshlrev_b64_e32 v[26:27], 2, v[4:5]
	s_delay_alu instid0(VALU_DEP_1) | instskip(SKIP_1) | instid1(VALU_DEP_2)
	v_add_co_u32 v26, vcc_lo, v43, v26
	s_wait_alu 0xfffd
	v_add_co_ci_u32_e64 v27, null, v44, v27, vcc_lo
	flat_load_b32 v26, v[26:27]
	s_wait_loadcnt_dscnt 0x0
	v_fmac_f32_e32 v30, s33, v26
.LBB207_55:                             ;   in Loop: Header=BB207_4 Depth=1
	s_or_b32 s43, s41, exec_lo
.LBB207_56:                             ;   in Loop: Header=BB207_4 Depth=1
	s_or_b32 exec_lo, exec_lo, s42
	s_delay_alu instid0(SALU_CYCLE_1) | instskip(SKIP_1) | instid1(SALU_CYCLE_1)
	s_and_not1_b32 s41, s41, exec_lo
	s_and_b32 s42, s43, exec_lo
	s_or_b32 s41, s41, s42
.LBB207_57:                             ;   in Loop: Header=BB207_4 Depth=1
	s_wait_alu 0xfffe
	s_or_b32 exec_lo, exec_lo, s7
	v_dual_mov_b32 v27, v5 :: v_dual_mov_b32 v26, v4
	s_and_saveexec_b32 s7, s41
	s_cbranch_execz .LBB207_2
.LBB207_58:                             ;   in Loop: Header=BB207_4 Depth=1
	s_delay_alu instid0(VALU_DEP_1) | instskip(NEXT) | instid1(VALU_DEP_1)
	v_lshlrev_b64_e32 v[26:27], 2, v[26:27]
	v_add_co_u32 v26, vcc_lo, v43, v26
	s_wait_alu 0xfffd
	s_delay_alu instid0(VALU_DEP_2)
	v_add_co_ci_u32_e64 v27, null, v44, v27, vcc_lo
	flat_store_b32 v[26:27], v30
	s_branch .LBB207_2
.LBB207_59:
	s_endpgm
	.section	.rodata,"a",@progbits
	.p2align	6, 0x0
	.amdhsa_kernel _ZL20rocblas_gemvn_kernelILi64ELi16ElPKffKPfEviiT3_lPKT2_lT1_lS7_lS8_lS4_lPT4_lS8_li
		.amdhsa_group_segment_fixed_size 16384
		.amdhsa_private_segment_fixed_size 0
		.amdhsa_kernarg_size 400
		.amdhsa_user_sgpr_count 2
		.amdhsa_user_sgpr_dispatch_ptr 0
		.amdhsa_user_sgpr_queue_ptr 0
		.amdhsa_user_sgpr_kernarg_segment_ptr 1
		.amdhsa_user_sgpr_dispatch_id 0
		.amdhsa_user_sgpr_private_segment_size 0
		.amdhsa_wavefront_size32 1
		.amdhsa_uses_dynamic_stack 0
		.amdhsa_enable_private_segment 0
		.amdhsa_system_sgpr_workgroup_id_x 1
		.amdhsa_system_sgpr_workgroup_id_y 0
		.amdhsa_system_sgpr_workgroup_id_z 1
		.amdhsa_system_sgpr_workgroup_info 0
		.amdhsa_system_vgpr_workitem_id 1
		.amdhsa_next_free_vgpr 74
		.amdhsa_next_free_sgpr 47
		.amdhsa_reserve_vcc 1
		.amdhsa_float_round_mode_32 0
		.amdhsa_float_round_mode_16_64 0
		.amdhsa_float_denorm_mode_32 3
		.amdhsa_float_denorm_mode_16_64 3
		.amdhsa_fp16_overflow 0
		.amdhsa_workgroup_processor_mode 1
		.amdhsa_memory_ordered 1
		.amdhsa_forward_progress 1
		.amdhsa_inst_pref_size 29
		.amdhsa_round_robin_scheduling 0
		.amdhsa_exception_fp_ieee_invalid_op 0
		.amdhsa_exception_fp_denorm_src 0
		.amdhsa_exception_fp_ieee_div_zero 0
		.amdhsa_exception_fp_ieee_overflow 0
		.amdhsa_exception_fp_ieee_underflow 0
		.amdhsa_exception_fp_ieee_inexact 0
		.amdhsa_exception_int_div_zero 0
	.end_amdhsa_kernel
	.section	.text._ZL20rocblas_gemvn_kernelILi64ELi16ElPKffKPfEviiT3_lPKT2_lT1_lS7_lS8_lS4_lPT4_lS8_li,"axG",@progbits,_ZL20rocblas_gemvn_kernelILi64ELi16ElPKffKPfEviiT3_lPKT2_lT1_lS7_lS8_lS4_lPT4_lS8_li,comdat
.Lfunc_end207:
	.size	_ZL20rocblas_gemvn_kernelILi64ELi16ElPKffKPfEviiT3_lPKT2_lT1_lS7_lS8_lS4_lPT4_lS8_li, .Lfunc_end207-_ZL20rocblas_gemvn_kernelILi64ELi16ElPKffKPfEviiT3_lPKT2_lT1_lS7_lS8_lS4_lPT4_lS8_li
                                        ; -- End function
	.set _ZL20rocblas_gemvn_kernelILi64ELi16ElPKffKPfEviiT3_lPKT2_lT1_lS7_lS8_lS4_lPT4_lS8_li.num_vgpr, 74
	.set _ZL20rocblas_gemvn_kernelILi64ELi16ElPKffKPfEviiT3_lPKT2_lT1_lS7_lS8_lS4_lPT4_lS8_li.num_agpr, 0
	.set _ZL20rocblas_gemvn_kernelILi64ELi16ElPKffKPfEviiT3_lPKT2_lT1_lS7_lS8_lS4_lPT4_lS8_li.numbered_sgpr, 47
	.set _ZL20rocblas_gemvn_kernelILi64ELi16ElPKffKPfEviiT3_lPKT2_lT1_lS7_lS8_lS4_lPT4_lS8_li.num_named_barrier, 0
	.set _ZL20rocblas_gemvn_kernelILi64ELi16ElPKffKPfEviiT3_lPKT2_lT1_lS7_lS8_lS4_lPT4_lS8_li.private_seg_size, 0
	.set _ZL20rocblas_gemvn_kernelILi64ELi16ElPKffKPfEviiT3_lPKT2_lT1_lS7_lS8_lS4_lPT4_lS8_li.uses_vcc, 1
	.set _ZL20rocblas_gemvn_kernelILi64ELi16ElPKffKPfEviiT3_lPKT2_lT1_lS7_lS8_lS4_lPT4_lS8_li.uses_flat_scratch, 1
	.set _ZL20rocblas_gemvn_kernelILi64ELi16ElPKffKPfEviiT3_lPKT2_lT1_lS7_lS8_lS4_lPT4_lS8_li.has_dyn_sized_stack, 0
	.set _ZL20rocblas_gemvn_kernelILi64ELi16ElPKffKPfEviiT3_lPKT2_lT1_lS7_lS8_lS4_lPT4_lS8_li.has_recursion, 0
	.set _ZL20rocblas_gemvn_kernelILi64ELi16ElPKffKPfEviiT3_lPKT2_lT1_lS7_lS8_lS4_lPT4_lS8_li.has_indirect_call, 0
	.section	.AMDGPU.csdata,"",@progbits
; Kernel info:
; codeLenInByte = 3652
; TotalNumSgprs: 49
; NumVgprs: 74
; ScratchSize: 0
; MemoryBound: 0
; FloatMode: 240
; IeeeMode: 1
; LDSByteSize: 16384 bytes/workgroup (compile time only)
; SGPRBlocks: 0
; VGPRBlocks: 9
; NumSGPRsForWavesPerEU: 49
; NumVGPRsForWavesPerEU: 74
; Occupancy: 16
; WaveLimiterHint : 1
; COMPUTE_PGM_RSRC2:SCRATCH_EN: 0
; COMPUTE_PGM_RSRC2:USER_SGPR: 2
; COMPUTE_PGM_RSRC2:TRAP_HANDLER: 0
; COMPUTE_PGM_RSRC2:TGID_X_EN: 1
; COMPUTE_PGM_RSRC2:TGID_Y_EN: 0
; COMPUTE_PGM_RSRC2:TGID_Z_EN: 1
; COMPUTE_PGM_RSRC2:TIDIG_COMP_CNT: 1
	.section	.text._ZL22rocblas_gemvtsm_kernelILb0ELi256EPKfS1_KPfEviiT2_lPKT1_lilS7_lilS4_lPT3_lil,"axG",@progbits,_ZL22rocblas_gemvtsm_kernelILb0ELi256EPKfS1_KPfEviiT2_lPKT1_lilS7_lilS4_lPT3_lil,comdat
	.globl	_ZL22rocblas_gemvtsm_kernelILb0ELi256EPKfS1_KPfEviiT2_lPKT1_lilS7_lilS4_lPT3_lil ; -- Begin function _ZL22rocblas_gemvtsm_kernelILb0ELi256EPKfS1_KPfEviiT2_lPKT1_lilS7_lilS4_lPT3_lil
	.p2align	8
	.type	_ZL22rocblas_gemvtsm_kernelILb0ELi256EPKfS1_KPfEviiT2_lPKT1_lilS7_lilS4_lPT3_lil,@function
_ZL22rocblas_gemvtsm_kernelILb0ELi256EPKfS1_KPfEviiT2_lPKT1_lilS7_lilS4_lPT3_lil: ; @_ZL22rocblas_gemvtsm_kernelILb0ELi256EPKfS1_KPfEviiT2_lPKT1_lilS7_lilS4_lPT3_lil
; %bb.0:
	s_clause 0x1
	s_load_b256 s[12:19], s[0:1], 0x8
	s_load_b256 s[4:11], s[0:1], 0x58
	s_mov_b32 s2, ttmp9
	s_mov_b32 s3, 0
	s_wait_kmcnt 0x0
	s_mul_u64 s[14:15], s[14:15], s[2:3]
	s_mul_u64 s[6:7], s[6:7], s[2:3]
	s_lshl_b64 s[14:15], s[14:15], 2
	s_lshl_b64 s[6:7], s[6:7], 2
	s_add_nc_u64 s[12:13], s[12:13], s[14:15]
	s_add_nc_u64 s[4:5], s[4:5], s[6:7]
	s_load_b32 s21, s[12:13], 0x0
	s_load_b32 s20, s[4:5], 0x0
	s_wait_kmcnt 0x0
	s_cmp_eq_f32 s21, 0
	s_cselect_b32 s4, -1, 0
	s_cmp_eq_f32 s20, 1.0
	s_cselect_b32 s5, -1, 0
	s_delay_alu instid0(SALU_CYCLE_1) | instskip(NEXT) | instid1(SALU_CYCLE_1)
	s_and_b32 s4, s4, s5
	s_and_b32 vcc_lo, exec_lo, s4
	s_cbranch_vccnz .LBB208_38
; %bb.1:
	s_cmp_neq_f32 s21, 0
	s_mov_b64 s[12:13], 0
	s_mov_b64 s[6:7], 0
	s_cselect_b32 s4, -1, 0
	s_cmp_eq_f32 s21, 0
	s_cselect_b32 s5, -1, 0
	s_delay_alu instid0(SALU_CYCLE_1)
	s_and_b32 vcc_lo, exec_lo, s5
	s_cbranch_vccnz .LBB208_3
; %bb.2:
	s_lshl_b64 s[6:7], s[2:3], 3
	s_lshl_b64 s[14:15], s[18:19], 2
	s_add_nc_u64 s[6:7], s[16:17], s[6:7]
	s_load_b64 s[6:7], s[6:7], 0x0
	s_wait_kmcnt 0x0
	s_add_nc_u64 s[6:7], s[6:7], s[14:15]
.LBB208_3:
	s_and_not1_b32 vcc_lo, exec_lo, s4
	s_cbranch_vccnz .LBB208_5
; %bb.4:
	s_load_b128 s[12:15], s[0:1], 0x38
	s_lshl_b64 s[16:17], s[2:3], 3
	s_wait_kmcnt 0x0
	s_add_nc_u64 s[12:13], s[12:13], s[16:17]
	s_lshl_b64 s[14:15], s[14:15], 2
	s_load_b64 s[12:13], s[12:13], 0x0
	s_wait_kmcnt 0x0
	s_add_nc_u64 s[12:13], s[12:13], s[14:15]
.LBB208_5:
	s_lshl_b64 s[2:3], s[2:3], 3
	s_and_not1_b32 vcc_lo, exec_lo, s5
	s_add_nc_u64 s[8:9], s[8:9], s[2:3]
	s_clause 0x1
	s_load_b64 s[2:3], s[0:1], 0x0
	s_load_b32 s4, s[0:1], 0x78
	s_load_b64 s[8:9], s[8:9], 0x0
	s_mov_b32 s5, -1
	s_cbranch_vccnz .LBB208_20
; %bb.6:
	s_wait_kmcnt 0x0
	s_cmp_gt_i32 s3, 0
	s_cselect_b32 s16, -1, 0
	s_cmp_neq_f32 s20, 0
	v_cndmask_b32_e64 v1, 0, 1, s16
	s_delay_alu instid0(VALU_DEP_1)
	v_cmp_ne_u32_e32 vcc_lo, 1, v1
	s_cbranch_scc1 .LBB208_13
; %bb.7:
	s_and_b32 vcc_lo, exec_lo, vcc_lo
	s_cbranch_vccnz .LBB208_12
; %bb.8:
	v_mad_co_i64_i32 v[1:2], null, s4, v0, 0
	s_lshl_b64 s[14:15], s[10:11], 2
	v_mov_b32_e32 v3, 0
	s_add_nc_u64 s[14:15], s[8:9], s[14:15]
	s_ashr_i32 s5, s4, 31
	v_lshlrev_b64_e32 v[1:2], 2, v[1:2]
	s_delay_alu instid0(VALU_DEP_1) | instskip(NEXT) | instid1(VALU_DEP_1)
	v_add_co_u32 v1, vcc_lo, s14, v1
	v_add_co_ci_u32_e64 v2, null, s15, v2, vcc_lo
	s_wait_alu 0xfffe
	s_lshl_b64 s[14:15], s[4:5], 10
	s_mov_b32 s5, 0
	s_branch .LBB208_10
.LBB208_9:                              ;   in Loop: Header=BB208_10 Depth=1
	s_wait_alu 0xfffe
	s_or_b32 exec_lo, exec_lo, s17
	v_add_co_u32 v1, vcc_lo, v1, s14
	s_wait_alu 0xfffd
	v_add_co_ci_u32_e64 v2, null, s15, v2, vcc_lo
	s_addk_co_i32 s5, 0x100
	s_wait_alu 0xfffe
	s_cmp_ge_i32 s5, s3
	s_cbranch_scc1 .LBB208_12
.LBB208_10:                             ; =>This Inner Loop Header: Depth=1
	s_wait_alu 0xfffe
	v_add_nc_u32_e32 v4, s5, v0
	s_mov_b32 s17, exec_lo
	s_delay_alu instid0(VALU_DEP_1)
	v_cmpx_gt_i32_e64 s3, v4
	s_cbranch_execz .LBB208_9
; %bb.11:                               ;   in Loop: Header=BB208_10 Depth=1
	flat_store_b32 v[1:2], v3
	s_branch .LBB208_9
.LBB208_12:
	s_mov_b32 s5, 0
.LBB208_13:
	s_wait_alu 0xfffe
	s_and_not1_b32 vcc_lo, exec_lo, s5
	s_wait_alu 0xfffe
	s_cbranch_vccnz .LBB208_19
; %bb.14:
	s_and_not1_b32 vcc_lo, exec_lo, s16
	s_wait_alu 0xfffe
	s_cbranch_vccnz .LBB208_19
; %bb.15:
	v_mad_co_i64_i32 v[1:2], null, s4, v0, 0
	s_lshl_b64 s[14:15], s[10:11], 2
	s_ashr_i32 s5, s4, 31
	s_wait_alu 0xfffe
	s_add_nc_u64 s[14:15], s[8:9], s[14:15]
	v_lshlrev_b64_e32 v[1:2], 2, v[1:2]
	s_wait_alu 0xfffe
	s_delay_alu instid0(VALU_DEP_1) | instskip(SKIP_1) | instid1(VALU_DEP_2)
	v_add_co_u32 v1, vcc_lo, s14, v1
	s_wait_alu 0xfffd
	v_add_co_ci_u32_e64 v2, null, s15, v2, vcc_lo
	s_lshl_b64 s[14:15], s[4:5], 10
	s_mov_b32 s5, 0
	s_branch .LBB208_17
.LBB208_16:                             ;   in Loop: Header=BB208_17 Depth=1
	s_wait_alu 0xfffe
	s_or_b32 exec_lo, exec_lo, s16
	v_add_co_u32 v1, vcc_lo, v1, s14
	s_wait_alu 0xfffd
	v_add_co_ci_u32_e64 v2, null, s15, v2, vcc_lo
	s_addk_co_i32 s5, 0x100
	s_wait_alu 0xfffe
	s_cmp_ge_i32 s5, s3
	s_cbranch_scc1 .LBB208_19
.LBB208_17:                             ; =>This Inner Loop Header: Depth=1
	s_wait_alu 0xfffe
	v_add_nc_u32_e32 v3, s5, v0
	s_mov_b32 s16, exec_lo
	s_delay_alu instid0(VALU_DEP_1)
	v_cmpx_gt_i32_e64 s3, v3
	s_cbranch_execz .LBB208_16
; %bb.18:                               ;   in Loop: Header=BB208_17 Depth=1
	flat_load_b32 v3, v[1:2]
	s_wait_loadcnt_dscnt 0x0
	v_mul_f32_e32 v3, s20, v3
	flat_store_b32 v[1:2], v3
	s_branch .LBB208_16
.LBB208_19:
	s_mov_b32 s5, 0
.LBB208_20:
	s_wait_alu 0xfffe
	s_and_not1_b32 vcc_lo, exec_lo, s5
	s_wait_alu 0xfffe
	s_cbranch_vccnz .LBB208_38
; %bb.21:
	s_mov_b32 s5, exec_lo
	s_wait_kmcnt 0x0
	v_cmpx_gt_i32_e64 s2, v0
	s_cbranch_execz .LBB208_23
; %bb.22:
	s_load_b32 s14, s[0:1], 0x48
	s_wait_kmcnt 0x0
	v_mad_co_i64_i32 v[1:2], null, s14, v0, 0
	s_delay_alu instid0(VALU_DEP_1) | instskip(NEXT) | instid1(VALU_DEP_1)
	v_lshlrev_b64_e32 v[1:2], 2, v[1:2]
	v_add_co_u32 v1, vcc_lo, s12, v1
	s_wait_alu 0xfffd
	s_delay_alu instid0(VALU_DEP_2)
	v_add_co_ci_u32_e64 v2, null, s13, v2, vcc_lo
	flat_load_b32 v1, v[1:2]
	s_wait_loadcnt_dscnt 0x0
	v_dual_mul_f32 v1, s21, v1 :: v_dual_lshlrev_b32 v2, 2, v0
	ds_store_b32 v2, v1
.LBB208_23:
	s_wait_alu 0xfffe
	s_or_b32 exec_lo, exec_lo, s5
	s_cmp_lt_i32 s3, 1
	s_wait_storecnt_dscnt 0x0
	s_barrier_signal -1
	s_barrier_wait -1
	global_inv scope:SCOPE_SE
	s_cbranch_scc1 .LBB208_38
; %bb.24:
	s_load_b32 s16, s[0:1], 0x28
	s_lshl_b64 s[0:1], s[10:11], 2
	s_ashr_i32 s5, s4, 31
	s_add_nc_u64 s[0:1], s[8:9], s[0:1]
	s_mov_b32 s15, 0
	s_wait_kmcnt 0x0
	v_mad_co_i64_i32 v[1:2], null, s16, v0, 0
	s_ashr_i32 s17, s16, 31
	s_cmp_neq_f32 s20, 0
	s_cselect_b32 s10, -1, 0
	v_lshlrev_b64_e32 v[1:2], 2, v[1:2]
	s_cmp_gt_i32 s2, 0
	s_cselect_b32 s11, -1, 0
	s_and_b32 s12, s2, 7
	s_cmp_gt_u32 s2, 7
	s_delay_alu instid0(VALU_DEP_1)
	v_add_co_u32 v7, vcc_lo, s6, v1
	s_wait_alu 0xfffd
	v_add_co_ci_u32_e64 v8, null, s7, v2, vcc_lo
	s_cselect_b32 s13, -1, 0
	v_add_co_u32 v1, vcc_lo, v7, 28
	s_and_b32 s2, s2, 0x7ffffff8
	s_wait_alu 0xfffd
	v_add_co_ci_u32_e64 v2, null, 0, v8, vcc_lo
	s_wait_alu 0xfffe
	s_cmp_lg_u32 s12, 0
	s_mov_b32 s7, 0
	s_cselect_b32 s14, -1, 0
	s_lshl_b64 s[8:9], s[16:17], 10
	s_branch .LBB208_27
.LBB208_25:                             ;   in Loop: Header=BB208_27 Depth=1
	v_add_co_u32 v3, vcc_lo, s0, v3
	s_wait_alu 0xfffd
	v_add_co_ci_u32_e64 v4, null, s1, v4, vcc_lo
	flat_store_b32 v[3:4], v9
.LBB208_26:                             ;   in Loop: Header=BB208_27 Depth=1
	s_wait_alu 0xfffe
	s_or_b32 exec_lo, exec_lo, s16
	v_add_co_u32 v1, vcc_lo, v1, s8
	s_wait_alu 0xfffd
	v_add_co_ci_u32_e64 v2, null, s9, v2, vcc_lo
	v_add_co_u32 v7, vcc_lo, v7, s8
	s_wait_alu 0xfffd
	v_add_co_ci_u32_e64 v8, null, s9, v8, vcc_lo
	s_addk_co_i32 s15, 0x100
	s_wait_alu 0xfffe
	s_cmp_ge_i32 s15, s3
	s_cbranch_scc1 .LBB208_38
.LBB208_27:                             ; =>This Loop Header: Depth=1
                                        ;     Child Loop BB208_33 Depth 2
                                        ;     Child Loop BB208_37 Depth 2
	v_add_nc_u32_e32 v3, s15, v0
	s_mov_b32 s16, exec_lo
	s_delay_alu instid0(VALU_DEP_1)
	v_cmpx_gt_i32_e64 s3, v3
	s_cbranch_execz .LBB208_26
; %bb.28:                               ;   in Loop: Header=BB208_27 Depth=1
	v_mad_co_u64_u32 v[4:5], null, v3, s4, 0
	s_and_not1_b32 vcc_lo, exec_lo, s10
	v_mad_co_u64_u32 v[5:6], null, v3, s5, v[5:6]
	s_delay_alu instid0(VALU_DEP_1)
	v_lshlrev_b64_e32 v[3:4], 2, v[4:5]
	s_wait_alu 0xfffe
	s_cbranch_vccnz .LBB208_30
; %bb.29:                               ;   in Loop: Header=BB208_27 Depth=1
	s_delay_alu instid0(VALU_DEP_1) | instskip(SKIP_1) | instid1(VALU_DEP_2)
	v_add_co_u32 v5, vcc_lo, s0, v3
	s_wait_alu 0xfffd
	v_add_co_ci_u32_e64 v6, null, s1, v4, vcc_lo
	flat_load_b32 v5, v[5:6]
	s_wait_loadcnt_dscnt 0x0
	v_mul_f32_e32 v9, s20, v5
	s_and_not1_b32 vcc_lo, exec_lo, s11
	s_wait_alu 0xfffe
	s_cbranch_vccz .LBB208_31
	s_branch .LBB208_25
.LBB208_30:                             ;   in Loop: Header=BB208_27 Depth=1
	v_mov_b32_e32 v9, 0
	s_and_not1_b32 vcc_lo, exec_lo, s11
	s_wait_alu 0xfffe
	s_cbranch_vccnz .LBB208_25
.LBB208_31:                             ;   in Loop: Header=BB208_27 Depth=1
	s_and_not1_b32 vcc_lo, exec_lo, s13
	s_mov_b32 s6, 0
	s_wait_alu 0xfffe
	s_cbranch_vccnz .LBB208_35
; %bb.32:                               ;   in Loop: Header=BB208_27 Depth=1
	v_dual_mov_b32 v6, v2 :: v_dual_mov_b32 v5, v1
	s_mov_b32 s17, 0
.LBB208_33:                             ;   Parent Loop BB208_27 Depth=1
                                        ; =>  This Inner Loop Header: Depth=2
	s_clause 0x1
	flat_load_b128 v[10:13], v[5:6] offset:-28
	flat_load_b128 v[14:17], v[5:6] offset:-12
	v_mov_b32_e32 v22, s6
	v_add_co_u32 v5, vcc_lo, v5, 32
	s_wait_alu 0xfffd
	v_add_co_ci_u32_e64 v6, null, 0, v6, vcc_lo
	ds_load_b128 v[18:21], v22
	ds_load_b128 v[22:25], v22 offset:16
	s_wait_alu 0xfffe
	s_add_co_i32 s17, s17, 8
	s_add_co_i32 s6, s6, 32
	s_wait_alu 0xfffe
	s_cmp_eq_u32 s2, s17
	s_wait_loadcnt_dscnt 0x101
	v_fmac_f32_e32 v9, v18, v10
	s_delay_alu instid0(VALU_DEP_1) | instskip(NEXT) | instid1(VALU_DEP_1)
	v_fmac_f32_e32 v9, v19, v11
	v_fmac_f32_e32 v9, v20, v12
	s_delay_alu instid0(VALU_DEP_1) | instskip(SKIP_1) | instid1(VALU_DEP_1)
	v_fmac_f32_e32 v9, v21, v13
	s_wait_loadcnt_dscnt 0x0
	v_fmac_f32_e32 v9, v22, v14
	s_delay_alu instid0(VALU_DEP_1) | instskip(NEXT) | instid1(VALU_DEP_1)
	v_fmac_f32_e32 v9, v23, v15
	v_fmac_f32_e32 v9, v24, v16
	s_delay_alu instid0(VALU_DEP_1)
	v_fmac_f32_e32 v9, v25, v17
	s_cbranch_scc0 .LBB208_33
; %bb.34:                               ;   in Loop: Header=BB208_27 Depth=1
	s_mov_b32 s6, s2
.LBB208_35:                             ;   in Loop: Header=BB208_27 Depth=1
	s_and_not1_b32 vcc_lo, exec_lo, s14
	s_wait_alu 0xfffe
	s_cbranch_vccnz .LBB208_25
; %bb.36:                               ;   in Loop: Header=BB208_27 Depth=1
	s_lshl_b64 s[18:19], s[6:7], 2
	s_lshl_b32 s6, s6, 2
	s_wait_alu 0xfffe
	v_add_co_u32 v5, vcc_lo, v7, s18
	s_wait_alu 0xfffd
	v_add_co_ci_u32_e64 v6, null, s19, v8, vcc_lo
	s_mov_b32 s17, s12
.LBB208_37:                             ;   Parent Loop BB208_27 Depth=1
                                        ; =>  This Inner Loop Header: Depth=2
	flat_load_b32 v10, v[5:6]
	s_wait_alu 0xfffe
	v_mov_b32_e32 v11, s6
	v_add_co_u32 v5, vcc_lo, v5, 4
	s_wait_alu 0xfffd
	v_add_co_ci_u32_e64 v6, null, 0, v6, vcc_lo
	ds_load_b32 v11, v11
	s_add_co_i32 s17, s17, -1
	s_add_co_i32 s6, s6, 4
	s_wait_alu 0xfffe
	s_cmp_lg_u32 s17, 0
	s_wait_loadcnt_dscnt 0x0
	v_fmac_f32_e32 v9, v11, v10
	s_cbranch_scc1 .LBB208_37
	s_branch .LBB208_25
.LBB208_38:
	s_endpgm
	.section	.rodata,"a",@progbits
	.p2align	6, 0x0
	.amdhsa_kernel _ZL22rocblas_gemvtsm_kernelILb0ELi256EPKfS1_KPfEviiT2_lPKT1_lilS7_lilS4_lPT3_lil
		.amdhsa_group_segment_fixed_size 256
		.amdhsa_private_segment_fixed_size 0
		.amdhsa_kernarg_size 136
		.amdhsa_user_sgpr_count 2
		.amdhsa_user_sgpr_dispatch_ptr 0
		.amdhsa_user_sgpr_queue_ptr 0
		.amdhsa_user_sgpr_kernarg_segment_ptr 1
		.amdhsa_user_sgpr_dispatch_id 0
		.amdhsa_user_sgpr_private_segment_size 0
		.amdhsa_wavefront_size32 1
		.amdhsa_uses_dynamic_stack 0
		.amdhsa_enable_private_segment 0
		.amdhsa_system_sgpr_workgroup_id_x 1
		.amdhsa_system_sgpr_workgroup_id_y 0
		.amdhsa_system_sgpr_workgroup_id_z 0
		.amdhsa_system_sgpr_workgroup_info 0
		.amdhsa_system_vgpr_workitem_id 0
		.amdhsa_next_free_vgpr 26
		.amdhsa_next_free_sgpr 22
		.amdhsa_reserve_vcc 1
		.amdhsa_float_round_mode_32 0
		.amdhsa_float_round_mode_16_64 0
		.amdhsa_float_denorm_mode_32 3
		.amdhsa_float_denorm_mode_16_64 3
		.amdhsa_fp16_overflow 0
		.amdhsa_workgroup_processor_mode 1
		.amdhsa_memory_ordered 1
		.amdhsa_forward_progress 1
		.amdhsa_inst_pref_size 12
		.amdhsa_round_robin_scheduling 0
		.amdhsa_exception_fp_ieee_invalid_op 0
		.amdhsa_exception_fp_denorm_src 0
		.amdhsa_exception_fp_ieee_div_zero 0
		.amdhsa_exception_fp_ieee_overflow 0
		.amdhsa_exception_fp_ieee_underflow 0
		.amdhsa_exception_fp_ieee_inexact 0
		.amdhsa_exception_int_div_zero 0
	.end_amdhsa_kernel
	.section	.text._ZL22rocblas_gemvtsm_kernelILb0ELi256EPKfS1_KPfEviiT2_lPKT1_lilS7_lilS4_lPT3_lil,"axG",@progbits,_ZL22rocblas_gemvtsm_kernelILb0ELi256EPKfS1_KPfEviiT2_lPKT1_lilS7_lilS4_lPT3_lil,comdat
.Lfunc_end208:
	.size	_ZL22rocblas_gemvtsm_kernelILb0ELi256EPKfS1_KPfEviiT2_lPKT1_lilS7_lilS4_lPT3_lil, .Lfunc_end208-_ZL22rocblas_gemvtsm_kernelILb0ELi256EPKfS1_KPfEviiT2_lPKT1_lilS7_lilS4_lPT3_lil
                                        ; -- End function
	.set _ZL22rocblas_gemvtsm_kernelILb0ELi256EPKfS1_KPfEviiT2_lPKT1_lilS7_lilS4_lPT3_lil.num_vgpr, 26
	.set _ZL22rocblas_gemvtsm_kernelILb0ELi256EPKfS1_KPfEviiT2_lPKT1_lilS7_lilS4_lPT3_lil.num_agpr, 0
	.set _ZL22rocblas_gemvtsm_kernelILb0ELi256EPKfS1_KPfEviiT2_lPKT1_lilS7_lilS4_lPT3_lil.numbered_sgpr, 22
	.set _ZL22rocblas_gemvtsm_kernelILb0ELi256EPKfS1_KPfEviiT2_lPKT1_lilS7_lilS4_lPT3_lil.num_named_barrier, 0
	.set _ZL22rocblas_gemvtsm_kernelILb0ELi256EPKfS1_KPfEviiT2_lPKT1_lilS7_lilS4_lPT3_lil.private_seg_size, 0
	.set _ZL22rocblas_gemvtsm_kernelILb0ELi256EPKfS1_KPfEviiT2_lPKT1_lilS7_lilS4_lPT3_lil.uses_vcc, 1
	.set _ZL22rocblas_gemvtsm_kernelILb0ELi256EPKfS1_KPfEviiT2_lPKT1_lilS7_lilS4_lPT3_lil.uses_flat_scratch, 1
	.set _ZL22rocblas_gemvtsm_kernelILb0ELi256EPKfS1_KPfEviiT2_lPKT1_lilS7_lilS4_lPT3_lil.has_dyn_sized_stack, 0
	.set _ZL22rocblas_gemvtsm_kernelILb0ELi256EPKfS1_KPfEviiT2_lPKT1_lilS7_lilS4_lPT3_lil.has_recursion, 0
	.set _ZL22rocblas_gemvtsm_kernelILb0ELi256EPKfS1_KPfEviiT2_lPKT1_lilS7_lilS4_lPT3_lil.has_indirect_call, 0
	.section	.AMDGPU.csdata,"",@progbits
; Kernel info:
; codeLenInByte = 1528
; TotalNumSgprs: 24
; NumVgprs: 26
; ScratchSize: 0
; MemoryBound: 0
; FloatMode: 240
; IeeeMode: 1
; LDSByteSize: 256 bytes/workgroup (compile time only)
; SGPRBlocks: 0
; VGPRBlocks: 3
; NumSGPRsForWavesPerEU: 24
; NumVGPRsForWavesPerEU: 26
; Occupancy: 16
; WaveLimiterHint : 1
; COMPUTE_PGM_RSRC2:SCRATCH_EN: 0
; COMPUTE_PGM_RSRC2:USER_SGPR: 2
; COMPUTE_PGM_RSRC2:TRAP_HANDLER: 0
; COMPUTE_PGM_RSRC2:TGID_X_EN: 1
; COMPUTE_PGM_RSRC2:TGID_Y_EN: 0
; COMPUTE_PGM_RSRC2:TGID_Z_EN: 0
; COMPUTE_PGM_RSRC2:TIDIG_COMP_CNT: 0
	.section	.text._ZL22rocblas_gemvtsm_kernelILb0ELi256EPKffKPfEviiT2_lPKT1_lilS7_lilS4_lPT3_lil,"axG",@progbits,_ZL22rocblas_gemvtsm_kernelILb0ELi256EPKffKPfEviiT2_lPKT1_lilS7_lilS4_lPT3_lil,comdat
	.globl	_ZL22rocblas_gemvtsm_kernelILb0ELi256EPKffKPfEviiT2_lPKT1_lilS7_lilS4_lPT3_lil ; -- Begin function _ZL22rocblas_gemvtsm_kernelILb0ELi256EPKffKPfEviiT2_lPKT1_lilS7_lilS4_lPT3_lil
	.p2align	8
	.type	_ZL22rocblas_gemvtsm_kernelILb0ELi256EPKffKPfEviiT2_lPKT1_lilS7_lilS4_lPT3_lil,@function
_ZL22rocblas_gemvtsm_kernelILb0ELi256EPKffKPfEviiT2_lPKT1_lilS7_lilS4_lPT3_lil: ; @_ZL22rocblas_gemvtsm_kernelILb0ELi256EPKffKPfEviiT2_lPKT1_lilS7_lilS4_lPT3_lil
; %bb.0:
	s_clause 0x1
	s_load_b96 s[8:10], s[0:1], 0x0
	s_load_b32 s11, s[0:1], 0x58
	s_mov_b32 s5, 0
	s_wait_kmcnt 0x0
	s_cmp_eq_f32 s10, 0
	s_cselect_b32 s2, -1, 0
	s_cmp_eq_f32 s11, 1.0
	s_cselect_b32 s3, -1, 0
	s_delay_alu instid0(SALU_CYCLE_1) | instskip(NEXT) | instid1(SALU_CYCLE_1)
	s_and_b32 s2, s2, s3
	s_and_b32 vcc_lo, exec_lo, s2
	s_cbranch_vccnz .LBB209_40
; %bb.1:
	s_cmp_neq_f32 s10, 0
	s_mov_b32 s4, ttmp9
	s_cselect_b32 s6, -1, 0
	s_cmp_eq_f32 s10, 0
	s_cselect_b32 s16, -1, 0
	s_and_b32 vcc_lo, exec_lo, s6
	s_cbranch_vccnz .LBB209_3
; %bb.2:
	s_mov_b32 s3, 0
	s_mov_b32 s2, ttmp9
	s_mov_b32 s7, s3
	s_mov_b64 s[14:15], 0
	s_and_not1_b32 vcc_lo, exec_lo, s7
	s_mov_b64 s[12:13], 0
	s_cbranch_vccz .LBB209_4
	s_branch .LBB209_5
.LBB209_3:
	s_mov_b64 s[2:3], s[4:5]
	s_mov_b64 s[14:15], 0
	s_mov_b64 s[12:13], 0
.LBB209_4:
	s_load_b128 s[20:23], s[0:1], 0x18
	s_lshl_b64 s[4:5], s[4:5], 3
	s_wait_kmcnt 0x0
	s_add_nc_u64 s[4:5], s[20:21], s[4:5]
	s_lshl_b64 s[12:13], s[22:23], 2
	s_load_b64 s[4:5], s[4:5], 0x0
	s_wait_kmcnt 0x0
	s_add_nc_u64 s[12:13], s[4:5], s[12:13]
.LBB209_5:
	s_and_not1_b32 vcc_lo, exec_lo, s6
	s_cbranch_vccnz .LBB209_7
; %bb.6:
	s_load_b128 s[4:7], s[0:1], 0x38
	s_lshl_b64 s[14:15], s[2:3], 3
	s_wait_kmcnt 0x0
	s_add_nc_u64 s[4:5], s[4:5], s[14:15]
	s_lshl_b64 s[6:7], s[6:7], 2
	s_load_b64 s[4:5], s[4:5], 0x0
	s_wait_kmcnt 0x0
	s_add_nc_u64 s[14:15], s[4:5], s[6:7]
.LBB209_7:
	s_load_b128 s[4:7], s[0:1], 0x68
	s_lshl_b64 s[18:19], s[2:3], 3
	s_load_b32 s2, s[0:1], 0x78
	s_and_not1_b32 vcc_lo, exec_lo, s16
	s_mov_b32 s3, -1
	s_wait_kmcnt 0x0
	s_add_nc_u64 s[4:5], s[4:5], s[18:19]
	s_load_b64 s[4:5], s[4:5], 0x0
	s_cbranch_vccnz .LBB209_22
; %bb.8:
	s_cmp_gt_i32 s9, 0
	s_cselect_b32 s18, -1, 0
	s_cmp_neq_f32 s11, 0
	v_cndmask_b32_e64 v1, 0, 1, s18
	s_delay_alu instid0(VALU_DEP_1)
	v_cmp_ne_u32_e32 vcc_lo, 1, v1
	s_cbranch_scc1 .LBB209_15
; %bb.9:
	s_and_b32 vcc_lo, exec_lo, vcc_lo
	s_cbranch_vccnz .LBB209_14
; %bb.10:
	v_mad_co_i64_i32 v[1:2], null, s2, v0, 0
	s_lshl_b64 s[16:17], s[6:7], 2
	v_mov_b32_e32 v3, 0
	s_wait_kmcnt 0x0
	s_add_nc_u64 s[16:17], s[4:5], s[16:17]
	s_ashr_i32 s3, s2, 31
	v_lshlrev_b64_e32 v[1:2], 2, v[1:2]
	s_delay_alu instid0(VALU_DEP_1) | instskip(NEXT) | instid1(VALU_DEP_1)
	v_add_co_u32 v1, vcc_lo, s16, v1
	v_add_co_ci_u32_e64 v2, null, s17, v2, vcc_lo
	s_wait_alu 0xfffe
	s_lshl_b64 s[16:17], s[2:3], 10
	s_mov_b32 s3, 0
	s_branch .LBB209_12
.LBB209_11:                             ;   in Loop: Header=BB209_12 Depth=1
	s_wait_alu 0xfffe
	s_or_b32 exec_lo, exec_lo, s19
	v_add_co_u32 v1, vcc_lo, v1, s16
	s_wait_alu 0xfffd
	v_add_co_ci_u32_e64 v2, null, s17, v2, vcc_lo
	s_addk_co_i32 s3, 0x100
	s_wait_alu 0xfffe
	s_cmp_ge_i32 s3, s9
	s_cbranch_scc1 .LBB209_14
.LBB209_12:                             ; =>This Inner Loop Header: Depth=1
	s_wait_alu 0xfffe
	v_add_nc_u32_e32 v4, s3, v0
	s_mov_b32 s19, exec_lo
	s_delay_alu instid0(VALU_DEP_1)
	v_cmpx_gt_i32_e64 s9, v4
	s_cbranch_execz .LBB209_11
; %bb.13:                               ;   in Loop: Header=BB209_12 Depth=1
	flat_store_b32 v[1:2], v3
	s_branch .LBB209_11
.LBB209_14:
	s_mov_b32 s3, 0
.LBB209_15:
	s_wait_alu 0xfffe
	s_and_not1_b32 vcc_lo, exec_lo, s3
	s_wait_alu 0xfffe
	s_cbranch_vccnz .LBB209_21
; %bb.16:
	s_and_not1_b32 vcc_lo, exec_lo, s18
	s_wait_alu 0xfffe
	s_cbranch_vccnz .LBB209_21
; %bb.17:
	v_mad_co_i64_i32 v[1:2], null, s2, v0, 0
	s_lshl_b64 s[16:17], s[6:7], 2
	s_ashr_i32 s3, s2, 31
	s_wait_kmcnt 0x0
	s_wait_alu 0xfffe
	s_add_nc_u64 s[16:17], s[4:5], s[16:17]
	v_lshlrev_b64_e32 v[1:2], 2, v[1:2]
	s_wait_alu 0xfffe
	s_delay_alu instid0(VALU_DEP_1) | instskip(SKIP_1) | instid1(VALU_DEP_2)
	v_add_co_u32 v1, vcc_lo, s16, v1
	s_wait_alu 0xfffd
	v_add_co_ci_u32_e64 v2, null, s17, v2, vcc_lo
	s_lshl_b64 s[16:17], s[2:3], 10
	s_mov_b32 s3, 0
	s_branch .LBB209_19
.LBB209_18:                             ;   in Loop: Header=BB209_19 Depth=1
	s_wait_alu 0xfffe
	s_or_b32 exec_lo, exec_lo, s18
	v_add_co_u32 v1, vcc_lo, v1, s16
	s_wait_alu 0xfffd
	v_add_co_ci_u32_e64 v2, null, s17, v2, vcc_lo
	s_addk_co_i32 s3, 0x100
	s_wait_alu 0xfffe
	s_cmp_ge_i32 s3, s9
	s_cbranch_scc1 .LBB209_21
.LBB209_19:                             ; =>This Inner Loop Header: Depth=1
	s_wait_alu 0xfffe
	v_add_nc_u32_e32 v3, s3, v0
	s_mov_b32 s18, exec_lo
	s_delay_alu instid0(VALU_DEP_1)
	v_cmpx_gt_i32_e64 s9, v3
	s_cbranch_execz .LBB209_18
; %bb.20:                               ;   in Loop: Header=BB209_19 Depth=1
	flat_load_b32 v3, v[1:2]
	s_wait_loadcnt_dscnt 0x0
	v_mul_f32_e32 v3, s11, v3
	flat_store_b32 v[1:2], v3
	s_branch .LBB209_18
.LBB209_21:
	s_mov_b32 s3, 0
.LBB209_22:
	s_wait_alu 0xfffe
	s_and_not1_b32 vcc_lo, exec_lo, s3
	s_wait_alu 0xfffe
	s_cbranch_vccnz .LBB209_40
; %bb.23:
	s_mov_b32 s3, exec_lo
	v_cmpx_gt_i32_e64 s8, v0
	s_cbranch_execz .LBB209_25
; %bb.24:
	s_load_b32 s16, s[0:1], 0x48
	s_wait_kmcnt 0x0
	v_mad_co_i64_i32 v[1:2], null, s16, v0, 0
	s_delay_alu instid0(VALU_DEP_1) | instskip(NEXT) | instid1(VALU_DEP_1)
	v_lshlrev_b64_e32 v[1:2], 2, v[1:2]
	v_add_co_u32 v1, vcc_lo, s14, v1
	s_wait_alu 0xfffd
	s_delay_alu instid0(VALU_DEP_2)
	v_add_co_ci_u32_e64 v2, null, s15, v2, vcc_lo
	flat_load_b32 v1, v[1:2]
	s_wait_loadcnt_dscnt 0x0
	v_dual_mul_f32 v1, s10, v1 :: v_dual_lshlrev_b32 v2, 2, v0
	ds_store_b32 v2, v1
.LBB209_25:
	s_wait_alu 0xfffe
	s_or_b32 exec_lo, exec_lo, s3
	s_cmp_lt_i32 s9, 1
	s_wait_storecnt_dscnt 0x0
	s_barrier_signal -1
	s_barrier_wait -1
	global_inv scope:SCOPE_SE
	s_cbranch_scc1 .LBB209_40
; %bb.26:
	s_load_b32 s18, s[0:1], 0x28
	s_lshl_b64 s[0:1], s[6:7], 2
	s_ashr_i32 s3, s2, 31
	s_wait_kmcnt 0x0
	s_add_nc_u64 s[0:1], s[4:5], s[0:1]
	s_mov_b32 s5, 0
	v_mad_co_i64_i32 v[1:2], null, s18, v0, 0
	s_ashr_i32 s19, s18, 31
	s_cmp_neq_f32 s11, 0
	s_cselect_b32 s10, -1, 0
	v_lshlrev_b64_e32 v[1:2], 2, v[1:2]
	s_cmp_gt_i32 s8, 0
	s_cselect_b32 s14, -1, 0
	s_and_b32 s15, s8, 7
	s_cmp_gt_u32 s8, 7
	s_delay_alu instid0(VALU_DEP_1)
	v_add_co_u32 v7, vcc_lo, s12, v1
	s_wait_alu 0xfffd
	v_add_co_ci_u32_e64 v8, null, s13, v2, vcc_lo
	s_cselect_b32 s16, -1, 0
	v_add_co_u32 v1, vcc_lo, v7, 28
	s_and_b32 s8, s8, 0x7ffffff8
	s_wait_alu 0xfffd
	v_add_co_ci_u32_e64 v2, null, 0, v8, vcc_lo
	s_wait_alu 0xfffe
	s_cmp_lg_u32 s15, 0
	s_mov_b32 s13, 0
	s_cselect_b32 s12, -1, 0
	s_lshl_b64 s[6:7], s[18:19], 10
	s_branch .LBB209_29
.LBB209_27:                             ;   in Loop: Header=BB209_29 Depth=1
	v_add_co_u32 v3, vcc_lo, s0, v3
	s_wait_alu 0xfffd
	v_add_co_ci_u32_e64 v4, null, s1, v4, vcc_lo
	flat_store_b32 v[3:4], v9
.LBB209_28:                             ;   in Loop: Header=BB209_29 Depth=1
	s_wait_alu 0xfffe
	s_or_b32 exec_lo, exec_lo, s17
	v_add_co_u32 v1, vcc_lo, v1, s6
	s_wait_alu 0xfffd
	v_add_co_ci_u32_e64 v2, null, s7, v2, vcc_lo
	v_add_co_u32 v7, vcc_lo, v7, s6
	s_wait_alu 0xfffd
	v_add_co_ci_u32_e64 v8, null, s7, v8, vcc_lo
	s_addk_co_i32 s13, 0x100
	s_wait_alu 0xfffe
	s_cmp_ge_i32 s13, s9
	s_cbranch_scc1 .LBB209_40
.LBB209_29:                             ; =>This Loop Header: Depth=1
                                        ;     Child Loop BB209_35 Depth 2
                                        ;     Child Loop BB209_39 Depth 2
	s_wait_alu 0xfffe
	v_add_nc_u32_e32 v3, s13, v0
	s_mov_b32 s17, exec_lo
	s_delay_alu instid0(VALU_DEP_1)
	v_cmpx_gt_i32_e64 s9, v3
	s_cbranch_execz .LBB209_28
; %bb.30:                               ;   in Loop: Header=BB209_29 Depth=1
	v_mad_co_u64_u32 v[4:5], null, v3, s2, 0
	s_and_not1_b32 vcc_lo, exec_lo, s10
	v_mad_co_u64_u32 v[5:6], null, v3, s3, v[5:6]
	s_delay_alu instid0(VALU_DEP_1)
	v_lshlrev_b64_e32 v[3:4], 2, v[4:5]
	s_wait_alu 0xfffe
	s_cbranch_vccnz .LBB209_32
; %bb.31:                               ;   in Loop: Header=BB209_29 Depth=1
	s_delay_alu instid0(VALU_DEP_1) | instskip(SKIP_1) | instid1(VALU_DEP_2)
	v_add_co_u32 v5, vcc_lo, s0, v3
	s_wait_alu 0xfffd
	v_add_co_ci_u32_e64 v6, null, s1, v4, vcc_lo
	flat_load_b32 v5, v[5:6]
	s_wait_loadcnt_dscnt 0x0
	v_mul_f32_e32 v9, s11, v5
	s_and_not1_b32 vcc_lo, exec_lo, s14
	s_wait_alu 0xfffe
	s_cbranch_vccz .LBB209_33
	s_branch .LBB209_27
.LBB209_32:                             ;   in Loop: Header=BB209_29 Depth=1
	v_mov_b32_e32 v9, 0
	s_and_not1_b32 vcc_lo, exec_lo, s14
	s_wait_alu 0xfffe
	s_cbranch_vccnz .LBB209_27
.LBB209_33:                             ;   in Loop: Header=BB209_29 Depth=1
	s_and_not1_b32 vcc_lo, exec_lo, s16
	s_mov_b32 s4, 0
	s_wait_alu 0xfffe
	s_cbranch_vccnz .LBB209_37
; %bb.34:                               ;   in Loop: Header=BB209_29 Depth=1
	v_dual_mov_b32 v6, v2 :: v_dual_mov_b32 v5, v1
	s_mov_b32 s18, 0
.LBB209_35:                             ;   Parent Loop BB209_29 Depth=1
                                        ; =>  This Inner Loop Header: Depth=2
	s_clause 0x1
	flat_load_b128 v[10:13], v[5:6] offset:-28
	flat_load_b128 v[14:17], v[5:6] offset:-12
	v_mov_b32_e32 v22, s4
	v_add_co_u32 v5, vcc_lo, v5, 32
	s_wait_alu 0xfffd
	v_add_co_ci_u32_e64 v6, null, 0, v6, vcc_lo
	ds_load_b128 v[18:21], v22
	ds_load_b128 v[22:25], v22 offset:16
	s_wait_alu 0xfffe
	s_add_co_i32 s18, s18, 8
	s_add_co_i32 s4, s4, 32
	s_wait_alu 0xfffe
	s_cmp_eq_u32 s8, s18
	s_wait_loadcnt_dscnt 0x101
	v_fmac_f32_e32 v9, v18, v10
	s_delay_alu instid0(VALU_DEP_1) | instskip(NEXT) | instid1(VALU_DEP_1)
	v_fmac_f32_e32 v9, v19, v11
	v_fmac_f32_e32 v9, v20, v12
	s_delay_alu instid0(VALU_DEP_1) | instskip(SKIP_1) | instid1(VALU_DEP_1)
	v_fmac_f32_e32 v9, v21, v13
	s_wait_loadcnt_dscnt 0x0
	v_fmac_f32_e32 v9, v22, v14
	s_delay_alu instid0(VALU_DEP_1) | instskip(NEXT) | instid1(VALU_DEP_1)
	v_fmac_f32_e32 v9, v23, v15
	v_fmac_f32_e32 v9, v24, v16
	s_delay_alu instid0(VALU_DEP_1)
	v_fmac_f32_e32 v9, v25, v17
	s_cbranch_scc0 .LBB209_35
; %bb.36:                               ;   in Loop: Header=BB209_29 Depth=1
	s_mov_b32 s4, s8
.LBB209_37:                             ;   in Loop: Header=BB209_29 Depth=1
	s_and_not1_b32 vcc_lo, exec_lo, s12
	s_wait_alu 0xfffe
	s_cbranch_vccnz .LBB209_27
; %bb.38:                               ;   in Loop: Header=BB209_29 Depth=1
	s_lshl_b64 s[18:19], s[4:5], 2
	s_lshl_b32 s4, s4, 2
	s_wait_alu 0xfffe
	v_add_co_u32 v5, vcc_lo, v7, s18
	s_wait_alu 0xfffd
	v_add_co_ci_u32_e64 v6, null, s19, v8, vcc_lo
	s_mov_b32 s18, s15
.LBB209_39:                             ;   Parent Loop BB209_29 Depth=1
                                        ; =>  This Inner Loop Header: Depth=2
	flat_load_b32 v10, v[5:6]
	v_mov_b32_e32 v11, s4
	v_add_co_u32 v5, vcc_lo, v5, 4
	s_wait_alu 0xfffd
	v_add_co_ci_u32_e64 v6, null, 0, v6, vcc_lo
	ds_load_b32 v11, v11
	s_wait_alu 0xfffe
	s_add_co_i32 s18, s18, -1
	s_add_co_i32 s4, s4, 4
	s_wait_alu 0xfffe
	s_cmp_lg_u32 s18, 0
	s_wait_loadcnt_dscnt 0x0
	v_fmac_f32_e32 v9, v11, v10
	s_cbranch_scc1 .LBB209_39
	s_branch .LBB209_27
.LBB209_40:
	s_endpgm
	.section	.rodata,"a",@progbits
	.p2align	6, 0x0
	.amdhsa_kernel _ZL22rocblas_gemvtsm_kernelILb0ELi256EPKffKPfEviiT2_lPKT1_lilS7_lilS4_lPT3_lil
		.amdhsa_group_segment_fixed_size 256
		.amdhsa_private_segment_fixed_size 0
		.amdhsa_kernarg_size 136
		.amdhsa_user_sgpr_count 2
		.amdhsa_user_sgpr_dispatch_ptr 0
		.amdhsa_user_sgpr_queue_ptr 0
		.amdhsa_user_sgpr_kernarg_segment_ptr 1
		.amdhsa_user_sgpr_dispatch_id 0
		.amdhsa_user_sgpr_private_segment_size 0
		.amdhsa_wavefront_size32 1
		.amdhsa_uses_dynamic_stack 0
		.amdhsa_enable_private_segment 0
		.amdhsa_system_sgpr_workgroup_id_x 1
		.amdhsa_system_sgpr_workgroup_id_y 0
		.amdhsa_system_sgpr_workgroup_id_z 0
		.amdhsa_system_sgpr_workgroup_info 0
		.amdhsa_system_vgpr_workitem_id 0
		.amdhsa_next_free_vgpr 26
		.amdhsa_next_free_sgpr 24
		.amdhsa_reserve_vcc 1
		.amdhsa_float_round_mode_32 0
		.amdhsa_float_round_mode_16_64 0
		.amdhsa_float_denorm_mode_32 3
		.amdhsa_float_denorm_mode_16_64 3
		.amdhsa_fp16_overflow 0
		.amdhsa_workgroup_processor_mode 1
		.amdhsa_memory_ordered 1
		.amdhsa_forward_progress 1
		.amdhsa_inst_pref_size 12
		.amdhsa_round_robin_scheduling 0
		.amdhsa_exception_fp_ieee_invalid_op 0
		.amdhsa_exception_fp_denorm_src 0
		.amdhsa_exception_fp_ieee_div_zero 0
		.amdhsa_exception_fp_ieee_overflow 0
		.amdhsa_exception_fp_ieee_underflow 0
		.amdhsa_exception_fp_ieee_inexact 0
		.amdhsa_exception_int_div_zero 0
	.end_amdhsa_kernel
	.section	.text._ZL22rocblas_gemvtsm_kernelILb0ELi256EPKffKPfEviiT2_lPKT1_lilS7_lilS4_lPT3_lil,"axG",@progbits,_ZL22rocblas_gemvtsm_kernelILb0ELi256EPKffKPfEviiT2_lPKT1_lilS7_lilS4_lPT3_lil,comdat
.Lfunc_end209:
	.size	_ZL22rocblas_gemvtsm_kernelILb0ELi256EPKffKPfEviiT2_lPKT1_lilS7_lilS4_lPT3_lil, .Lfunc_end209-_ZL22rocblas_gemvtsm_kernelILb0ELi256EPKffKPfEviiT2_lPKT1_lilS7_lilS4_lPT3_lil
                                        ; -- End function
	.set _ZL22rocblas_gemvtsm_kernelILb0ELi256EPKffKPfEviiT2_lPKT1_lilS7_lilS4_lPT3_lil.num_vgpr, 26
	.set _ZL22rocblas_gemvtsm_kernelILb0ELi256EPKffKPfEviiT2_lPKT1_lilS7_lilS4_lPT3_lil.num_agpr, 0
	.set _ZL22rocblas_gemvtsm_kernelILb0ELi256EPKffKPfEviiT2_lPKT1_lilS7_lilS4_lPT3_lil.numbered_sgpr, 24
	.set _ZL22rocblas_gemvtsm_kernelILb0ELi256EPKffKPfEviiT2_lPKT1_lilS7_lilS4_lPT3_lil.num_named_barrier, 0
	.set _ZL22rocblas_gemvtsm_kernelILb0ELi256EPKffKPfEviiT2_lPKT1_lilS7_lilS4_lPT3_lil.private_seg_size, 0
	.set _ZL22rocblas_gemvtsm_kernelILb0ELi256EPKffKPfEviiT2_lPKT1_lilS7_lilS4_lPT3_lil.uses_vcc, 1
	.set _ZL22rocblas_gemvtsm_kernelILb0ELi256EPKffKPfEviiT2_lPKT1_lilS7_lilS4_lPT3_lil.uses_flat_scratch, 1
	.set _ZL22rocblas_gemvtsm_kernelILb0ELi256EPKffKPfEviiT2_lPKT1_lilS7_lilS4_lPT3_lil.has_dyn_sized_stack, 0
	.set _ZL22rocblas_gemvtsm_kernelILb0ELi256EPKffKPfEviiT2_lPKT1_lilS7_lilS4_lPT3_lil.has_recursion, 0
	.set _ZL22rocblas_gemvtsm_kernelILb0ELi256EPKffKPfEviiT2_lPKT1_lilS7_lilS4_lPT3_lil.has_indirect_call, 0
	.section	.AMDGPU.csdata,"",@progbits
; Kernel info:
; codeLenInByte = 1532
; TotalNumSgprs: 26
; NumVgprs: 26
; ScratchSize: 0
; MemoryBound: 0
; FloatMode: 240
; IeeeMode: 1
; LDSByteSize: 256 bytes/workgroup (compile time only)
; SGPRBlocks: 0
; VGPRBlocks: 3
; NumSGPRsForWavesPerEU: 26
; NumVGPRsForWavesPerEU: 26
; Occupancy: 16
; WaveLimiterHint : 1
; COMPUTE_PGM_RSRC2:SCRATCH_EN: 0
; COMPUTE_PGM_RSRC2:USER_SGPR: 2
; COMPUTE_PGM_RSRC2:TRAP_HANDLER: 0
; COMPUTE_PGM_RSRC2:TGID_X_EN: 1
; COMPUTE_PGM_RSRC2:TGID_Y_EN: 0
; COMPUTE_PGM_RSRC2:TGID_Z_EN: 0
; COMPUTE_PGM_RSRC2:TIDIG_COMP_CNT: 0
	.section	.text._ZL23rocblas_gemvt_sn_kernelILb0ELi256ELi4EiPKfS1_fEviiT4_lPKT3_lilS5_lilPT5_i,"axG",@progbits,_ZL23rocblas_gemvt_sn_kernelILb0ELi256ELi4EiPKfS1_fEviiT4_lPKT3_lilS5_lilPT5_i,comdat
	.globl	_ZL23rocblas_gemvt_sn_kernelILb0ELi256ELi4EiPKfS1_fEviiT4_lPKT3_lilS5_lilPT5_i ; -- Begin function _ZL23rocblas_gemvt_sn_kernelILb0ELi256ELi4EiPKfS1_fEviiT4_lPKT3_lilS5_lilPT5_i
	.p2align	8
	.type	_ZL23rocblas_gemvt_sn_kernelILb0ELi256ELi4EiPKfS1_fEviiT4_lPKT3_lilS5_lilPT5_i,@function
_ZL23rocblas_gemvt_sn_kernelILb0ELi256ELi4EiPKfS1_fEviiT4_lPKT3_lilS5_lilPT5_i: ; @_ZL23rocblas_gemvt_sn_kernelILb0ELi256ELi4EiPKfS1_fEviiT4_lPKT3_lilS5_lilPT5_i
; %bb.0:
	s_load_b32 s33, s[0:1], 0x60
	s_lshr_b32 s10, ttmp7, 16
	s_wait_kmcnt 0x0
	s_cmp_ge_u32 s10, s33
	s_cbranch_scc1 .LBB210_87
; %bb.1:
	s_clause 0x6
	s_load_b64 s[26:27], s[0:1], 0x0
	s_load_b256 s[12:19], s[0:1], 0x8
	s_load_b32 s28, s[0:1], 0x68
	s_load_b32 s30, s[0:1], 0x28
	s_load_b128 s[20:23], s[0:1], 0x38
	s_load_b32 s66, s[0:1], 0x48
	s_load_b64 s[34:35], s[0:1], 0x58
	v_cmp_eq_u32_e64 s0, 0, v0
	v_and_b32_e32 v1, 31, v0
	v_cmp_gt_u32_e64 s1, 32, v0
	v_cmp_gt_u32_e64 s2, 8, v0
	v_lshrrev_b32_e32 v2, 3, v0
	s_mov_b32 s37, 0
	v_cmp_eq_u32_e64 s3, 0, v1
	s_mov_b32 s29, s37
	v_lshlrev_b32_e32 v29, 2, v1
	v_and_b32_e32 v30, 28, v2
	v_mbcnt_lo_u32_b32 v31, -1, 0
	s_mov_b32 s24, ttmp9
	s_mov_b32 s25, s37
	s_wait_kmcnt 0x0
	s_ashr_i32 s5, s27, 31
	s_cmp_gt_i32 s27, 0
	s_mov_b32 s4, s27
	s_cselect_b32 s6, -1, 0
	s_lshl_b32 s7, ttmp9, 10
	s_mul_u64 s[38:39], s[4:5], s[28:29]
	v_lshl_or_b32 v0, v0, 2, s7
	s_lshr_b32 s4, s5, 30
	s_ashr_i32 s5, s26, 31
	s_add_co_i32 s4, s27, s4
	s_lshr_b32 s5, s5, 30
	v_mul_lo_u32 v5, s66, v0
	s_add_co_i32 s5, s26, s5
	v_add_nc_u32_e32 v3, 4, v0
	s_and_b32 s68, s4, -4
	s_and_b32 s4, s5, -4
	s_and_b32 s67, s0, s6
	s_sub_co_i32 s69, s26, s4
	v_ashrrev_i32_e32 v1, 31, v0
	v_add_nc_u32_e32 v2, s66, v5
	v_cmp_ge_i32_e64 s4, s26, v3
	v_ashrrev_i32_e32 v6, 31, v5
	s_cmp_gt_i32 s68, 0
	v_add_nc_u32_e32 v4, s69, v0
	v_add_nc_u32_e32 v13, s66, v2
	v_ashrrev_i32_e32 v3, 31, v2
	s_cselect_b32 s70, -1, 0
	s_cmp_gt_i32 s69, 0
	v_lshlrev_b64_e32 v[7:8], 2, v[0:1]
	v_add_nc_u32_e32 v15, s66, v13
	v_ashrrev_i32_e32 v14, 31, v13
	s_cselect_b32 s71, -1, 0
	s_lshl_b32 s36, s30, 1
	v_lshlrev_b64_e32 v[9:10], 2, v[5:6]
	v_ashrrev_i32_e32 v16, 31, v15
	v_lshlrev_b64_e32 v[11:12], 2, v[2:3]
	v_lshlrev_b64_e32 v[13:14], 2, v[13:14]
	v_cmp_ge_i32_e64 s5, s26, v4
	v_mov_b32_e32 v0, 0
	v_lshlrev_b64_e32 v[15:16], 2, v[15:16]
	v_lshl_or_b32 v6, v31, 2, 64
	s_lshl_b64 s[40:41], s[24:25], 2
	s_mov_b64 s[50:51], s[36:37]
	s_mul_i32 s36, s30, 3
	s_add_nc_u64 s[42:43], s[34:35], s[40:41]
	s_lshl_b64 s[44:45], s[38:39], 2
	s_lshl_b64 s[46:47], s[28:29], 2
	s_mov_b32 s31, s37
	s_lshl_b32 s48, s30, 2
	s_mov_b32 s49, s37
	s_mov_b64 s[52:53], s[36:37]
	s_lshl_b64 s[18:19], s[18:19], 2
	s_lshl_b64 s[22:23], s[22:23], 2
	s_branch .LBB210_3
.LBB210_2:                              ;   in Loop: Header=BB210_3 Depth=1
	s_add_co_i32 s10, s10, 0x10000
	s_delay_alu instid0(SALU_CYCLE_1)
	s_cmp_lt_u32 s10, s33
	s_cbranch_scc0 .LBB210_87
.LBB210_3:                              ; =>This Loop Header: Depth=1
                                        ;     Child Loop BB210_10 Depth 2
                                        ;     Child Loop BB210_16 Depth 2
                                        ;       Child Loop BB210_47 Depth 3
                                        ;       Child Loop BB210_50 Depth 3
                                        ;     Child Loop BB210_66 Depth 2
                                        ;       Child Loop BB210_79 Depth 3
                                        ;       Child Loop BB210_82 Depth 3
	s_mov_b32 s11, s37
	v_mov_b32_e32 v17, 0
	s_mul_u64 s[6:7], s[14:15], s[10:11]
	v_dual_mov_b32 v18, 0 :: v_dual_mov_b32 v1, 0
	s_wait_alu 0xfffe
	s_lshl_b64 s[6:7], s[6:7], 2
	v_mov_b32_e32 v2, 0
	s_wait_alu 0xfffe
	s_add_nc_u64 s[6:7], s[12:13], s[6:7]
	global_load_b32 v32, v0, s[6:7]
	s_wait_loadcnt 0x0
	v_cmp_eq_f32_e64 s6, 0, v32
	v_cmp_neq_f32_e64 s7, 0, v32
	s_wait_alu 0xfffe
	s_and_b32 vcc_lo, exec_lo, s6
	s_wait_alu 0xfffe
	s_cbranch_vccnz .LBB210_5
; %bb.4:                                ;   in Loop: Header=BB210_3 Depth=1
	s_lshl_b64 s[8:9], s[10:11], 3
	s_wait_alu 0xfffe
	s_add_nc_u64 s[8:9], s[16:17], s[8:9]
	global_load_b64 v[1:2], v0, s[8:9]
	s_wait_loadcnt 0x0
	v_add_co_u32 v1, vcc_lo, v1, s18
	s_wait_alu 0xfffd
	v_add_co_ci_u32_e64 v2, null, s19, v2, vcc_lo
.LBB210_5:                              ;   in Loop: Header=BB210_3 Depth=1
	s_and_not1_b32 vcc_lo, exec_lo, s7
	s_wait_alu 0xfffe
	s_cbranch_vccnz .LBB210_7
; %bb.6:                                ;   in Loop: Header=BB210_3 Depth=1
	s_lshl_b64 s[8:9], s[10:11], 3
	s_wait_alu 0xfffe
	s_add_nc_u64 s[8:9], s[20:21], s[8:9]
	global_load_b64 v[3:4], v0, s[8:9]
	s_wait_loadcnt 0x0
	v_add_co_u32 v17, vcc_lo, v3, s22
	s_wait_alu 0xfffd
	v_add_co_ci_u32_e64 v18, null, s23, v4, vcc_lo
.LBB210_7:                              ;   in Loop: Header=BB210_3 Depth=1
	s_and_not1_b32 vcc_lo, exec_lo, s6
	s_mov_b32 s6, -1
	s_wait_alu 0xfffe
	s_cbranch_vccnz .LBB210_12
; %bb.8:                                ;   in Loop: Header=BB210_3 Depth=1
	s_and_saveexec_b32 s8, s67
	s_cbranch_execz .LBB210_11
; %bb.9:                                ;   in Loop: Header=BB210_3 Depth=1
	s_mul_u64 s[6:7], s[44:45], s[10:11]
	s_mov_b32 s9, s27
	s_wait_alu 0xfffe
	s_add_nc_u64 s[6:7], s[42:43], s[6:7]
.LBB210_10:                             ;   Parent Loop BB210_3 Depth=1
                                        ; =>  This Inner Loop Header: Depth=2
	s_add_co_i32 s9, s9, -1
	global_store_b32 v0, v0, s[6:7]
	s_wait_alu 0xfffe
	s_cmp_eq_u32 s9, 0
	s_add_nc_u64 s[6:7], s[6:7], s[46:47]
	s_cbranch_scc0 .LBB210_10
.LBB210_11:                             ;   in Loop: Header=BB210_3 Depth=1
	s_wait_alu 0xfffe
	s_or_b32 exec_lo, exec_lo, s8
	s_mov_b32 s6, 0
.LBB210_12:                             ;   in Loop: Header=BB210_3 Depth=1
	s_wait_alu 0xfffe
	s_and_not1_b32 vcc_lo, exec_lo, s6
	s_wait_alu 0xfffe
	s_cbranch_vccnz .LBB210_2
; %bb.13:                               ;   in Loop: Header=BB210_3 Depth=1
	v_add_co_u32 v33, vcc_lo, v1, v7
	s_mul_u64 s[54:55], s[38:39], s[10:11]
	s_wait_alu 0xfffd
	v_add_co_ci_u32_e64 v34, null, v2, v8, vcc_lo
	v_cmp_gt_u32_e64 s9, 24, v31
	v_cmp_gt_u32_e64 s8, 28, v31
	;; [unrolled: 1-line block ×3, first 2 shown]
	v_cmp_ne_u32_e64 s6, 31, v31
	s_lshl_b64 s[54:55], s[54:55], 2
	s_and_not1_b32 vcc_lo, exec_lo, s70
	s_add_nc_u64 s[54:55], s[34:35], s[54:55]
	s_wait_alu 0xfffe
	s_cbranch_vccnz .LBB210_62
; %bb.14:                               ;   in Loop: Header=BB210_3 Depth=1
	s_wait_alu 0xf1ff
	v_cndmask_b32_e64 v2, 0, 4, s8
	v_cndmask_b32_e64 v3, 0, 2, s7
	v_add_co_u32 v19, vcc_lo, v17, v9
	v_cndmask_b32_e64 v1, 0, 8, s9
	v_add_co_ci_u32_e64 v4, null, 0, v31, s6
	v_add_lshl_u32 v36, v2, v31, 2
	v_add_lshl_u32 v37, v3, v31, 2
	s_wait_alu 0xfffd
	v_add_co_ci_u32_e64 v20, null, v18, v10, vcc_lo
	v_add_co_u32 v21, vcc_lo, v17, v11
	v_dual_mov_b32 v2, v0 :: v_dual_mov_b32 v3, v0
	s_wait_alu 0xfffd
	v_add_co_ci_u32_e64 v22, null, v18, v12, vcc_lo
	v_add_co_u32 v23, vcc_lo, v17, v13
	v_add_lshl_u32 v35, v1, v31, 2
	v_dual_mov_b32 v1, v0 :: v_dual_lshlrev_b32 v38, 2, v4
	s_wait_alu 0xfffd
	v_add_co_ci_u32_e64 v24, null, v18, v14, vcc_lo
	v_add_co_u32 v25, vcc_lo, v17, v15
	v_mov_b32_e32 v4, v3
	s_wait_alu 0xfffd
	v_add_co_ci_u32_e64 v26, null, v18, v16, vcc_lo
	v_mov_b32_e32 v3, v2
	v_mov_b32_e32 v2, v1
	;; [unrolled: 1-line block ×3, first 2 shown]
	s_mov_b32 s56, 0
	s_mov_b64 s[58:59], s[52:53]
	s_mov_b64 s[60:61], s[50:51]
	;; [unrolled: 1-line block ×3, first 2 shown]
	s_mov_b32 s11, 0
	s_branch .LBB210_16
.LBB210_15:                             ;   in Loop: Header=BB210_16 Depth=2
	s_wait_alu 0xfffe
	s_or_b32 exec_lo, exec_lo, s6
	s_add_co_i32 s11, s11, 4
	s_add_co_i32 s56, s56, s48
	s_add_nc_u64 s[62:63], s[62:63], s[48:49]
	s_add_nc_u64 s[60:61], s[60:61], s[48:49]
	s_cmp_ge_i32 s11, s68
	s_add_nc_u64 s[58:59], s[58:59], s[48:49]
	s_cbranch_scc1 .LBB210_63
.LBB210_16:                             ;   Parent Loop BB210_3 Depth=1
                                        ; =>  This Loop Header: Depth=2
                                        ;       Child Loop BB210_47 Depth 3
                                        ;       Child Loop BB210_50 Depth 3
                                        ; implicit-def: $vgpr39
                                        ; implicit-def: $vgpr40
                                        ; implicit-def: $vgpr41
                                        ; implicit-def: $vgpr42
	s_and_saveexec_b32 s6, s4
	s_wait_alu 0xfffe
	s_xor_b32 s6, exec_lo, s6
	s_cbranch_execnz .LBB210_43
; %bb.17:                               ;   in Loop: Header=BB210_16 Depth=2
	s_wait_alu 0xfffe
	s_and_not1_saveexec_b32 s25, s6
	s_cbranch_execnz .LBB210_44
.LBB210_18:                             ;   in Loop: Header=BB210_16 Depth=2
	s_or_b32 exec_lo, exec_lo, s25
	s_and_saveexec_b32 s6, s1
.LBB210_19:                             ;   in Loop: Header=BB210_16 Depth=2
	ds_store_b32 v29, v0
.LBB210_20:                             ;   in Loop: Header=BB210_16 Depth=2
	s_wait_alu 0xfffe
	s_or_b32 exec_lo, exec_lo, s6
	s_wait_dscnt 0x0
	ds_bpermute_b32 v27, v6, v42
	s_wait_storecnt_dscnt 0x0
	s_barrier_signal -1
	s_barrier_wait -1
	global_inv scope:SCOPE_SE
	v_add_f32_e32 v27, v42, v27
	ds_bpermute_b32 v28, v35, v27
	s_wait_dscnt 0x0
	v_add_f32_e32 v27, v27, v28
	ds_bpermute_b32 v28, v36, v27
	s_wait_dscnt 0x0
	v_add_f32_e32 v27, v27, v28
	ds_bpermute_b32 v28, v37, v27
	s_wait_dscnt 0x0
	v_add_f32_e32 v27, v27, v28
	ds_bpermute_b32 v28, v38, v27
	s_and_saveexec_b32 s6, s3
	s_cbranch_execz .LBB210_22
; %bb.21:                               ;   in Loop: Header=BB210_16 Depth=2
	s_wait_dscnt 0x0
	v_add_f32_e32 v27, v27, v28
	ds_store_b32 v30, v27
.LBB210_22:                             ;   in Loop: Header=BB210_16 Depth=2
	s_wait_alu 0xfffe
	s_or_b32 exec_lo, exec_lo, s6
	v_mov_b32_e32 v27, 0
	s_wait_loadcnt_dscnt 0x0
	s_barrier_signal -1
	s_barrier_wait -1
	global_inv scope:SCOPE_SE
	s_and_saveexec_b32 s6, s2
	s_cbranch_execnz .LBB210_51
; %bb.23:                               ;   in Loop: Header=BB210_16 Depth=2
	s_wait_alu 0xfffe
	s_or_b32 exec_lo, exec_lo, s6
	s_and_saveexec_b32 s6, s1
	s_cbranch_execnz .LBB210_52
.LBB210_24:                             ;   in Loop: Header=BB210_16 Depth=2
	s_wait_alu 0xfffe
	s_or_b32 exec_lo, exec_lo, s6
	s_and_saveexec_b32 s6, s1
.LBB210_25:                             ;   in Loop: Header=BB210_16 Depth=2
	ds_store_b32 v29, v0
.LBB210_26:                             ;   in Loop: Header=BB210_16 Depth=2
	s_wait_alu 0xfffe
	s_or_b32 exec_lo, exec_lo, s6
	ds_bpermute_b32 v28, v6, v41
	s_wait_loadcnt_dscnt 0x0
	s_barrier_signal -1
	s_barrier_wait -1
	global_inv scope:SCOPE_SE
	v_add_f32_e32 v28, v41, v28
	ds_bpermute_b32 v41, v35, v28
	s_wait_dscnt 0x0
	v_add_f32_e32 v28, v28, v41
	ds_bpermute_b32 v41, v36, v28
	s_wait_dscnt 0x0
	;; [unrolled: 3-line block ×3, first 2 shown]
	v_add_f32_e32 v28, v28, v41
	ds_bpermute_b32 v41, v38, v28
	s_and_saveexec_b32 s6, s3
	s_cbranch_execz .LBB210_28
; %bb.27:                               ;   in Loop: Header=BB210_16 Depth=2
	s_wait_dscnt 0x0
	v_add_f32_e32 v28, v28, v41
	ds_store_b32 v30, v28
.LBB210_28:                             ;   in Loop: Header=BB210_16 Depth=2
	s_wait_alu 0xfffe
	s_or_b32 exec_lo, exec_lo, s6
	v_mov_b32_e32 v28, 0
	s_wait_loadcnt_dscnt 0x0
	s_barrier_signal -1
	s_barrier_wait -1
	global_inv scope:SCOPE_SE
	s_and_saveexec_b32 s6, s2
	s_cbranch_execnz .LBB210_53
; %bb.29:                               ;   in Loop: Header=BB210_16 Depth=2
	s_wait_alu 0xfffe
	s_or_b32 exec_lo, exec_lo, s6
	s_and_saveexec_b32 s6, s1
	s_cbranch_execnz .LBB210_54
.LBB210_30:                             ;   in Loop: Header=BB210_16 Depth=2
	s_wait_alu 0xfffe
	s_or_b32 exec_lo, exec_lo, s6
	s_and_saveexec_b32 s6, s1
.LBB210_31:                             ;   in Loop: Header=BB210_16 Depth=2
	ds_store_b32 v29, v0
.LBB210_32:                             ;   in Loop: Header=BB210_16 Depth=2
	s_wait_alu 0xfffe
	s_or_b32 exec_lo, exec_lo, s6
	ds_bpermute_b32 v41, v6, v40
	s_wait_loadcnt_dscnt 0x0
	s_barrier_signal -1
	s_barrier_wait -1
	global_inv scope:SCOPE_SE
	v_add_f32_e32 v40, v40, v41
	ds_bpermute_b32 v41, v35, v40
	s_wait_dscnt 0x0
	v_add_f32_e32 v40, v40, v41
	ds_bpermute_b32 v41, v36, v40
	s_wait_dscnt 0x0
	v_add_f32_e32 v40, v40, v41
	ds_bpermute_b32 v41, v37, v40
	s_wait_dscnt 0x0
	v_add_f32_e32 v40, v40, v41
	ds_bpermute_b32 v41, v38, v40
	s_and_saveexec_b32 s6, s3
	s_cbranch_execz .LBB210_34
; %bb.33:                               ;   in Loop: Header=BB210_16 Depth=2
	s_wait_dscnt 0x0
	v_add_f32_e32 v40, v40, v41
	ds_store_b32 v30, v40
.LBB210_34:                             ;   in Loop: Header=BB210_16 Depth=2
	s_wait_alu 0xfffe
	s_or_b32 exec_lo, exec_lo, s6
	v_mov_b32_e32 v40, 0
	s_wait_loadcnt_dscnt 0x0
	s_barrier_signal -1
	s_barrier_wait -1
	global_inv scope:SCOPE_SE
	s_and_saveexec_b32 s6, s2
	s_cbranch_execnz .LBB210_55
; %bb.35:                               ;   in Loop: Header=BB210_16 Depth=2
	s_wait_alu 0xfffe
	s_or_b32 exec_lo, exec_lo, s6
	s_and_saveexec_b32 s6, s1
	s_cbranch_execnz .LBB210_56
.LBB210_36:                             ;   in Loop: Header=BB210_16 Depth=2
	s_wait_alu 0xfffe
	s_or_b32 exec_lo, exec_lo, s6
	s_and_saveexec_b32 s6, s1
.LBB210_37:                             ;   in Loop: Header=BB210_16 Depth=2
	ds_store_b32 v29, v0
.LBB210_38:                             ;   in Loop: Header=BB210_16 Depth=2
	s_wait_alu 0xfffe
	s_or_b32 exec_lo, exec_lo, s6
	ds_bpermute_b32 v41, v6, v39
	s_wait_loadcnt_dscnt 0x0
	s_barrier_signal -1
	s_barrier_wait -1
	global_inv scope:SCOPE_SE
	v_add_f32_e32 v39, v39, v41
	ds_bpermute_b32 v41, v35, v39
	s_wait_dscnt 0x0
	v_add_f32_e32 v39, v39, v41
	ds_bpermute_b32 v41, v36, v39
	s_wait_dscnt 0x0
	;; [unrolled: 3-line block ×3, first 2 shown]
	v_add_f32_e32 v39, v39, v41
	ds_bpermute_b32 v41, v38, v39
	s_and_saveexec_b32 s6, s3
	s_cbranch_execz .LBB210_40
; %bb.39:                               ;   in Loop: Header=BB210_16 Depth=2
	s_wait_dscnt 0x0
	v_add_f32_e32 v39, v39, v41
	ds_store_b32 v30, v39
.LBB210_40:                             ;   in Loop: Header=BB210_16 Depth=2
	s_wait_alu 0xfffe
	s_or_b32 exec_lo, exec_lo, s6
	v_mov_b32_e32 v39, 0
	s_wait_loadcnt_dscnt 0x0
	s_barrier_signal -1
	s_barrier_wait -1
	global_inv scope:SCOPE_SE
	s_and_saveexec_b32 s6, s2
	s_cbranch_execnz .LBB210_57
; %bb.41:                               ;   in Loop: Header=BB210_16 Depth=2
	s_wait_alu 0xfffe
	s_or_b32 exec_lo, exec_lo, s6
	s_and_saveexec_b32 s6, s1
	s_cbranch_execnz .LBB210_58
.LBB210_42:                             ;   in Loop: Header=BB210_16 Depth=2
	s_wait_alu 0xfffe
	s_or_b32 exec_lo, exec_lo, s6
	s_and_saveexec_b32 s6, s0
	s_cbranch_execz .LBB210_15
	s_branch .LBB210_59
.LBB210_43:                             ;   in Loop: Header=BB210_16 Depth=2
	s_mul_i32 s8, s11, s30
	s_wait_alu 0xfffe
	s_ashr_i32 s9, s8, 31
	s_add_co_i32 s64, s8, s30
	s_wait_alu 0xfffe
	s_lshl_b64 s[8:9], s[8:9], 2
	s_ashr_i32 s65, s64, 31
	s_wait_alu 0xfffe
	v_add_co_u32 v2, vcc_lo, v33, s8
	s_wait_alu 0xfffd
	v_add_co_ci_u32_e64 v3, null, s9, v34, vcc_lo
	s_lshl_b64 s[8:9], s[64:65], 2
	s_add_co_i32 s64, s64, s30
	s_wait_dscnt 0x0
	s_wait_alu 0xfffe
	v_add_co_u32 v27, vcc_lo, v33, s8
	s_ashr_i32 s65, s64, 31
	s_add_co_i32 s8, s64, s30
	s_wait_alu 0xfffd
	v_add_co_ci_u32_e64 v28, null, s9, v34, vcc_lo
	s_wait_alu 0xfffe
	s_lshl_b64 s[64:65], s[64:65], 2
	s_ashr_i32 s9, s8, 31
	s_wait_alu 0xfffe
	v_add_co_u32 v39, vcc_lo, v33, s64
	s_lshl_b64 s[8:9], s[8:9], 2
	s_wait_alu 0xfffd
	v_add_co_ci_u32_e64 v40, null, s65, v34, vcc_lo
	s_wait_alu 0xfffe
	v_add_co_u32 v54, vcc_lo, v33, s8
	s_wait_alu 0xfffd
	v_add_co_ci_u32_e64 v55, null, s9, v34, vcc_lo
	flat_load_b32 v1, v[19:20]
	s_clause 0x3
	flat_load_b128 v[42:45], v[2:3]
	flat_load_b128 v[46:49], v[27:28]
	;; [unrolled: 1-line block ×4, first 2 shown]
	s_clause 0x2
	flat_load_b32 v2, v[21:22]
	flat_load_b32 v3, v[23:24]
	;; [unrolled: 1-line block ×3, first 2 shown]
	s_wait_loadcnt_dscnt 0x606
	v_fma_f32 v42, v1, v42, 0
	s_wait_loadcnt_dscnt 0x505
	v_fma_f32 v41, v1, v46, 0
	s_wait_loadcnt_dscnt 0x404
	v_fma_f32 v40, v1, v50, 0
	s_wait_loadcnt_dscnt 0x303
	v_fma_f32 v39, v1, v54, 0
	s_wait_loadcnt_dscnt 0x202
	v_fmac_f32_e32 v41, v2, v47
	v_fmac_f32_e32 v42, v2, v43
	s_delay_alu instid0(VALU_DEP_3) | instskip(SKIP_1) | instid1(VALU_DEP_3)
	v_fmac_f32_e32 v39, v2, v55
	s_wait_loadcnt_dscnt 0x101
	v_dual_fmac_f32 v40, v2, v51 :: v_dual_fmac_f32 v41, v3, v48
	s_delay_alu instid0(VALU_DEP_3) | instskip(NEXT) | instid1(VALU_DEP_3)
	v_fmac_f32_e32 v42, v3, v44
	v_fmac_f32_e32 v39, v3, v56
	s_wait_loadcnt_dscnt 0x0
	s_delay_alu instid0(VALU_DEP_3) | instskip(NEXT) | instid1(VALU_DEP_3)
	v_dual_fmac_f32 v40, v3, v52 :: v_dual_fmac_f32 v41, v4, v49
	v_fmac_f32_e32 v42, v4, v45
	s_delay_alu instid0(VALU_DEP_3) | instskip(NEXT) | instid1(VALU_DEP_3)
	v_fmac_f32_e32 v39, v4, v57
	v_fmac_f32_e32 v40, v4, v53
	s_and_not1_saveexec_b32 s25, s6
	s_cbranch_execz .LBB210_18
.LBB210_44:                             ;   in Loop: Header=BB210_16 Depth=2
	s_wait_dscnt 0x0
	v_dual_mov_b32 v39, 0 :: v_dual_mov_b32 v40, 0
	v_dual_mov_b32 v41, 0 :: v_dual_mov_b32 v42, 0
	s_and_saveexec_b32 s26, s5
	s_cbranch_execz .LBB210_61
; %bb.45:                               ;   in Loop: Header=BB210_16 Depth=2
	s_and_not1_b32 vcc_lo, exec_lo, s71
	s_wait_alu 0xfffe
	s_cbranch_vccnz .LBB210_48
; %bb.46:                               ;   in Loop: Header=BB210_16 Depth=2
	v_mov_b32_e32 v27, v5
	s_mov_b64 s[64:65], 0
.LBB210_47:                             ;   Parent Loop BB210_3 Depth=1
                                        ;     Parent Loop BB210_16 Depth=2
                                        ; =>    This Inner Loop Header: Depth=3
	s_delay_alu instid0(VALU_DEP_1) | instskip(SKIP_2) | instid1(VALU_DEP_1)
	v_ashrrev_i32_e32 v28, 31, v27
	s_wait_alu 0xfffe
	s_cmp_eq_u32 s64, 3
	v_lshlrev_b64_e32 v[39:40], 2, v[27:28]
	s_delay_alu instid0(VALU_DEP_1) | instskip(SKIP_1) | instid1(VALU_DEP_2)
	v_add_co_u32 v39, vcc_lo, v17, v39
	s_wait_alu 0xfffd
	v_add_co_ci_u32_e64 v40, null, v18, v40, vcc_lo
	s_cselect_b32 vcc_lo, -1, 0
	s_cmp_eq_u32 s64, 2
	s_cselect_b32 s6, -1, 0
	flat_load_b32 v28, v[39:40]
	s_cmp_eq_u32 s64, 1
	v_add_nc_u32_e32 v27, s66, v27
	s_cselect_b32 s7, -1, 0
	s_cmp_eq_u32 s64, 0
	s_add_nc_u64 s[64:65], s[64:65], 1
	s_cselect_b32 s8, -1, 0
	s_wait_alu 0xfffe
	s_cmp_eq_u32 s69, s64
	s_wait_loadcnt_dscnt 0x0
	v_cndmask_b32_e32 v4, v4, v28, vcc_lo
	v_cndmask_b32_e64 v3, v3, v28, s6
	v_cndmask_b32_e64 v2, v2, v28, s7
	;; [unrolled: 1-line block ×3, first 2 shown]
	s_cbranch_scc0 .LBB210_47
.LBB210_48:                             ;   in Loop: Header=BB210_16 Depth=2
	s_and_not1_b32 vcc_lo, exec_lo, s71
	s_wait_alu 0xfffe
	s_cbranch_vccnz .LBB210_60
; %bb.49:                               ;   in Loop: Header=BB210_16 Depth=2
	s_ashr_i32 s57, s56, 31
	v_dual_mov_b32 v42, 0 :: v_dual_mov_b32 v41, 0
	s_lshl_b64 s[6:7], s[56:57], 2
	v_dual_mov_b32 v40, 0 :: v_dual_mov_b32 v39, 0
	s_wait_alu 0xfffe
	v_add_co_u32 v27, vcc_lo, v33, s6
	s_wait_alu 0xfffd
	v_add_co_ci_u32_e64 v28, null, s7, v34, vcc_lo
	s_mov_b64 s[8:9], 0
.LBB210_50:                             ;   Parent Loop BB210_3 Depth=1
                                        ;     Parent Loop BB210_16 Depth=2
                                        ; =>    This Inner Loop Header: Depth=3
	s_wait_alu 0xfffe
	s_cmp_eq_u32 s8, 1
	s_cselect_b32 vcc_lo, -1, 0
	s_cmp_eq_u32 s8, 2
	s_wait_alu 0xfffe
	v_cndmask_b32_e32 v43, v1, v2, vcc_lo
	s_cselect_b32 vcc_lo, -1, 0
	s_cmp_eq_u32 s8, 3
	s_wait_alu 0xfffe
	s_delay_alu instid0(VALU_DEP_1)
	v_cndmask_b32_e32 v49, v43, v3, vcc_lo
	s_cselect_b32 vcc_lo, -1, 0
	s_add_co_i32 s6, s62, s8
	s_add_co_i32 s64, s60, s8
	s_wait_alu 0xfffe
	s_ashr_i32 s7, s6, 31
	s_add_co_i32 s72, s58, s8
	s_ashr_i32 s65, s64, 31
	s_wait_alu 0xfffe
	s_lshl_b64 s[6:7], s[6:7], 2
	s_ashr_i32 s73, s72, 31
	s_lshl_b64 s[64:65], s[64:65], 2
	s_wait_alu 0xfffe
	v_add_co_u32 v43, s6, v33, s6
	s_lshl_b64 s[72:73], s[72:73], 2
	v_add_co_ci_u32_e64 v44, null, s7, v34, s6
	v_add_co_u32 v45, s6, v33, s64
	s_wait_alu 0xf1ff
	v_add_co_ci_u32_e64 v46, null, s65, v34, s6
	s_wait_alu 0xfffe
	v_add_co_u32 v47, s6, v33, s72
	s_wait_alu 0xf1ff
	v_add_co_ci_u32_e64 v48, null, s73, v34, s6
	flat_load_b32 v50, v[27:28]
	s_clause 0x2
	flat_load_b32 v43, v[43:44]
	flat_load_b32 v44, v[45:46]
	;; [unrolled: 1-line block ×3, first 2 shown]
	v_cndmask_b32_e32 v46, v49, v4, vcc_lo
	v_add_co_u32 v27, s6, v27, 4
	s_wait_alu 0xf1ff
	v_add_co_ci_u32_e64 v28, null, 0, v28, s6
	s_add_nc_u64 s[8:9], s[8:9], 1
	s_wait_alu 0xfffe
	s_cmp_lg_u32 s69, s8
	s_wait_loadcnt_dscnt 0x303
	v_fmac_f32_e32 v42, v46, v50
	s_wait_loadcnt_dscnt 0x202
	v_fmac_f32_e32 v41, v46, v43
	;; [unrolled: 2-line block ×4, first 2 shown]
	s_cbranch_scc1 .LBB210_50
	s_branch .LBB210_61
.LBB210_51:                             ;   in Loop: Header=BB210_16 Depth=2
	ds_load_b32 v27, v29
	s_wait_alu 0xfffe
	s_or_b32 exec_lo, exec_lo, s6
	s_and_saveexec_b32 s6, s1
	s_cbranch_execz .LBB210_24
.LBB210_52:                             ;   in Loop: Header=BB210_16 Depth=2
	s_wait_dscnt 0x0
	ds_bpermute_b32 v28, v36, v27
	s_wait_dscnt 0x0
	v_add_f32_e32 v27, v27, v28
	ds_bpermute_b32 v28, v37, v27
	s_wait_dscnt 0x0
	v_add_f32_e32 v27, v27, v28
	;; [unrolled: 3-line block ×3, first 2 shown]
	s_wait_alu 0xfffe
	s_or_b32 exec_lo, exec_lo, s6
	s_and_saveexec_b32 s6, s1
	s_cbranch_execnz .LBB210_25
	s_branch .LBB210_26
.LBB210_53:                             ;   in Loop: Header=BB210_16 Depth=2
	ds_load_b32 v28, v29
	s_wait_alu 0xfffe
	s_or_b32 exec_lo, exec_lo, s6
	s_and_saveexec_b32 s6, s1
	s_cbranch_execz .LBB210_30
.LBB210_54:                             ;   in Loop: Header=BB210_16 Depth=2
	s_wait_dscnt 0x0
	ds_bpermute_b32 v41, v36, v28
	s_wait_dscnt 0x0
	v_add_f32_e32 v28, v28, v41
	ds_bpermute_b32 v41, v37, v28
	s_wait_dscnt 0x0
	v_add_f32_e32 v28, v28, v41
	ds_bpermute_b32 v41, v38, v28
	s_wait_dscnt 0x0
	v_add_f32_e32 v28, v28, v41
	s_wait_alu 0xfffe
	s_or_b32 exec_lo, exec_lo, s6
	s_and_saveexec_b32 s6, s1
	s_cbranch_execnz .LBB210_31
	s_branch .LBB210_32
.LBB210_55:                             ;   in Loop: Header=BB210_16 Depth=2
	ds_load_b32 v40, v29
	s_wait_alu 0xfffe
	s_or_b32 exec_lo, exec_lo, s6
	s_and_saveexec_b32 s6, s1
	s_cbranch_execz .LBB210_36
.LBB210_56:                             ;   in Loop: Header=BB210_16 Depth=2
	s_wait_dscnt 0x0
	ds_bpermute_b32 v41, v36, v40
	s_wait_dscnt 0x0
	v_add_f32_e32 v40, v40, v41
	ds_bpermute_b32 v41, v37, v40
	s_wait_dscnt 0x0
	v_add_f32_e32 v40, v40, v41
	;; [unrolled: 3-line block ×3, first 2 shown]
	s_wait_alu 0xfffe
	s_or_b32 exec_lo, exec_lo, s6
	s_and_saveexec_b32 s6, s1
	s_cbranch_execnz .LBB210_37
	s_branch .LBB210_38
.LBB210_57:                             ;   in Loop: Header=BB210_16 Depth=2
	ds_load_b32 v39, v29
	s_wait_alu 0xfffe
	s_or_b32 exec_lo, exec_lo, s6
	s_and_saveexec_b32 s6, s1
	s_cbranch_execz .LBB210_42
.LBB210_58:                             ;   in Loop: Header=BB210_16 Depth=2
	s_wait_dscnt 0x0
	ds_bpermute_b32 v41, v36, v39
	s_wait_dscnt 0x0
	v_add_f32_e32 v39, v39, v41
	ds_bpermute_b32 v41, v37, v39
	s_wait_dscnt 0x0
	v_add_f32_e32 v39, v39, v41
	;; [unrolled: 3-line block ×3, first 2 shown]
	s_wait_alu 0xfffe
	s_or_b32 exec_lo, exec_lo, s6
	s_and_saveexec_b32 s6, s0
	s_cbranch_execz .LBB210_15
.LBB210_59:                             ;   in Loop: Header=BB210_16 Depth=2
	s_mul_i32 s7, s11, s28
	v_mul_f32_e32 v27, v32, v27
	s_wait_alu 0xfffe
	s_add_co_i32 s36, s7, s24
	v_mul_f32_e32 v28, v32, v28
	s_wait_alu 0xfffe
	s_lshl_b64 s[8:9], s[36:37], 2
	s_add_co_i32 s36, s36, s28
	s_wait_alu 0xfffe
	s_add_nc_u64 s[8:9], s[54:55], s[8:9]
	s_lshl_b64 s[64:65], s[36:37], 2
	s_add_co_i32 s36, s36, s28
	s_wait_alu 0xfffe
	s_add_nc_u64 s[64:65], s[54:55], s[64:65]
	s_clause 0x1
	global_store_b32 v0, v27, s[8:9]
	global_store_b32 v0, v28, s[64:65]
	v_mul_f32_e32 v27, v32, v40
	s_lshl_b64 s[8:9], s[36:37], 2
	s_add_co_i32 s36, s36, s28
	s_wait_dscnt 0x0
	v_mul_f32_e32 v28, v32, v39
	s_wait_alu 0xfffe
	s_lshl_b64 s[64:65], s[36:37], 2
	s_add_nc_u64 s[8:9], s[54:55], s[8:9]
	s_wait_alu 0xfffe
	s_add_nc_u64 s[64:65], s[54:55], s[64:65]
	s_clause 0x1
	global_store_b32 v0, v27, s[8:9]
	global_store_b32 v0, v28, s[64:65]
	s_branch .LBB210_15
.LBB210_60:                             ;   in Loop: Header=BB210_16 Depth=2
	v_dual_mov_b32 v39, 0 :: v_dual_mov_b32 v40, 0
	v_dual_mov_b32 v41, 0 :: v_dual_mov_b32 v42, 0
.LBB210_61:                             ;   in Loop: Header=BB210_16 Depth=2
	s_wait_alu 0xfffe
	s_or_b32 exec_lo, exec_lo, s26
	s_delay_alu instid0(SALU_CYCLE_1)
	s_or_b32 exec_lo, exec_lo, s25
	s_and_saveexec_b32 s6, s1
	s_cbranch_execnz .LBB210_19
	s_branch .LBB210_20
.LBB210_62:                             ;   in Loop: Header=BB210_3 Depth=1
	v_mov_b32_e32 v3, v0
	v_dual_mov_b32 v1, v0 :: v_dual_mov_b32 v2, v0
	s_mov_b32 s11, 0
	s_delay_alu instid0(VALU_DEP_2) | instskip(NEXT) | instid1(VALU_DEP_2)
	v_mov_b32_e32 v4, v3
	v_mov_b32_e32 v3, v2
	s_delay_alu instid0(VALU_DEP_3)
	v_mov_b32_e32 v2, v1
	v_mov_b32_e32 v1, v0
.LBB210_63:                             ;   in Loop: Header=BB210_3 Depth=1
	s_cmp_ge_i32 s11, s27
	s_cbranch_scc1 .LBB210_2
; %bb.64:                               ;   in Loop: Header=BB210_3 Depth=1
	v_cmp_gt_u32_e32 vcc_lo, 24, v31
	s_add_nc_u64 s[54:55], s[54:55], s[40:41]
	s_mul_i32 s56, s30, s11
	s_mov_b32 s36, s11
	s_wait_alu 0xfffd
	v_cndmask_b32_e64 v19, 0, 8, vcc_lo
	v_cmp_gt_u32_e32 vcc_lo, 28, v31
	s_delay_alu instid0(VALU_DEP_2) | instskip(SKIP_3) | instid1(VALU_DEP_2)
	v_add_lshl_u32 v35, v19, v31, 2
	s_wait_alu 0xfffd
	v_cndmask_b32_e64 v20, 0, 4, vcc_lo
	v_cmp_gt_u32_e32 vcc_lo, 30, v31
	v_add_lshl_u32 v36, v20, v31, 2
	s_wait_alu 0xfffd
	v_cndmask_b32_e64 v21, 0, 2, vcc_lo
	v_cmp_ne_u32_e32 vcc_lo, 31, v31
	s_delay_alu instid0(VALU_DEP_2)
	v_add_lshl_u32 v37, v21, v31, 2
	s_wait_alu 0xfffd
	v_add_co_ci_u32_e64 v22, null, 0, v31, vcc_lo
	v_add_co_u32 v19, vcc_lo, v17, v9
	s_wait_alu 0xfffd
	v_add_co_ci_u32_e64 v20, null, v18, v10, vcc_lo
	v_add_co_u32 v21, vcc_lo, v17, v11
	v_lshlrev_b32_e32 v38, 2, v22
	s_wait_alu 0xfffd
	v_add_co_ci_u32_e64 v22, null, v18, v12, vcc_lo
	v_add_co_u32 v23, vcc_lo, v17, v13
	s_wait_alu 0xfffd
	v_add_co_ci_u32_e64 v24, null, v18, v14, vcc_lo
	v_add_co_u32 v25, vcc_lo, v17, v15
	s_wait_alu 0xfffd
	v_add_co_ci_u32_e64 v26, null, v18, v16, vcc_lo
	s_branch .LBB210_66
.LBB210_65:                             ;   in Loop: Header=BB210_66 Depth=2
	s_wait_alu 0xfffe
	s_or_b32 exec_lo, exec_lo, s6
	s_add_co_i32 s36, s36, 1
	s_add_co_i32 s56, s56, s30
	s_wait_alu 0xfffe
	s_cmp_ge_i32 s36, s27
	s_cbranch_scc1 .LBB210_2
.LBB210_66:                             ;   Parent Loop BB210_3 Depth=1
                                        ; =>  This Loop Header: Depth=2
                                        ;       Child Loop BB210_79 Depth 3
                                        ;       Child Loop BB210_82 Depth 3
	s_wait_dscnt 0x0
	v_mov_b32_e32 v39, s37
	s_and_saveexec_b32 s6, s4
	s_wait_alu 0xfffe
	s_xor_b32 s6, exec_lo, s6
	s_cbranch_execnz .LBB210_75
; %bb.67:                               ;   in Loop: Header=BB210_66 Depth=2
	s_wait_alu 0xfffe
	s_and_not1_saveexec_b32 s9, s6
	s_cbranch_execnz .LBB210_76
.LBB210_68:                             ;   in Loop: Header=BB210_66 Depth=2
	s_wait_alu 0xfffe
	s_or_b32 exec_lo, exec_lo, s9
	s_and_saveexec_b32 s6, s1
.LBB210_69:                             ;   in Loop: Header=BB210_66 Depth=2
	ds_store_b32 v29, v0
.LBB210_70:                             ;   in Loop: Header=BB210_66 Depth=2
	s_wait_alu 0xfffe
	s_or_b32 exec_lo, exec_lo, s6
	ds_bpermute_b32 v27, v6, v39
	s_wait_storecnt 0x0
	s_wait_loadcnt_dscnt 0x0
	s_barrier_signal -1
	s_barrier_wait -1
	global_inv scope:SCOPE_SE
	v_add_f32_e32 v27, v39, v27
	ds_bpermute_b32 v28, v35, v27
	s_wait_dscnt 0x0
	v_add_f32_e32 v27, v27, v28
	ds_bpermute_b32 v28, v36, v27
	s_wait_dscnt 0x0
	;; [unrolled: 3-line block ×3, first 2 shown]
	v_add_f32_e32 v27, v27, v28
	ds_bpermute_b32 v28, v38, v27
	s_and_saveexec_b32 s6, s3
	s_cbranch_execz .LBB210_72
; %bb.71:                               ;   in Loop: Header=BB210_66 Depth=2
	s_wait_dscnt 0x0
	v_add_f32_e32 v27, v27, v28
	ds_store_b32 v30, v27
.LBB210_72:                             ;   in Loop: Header=BB210_66 Depth=2
	s_wait_alu 0xfffe
	s_or_b32 exec_lo, exec_lo, s6
	v_mov_b32_e32 v27, 0
	s_wait_loadcnt_dscnt 0x0
	s_barrier_signal -1
	s_barrier_wait -1
	global_inv scope:SCOPE_SE
	s_and_saveexec_b32 s6, s2
	s_cbranch_execnz .LBB210_84
; %bb.73:                               ;   in Loop: Header=BB210_66 Depth=2
	s_wait_alu 0xfffe
	s_or_b32 exec_lo, exec_lo, s6
	s_and_saveexec_b32 s6, s1
	s_cbranch_execnz .LBB210_85
.LBB210_74:                             ;   in Loop: Header=BB210_66 Depth=2
	s_wait_alu 0xfffe
	s_or_b32 exec_lo, exec_lo, s6
	s_and_saveexec_b32 s6, s0
	s_cbranch_execz .LBB210_65
	s_branch .LBB210_86
.LBB210_75:                             ;   in Loop: Header=BB210_66 Depth=2
	s_mul_i32 s8, s36, s30
	s_wait_alu 0xfffe
	s_ashr_i32 s9, s8, 31
	s_wait_alu 0xfffe
	s_lshl_b64 s[8:9], s[8:9], 2
	s_wait_alu 0xfffe
	v_add_co_u32 v1, vcc_lo, v33, s8
	s_wait_alu 0xfffd
	v_add_co_ci_u32_e64 v2, null, s9, v34, vcc_lo
	flat_load_b128 v[39:42], v[1:2]
	s_clause 0x3
	flat_load_b32 v1, v[19:20]
	flat_load_b32 v2, v[21:22]
	;; [unrolled: 1-line block ×4, first 2 shown]
	s_wait_loadcnt_dscnt 0x303
	v_fma_f32 v39, v1, v39, 0
	s_wait_loadcnt_dscnt 0x202
	s_delay_alu instid0(VALU_DEP_1) | instskip(SKIP_1) | instid1(VALU_DEP_1)
	v_fmac_f32_e32 v39, v2, v40
	s_wait_loadcnt_dscnt 0x101
	v_fmac_f32_e32 v39, v3, v41
	s_wait_loadcnt_dscnt 0x0
	s_delay_alu instid0(VALU_DEP_1)
	v_fmac_f32_e32 v39, v4, v42
	s_and_not1_saveexec_b32 s9, s6
	s_cbranch_execz .LBB210_68
.LBB210_76:                             ;   in Loop: Header=BB210_66 Depth=2
	s_and_saveexec_b32 s11, s5
	s_cbranch_execz .LBB210_83
; %bb.77:                               ;   in Loop: Header=BB210_66 Depth=2
	s_and_not1_b32 vcc_lo, exec_lo, s71
	s_wait_alu 0xfffe
	s_cbranch_vccnz .LBB210_80
; %bb.78:                               ;   in Loop: Header=BB210_66 Depth=2
	v_mov_b32_e32 v27, v5
	s_mov_b64 s[58:59], 0
.LBB210_79:                             ;   Parent Loop BB210_3 Depth=1
                                        ;     Parent Loop BB210_66 Depth=2
                                        ; =>    This Inner Loop Header: Depth=3
	s_delay_alu instid0(VALU_DEP_1) | instskip(SKIP_1) | instid1(VALU_DEP_1)
	v_ashrrev_i32_e32 v28, 31, v27
	s_cmp_eq_u32 s58, 3
	v_lshlrev_b64_e32 v[40:41], 2, v[27:28]
	s_delay_alu instid0(VALU_DEP_1) | instskip(SKIP_1) | instid1(VALU_DEP_2)
	v_add_co_u32 v40, vcc_lo, v17, v40
	s_wait_alu 0xfffd
	v_add_co_ci_u32_e64 v41, null, v18, v41, vcc_lo
	s_cselect_b32 vcc_lo, -1, 0
	s_cmp_eq_u32 s58, 2
	s_cselect_b32 s6, -1, 0
	flat_load_b32 v28, v[40:41]
	s_cmp_eq_u32 s58, 1
	v_add_nc_u32_e32 v27, s66, v27
	s_cselect_b32 s7, -1, 0
	s_cmp_eq_u32 s58, 0
	s_add_nc_u64 s[58:59], s[58:59], 1
	s_cselect_b32 s8, -1, 0
	s_cmp_eq_u32 s69, s58
	s_wait_loadcnt_dscnt 0x0
	s_wait_alu 0xfffe
	v_cndmask_b32_e32 v4, v4, v28, vcc_lo
	v_cndmask_b32_e64 v3, v3, v28, s6
	v_cndmask_b32_e64 v2, v2, v28, s7
	;; [unrolled: 1-line block ×3, first 2 shown]
	s_cbranch_scc0 .LBB210_79
.LBB210_80:                             ;   in Loop: Header=BB210_66 Depth=2
	s_and_not1_b32 vcc_lo, exec_lo, s71
	s_wait_alu 0xfffe
	s_cbranch_vccnz .LBB210_83
; %bb.81:                               ;   in Loop: Header=BB210_66 Depth=2
	s_ashr_i32 s57, s56, 31
	s_delay_alu instid0(SALU_CYCLE_1)
	s_lshl_b64 s[6:7], s[56:57], 2
	s_wait_alu 0xfffe
	v_add_co_u32 v27, vcc_lo, v33, s6
	s_wait_alu 0xfffd
	v_add_co_ci_u32_e64 v28, null, s7, v34, vcc_lo
	s_mov_b64 s[6:7], 0
.LBB210_82:                             ;   Parent Loop BB210_3 Depth=1
                                        ;     Parent Loop BB210_66 Depth=2
                                        ; =>    This Inner Loop Header: Depth=3
	flat_load_b32 v40, v[27:28]
	s_wait_alu 0xfffe
	s_cmp_eq_u32 s6, 1
	s_cselect_b32 vcc_lo, -1, 0
	s_cmp_eq_u32 s6, 2
	s_wait_alu 0xfffe
	v_cndmask_b32_e32 v41, v1, v2, vcc_lo
	s_cselect_b32 vcc_lo, -1, 0
	s_cmp_eq_u32 s6, 3
	s_add_nc_u64 s[6:7], s[6:7], 1
	s_wait_alu 0xfffe
	v_cndmask_b32_e32 v41, v41, v3, vcc_lo
	s_cselect_b32 vcc_lo, -1, 0
	s_cmp_lg_u32 s69, s6
	s_wait_alu 0xfffe
	s_delay_alu instid0(VALU_DEP_1)
	v_cndmask_b32_e32 v41, v41, v4, vcc_lo
	v_add_co_u32 v27, vcc_lo, v27, 4
	s_wait_alu 0xfffd
	v_add_co_ci_u32_e64 v28, null, 0, v28, vcc_lo
	s_wait_loadcnt_dscnt 0x0
	v_fmac_f32_e32 v39, v41, v40
	s_cbranch_scc1 .LBB210_82
.LBB210_83:                             ;   in Loop: Header=BB210_66 Depth=2
	s_or_b32 exec_lo, exec_lo, s11
	s_wait_alu 0xfffe
	s_or_b32 exec_lo, exec_lo, s9
	s_and_saveexec_b32 s6, s1
	s_cbranch_execnz .LBB210_69
	s_branch .LBB210_70
.LBB210_84:                             ;   in Loop: Header=BB210_66 Depth=2
	ds_load_b32 v27, v29
	s_wait_alu 0xfffe
	s_or_b32 exec_lo, exec_lo, s6
	s_and_saveexec_b32 s6, s1
	s_cbranch_execz .LBB210_74
.LBB210_85:                             ;   in Loop: Header=BB210_66 Depth=2
	s_wait_dscnt 0x0
	ds_bpermute_b32 v28, v36, v27
	s_wait_dscnt 0x0
	v_add_f32_e32 v27, v27, v28
	ds_bpermute_b32 v28, v37, v27
	s_wait_dscnt 0x0
	v_add_f32_e32 v27, v27, v28
	;; [unrolled: 3-line block ×3, first 2 shown]
	s_wait_alu 0xfffe
	s_or_b32 exec_lo, exec_lo, s6
	s_and_saveexec_b32 s6, s0
	s_cbranch_execz .LBB210_65
.LBB210_86:                             ;   in Loop: Header=BB210_66 Depth=2
	s_mul_u64 s[8:9], s[36:37], s[28:29]
	s_wait_dscnt 0x0
	v_mul_f32_e32 v27, v32, v27
	s_wait_alu 0xfffe
	s_lshl_b64 s[8:9], s[8:9], 2
	s_wait_alu 0xfffe
	s_add_nc_u64 s[8:9], s[54:55], s[8:9]
	global_store_b32 v0, v27, s[8:9]
	s_branch .LBB210_65
.LBB210_87:
	s_endpgm
	.section	.rodata,"a",@progbits
	.p2align	6, 0x0
	.amdhsa_kernel _ZL23rocblas_gemvt_sn_kernelILb0ELi256ELi4EiPKfS1_fEviiT4_lPKT3_lilS5_lilPT5_i
		.amdhsa_group_segment_fixed_size 128
		.amdhsa_private_segment_fixed_size 0
		.amdhsa_kernarg_size 360
		.amdhsa_user_sgpr_count 2
		.amdhsa_user_sgpr_dispatch_ptr 0
		.amdhsa_user_sgpr_queue_ptr 0
		.amdhsa_user_sgpr_kernarg_segment_ptr 1
		.amdhsa_user_sgpr_dispatch_id 0
		.amdhsa_user_sgpr_private_segment_size 0
		.amdhsa_wavefront_size32 1
		.amdhsa_uses_dynamic_stack 0
		.amdhsa_enable_private_segment 0
		.amdhsa_system_sgpr_workgroup_id_x 1
		.amdhsa_system_sgpr_workgroup_id_y 0
		.amdhsa_system_sgpr_workgroup_id_z 1
		.amdhsa_system_sgpr_workgroup_info 0
		.amdhsa_system_vgpr_workitem_id 0
		.amdhsa_next_free_vgpr 58
		.amdhsa_next_free_sgpr 74
		.amdhsa_reserve_vcc 1
		.amdhsa_float_round_mode_32 0
		.amdhsa_float_round_mode_16_64 0
		.amdhsa_float_denorm_mode_32 3
		.amdhsa_float_denorm_mode_16_64 3
		.amdhsa_fp16_overflow 0
		.amdhsa_workgroup_processor_mode 1
		.amdhsa_memory_ordered 1
		.amdhsa_forward_progress 1
		.amdhsa_inst_pref_size 36
		.amdhsa_round_robin_scheduling 0
		.amdhsa_exception_fp_ieee_invalid_op 0
		.amdhsa_exception_fp_denorm_src 0
		.amdhsa_exception_fp_ieee_div_zero 0
		.amdhsa_exception_fp_ieee_overflow 0
		.amdhsa_exception_fp_ieee_underflow 0
		.amdhsa_exception_fp_ieee_inexact 0
		.amdhsa_exception_int_div_zero 0
	.end_amdhsa_kernel
	.section	.text._ZL23rocblas_gemvt_sn_kernelILb0ELi256ELi4EiPKfS1_fEviiT4_lPKT3_lilS5_lilPT5_i,"axG",@progbits,_ZL23rocblas_gemvt_sn_kernelILb0ELi256ELi4EiPKfS1_fEviiT4_lPKT3_lilS5_lilPT5_i,comdat
.Lfunc_end210:
	.size	_ZL23rocblas_gemvt_sn_kernelILb0ELi256ELi4EiPKfS1_fEviiT4_lPKT3_lilS5_lilPT5_i, .Lfunc_end210-_ZL23rocblas_gemvt_sn_kernelILb0ELi256ELi4EiPKfS1_fEviiT4_lPKT3_lilS5_lilPT5_i
                                        ; -- End function
	.set _ZL23rocblas_gemvt_sn_kernelILb0ELi256ELi4EiPKfS1_fEviiT4_lPKT3_lilS5_lilPT5_i.num_vgpr, 58
	.set _ZL23rocblas_gemvt_sn_kernelILb0ELi256ELi4EiPKfS1_fEviiT4_lPKT3_lilS5_lilPT5_i.num_agpr, 0
	.set _ZL23rocblas_gemvt_sn_kernelILb0ELi256ELi4EiPKfS1_fEviiT4_lPKT3_lilS5_lilPT5_i.numbered_sgpr, 74
	.set _ZL23rocblas_gemvt_sn_kernelILb0ELi256ELi4EiPKfS1_fEviiT4_lPKT3_lilS5_lilPT5_i.num_named_barrier, 0
	.set _ZL23rocblas_gemvt_sn_kernelILb0ELi256ELi4EiPKfS1_fEviiT4_lPKT3_lilS5_lilPT5_i.private_seg_size, 0
	.set _ZL23rocblas_gemvt_sn_kernelILb0ELi256ELi4EiPKfS1_fEviiT4_lPKT3_lilS5_lilPT5_i.uses_vcc, 1
	.set _ZL23rocblas_gemvt_sn_kernelILb0ELi256ELi4EiPKfS1_fEviiT4_lPKT3_lilS5_lilPT5_i.uses_flat_scratch, 1
	.set _ZL23rocblas_gemvt_sn_kernelILb0ELi256ELi4EiPKfS1_fEviiT4_lPKT3_lilS5_lilPT5_i.has_dyn_sized_stack, 0
	.set _ZL23rocblas_gemvt_sn_kernelILb0ELi256ELi4EiPKfS1_fEviiT4_lPKT3_lilS5_lilPT5_i.has_recursion, 0
	.set _ZL23rocblas_gemvt_sn_kernelILb0ELi256ELi4EiPKfS1_fEviiT4_lPKT3_lilS5_lilPT5_i.has_indirect_call, 0
	.section	.AMDGPU.csdata,"",@progbits
; Kernel info:
; codeLenInByte = 4572
; TotalNumSgprs: 76
; NumVgprs: 58
; ScratchSize: 0
; MemoryBound: 0
; FloatMode: 240
; IeeeMode: 1
; LDSByteSize: 128 bytes/workgroup (compile time only)
; SGPRBlocks: 0
; VGPRBlocks: 7
; NumSGPRsForWavesPerEU: 76
; NumVGPRsForWavesPerEU: 58
; Occupancy: 16
; WaveLimiterHint : 0
; COMPUTE_PGM_RSRC2:SCRATCH_EN: 0
; COMPUTE_PGM_RSRC2:USER_SGPR: 2
; COMPUTE_PGM_RSRC2:TRAP_HANDLER: 0
; COMPUTE_PGM_RSRC2:TGID_X_EN: 1
; COMPUTE_PGM_RSRC2:TGID_Y_EN: 0
; COMPUTE_PGM_RSRC2:TGID_Z_EN: 1
; COMPUTE_PGM_RSRC2:TIDIG_COMP_CNT: 0
	.section	.text._ZL23rocblas_gemvt_sn_kernelILb0ELi256ELi4ElPKfS1_fEviiT4_lPKT3_lilS5_lilPT5_i,"axG",@progbits,_ZL23rocblas_gemvt_sn_kernelILb0ELi256ELi4ElPKfS1_fEviiT4_lPKT3_lilS5_lilPT5_i,comdat
	.globl	_ZL23rocblas_gemvt_sn_kernelILb0ELi256ELi4ElPKfS1_fEviiT4_lPKT3_lilS5_lilPT5_i ; -- Begin function _ZL23rocblas_gemvt_sn_kernelILb0ELi256ELi4ElPKfS1_fEviiT4_lPKT3_lilS5_lilPT5_i
	.p2align	8
	.type	_ZL23rocblas_gemvt_sn_kernelILb0ELi256ELi4ElPKfS1_fEviiT4_lPKT3_lilS5_lilPT5_i,@function
_ZL23rocblas_gemvt_sn_kernelILb0ELi256ELi4ElPKfS1_fEviiT4_lPKT3_lilS5_lilPT5_i: ; @_ZL23rocblas_gemvt_sn_kernelILb0ELi256ELi4ElPKfS1_fEviiT4_lPKT3_lilS5_lilPT5_i
; %bb.0:
	s_load_b32 s33, s[0:1], 0x60
	s_lshr_b32 s10, ttmp7, 16
	s_wait_kmcnt 0x0
	s_cmp_ge_u32 s10, s33
	s_cbranch_scc1 .LBB211_87
; %bb.1:
	s_clause 0x6
	s_load_b32 s26, s[0:1], 0x28
	s_load_b32 s6, s[0:1], 0x48
	s_load_b64 s[28:29], s[0:1], 0x0
	s_load_b32 s30, s[0:1], 0x68
	s_load_b256 s[12:19], s[0:1], 0x8
	s_load_b128 s[20:23], s[0:1], 0x38
	s_load_b64 s[34:35], s[0:1], 0x58
	s_mov_b32 s25, 0
	v_cmp_eq_u32_e64 s0, 0, v0
	s_mov_b32 s31, s25
	v_and_b32_e32 v3, 31, v0
	v_cmp_gt_u32_e64 s5, 8, v0
	v_mbcnt_lo_u32_b32 v33, -1, 0
	s_mov_b32 s24, ttmp9
	s_delay_alu instid0(VALU_DEP_1)
	v_lshl_or_b32 v34, v33, 2, 64
	s_wait_kmcnt 0x0
	s_ashr_i32 s27, s26, 31
	s_ashr_i32 s7, s6, 31
	;; [unrolled: 1-line block ×3, first 2 shown]
	s_mov_b32 s2, s29
	s_cmp_gt_i32 s29, 0
	s_mul_u64 s[36:37], s[2:3], s[30:31]
	s_cselect_b32 s1, -1, 0
	s_lshl_b32 s2, ttmp9, 10
	s_ashr_i32 s4, s28, 31
	v_lshl_or_b32 v1, v0, 2, s2
	s_and_b32 s60, s0, s1
	s_lshr_b32 s1, s4, 30
	s_lshr_b32 s3, s3, 30
	s_add_co_i32 s1, s28, s1
	v_add_nc_u32_e32 v4, 4, v1
	s_and_b32 s1, s1, -4
	s_wait_alu 0xfffe
	s_add_co_i32 s2, s29, s3
	s_sub_co_i32 s62, s28, s1
	v_cmp_gt_u32_e64 s3, 32, v0
	v_add_nc_u32_e32 v5, s62, v1
	v_cmp_ge_i32_e64 s1, s28, v4
	v_lshrrev_b32_e32 v4, 3, v0
	v_or_b32_e32 v0, 1, v1
	s_wait_alu 0xfffe
	s_and_b32 s61, s2, -4
	v_cmp_ge_i32_e64 s2, s28, v5
	v_or_b32_e32 v5, 2, v1
	v_and_b32_e32 v32, 28, v4
	v_mad_co_i64_i32 v[9:10], null, s6, v0, 0
	v_or_b32_e32 v0, 3, v1
	s_delay_alu instid0(VALU_DEP_4) | instskip(SKIP_2) | instid1(VALU_DEP_3)
	v_mad_co_i64_i32 v[11:12], null, s6, v5, 0
	v_ashrrev_i32_e32 v2, 31, v1
	s_cmp_gt_i32 s61, 0
	v_mad_co_i64_i32 v[13:14], null, s6, v0, 0
	v_mov_b32_e32 v0, 0
	v_cmp_eq_u32_e64 s4, 0, v3
	v_lshlrev_b32_e32 v31, 2, v3
	v_mad_co_i64_i32 v[3:4], null, s6, v1, 0
	s_cselect_b32 s63, -1, 0
	s_cmp_gt_i32 s62, 0
	v_lshlrev_b64_e32 v[7:8], 2, v[1:2]
	v_lshlrev_b64_e32 v[9:10], 2, v[9:10]
	;; [unrolled: 1-line block ×5, first 2 shown]
	s_cselect_b32 s64, -1, 0
	s_lshl_b64 s[38:39], s[24:25], 2
	s_lshl_b64 s[42:43], s[36:37], 2
	s_add_nc_u64 s[40:41], s[34:35], s[38:39]
	s_lshl_b64 s[44:45], s[30:31], 2
	s_lshl_b64 s[46:47], s[6:7], 2
	s_mul_u64 s[48:49], s[26:27], 12
	s_lshl_b64 s[50:51], s[26:27], 4
	s_lshl_b64 s[52:53], s[26:27], 3
	;; [unrolled: 1-line block ×5, first 2 shown]
	s_branch .LBB211_3
.LBB211_2:                              ;   in Loop: Header=BB211_3 Depth=1
	s_add_co_i32 s10, s10, 0x10000
	s_delay_alu instid0(SALU_CYCLE_1)
	s_cmp_lt_u32 s10, s33
	s_cbranch_scc0 .LBB211_87
.LBB211_3:                              ; =>This Loop Header: Depth=1
                                        ;     Child Loop BB211_10 Depth 2
                                        ;     Child Loop BB211_16 Depth 2
                                        ;       Child Loop BB211_47 Depth 3
                                        ;       Child Loop BB211_50 Depth 3
                                        ;     Child Loop BB211_66 Depth 2
                                        ;       Child Loop BB211_79 Depth 3
                                        ;       Child Loop BB211_82 Depth 3
	s_mov_b32 s11, s25
	v_mov_b32_e32 v17, 0
	s_mul_u64 s[6:7], s[14:15], s[10:11]
	v_dual_mov_b32 v18, 0 :: v_dual_mov_b32 v1, 0
	s_wait_alu 0xfffe
	s_lshl_b64 s[6:7], s[6:7], 2
	v_mov_b32_e32 v2, 0
	s_wait_alu 0xfffe
	s_add_nc_u64 s[6:7], s[12:13], s[6:7]
	global_load_b32 v35, v0, s[6:7]
	s_wait_loadcnt 0x0
	v_cmp_eq_f32_e64 s6, 0, v35
	v_cmp_neq_f32_e64 s7, 0, v35
	s_wait_alu 0xfffe
	s_and_b32 vcc_lo, exec_lo, s6
	s_wait_alu 0xfffe
	s_cbranch_vccnz .LBB211_5
; %bb.4:                                ;   in Loop: Header=BB211_3 Depth=1
	s_lshl_b64 s[8:9], s[10:11], 3
	s_wait_alu 0xfffe
	s_add_nc_u64 s[8:9], s[16:17], s[8:9]
	global_load_b64 v[1:2], v0, s[8:9]
	s_wait_loadcnt 0x0
	v_add_co_u32 v1, vcc_lo, v1, s18
	s_wait_alu 0xfffd
	v_add_co_ci_u32_e64 v2, null, s19, v2, vcc_lo
.LBB211_5:                              ;   in Loop: Header=BB211_3 Depth=1
	s_and_not1_b32 vcc_lo, exec_lo, s7
	s_wait_alu 0xfffe
	s_cbranch_vccnz .LBB211_7
; %bb.6:                                ;   in Loop: Header=BB211_3 Depth=1
	s_lshl_b64 s[8:9], s[10:11], 3
	s_wait_alu 0xfffe
	s_add_nc_u64 s[8:9], s[20:21], s[8:9]
	global_load_b64 v[3:4], v0, s[8:9]
	s_wait_loadcnt 0x0
	v_add_co_u32 v17, vcc_lo, v3, s22
	s_wait_alu 0xfffd
	v_add_co_ci_u32_e64 v18, null, s23, v4, vcc_lo
.LBB211_7:                              ;   in Loop: Header=BB211_3 Depth=1
	s_and_not1_b32 vcc_lo, exec_lo, s6
	s_mov_b32 s6, -1
	s_wait_alu 0xfffe
	s_cbranch_vccnz .LBB211_12
; %bb.8:                                ;   in Loop: Header=BB211_3 Depth=1
	s_and_saveexec_b32 s8, s60
	s_cbranch_execz .LBB211_11
; %bb.9:                                ;   in Loop: Header=BB211_3 Depth=1
	s_mul_u64 s[6:7], s[42:43], s[10:11]
	s_mov_b32 s9, s29
	s_wait_alu 0xfffe
	s_add_nc_u64 s[6:7], s[40:41], s[6:7]
.LBB211_10:                             ;   Parent Loop BB211_3 Depth=1
                                        ; =>  This Inner Loop Header: Depth=2
	s_add_co_i32 s9, s9, -1
	global_store_b32 v0, v0, s[6:7]
	s_wait_alu 0xfffe
	s_cmp_eq_u32 s9, 0
	s_add_nc_u64 s[6:7], s[6:7], s[44:45]
	s_cbranch_scc0 .LBB211_10
.LBB211_11:                             ;   in Loop: Header=BB211_3 Depth=1
	s_wait_alu 0xfffe
	s_or_b32 exec_lo, exec_lo, s8
	s_mov_b32 s6, 0
.LBB211_12:                             ;   in Loop: Header=BB211_3 Depth=1
	s_wait_alu 0xfffe
	s_and_not1_b32 vcc_lo, exec_lo, s6
	s_wait_alu 0xfffe
	s_cbranch_vccnz .LBB211_2
; %bb.13:                               ;   in Loop: Header=BB211_3 Depth=1
	s_mul_u64 s[6:7], s[36:37], s[10:11]
	v_add_co_u32 v15, vcc_lo, v1, v7
	s_wait_alu 0xfffe
	s_lshl_b64 s[56:57], s[6:7], 2
	s_wait_alu 0xfffd
	v_add_co_ci_u32_e64 v16, null, v2, v8, vcc_lo
	v_cmp_gt_u32_e64 s9, 24, v33
	v_cmp_gt_u32_e64 s8, 28, v33
	;; [unrolled: 1-line block ×3, first 2 shown]
	v_cmp_ne_u32_e64 s6, 31, v33
	s_add_nc_u64 s[56:57], s[34:35], s[56:57]
	s_and_not1_b32 vcc_lo, exec_lo, s63
	s_add_nc_u64 s[56:57], s[56:57], s[38:39]
	s_wait_alu 0xfffe
	s_cbranch_vccnz .LBB211_62
; %bb.14:                               ;   in Loop: Header=BB211_3 Depth=1
	v_cndmask_b32_e64 v3, 0, 2, s7
	v_add_co_u32 v19, vcc_lo, v17, v5
	v_cndmask_b32_e64 v1, 0, 8, s9
	v_cndmask_b32_e64 v2, 0, 4, s8
	v_add_co_ci_u32_e64 v4, null, 0, v33, s6
	v_add_lshl_u32 v38, v3, v33, 2
	s_wait_alu 0xfffd
	v_add_co_ci_u32_e64 v20, null, v18, v6, vcc_lo
	v_add_co_u32 v21, vcc_lo, v17, v9
	v_mov_b32_e32 v3, v0
	s_wait_alu 0xfffd
	v_add_co_ci_u32_e64 v22, null, v18, v10, vcc_lo
	v_add_co_u32 v23, vcc_lo, v17, v11
	v_add_lshl_u32 v36, v1, v33, 2
	v_add_lshl_u32 v37, v2, v33, 2
	v_dual_mov_b32 v2, v0 :: v_dual_lshlrev_b32 v39, 2, v4
	s_wait_alu 0xfffd
	v_add_co_ci_u32_e64 v24, null, v18, v12, vcc_lo
	s_wait_dscnt 0x0
	v_dual_mov_b32 v1, v0 :: v_dual_mov_b32 v28, v16
	v_add_co_u32 v25, vcc_lo, v17, v13
	v_dual_mov_b32 v27, v15 :: v_dual_mov_b32 v4, v3
	s_wait_alu 0xfffd
	v_add_co_ci_u32_e64 v26, null, v18, v14, vcc_lo
	v_mov_b32_e32 v3, v2
	v_mov_b32_e32 v2, v1
	;; [unrolled: 1-line block ×3, first 2 shown]
	s_mov_b32 s24, 0
	s_branch .LBB211_16
.LBB211_15:                             ;   in Loop: Header=BB211_16 Depth=2
	s_wait_alu 0xfffe
	s_or_b32 exec_lo, exec_lo, s6
	v_add_co_u32 v27, vcc_lo, v27, s50
	s_wait_alu 0xfffd
	v_add_co_ci_u32_e64 v28, null, s51, v28, vcc_lo
	s_add_co_i32 s24, s24, 4
	s_wait_alu 0xfffe
	s_cmp_ge_i32 s24, s61
	s_cbranch_scc1 .LBB211_63
.LBB211_16:                             ;   Parent Loop BB211_3 Depth=1
                                        ; =>  This Loop Header: Depth=2
                                        ;       Child Loop BB211_47 Depth 3
                                        ;       Child Loop BB211_50 Depth 3
                                        ; implicit-def: $vgpr40
                                        ; implicit-def: $vgpr41
                                        ; implicit-def: $vgpr42
                                        ; implicit-def: $vgpr43
	s_and_saveexec_b32 s6, s1
	s_wait_alu 0xfffe
	s_xor_b32 s6, exec_lo, s6
	s_cbranch_execnz .LBB211_43
; %bb.17:                               ;   in Loop: Header=BB211_16 Depth=2
	s_wait_alu 0xfffe
	s_and_not1_saveexec_b32 s11, s6
	s_cbranch_execnz .LBB211_44
.LBB211_18:                             ;   in Loop: Header=BB211_16 Depth=2
	s_or_b32 exec_lo, exec_lo, s11
	s_and_saveexec_b32 s6, s3
.LBB211_19:                             ;   in Loop: Header=BB211_16 Depth=2
	ds_store_b32 v31, v0
.LBB211_20:                             ;   in Loop: Header=BB211_16 Depth=2
	s_wait_alu 0xfffe
	s_or_b32 exec_lo, exec_lo, s6
	ds_bpermute_b32 v29, v34, v43
	s_wait_storecnt_dscnt 0x0
	s_barrier_signal -1
	s_barrier_wait -1
	global_inv scope:SCOPE_SE
	v_add_f32_e32 v29, v43, v29
	ds_bpermute_b32 v30, v36, v29
	s_wait_dscnt 0x0
	v_add_f32_e32 v29, v29, v30
	ds_bpermute_b32 v30, v37, v29
	s_wait_dscnt 0x0
	;; [unrolled: 3-line block ×3, first 2 shown]
	v_add_f32_e32 v29, v29, v30
	ds_bpermute_b32 v30, v39, v29
	s_and_saveexec_b32 s6, s4
	s_cbranch_execz .LBB211_22
; %bb.21:                               ;   in Loop: Header=BB211_16 Depth=2
	s_wait_dscnt 0x0
	v_add_f32_e32 v29, v29, v30
	ds_store_b32 v32, v29
.LBB211_22:                             ;   in Loop: Header=BB211_16 Depth=2
	s_wait_alu 0xfffe
	s_or_b32 exec_lo, exec_lo, s6
	v_mov_b32_e32 v29, 0
	s_wait_loadcnt_dscnt 0x0
	s_barrier_signal -1
	s_barrier_wait -1
	global_inv scope:SCOPE_SE
	s_and_saveexec_b32 s6, s5
	s_cbranch_execnz .LBB211_51
; %bb.23:                               ;   in Loop: Header=BB211_16 Depth=2
	s_wait_alu 0xfffe
	s_or_b32 exec_lo, exec_lo, s6
	s_and_saveexec_b32 s6, s3
	s_cbranch_execnz .LBB211_52
.LBB211_24:                             ;   in Loop: Header=BB211_16 Depth=2
	s_wait_alu 0xfffe
	s_or_b32 exec_lo, exec_lo, s6
	s_and_saveexec_b32 s6, s3
.LBB211_25:                             ;   in Loop: Header=BB211_16 Depth=2
	ds_store_b32 v31, v0
.LBB211_26:                             ;   in Loop: Header=BB211_16 Depth=2
	s_wait_alu 0xfffe
	s_or_b32 exec_lo, exec_lo, s6
	ds_bpermute_b32 v30, v34, v42
	s_wait_loadcnt_dscnt 0x0
	s_barrier_signal -1
	s_barrier_wait -1
	global_inv scope:SCOPE_SE
	v_add_f32_e32 v30, v42, v30
	ds_bpermute_b32 v42, v36, v30
	s_wait_dscnt 0x0
	v_add_f32_e32 v30, v30, v42
	ds_bpermute_b32 v42, v37, v30
	s_wait_dscnt 0x0
	;; [unrolled: 3-line block ×3, first 2 shown]
	v_add_f32_e32 v30, v30, v42
	ds_bpermute_b32 v42, v39, v30
	s_and_saveexec_b32 s6, s4
	s_cbranch_execz .LBB211_28
; %bb.27:                               ;   in Loop: Header=BB211_16 Depth=2
	s_wait_dscnt 0x0
	v_add_f32_e32 v30, v30, v42
	ds_store_b32 v32, v30
.LBB211_28:                             ;   in Loop: Header=BB211_16 Depth=2
	s_wait_alu 0xfffe
	s_or_b32 exec_lo, exec_lo, s6
	v_mov_b32_e32 v30, 0
	s_wait_loadcnt_dscnt 0x0
	s_barrier_signal -1
	s_barrier_wait -1
	global_inv scope:SCOPE_SE
	s_and_saveexec_b32 s6, s5
	s_cbranch_execnz .LBB211_53
; %bb.29:                               ;   in Loop: Header=BB211_16 Depth=2
	s_wait_alu 0xfffe
	s_or_b32 exec_lo, exec_lo, s6
	s_and_saveexec_b32 s6, s3
	s_cbranch_execnz .LBB211_54
.LBB211_30:                             ;   in Loop: Header=BB211_16 Depth=2
	s_wait_alu 0xfffe
	s_or_b32 exec_lo, exec_lo, s6
	s_and_saveexec_b32 s6, s3
.LBB211_31:                             ;   in Loop: Header=BB211_16 Depth=2
	ds_store_b32 v31, v0
.LBB211_32:                             ;   in Loop: Header=BB211_16 Depth=2
	s_wait_alu 0xfffe
	s_or_b32 exec_lo, exec_lo, s6
	ds_bpermute_b32 v42, v34, v41
	s_wait_loadcnt_dscnt 0x0
	s_barrier_signal -1
	s_barrier_wait -1
	global_inv scope:SCOPE_SE
	v_add_f32_e32 v41, v41, v42
	ds_bpermute_b32 v42, v36, v41
	s_wait_dscnt 0x0
	v_add_f32_e32 v41, v41, v42
	ds_bpermute_b32 v42, v37, v41
	s_wait_dscnt 0x0
	;; [unrolled: 3-line block ×3, first 2 shown]
	v_add_f32_e32 v41, v41, v42
	ds_bpermute_b32 v42, v39, v41
	s_and_saveexec_b32 s6, s4
	s_cbranch_execz .LBB211_34
; %bb.33:                               ;   in Loop: Header=BB211_16 Depth=2
	s_wait_dscnt 0x0
	v_add_f32_e32 v41, v41, v42
	ds_store_b32 v32, v41
.LBB211_34:                             ;   in Loop: Header=BB211_16 Depth=2
	s_wait_alu 0xfffe
	s_or_b32 exec_lo, exec_lo, s6
	v_mov_b32_e32 v41, 0
	s_wait_loadcnt_dscnt 0x0
	s_barrier_signal -1
	s_barrier_wait -1
	global_inv scope:SCOPE_SE
	s_and_saveexec_b32 s6, s5
	s_cbranch_execnz .LBB211_55
; %bb.35:                               ;   in Loop: Header=BB211_16 Depth=2
	s_wait_alu 0xfffe
	s_or_b32 exec_lo, exec_lo, s6
	s_and_saveexec_b32 s6, s3
	s_cbranch_execnz .LBB211_56
.LBB211_36:                             ;   in Loop: Header=BB211_16 Depth=2
	s_wait_alu 0xfffe
	s_or_b32 exec_lo, exec_lo, s6
	s_and_saveexec_b32 s6, s3
.LBB211_37:                             ;   in Loop: Header=BB211_16 Depth=2
	ds_store_b32 v31, v0
.LBB211_38:                             ;   in Loop: Header=BB211_16 Depth=2
	s_wait_alu 0xfffe
	s_or_b32 exec_lo, exec_lo, s6
	ds_bpermute_b32 v42, v34, v40
	s_wait_loadcnt_dscnt 0x0
	s_barrier_signal -1
	s_barrier_wait -1
	global_inv scope:SCOPE_SE
	v_add_f32_e32 v40, v40, v42
	ds_bpermute_b32 v42, v36, v40
	s_wait_dscnt 0x0
	v_add_f32_e32 v40, v40, v42
	ds_bpermute_b32 v42, v37, v40
	s_wait_dscnt 0x0
	;; [unrolled: 3-line block ×3, first 2 shown]
	v_add_f32_e32 v40, v40, v42
	ds_bpermute_b32 v42, v39, v40
	s_and_saveexec_b32 s6, s4
	s_cbranch_execz .LBB211_40
; %bb.39:                               ;   in Loop: Header=BB211_16 Depth=2
	s_wait_dscnt 0x0
	v_add_f32_e32 v40, v40, v42
	ds_store_b32 v32, v40
.LBB211_40:                             ;   in Loop: Header=BB211_16 Depth=2
	s_wait_alu 0xfffe
	s_or_b32 exec_lo, exec_lo, s6
	v_mov_b32_e32 v40, 0
	s_wait_loadcnt_dscnt 0x0
	s_barrier_signal -1
	s_barrier_wait -1
	global_inv scope:SCOPE_SE
	s_and_saveexec_b32 s6, s5
	s_cbranch_execnz .LBB211_57
; %bb.41:                               ;   in Loop: Header=BB211_16 Depth=2
	s_wait_alu 0xfffe
	s_or_b32 exec_lo, exec_lo, s6
	s_and_saveexec_b32 s6, s3
	s_cbranch_execnz .LBB211_58
.LBB211_42:                             ;   in Loop: Header=BB211_16 Depth=2
	s_wait_alu 0xfffe
	s_or_b32 exec_lo, exec_lo, s6
	s_and_saveexec_b32 s6, s0
	s_cbranch_execz .LBB211_15
	s_branch .LBB211_59
.LBB211_43:                             ;   in Loop: Header=BB211_16 Depth=2
	s_mul_u64 s[8:9], s[24:25], s[26:27]
	s_or_b32 s58, s24, 1
	s_mov_b32 s59, s25
	s_wait_alu 0xfffe
	s_lshl_b64 s[8:9], s[8:9], 2
	s_mul_u64 s[58:59], s[58:59], s[26:27]
	s_wait_alu 0xfffe
	v_add_co_u32 v2, vcc_lo, v15, s8
	s_wait_alu 0xfffd
	v_add_co_ci_u32_e64 v3, null, s9, v16, vcc_lo
	s_lshl_b64 s[8:9], s[58:59], 2
	s_or_b32 s58, s24, 2
	s_mov_b32 s59, s25
	s_wait_alu 0xfffe
	v_add_co_u32 v29, vcc_lo, v15, s8
	s_wait_alu 0xfffd
	v_add_co_ci_u32_e64 v30, null, s9, v16, vcc_lo
	s_mul_u64 s[8:9], s[58:59], s[26:27]
	s_or_b32 s58, s24, 3
	s_wait_alu 0xfffe
	s_lshl_b64 s[8:9], s[8:9], 2
	s_mul_u64 s[58:59], s[58:59], s[26:27]
	s_wait_dscnt 0x0
	s_wait_alu 0xfffe
	v_add_co_u32 v40, vcc_lo, v15, s8
	s_wait_alu 0xfffd
	v_add_co_ci_u32_e64 v41, null, s9, v16, vcc_lo
	s_lshl_b64 s[8:9], s[58:59], 2
	s_wait_alu 0xfffe
	v_add_co_u32 v55, vcc_lo, v15, s8
	s_wait_alu 0xfffd
	v_add_co_ci_u32_e64 v56, null, s9, v16, vcc_lo
	flat_load_b32 v1, v[19:20]
	s_clause 0x3
	flat_load_b128 v[43:46], v[2:3]
	flat_load_b128 v[47:50], v[29:30]
	flat_load_b128 v[51:54], v[40:41]
	flat_load_b128 v[55:58], v[55:56]
	s_clause 0x2
	flat_load_b32 v2, v[21:22]
	flat_load_b32 v3, v[23:24]
	flat_load_b32 v4, v[25:26]
	s_wait_loadcnt_dscnt 0x606
	v_fma_f32 v43, v1, v43, 0
	s_wait_loadcnt_dscnt 0x505
	v_fma_f32 v42, v1, v47, 0
	;; [unrolled: 2-line block ×4, first 2 shown]
	s_wait_loadcnt_dscnt 0x202
	v_fmac_f32_e32 v42, v2, v48
	v_fmac_f32_e32 v43, v2, v44
	s_delay_alu instid0(VALU_DEP_3) | instskip(SKIP_1) | instid1(VALU_DEP_3)
	v_fmac_f32_e32 v40, v2, v56
	s_wait_loadcnt_dscnt 0x101
	v_dual_fmac_f32 v41, v2, v52 :: v_dual_fmac_f32 v42, v3, v49
	s_delay_alu instid0(VALU_DEP_3) | instskip(NEXT) | instid1(VALU_DEP_3)
	v_fmac_f32_e32 v43, v3, v45
	v_fmac_f32_e32 v40, v3, v57
	s_wait_loadcnt_dscnt 0x0
	s_delay_alu instid0(VALU_DEP_3) | instskip(NEXT) | instid1(VALU_DEP_3)
	v_dual_fmac_f32 v41, v3, v53 :: v_dual_fmac_f32 v42, v4, v50
	v_fmac_f32_e32 v43, v4, v46
	s_delay_alu instid0(VALU_DEP_3) | instskip(NEXT) | instid1(VALU_DEP_3)
	v_fmac_f32_e32 v40, v4, v58
	v_fmac_f32_e32 v41, v4, v54
	s_and_not1_saveexec_b32 s11, s6
	s_cbranch_execz .LBB211_18
.LBB211_44:                             ;   in Loop: Header=BB211_16 Depth=2
	s_wait_dscnt 0x0
	v_dual_mov_b32 v40, 0 :: v_dual_mov_b32 v41, 0
	v_dual_mov_b32 v42, 0 :: v_dual_mov_b32 v43, 0
	s_and_saveexec_b32 s28, s2
	s_cbranch_execz .LBB211_61
; %bb.45:                               ;   in Loop: Header=BB211_16 Depth=2
	s_and_not1_b32 vcc_lo, exec_lo, s64
	s_wait_alu 0xfffe
	s_cbranch_vccnz .LBB211_48
; %bb.46:                               ;   in Loop: Header=BB211_16 Depth=2
	v_dual_mov_b32 v30, v20 :: v_dual_mov_b32 v29, v19
	s_mov_b64 s[58:59], 0
.LBB211_47:                             ;   Parent Loop BB211_3 Depth=1
                                        ;     Parent Loop BB211_16 Depth=2
                                        ; =>    This Inner Loop Header: Depth=3
	flat_load_b32 v40, v[29:30]
	s_cmp_eq_u32 s58, 3
	v_add_co_u32 v29, vcc_lo, v29, s46
	s_wait_alu 0xfffd
	v_add_co_ci_u32_e64 v30, null, s47, v30, vcc_lo
	s_cselect_b32 vcc_lo, -1, 0
	s_cmp_eq_u32 s58, 2
	s_cselect_b32 s6, -1, 0
	s_cmp_eq_u32 s58, 1
	s_cselect_b32 s7, -1, 0
	s_cmp_eq_u32 s58, 0
	s_add_nc_u64 s[58:59], s[58:59], 1
	s_cselect_b32 s8, -1, 0
	s_cmp_eq_u32 s62, s58
	s_wait_loadcnt_dscnt 0x0
	s_wait_alu 0xfffe
	v_cndmask_b32_e32 v4, v4, v40, vcc_lo
	v_cndmask_b32_e64 v3, v3, v40, s6
	v_cndmask_b32_e64 v2, v2, v40, s7
	;; [unrolled: 1-line block ×3, first 2 shown]
	s_cbranch_scc0 .LBB211_47
.LBB211_48:                             ;   in Loop: Header=BB211_16 Depth=2
	s_and_not1_b32 vcc_lo, exec_lo, s64
	s_wait_alu 0xfffe
	s_cbranch_vccnz .LBB211_60
; %bb.49:                               ;   in Loop: Header=BB211_16 Depth=2
	v_dual_mov_b32 v43, 0 :: v_dual_mov_b32 v30, v28
	v_dual_mov_b32 v29, v27 :: v_dual_mov_b32 v42, 0
	;; [unrolled: 1-line block ×3, first 2 shown]
	s_mov_b64 s[8:9], 0
.LBB211_50:                             ;   Parent Loop BB211_3 Depth=1
                                        ;     Parent Loop BB211_16 Depth=2
                                        ; =>    This Inner Loop Header: Depth=3
	s_delay_alu instid0(VALU_DEP_2)
	v_add_co_u32 v44, vcc_lo, v29, s54
	s_wait_alu 0xfffd
	v_add_co_ci_u32_e64 v45, null, s55, v30, vcc_lo
	v_add_co_u32 v46, vcc_lo, v29, s52
	s_wait_alu 0xfffd
	v_add_co_ci_u32_e64 v47, null, s53, v30, vcc_lo
	;; [unrolled: 3-line block ×3, first 2 shown]
	s_clause 0x3
	flat_load_b32 v50, v[29:30]
	flat_load_b32 v44, v[44:45]
	;; [unrolled: 1-line block ×4, first 2 shown]
	s_wait_alu 0xfffe
	s_cmp_eq_u32 s8, 1
	v_add_co_u32 v29, s6, v29, 4
	s_cselect_b32 vcc_lo, -1, 0
	s_cmp_eq_u32 s8, 2
	s_wait_alu 0xfffe
	v_cndmask_b32_e32 v47, v1, v2, vcc_lo
	s_cselect_b32 vcc_lo, -1, 0
	s_cmp_eq_u32 s8, 3
	v_add_co_ci_u32_e64 v30, null, 0, v30, s6
	s_wait_alu 0xfffe
	v_cndmask_b32_e32 v47, v47, v3, vcc_lo
	s_cselect_b32 vcc_lo, -1, 0
	s_add_nc_u64 s[8:9], s[8:9], 1
	s_wait_alu 0xfffe
	s_cmp_lg_u32 s62, s8
	v_cndmask_b32_e32 v47, v47, v4, vcc_lo
	s_wait_loadcnt_dscnt 0x303
	s_delay_alu instid0(VALU_DEP_1)
	v_fmac_f32_e32 v43, v47, v50
	s_wait_loadcnt_dscnt 0x202
	v_fmac_f32_e32 v42, v47, v44
	s_wait_loadcnt_dscnt 0x101
	;; [unrolled: 2-line block ×3, first 2 shown]
	v_fmac_f32_e32 v40, v47, v46
	s_cbranch_scc1 .LBB211_50
	s_branch .LBB211_61
.LBB211_51:                             ;   in Loop: Header=BB211_16 Depth=2
	ds_load_b32 v29, v31
	s_wait_alu 0xfffe
	s_or_b32 exec_lo, exec_lo, s6
	s_and_saveexec_b32 s6, s3
	s_cbranch_execz .LBB211_24
.LBB211_52:                             ;   in Loop: Header=BB211_16 Depth=2
	s_wait_dscnt 0x0
	ds_bpermute_b32 v30, v37, v29
	s_wait_dscnt 0x0
	v_add_f32_e32 v29, v29, v30
	ds_bpermute_b32 v30, v38, v29
	s_wait_dscnt 0x0
	v_add_f32_e32 v29, v29, v30
	;; [unrolled: 3-line block ×3, first 2 shown]
	s_wait_alu 0xfffe
	s_or_b32 exec_lo, exec_lo, s6
	s_and_saveexec_b32 s6, s3
	s_cbranch_execnz .LBB211_25
	s_branch .LBB211_26
.LBB211_53:                             ;   in Loop: Header=BB211_16 Depth=2
	ds_load_b32 v30, v31
	s_wait_alu 0xfffe
	s_or_b32 exec_lo, exec_lo, s6
	s_and_saveexec_b32 s6, s3
	s_cbranch_execz .LBB211_30
.LBB211_54:                             ;   in Loop: Header=BB211_16 Depth=2
	s_wait_dscnt 0x0
	ds_bpermute_b32 v42, v37, v30
	s_wait_dscnt 0x0
	v_add_f32_e32 v30, v30, v42
	ds_bpermute_b32 v42, v38, v30
	s_wait_dscnt 0x0
	v_add_f32_e32 v30, v30, v42
	;; [unrolled: 3-line block ×3, first 2 shown]
	s_wait_alu 0xfffe
	s_or_b32 exec_lo, exec_lo, s6
	s_and_saveexec_b32 s6, s3
	s_cbranch_execnz .LBB211_31
	s_branch .LBB211_32
.LBB211_55:                             ;   in Loop: Header=BB211_16 Depth=2
	ds_load_b32 v41, v31
	s_wait_alu 0xfffe
	s_or_b32 exec_lo, exec_lo, s6
	s_and_saveexec_b32 s6, s3
	s_cbranch_execz .LBB211_36
.LBB211_56:                             ;   in Loop: Header=BB211_16 Depth=2
	s_wait_dscnt 0x0
	ds_bpermute_b32 v42, v37, v41
	s_wait_dscnt 0x0
	v_add_f32_e32 v41, v41, v42
	ds_bpermute_b32 v42, v38, v41
	s_wait_dscnt 0x0
	v_add_f32_e32 v41, v41, v42
	;; [unrolled: 3-line block ×3, first 2 shown]
	s_wait_alu 0xfffe
	s_or_b32 exec_lo, exec_lo, s6
	s_and_saveexec_b32 s6, s3
	s_cbranch_execnz .LBB211_37
	s_branch .LBB211_38
.LBB211_57:                             ;   in Loop: Header=BB211_16 Depth=2
	ds_load_b32 v40, v31
	s_wait_alu 0xfffe
	s_or_b32 exec_lo, exec_lo, s6
	s_and_saveexec_b32 s6, s3
	s_cbranch_execz .LBB211_42
.LBB211_58:                             ;   in Loop: Header=BB211_16 Depth=2
	s_wait_dscnt 0x0
	ds_bpermute_b32 v42, v37, v40
	s_wait_dscnt 0x0
	v_add_f32_e32 v40, v40, v42
	ds_bpermute_b32 v42, v38, v40
	s_wait_dscnt 0x0
	v_add_f32_e32 v40, v40, v42
	;; [unrolled: 3-line block ×3, first 2 shown]
	s_wait_alu 0xfffe
	s_or_b32 exec_lo, exec_lo, s6
	s_and_saveexec_b32 s6, s0
	s_cbranch_execz .LBB211_15
.LBB211_59:                             ;   in Loop: Header=BB211_16 Depth=2
	s_mul_u64 s[8:9], s[24:25], s[30:31]
	v_mul_f32_e32 v29, v35, v29
	s_or_b32 s58, s24, 1
	s_mov_b32 s59, s25
	s_wait_alu 0xfffe
	s_lshl_b64 s[8:9], s[8:9], 2
	s_mul_u64 s[58:59], s[58:59], s[30:31]
	s_wait_alu 0xfffe
	s_add_nc_u64 s[8:9], s[56:57], s[8:9]
	v_mul_f32_e32 v30, v35, v30
	s_or_b32 s66, s24, 2
	s_mov_b32 s67, s25
	global_store_b32 v0, v29, s[8:9]
	s_lshl_b64 s[8:9], s[58:59], 2
	s_mul_u64 s[58:59], s[66:67], s[30:31]
	s_or_b32 s66, s24, 3
	s_wait_alu 0xfffe
	s_add_nc_u64 s[8:9], s[56:57], s[8:9]
	s_mul_u64 s[66:67], s[66:67], s[30:31]
	v_mul_f32_e32 v29, v35, v41
	global_store_b32 v0, v30, s[8:9]
	s_lshl_b64 s[8:9], s[58:59], 2
	s_wait_dscnt 0x0
	v_mul_f32_e32 v30, v35, v40
	s_lshl_b64 s[58:59], s[66:67], 2
	s_wait_alu 0xfffe
	s_add_nc_u64 s[8:9], s[56:57], s[8:9]
	s_add_nc_u64 s[58:59], s[56:57], s[58:59]
	s_clause 0x1
	global_store_b32 v0, v29, s[8:9]
	global_store_b32 v0, v30, s[58:59]
	s_branch .LBB211_15
.LBB211_60:                             ;   in Loop: Header=BB211_16 Depth=2
	v_dual_mov_b32 v40, 0 :: v_dual_mov_b32 v41, 0
	v_dual_mov_b32 v42, 0 :: v_dual_mov_b32 v43, 0
.LBB211_61:                             ;   in Loop: Header=BB211_16 Depth=2
	s_wait_alu 0xfffe
	s_or_b32 exec_lo, exec_lo, s28
	s_delay_alu instid0(SALU_CYCLE_1)
	s_or_b32 exec_lo, exec_lo, s11
	s_and_saveexec_b32 s6, s3
	s_cbranch_execnz .LBB211_19
	s_branch .LBB211_20
.LBB211_62:                             ;   in Loop: Header=BB211_3 Depth=1
	v_mov_b32_e32 v3, v0
	v_dual_mov_b32 v1, v0 :: v_dual_mov_b32 v2, v0
	s_mov_b32 s24, 0
	s_delay_alu instid0(VALU_DEP_2) | instskip(NEXT) | instid1(VALU_DEP_2)
	v_mov_b32_e32 v4, v3
	v_mov_b32_e32 v3, v2
	s_delay_alu instid0(VALU_DEP_3)
	v_mov_b32_e32 v2, v1
	v_mov_b32_e32 v1, v0
.LBB211_63:                             ;   in Loop: Header=BB211_3 Depth=1
	s_wait_alu 0xfffe
	s_cmp_ge_i32 s24, s29
	s_cbranch_scc1 .LBB211_2
; %bb.64:                               ;   in Loop: Header=BB211_3 Depth=1
	v_cmp_gt_u32_e32 vcc_lo, 24, v33
	s_wait_alu 0xfffd
	v_cndmask_b32_e64 v19, 0, 8, vcc_lo
	v_cmp_gt_u32_e32 vcc_lo, 28, v33
	s_delay_alu instid0(VALU_DEP_2) | instskip(SKIP_4) | instid1(VALU_DEP_3)
	v_add_lshl_u32 v29, v19, v33, 2
	s_wait_alu 0xfffd
	v_cndmask_b32_e64 v21, 0, 4, vcc_lo
	v_cmp_gt_u32_e32 vcc_lo, 30, v33
	v_mad_co_u64_u32 v[19:20], null, s54, s24, v[15:16]
	v_add_lshl_u32 v30, v21, v33, 2
	s_wait_alu 0xfffd
	v_cndmask_b32_e64 v22, 0, 2, vcc_lo
	v_cmp_ne_u32_e32 vcc_lo, 31, v33
	s_delay_alu instid0(VALU_DEP_2)
	v_add_lshl_u32 v36, v22, v33, 2
	s_wait_alu 0xfffd
	v_add_co_ci_u32_e64 v23, null, 0, v33, vcc_lo
	v_add_co_u32 v21, vcc_lo, v17, v5
	s_wait_alu 0xfffd
	v_add_co_ci_u32_e64 v22, null, v18, v6, vcc_lo
	s_wait_dscnt 0x0
	s_delay_alu instid0(VALU_DEP_2)
	v_mad_co_u64_u32 v[27:28], null, s55, s24, v[20:21]
	v_lshlrev_b32_e32 v37, 2, v23
	v_add_co_u32 v23, vcc_lo, v17, v9
	s_wait_alu 0xfffd
	v_add_co_ci_u32_e64 v24, null, v18, v10, vcc_lo
	v_add_co_u32 v25, vcc_lo, v17, v11
	s_wait_alu 0xfffd
	v_add_co_ci_u32_e64 v26, null, v18, v12, vcc_lo
	;; [unrolled: 3-line block ×3, first 2 shown]
	v_mov_b32_e32 v20, v27
	s_branch .LBB211_66
.LBB211_65:                             ;   in Loop: Header=BB211_66 Depth=2
	s_wait_alu 0xfffe
	s_or_b32 exec_lo, exec_lo, s6
	v_add_co_u32 v19, vcc_lo, v19, s54
	s_wait_alu 0xfffd
	v_add_co_ci_u32_e64 v20, null, s55, v20, vcc_lo
	s_add_co_i32 s24, s24, 1
	s_wait_alu 0xfffe
	s_cmp_ge_i32 s24, s29
	s_cbranch_scc1 .LBB211_2
.LBB211_66:                             ;   Parent Loop BB211_3 Depth=1
                                        ; =>  This Loop Header: Depth=2
                                        ;       Child Loop BB211_79 Depth 3
                                        ;       Child Loop BB211_82 Depth 3
	v_mov_b32_e32 v38, s25
	s_and_saveexec_b32 s6, s1
	s_wait_alu 0xfffe
	s_xor_b32 s6, exec_lo, s6
	s_cbranch_execnz .LBB211_75
; %bb.67:                               ;   in Loop: Header=BB211_66 Depth=2
	s_wait_alu 0xfffe
	s_and_not1_saveexec_b32 s9, s6
	s_cbranch_execnz .LBB211_76
.LBB211_68:                             ;   in Loop: Header=BB211_66 Depth=2
	s_wait_alu 0xfffe
	s_or_b32 exec_lo, exec_lo, s9
	s_and_saveexec_b32 s6, s3
.LBB211_69:                             ;   in Loop: Header=BB211_66 Depth=2
	ds_store_b32 v31, v0
.LBB211_70:                             ;   in Loop: Header=BB211_66 Depth=2
	s_wait_alu 0xfffe
	s_or_b32 exec_lo, exec_lo, s6
	s_wait_dscnt 0x0
	ds_bpermute_b32 v27, v34, v38
	s_wait_storecnt 0x0
	s_wait_loadcnt_dscnt 0x0
	s_barrier_signal -1
	s_barrier_wait -1
	global_inv scope:SCOPE_SE
	v_add_f32_e32 v27, v38, v27
	ds_bpermute_b32 v28, v29, v27
	s_wait_dscnt 0x0
	v_add_f32_e32 v27, v27, v28
	ds_bpermute_b32 v28, v30, v27
	s_wait_dscnt 0x0
	;; [unrolled: 3-line block ×3, first 2 shown]
	v_add_f32_e32 v27, v27, v28
	ds_bpermute_b32 v28, v37, v27
	s_and_saveexec_b32 s6, s4
	s_cbranch_execz .LBB211_72
; %bb.71:                               ;   in Loop: Header=BB211_66 Depth=2
	s_wait_dscnt 0x0
	v_add_f32_e32 v27, v27, v28
	ds_store_b32 v32, v27
.LBB211_72:                             ;   in Loop: Header=BB211_66 Depth=2
	s_wait_alu 0xfffe
	s_or_b32 exec_lo, exec_lo, s6
	v_mov_b32_e32 v27, 0
	s_wait_loadcnt_dscnt 0x0
	s_barrier_signal -1
	s_barrier_wait -1
	global_inv scope:SCOPE_SE
	s_and_saveexec_b32 s6, s5
	s_cbranch_execnz .LBB211_84
; %bb.73:                               ;   in Loop: Header=BB211_66 Depth=2
	s_wait_alu 0xfffe
	s_or_b32 exec_lo, exec_lo, s6
	s_and_saveexec_b32 s6, s3
	s_cbranch_execnz .LBB211_85
.LBB211_74:                             ;   in Loop: Header=BB211_66 Depth=2
	s_wait_alu 0xfffe
	s_or_b32 exec_lo, exec_lo, s6
	s_and_saveexec_b32 s6, s0
	s_cbranch_execz .LBB211_65
	s_branch .LBB211_86
.LBB211_75:                             ;   in Loop: Header=BB211_66 Depth=2
	s_mul_u64 s[8:9], s[24:25], s[26:27]
	s_wait_alu 0xfffe
	s_lshl_b64 s[8:9], s[8:9], 2
	s_wait_alu 0xfffe
	v_add_co_u32 v1, vcc_lo, v15, s8
	s_wait_alu 0xfffd
	v_add_co_ci_u32_e64 v2, null, s9, v16, vcc_lo
	s_wait_dscnt 0x0
	flat_load_b128 v[38:41], v[1:2]
	s_clause 0x3
	flat_load_b32 v1, v[21:22]
	flat_load_b32 v2, v[23:24]
	;; [unrolled: 1-line block ×4, first 2 shown]
	s_wait_loadcnt_dscnt 0x303
	v_fma_f32 v38, v1, v38, 0
	s_wait_loadcnt_dscnt 0x202
	s_delay_alu instid0(VALU_DEP_1) | instskip(SKIP_1) | instid1(VALU_DEP_1)
	v_fmac_f32_e32 v38, v2, v39
	s_wait_loadcnt_dscnt 0x101
	v_fmac_f32_e32 v38, v3, v40
	s_wait_loadcnt_dscnt 0x0
	s_delay_alu instid0(VALU_DEP_1)
	v_fmac_f32_e32 v38, v4, v41
	s_and_not1_saveexec_b32 s9, s6
	s_cbranch_execz .LBB211_68
.LBB211_76:                             ;   in Loop: Header=BB211_66 Depth=2
	s_and_saveexec_b32 s11, s2
	s_cbranch_execz .LBB211_83
; %bb.77:                               ;   in Loop: Header=BB211_66 Depth=2
	s_and_not1_b32 vcc_lo, exec_lo, s64
	s_wait_alu 0xfffe
	s_cbranch_vccnz .LBB211_80
; %bb.78:                               ;   in Loop: Header=BB211_66 Depth=2
	s_wait_dscnt 0x0
	v_dual_mov_b32 v28, v22 :: v_dual_mov_b32 v27, v21
	s_mov_b64 s[58:59], 0
.LBB211_79:                             ;   Parent Loop BB211_3 Depth=1
                                        ;     Parent Loop BB211_66 Depth=2
                                        ; =>    This Inner Loop Header: Depth=3
	flat_load_b32 v39, v[27:28]
	s_cmp_eq_u32 s58, 3
	v_add_co_u32 v27, vcc_lo, v27, s46
	s_wait_alu 0xfffd
	v_add_co_ci_u32_e64 v28, null, s47, v28, vcc_lo
	s_cselect_b32 vcc_lo, -1, 0
	s_cmp_eq_u32 s58, 2
	s_cselect_b32 s6, -1, 0
	s_cmp_eq_u32 s58, 1
	s_cselect_b32 s7, -1, 0
	s_cmp_eq_u32 s58, 0
	s_add_nc_u64 s[58:59], s[58:59], 1
	s_cselect_b32 s8, -1, 0
	s_cmp_eq_u32 s62, s58
	s_wait_loadcnt_dscnt 0x0
	s_wait_alu 0xfffe
	v_cndmask_b32_e32 v4, v4, v39, vcc_lo
	v_cndmask_b32_e64 v3, v3, v39, s6
	v_cndmask_b32_e64 v2, v2, v39, s7
	;; [unrolled: 1-line block ×3, first 2 shown]
	s_cbranch_scc0 .LBB211_79
.LBB211_80:                             ;   in Loop: Header=BB211_66 Depth=2
	s_and_not1_b32 vcc_lo, exec_lo, s64
	s_wait_alu 0xfffe
	s_cbranch_vccnz .LBB211_83
; %bb.81:                               ;   in Loop: Header=BB211_66 Depth=2
	s_wait_dscnt 0x0
	v_dual_mov_b32 v28, v20 :: v_dual_mov_b32 v27, v19
	s_mov_b64 s[6:7], 0
.LBB211_82:                             ;   Parent Loop BB211_3 Depth=1
                                        ;     Parent Loop BB211_66 Depth=2
                                        ; =>    This Inner Loop Header: Depth=3
	flat_load_b32 v39, v[27:28]
	s_wait_alu 0xfffe
	s_cmp_eq_u32 s6, 1
	s_cselect_b32 vcc_lo, -1, 0
	s_cmp_eq_u32 s6, 2
	s_wait_dscnt 0x1
	s_wait_alu 0xfffe
	v_cndmask_b32_e32 v40, v1, v2, vcc_lo
	s_cselect_b32 vcc_lo, -1, 0
	s_cmp_eq_u32 s6, 3
	s_add_nc_u64 s[6:7], s[6:7], 1
	s_wait_alu 0xfffe
	v_cndmask_b32_e32 v40, v40, v3, vcc_lo
	s_cselect_b32 vcc_lo, -1, 0
	s_cmp_lg_u32 s62, s6
	s_wait_alu 0xfffe
	s_delay_alu instid0(VALU_DEP_1)
	v_cndmask_b32_e32 v40, v40, v4, vcc_lo
	v_add_co_u32 v27, vcc_lo, v27, 4
	s_wait_alu 0xfffd
	v_add_co_ci_u32_e64 v28, null, 0, v28, vcc_lo
	s_wait_loadcnt_dscnt 0x0
	v_fmac_f32_e32 v38, v40, v39
	s_cbranch_scc1 .LBB211_82
.LBB211_83:                             ;   in Loop: Header=BB211_66 Depth=2
	s_or_b32 exec_lo, exec_lo, s11
	s_wait_alu 0xfffe
	s_or_b32 exec_lo, exec_lo, s9
	s_and_saveexec_b32 s6, s3
	s_cbranch_execnz .LBB211_69
	s_branch .LBB211_70
.LBB211_84:                             ;   in Loop: Header=BB211_66 Depth=2
	ds_load_b32 v27, v31
	s_wait_alu 0xfffe
	s_or_b32 exec_lo, exec_lo, s6
	s_and_saveexec_b32 s6, s3
	s_cbranch_execz .LBB211_74
.LBB211_85:                             ;   in Loop: Header=BB211_66 Depth=2
	s_wait_dscnt 0x0
	ds_bpermute_b32 v28, v30, v27
	s_wait_dscnt 0x0
	v_add_f32_e32 v27, v27, v28
	ds_bpermute_b32 v28, v36, v27
	s_wait_dscnt 0x0
	v_add_f32_e32 v27, v27, v28
	;; [unrolled: 3-line block ×3, first 2 shown]
	s_wait_alu 0xfffe
	s_or_b32 exec_lo, exec_lo, s6
	s_and_saveexec_b32 s6, s0
	s_cbranch_execz .LBB211_65
.LBB211_86:                             ;   in Loop: Header=BB211_66 Depth=2
	s_mul_u64 s[8:9], s[24:25], s[30:31]
	s_wait_dscnt 0x0
	v_mul_f32_e32 v27, v35, v27
	s_wait_alu 0xfffe
	s_lshl_b64 s[8:9], s[8:9], 2
	s_wait_alu 0xfffe
	s_add_nc_u64 s[8:9], s[56:57], s[8:9]
	global_store_b32 v0, v27, s[8:9]
	s_branch .LBB211_65
.LBB211_87:
	s_endpgm
	.section	.rodata,"a",@progbits
	.p2align	6, 0x0
	.amdhsa_kernel _ZL23rocblas_gemvt_sn_kernelILb0ELi256ELi4ElPKfS1_fEviiT4_lPKT3_lilS5_lilPT5_i
		.amdhsa_group_segment_fixed_size 128
		.amdhsa_private_segment_fixed_size 0
		.amdhsa_kernarg_size 360
		.amdhsa_user_sgpr_count 2
		.amdhsa_user_sgpr_dispatch_ptr 0
		.amdhsa_user_sgpr_queue_ptr 0
		.amdhsa_user_sgpr_kernarg_segment_ptr 1
		.amdhsa_user_sgpr_dispatch_id 0
		.amdhsa_user_sgpr_private_segment_size 0
		.amdhsa_wavefront_size32 1
		.amdhsa_uses_dynamic_stack 0
		.amdhsa_enable_private_segment 0
		.amdhsa_system_sgpr_workgroup_id_x 1
		.amdhsa_system_sgpr_workgroup_id_y 0
		.amdhsa_system_sgpr_workgroup_id_z 1
		.amdhsa_system_sgpr_workgroup_info 0
		.amdhsa_system_vgpr_workitem_id 0
		.amdhsa_next_free_vgpr 59
		.amdhsa_next_free_sgpr 68
		.amdhsa_reserve_vcc 1
		.amdhsa_float_round_mode_32 0
		.amdhsa_float_round_mode_16_64 0
		.amdhsa_float_denorm_mode_32 3
		.amdhsa_float_denorm_mode_16_64 3
		.amdhsa_fp16_overflow 0
		.amdhsa_workgroup_processor_mode 1
		.amdhsa_memory_ordered 1
		.amdhsa_forward_progress 1
		.amdhsa_inst_pref_size 36
		.amdhsa_round_robin_scheduling 0
		.amdhsa_exception_fp_ieee_invalid_op 0
		.amdhsa_exception_fp_denorm_src 0
		.amdhsa_exception_fp_ieee_div_zero 0
		.amdhsa_exception_fp_ieee_overflow 0
		.amdhsa_exception_fp_ieee_underflow 0
		.amdhsa_exception_fp_ieee_inexact 0
		.amdhsa_exception_int_div_zero 0
	.end_amdhsa_kernel
	.section	.text._ZL23rocblas_gemvt_sn_kernelILb0ELi256ELi4ElPKfS1_fEviiT4_lPKT3_lilS5_lilPT5_i,"axG",@progbits,_ZL23rocblas_gemvt_sn_kernelILb0ELi256ELi4ElPKfS1_fEviiT4_lPKT3_lilS5_lilPT5_i,comdat
.Lfunc_end211:
	.size	_ZL23rocblas_gemvt_sn_kernelILb0ELi256ELi4ElPKfS1_fEviiT4_lPKT3_lilS5_lilPT5_i, .Lfunc_end211-_ZL23rocblas_gemvt_sn_kernelILb0ELi256ELi4ElPKfS1_fEviiT4_lPKT3_lilS5_lilPT5_i
                                        ; -- End function
	.set _ZL23rocblas_gemvt_sn_kernelILb0ELi256ELi4ElPKfS1_fEviiT4_lPKT3_lilS5_lilPT5_i.num_vgpr, 59
	.set _ZL23rocblas_gemvt_sn_kernelILb0ELi256ELi4ElPKfS1_fEviiT4_lPKT3_lilS5_lilPT5_i.num_agpr, 0
	.set _ZL23rocblas_gemvt_sn_kernelILb0ELi256ELi4ElPKfS1_fEviiT4_lPKT3_lilS5_lilPT5_i.numbered_sgpr, 68
	.set _ZL23rocblas_gemvt_sn_kernelILb0ELi256ELi4ElPKfS1_fEviiT4_lPKT3_lilS5_lilPT5_i.num_named_barrier, 0
	.set _ZL23rocblas_gemvt_sn_kernelILb0ELi256ELi4ElPKfS1_fEviiT4_lPKT3_lilS5_lilPT5_i.private_seg_size, 0
	.set _ZL23rocblas_gemvt_sn_kernelILb0ELi256ELi4ElPKfS1_fEviiT4_lPKT3_lilS5_lilPT5_i.uses_vcc, 1
	.set _ZL23rocblas_gemvt_sn_kernelILb0ELi256ELi4ElPKfS1_fEviiT4_lPKT3_lilS5_lilPT5_i.uses_flat_scratch, 1
	.set _ZL23rocblas_gemvt_sn_kernelILb0ELi256ELi4ElPKfS1_fEviiT4_lPKT3_lilS5_lilPT5_i.has_dyn_sized_stack, 0
	.set _ZL23rocblas_gemvt_sn_kernelILb0ELi256ELi4ElPKfS1_fEviiT4_lPKT3_lilS5_lilPT5_i.has_recursion, 0
	.set _ZL23rocblas_gemvt_sn_kernelILb0ELi256ELi4ElPKfS1_fEviiT4_lPKT3_lilS5_lilPT5_i.has_indirect_call, 0
	.section	.AMDGPU.csdata,"",@progbits
; Kernel info:
; codeLenInByte = 4508
; TotalNumSgprs: 70
; NumVgprs: 59
; ScratchSize: 0
; MemoryBound: 0
; FloatMode: 240
; IeeeMode: 1
; LDSByteSize: 128 bytes/workgroup (compile time only)
; SGPRBlocks: 0
; VGPRBlocks: 7
; NumSGPRsForWavesPerEU: 70
; NumVGPRsForWavesPerEU: 59
; Occupancy: 16
; WaveLimiterHint : 0
; COMPUTE_PGM_RSRC2:SCRATCH_EN: 0
; COMPUTE_PGM_RSRC2:USER_SGPR: 2
; COMPUTE_PGM_RSRC2:TRAP_HANDLER: 0
; COMPUTE_PGM_RSRC2:TGID_X_EN: 1
; COMPUTE_PGM_RSRC2:TGID_Y_EN: 0
; COMPUTE_PGM_RSRC2:TGID_Z_EN: 1
; COMPUTE_PGM_RSRC2:TIDIG_COMP_CNT: 0
	.section	.text._ZL23rocblas_gemvt_sn_kernelILb0ELi256ELi4EiPKfffEviiT4_lPKT3_lilS5_lilPT5_i,"axG",@progbits,_ZL23rocblas_gemvt_sn_kernelILb0ELi256ELi4EiPKfffEviiT4_lPKT3_lilS5_lilPT5_i,comdat
	.globl	_ZL23rocblas_gemvt_sn_kernelILb0ELi256ELi4EiPKfffEviiT4_lPKT3_lilS5_lilPT5_i ; -- Begin function _ZL23rocblas_gemvt_sn_kernelILb0ELi256ELi4EiPKfffEviiT4_lPKT3_lilS5_lilPT5_i
	.p2align	8
	.type	_ZL23rocblas_gemvt_sn_kernelILb0ELi256ELi4EiPKfffEviiT4_lPKT3_lilS5_lilPT5_i,@function
_ZL23rocblas_gemvt_sn_kernelILb0ELi256ELi4EiPKfffEviiT4_lPKT3_lilS5_lilPT5_i: ; @_ZL23rocblas_gemvt_sn_kernelILb0ELi256ELi4EiPKfffEviiT4_lPKT3_lilS5_lilPT5_i
; %bb.0:
	s_load_b32 s23, s[0:1], 0x60
	s_lshr_b32 s10, ttmp7, 16
	s_wait_kmcnt 0x0
	s_cmp_ge_u32 s10, s23
	s_cbranch_scc1 .LBB212_89
; %bb.1:
	s_clause 0x6
	s_load_b96 s[20:22], s[0:1], 0x0
	s_load_b128 s[12:15], s[0:1], 0x18
	s_load_b32 s26, s[0:1], 0x28
	s_load_b128 s[16:19], s[0:1], 0x38
	s_load_b32 s33, s[0:1], 0x48
	s_load_b64 s[28:29], s[0:1], 0x58
	s_load_b32 s30, s[0:1], 0x68
	s_mov_b32 s35, 0
	v_cmp_eq_u32_e64 s0, 0, v0
	s_mov_b32 s31, s35
	v_and_b32_e32 v1, 31, v0
	v_cmp_gt_u32_e64 s1, 32, v0
	v_cmp_gt_u32_e64 s2, 8, v0
	v_lshrrev_b32_e32 v2, 3, v0
	v_mbcnt_lo_u32_b32 v31, -1, 0
	v_cmp_eq_u32_e64 s3, 0, v1
	v_lshlrev_b32_e32 v29, 2, v1
	s_mov_b32 s24, ttmp9
	v_and_b32_e32 v30, 28, v2
	s_mov_b32 s25, s35
	s_wait_kmcnt 0x0
	s_cmp_neq_f32 s22, 0
	s_mov_b32 s4, s21
	s_mov_b32 s27, s35
	;; [unrolled: 1-line block ×3, first 2 shown]
	s_cselect_b32 s60, -1, 0
	s_cmp_eq_f32 s22, 0
	s_cselect_b32 s61, -1, 0
	s_ashr_i32 s5, s21, 31
	s_cmp_gt_i32 s21, 0
	s_mul_u64 s[36:37], s[4:5], s[30:31]
	s_cselect_b32 s4, -1, 0
	s_lshl_b32 s6, ttmp9, 10
	s_lshr_b32 s5, s5, 30
	v_lshl_or_b32 v0, v0, 2, s6
	s_ashr_i32 s7, s20, 31
	s_and_b32 s62, s0, s4
	s_add_co_i32 s4, s21, s5
	s_wait_alu 0xfffe
	s_lshr_b32 s5, s7, 30
	v_mul_lo_u32 v5, s33, v0
	s_and_b32 s63, s4, -4
	s_add_co_i32 s4, s20, s5
	v_add_nc_u32_e32 v3, 4, v0
	s_and_b32 s4, s4, -4
	v_ashrrev_i32_e32 v1, 31, v0
	s_sub_co_i32 s64, s20, s4
	s_cmp_gt_i32 s63, 0
	v_add_nc_u32_e32 v2, s33, v5
	v_cmp_ge_i32_e64 s4, s20, v3
	v_ashrrev_i32_e32 v6, 31, v5
	v_add_nc_u32_e32 v4, s64, v0
	s_cselect_b32 s65, -1, 0
	v_add_nc_u32_e32 v13, s33, v2
	v_ashrrev_i32_e32 v3, 31, v2
	s_cmp_gt_i32 s64, 0
	v_lshlrev_b64_e32 v[7:8], 2, v[0:1]
	s_cselect_b32 s66, -1, 0
	v_add_nc_u32_e32 v15, s33, v13
	v_ashrrev_i32_e32 v14, 31, v13
	s_lshl_b32 s34, s26, 1
	v_lshlrev_b64_e32 v[9:10], 2, v[5:6]
	v_lshlrev_b64_e32 v[11:12], 2, v[2:3]
	v_ashrrev_i32_e32 v16, 31, v15
	v_lshlrev_b64_e32 v[13:14], 2, v[13:14]
	v_cmp_ge_i32_e64 s5, s20, v4
	v_mov_b32_e32 v0, 0
	v_lshl_or_b32 v6, v31, 2, 64
	v_lshlrev_b64_e32 v[15:16], 2, v[15:16]
	s_mov_b64 s[42:43], s[34:35]
	s_mul_i32 s34, s26, 3
	s_lshl_b64 s[38:39], s[30:31], 2
	s_lshl_b32 s40, s26, 2
	s_mov_b64 s[44:45], s[34:35]
	s_lshl_b64 s[14:15], s[14:15], 2
	s_lshl_b64 s[18:19], s[18:19], 2
	;; [unrolled: 1-line block ×3, first 2 shown]
	s_branch .LBB212_3
.LBB212_2:                              ;   in Loop: Header=BB212_3 Depth=1
	s_add_co_i32 s10, s10, 0x10000
	s_delay_alu instid0(SALU_CYCLE_1)
	s_cmp_lt_u32 s10, s23
	s_cbranch_scc0 .LBB212_89
.LBB212_3:                              ; =>This Loop Header: Depth=1
                                        ;     Child Loop BB212_12 Depth 2
                                        ;     Child Loop BB212_18 Depth 2
                                        ;       Child Loop BB212_49 Depth 3
                                        ;       Child Loop BB212_52 Depth 3
                                        ;     Child Loop BB212_68 Depth 2
                                        ;       Child Loop BB212_81 Depth 3
                                        ;       Child Loop BB212_84 Depth 3
	s_mov_b32 s11, s35
	s_and_not1_b32 vcc_lo, exec_lo, s61
	s_mov_b32 s6, -1
	s_wait_alu 0xfffe
	s_cbranch_vccnz .LBB212_5
; %bb.4:                                ;   in Loop: Header=BB212_3 Depth=1
	s_mov_b32 s6, 0
.LBB212_5:                              ;   in Loop: Header=BB212_3 Depth=1
	v_mov_b32_e32 v17, 0
	v_dual_mov_b32 v18, 0 :: v_dual_mov_b32 v1, 0
	v_mov_b32_e32 v2, 0
	s_wait_alu 0xfffe
	s_and_not1_b32 vcc_lo, exec_lo, s6
	s_wait_alu 0xfffe
	s_cbranch_vccnz .LBB212_7
; %bb.6:                                ;   in Loop: Header=BB212_3 Depth=1
	s_lshl_b64 s[6:7], s[10:11], 3
	s_wait_alu 0xfffe
	s_add_nc_u64 s[6:7], s[12:13], s[6:7]
	global_load_b64 v[1:2], v0, s[6:7]
	s_wait_loadcnt 0x0
	v_add_co_u32 v1, vcc_lo, v1, s14
	s_wait_alu 0xfffd
	v_add_co_ci_u32_e64 v2, null, s15, v2, vcc_lo
.LBB212_7:                              ;   in Loop: Header=BB212_3 Depth=1
	s_and_not1_b32 vcc_lo, exec_lo, s60
	s_wait_alu 0xfffe
	s_cbranch_vccnz .LBB212_9
; %bb.8:                                ;   in Loop: Header=BB212_3 Depth=1
	s_lshl_b64 s[6:7], s[10:11], 3
	s_wait_alu 0xfffe
	s_add_nc_u64 s[6:7], s[16:17], s[6:7]
	global_load_b64 v[3:4], v0, s[6:7]
	s_wait_loadcnt 0x0
	v_add_co_u32 v17, vcc_lo, v3, s18
	s_wait_alu 0xfffd
	v_add_co_ci_u32_e64 v18, null, s19, v4, vcc_lo
.LBB212_9:                              ;   in Loop: Header=BB212_3 Depth=1
	s_mul_u64 s[6:7], s[36:37], s[10:11]
	s_and_not1_b32 vcc_lo, exec_lo, s61
	s_wait_alu 0xfffe
	s_lshl_b64 s[6:7], s[6:7], 2
	s_wait_alu 0xfffe
	s_add_nc_u64 s[48:49], s[28:29], s[6:7]
	s_mov_b32 s6, -1
	s_cbranch_vccnz .LBB212_14
; %bb.10:                               ;   in Loop: Header=BB212_3 Depth=1
	s_and_saveexec_b32 s8, s62
	s_cbranch_execz .LBB212_13
; %bb.11:                               ;   in Loop: Header=BB212_3 Depth=1
	s_add_nc_u64 s[6:7], s[48:49], s[46:47]
	s_mov_b32 s9, s21
.LBB212_12:                             ;   Parent Loop BB212_3 Depth=1
                                        ; =>  This Inner Loop Header: Depth=2
	s_wait_alu 0xfffe
	s_add_co_i32 s9, s9, -1
	global_store_b32 v0, v0, s[6:7]
	s_wait_alu 0xfffe
	s_cmp_eq_u32 s9, 0
	s_add_nc_u64 s[6:7], s[6:7], s[38:39]
	s_cbranch_scc0 .LBB212_12
.LBB212_13:                             ;   in Loop: Header=BB212_3 Depth=1
	s_wait_alu 0xfffe
	s_or_b32 exec_lo, exec_lo, s8
	s_mov_b32 s6, 0
.LBB212_14:                             ;   in Loop: Header=BB212_3 Depth=1
	s_wait_alu 0xfffe
	s_and_not1_b32 vcc_lo, exec_lo, s6
	s_wait_alu 0xfffe
	s_cbranch_vccnz .LBB212_2
; %bb.15:                               ;   in Loop: Header=BB212_3 Depth=1
	v_add_co_u32 v32, vcc_lo, v1, v7
	s_wait_alu 0xfffd
	v_add_co_ci_u32_e64 v33, null, v2, v8, vcc_lo
	v_cmp_gt_u32_e64 s9, 24, v31
	v_cmp_gt_u32_e64 s8, 28, v31
	;; [unrolled: 1-line block ×3, first 2 shown]
	v_cmp_ne_u32_e64 s6, 31, v31
	s_and_not1_b32 vcc_lo, exec_lo, s65
	s_wait_alu 0xfffe
	s_cbranch_vccnz .LBB212_64
; %bb.16:                               ;   in Loop: Header=BB212_3 Depth=1
	v_cndmask_b32_e64 v3, 0, 2, s7
	v_add_co_u32 v19, vcc_lo, v17, v9
	v_cndmask_b32_e64 v1, 0, 8, s9
	v_cndmask_b32_e64 v2, 0, 4, s8
	v_add_co_ci_u32_e64 v4, null, 0, v31, s6
	v_add_lshl_u32 v36, v3, v31, 2
	s_wait_alu 0xfffd
	v_add_co_ci_u32_e64 v20, null, v18, v10, vcc_lo
	v_add_co_u32 v21, vcc_lo, v17, v11
	v_mov_b32_e32 v3, v0
	s_wait_alu 0xfffd
	v_add_co_ci_u32_e64 v22, null, v18, v12, vcc_lo
	v_add_co_u32 v23, vcc_lo, v17, v13
	v_add_lshl_u32 v34, v1, v31, 2
	v_add_lshl_u32 v35, v2, v31, 2
	v_dual_mov_b32 v2, v0 :: v_dual_lshlrev_b32 v37, 2, v4
	s_wait_alu 0xfffd
	v_add_co_ci_u32_e64 v24, null, v18, v14, vcc_lo
	v_mov_b32_e32 v1, v0
	v_add_co_u32 v25, vcc_lo, v17, v15
	v_mov_b32_e32 v4, v3
	s_wait_alu 0xfffd
	v_add_co_ci_u32_e64 v26, null, v18, v16, vcc_lo
	v_mov_b32_e32 v3, v2
	v_mov_b32_e32 v2, v1
	v_mov_b32_e32 v1, v0
	s_mov_b32 s50, 0
	s_mov_b64 s[52:53], s[44:45]
	s_mov_b64 s[54:55], s[42:43]
	;; [unrolled: 1-line block ×3, first 2 shown]
	s_mov_b32 s11, 0
	s_branch .LBB212_18
.LBB212_17:                             ;   in Loop: Header=BB212_18 Depth=2
	s_wait_alu 0xfffe
	s_or_b32 exec_lo, exec_lo, s6
	s_add_co_i32 s11, s11, 4
	s_add_co_i32 s50, s50, s40
	s_add_nc_u64 s[56:57], s[56:57], s[40:41]
	s_add_nc_u64 s[54:55], s[54:55], s[40:41]
	s_cmp_ge_i32 s11, s63
	s_add_nc_u64 s[52:53], s[52:53], s[40:41]
	s_cbranch_scc1 .LBB212_65
.LBB212_18:                             ;   Parent Loop BB212_3 Depth=1
                                        ; =>  This Loop Header: Depth=2
                                        ;       Child Loop BB212_49 Depth 3
                                        ;       Child Loop BB212_52 Depth 3
                                        ; implicit-def: $vgpr38
                                        ; implicit-def: $vgpr39
                                        ; implicit-def: $vgpr40
                                        ; implicit-def: $vgpr41
	s_and_saveexec_b32 s6, s4
	s_wait_alu 0xfffe
	s_xor_b32 s6, exec_lo, s6
	s_cbranch_execnz .LBB212_45
; %bb.19:                               ;   in Loop: Header=BB212_18 Depth=2
	s_wait_alu 0xfffe
	s_and_not1_saveexec_b32 s20, s6
	s_cbranch_execnz .LBB212_46
.LBB212_20:                             ;   in Loop: Header=BB212_18 Depth=2
	s_wait_alu 0xfffe
	s_or_b32 exec_lo, exec_lo, s20
	s_and_saveexec_b32 s6, s1
.LBB212_21:                             ;   in Loop: Header=BB212_18 Depth=2
	ds_store_b32 v29, v0
.LBB212_22:                             ;   in Loop: Header=BB212_18 Depth=2
	s_wait_alu 0xfffe
	s_or_b32 exec_lo, exec_lo, s6
	s_wait_dscnt 0x0
	ds_bpermute_b32 v27, v6, v41
	s_wait_storecnt_dscnt 0x0
	s_barrier_signal -1
	s_barrier_wait -1
	global_inv scope:SCOPE_SE
	v_add_f32_e32 v27, v41, v27
	ds_bpermute_b32 v28, v34, v27
	s_wait_dscnt 0x0
	v_add_f32_e32 v27, v27, v28
	ds_bpermute_b32 v28, v35, v27
	s_wait_dscnt 0x0
	;; [unrolled: 3-line block ×3, first 2 shown]
	v_add_f32_e32 v27, v27, v28
	ds_bpermute_b32 v28, v37, v27
	s_and_saveexec_b32 s6, s3
	s_cbranch_execz .LBB212_24
; %bb.23:                               ;   in Loop: Header=BB212_18 Depth=2
	s_wait_dscnt 0x0
	v_add_f32_e32 v27, v27, v28
	ds_store_b32 v30, v27
.LBB212_24:                             ;   in Loop: Header=BB212_18 Depth=2
	s_wait_alu 0xfffe
	s_or_b32 exec_lo, exec_lo, s6
	v_mov_b32_e32 v27, 0
	s_wait_loadcnt_dscnt 0x0
	s_barrier_signal -1
	s_barrier_wait -1
	global_inv scope:SCOPE_SE
	s_and_saveexec_b32 s6, s2
	s_cbranch_execnz .LBB212_53
; %bb.25:                               ;   in Loop: Header=BB212_18 Depth=2
	s_wait_alu 0xfffe
	s_or_b32 exec_lo, exec_lo, s6
	s_and_saveexec_b32 s6, s1
	s_cbranch_execnz .LBB212_54
.LBB212_26:                             ;   in Loop: Header=BB212_18 Depth=2
	s_wait_alu 0xfffe
	s_or_b32 exec_lo, exec_lo, s6
	s_and_saveexec_b32 s6, s1
.LBB212_27:                             ;   in Loop: Header=BB212_18 Depth=2
	ds_store_b32 v29, v0
.LBB212_28:                             ;   in Loop: Header=BB212_18 Depth=2
	s_wait_alu 0xfffe
	s_or_b32 exec_lo, exec_lo, s6
	ds_bpermute_b32 v28, v6, v40
	s_wait_loadcnt_dscnt 0x0
	s_barrier_signal -1
	s_barrier_wait -1
	global_inv scope:SCOPE_SE
	v_add_f32_e32 v28, v40, v28
	ds_bpermute_b32 v40, v34, v28
	s_wait_dscnt 0x0
	v_add_f32_e32 v28, v28, v40
	ds_bpermute_b32 v40, v35, v28
	s_wait_dscnt 0x0
	;; [unrolled: 3-line block ×3, first 2 shown]
	v_add_f32_e32 v28, v28, v40
	ds_bpermute_b32 v40, v37, v28
	s_and_saveexec_b32 s6, s3
	s_cbranch_execz .LBB212_30
; %bb.29:                               ;   in Loop: Header=BB212_18 Depth=2
	s_wait_dscnt 0x0
	v_add_f32_e32 v28, v28, v40
	ds_store_b32 v30, v28
.LBB212_30:                             ;   in Loop: Header=BB212_18 Depth=2
	s_wait_alu 0xfffe
	s_or_b32 exec_lo, exec_lo, s6
	v_mov_b32_e32 v28, 0
	s_wait_loadcnt_dscnt 0x0
	s_barrier_signal -1
	s_barrier_wait -1
	global_inv scope:SCOPE_SE
	s_and_saveexec_b32 s6, s2
	s_cbranch_execnz .LBB212_55
; %bb.31:                               ;   in Loop: Header=BB212_18 Depth=2
	s_wait_alu 0xfffe
	s_or_b32 exec_lo, exec_lo, s6
	s_and_saveexec_b32 s6, s1
	s_cbranch_execnz .LBB212_56
.LBB212_32:                             ;   in Loop: Header=BB212_18 Depth=2
	s_wait_alu 0xfffe
	s_or_b32 exec_lo, exec_lo, s6
	s_and_saveexec_b32 s6, s1
.LBB212_33:                             ;   in Loop: Header=BB212_18 Depth=2
	ds_store_b32 v29, v0
.LBB212_34:                             ;   in Loop: Header=BB212_18 Depth=2
	s_wait_alu 0xfffe
	s_or_b32 exec_lo, exec_lo, s6
	ds_bpermute_b32 v40, v6, v39
	s_wait_loadcnt_dscnt 0x0
	s_barrier_signal -1
	s_barrier_wait -1
	global_inv scope:SCOPE_SE
	v_add_f32_e32 v39, v39, v40
	ds_bpermute_b32 v40, v34, v39
	s_wait_dscnt 0x0
	v_add_f32_e32 v39, v39, v40
	ds_bpermute_b32 v40, v35, v39
	s_wait_dscnt 0x0
	v_add_f32_e32 v39, v39, v40
	ds_bpermute_b32 v40, v36, v39
	s_wait_dscnt 0x0
	v_add_f32_e32 v39, v39, v40
	ds_bpermute_b32 v40, v37, v39
	s_and_saveexec_b32 s6, s3
	s_cbranch_execz .LBB212_36
; %bb.35:                               ;   in Loop: Header=BB212_18 Depth=2
	s_wait_dscnt 0x0
	v_add_f32_e32 v39, v39, v40
	ds_store_b32 v30, v39
.LBB212_36:                             ;   in Loop: Header=BB212_18 Depth=2
	s_wait_alu 0xfffe
	s_or_b32 exec_lo, exec_lo, s6
	v_mov_b32_e32 v39, 0
	s_wait_loadcnt_dscnt 0x0
	s_barrier_signal -1
	s_barrier_wait -1
	global_inv scope:SCOPE_SE
	s_and_saveexec_b32 s6, s2
	s_cbranch_execnz .LBB212_57
; %bb.37:                               ;   in Loop: Header=BB212_18 Depth=2
	s_wait_alu 0xfffe
	s_or_b32 exec_lo, exec_lo, s6
	s_and_saveexec_b32 s6, s1
	s_cbranch_execnz .LBB212_58
.LBB212_38:                             ;   in Loop: Header=BB212_18 Depth=2
	s_wait_alu 0xfffe
	s_or_b32 exec_lo, exec_lo, s6
	s_and_saveexec_b32 s6, s1
.LBB212_39:                             ;   in Loop: Header=BB212_18 Depth=2
	ds_store_b32 v29, v0
.LBB212_40:                             ;   in Loop: Header=BB212_18 Depth=2
	s_wait_alu 0xfffe
	s_or_b32 exec_lo, exec_lo, s6
	ds_bpermute_b32 v40, v6, v38
	s_wait_loadcnt_dscnt 0x0
	s_barrier_signal -1
	s_barrier_wait -1
	global_inv scope:SCOPE_SE
	v_add_f32_e32 v38, v38, v40
	ds_bpermute_b32 v40, v34, v38
	s_wait_dscnt 0x0
	v_add_f32_e32 v38, v38, v40
	ds_bpermute_b32 v40, v35, v38
	s_wait_dscnt 0x0
	;; [unrolled: 3-line block ×3, first 2 shown]
	v_add_f32_e32 v38, v38, v40
	ds_bpermute_b32 v40, v37, v38
	s_and_saveexec_b32 s6, s3
	s_cbranch_execz .LBB212_42
; %bb.41:                               ;   in Loop: Header=BB212_18 Depth=2
	s_wait_dscnt 0x0
	v_add_f32_e32 v38, v38, v40
	ds_store_b32 v30, v38
.LBB212_42:                             ;   in Loop: Header=BB212_18 Depth=2
	s_wait_alu 0xfffe
	s_or_b32 exec_lo, exec_lo, s6
	v_mov_b32_e32 v38, 0
	s_wait_loadcnt_dscnt 0x0
	s_barrier_signal -1
	s_barrier_wait -1
	global_inv scope:SCOPE_SE
	s_and_saveexec_b32 s6, s2
	s_cbranch_execnz .LBB212_59
; %bb.43:                               ;   in Loop: Header=BB212_18 Depth=2
	s_wait_alu 0xfffe
	s_or_b32 exec_lo, exec_lo, s6
	s_and_saveexec_b32 s6, s1
	s_cbranch_execnz .LBB212_60
.LBB212_44:                             ;   in Loop: Header=BB212_18 Depth=2
	s_wait_alu 0xfffe
	s_or_b32 exec_lo, exec_lo, s6
	s_and_saveexec_b32 s6, s0
	s_cbranch_execz .LBB212_17
	s_branch .LBB212_61
.LBB212_45:                             ;   in Loop: Header=BB212_18 Depth=2
	s_mul_i32 s8, s11, s26
	s_wait_alu 0xfffe
	s_ashr_i32 s9, s8, 31
	s_add_co_i32 s58, s8, s26
	s_wait_alu 0xfffe
	s_lshl_b64 s[8:9], s[8:9], 2
	s_ashr_i32 s59, s58, 31
	s_wait_alu 0xfffe
	v_add_co_u32 v2, vcc_lo, v32, s8
	s_wait_alu 0xfffd
	v_add_co_ci_u32_e64 v3, null, s9, v33, vcc_lo
	s_lshl_b64 s[8:9], s[58:59], 2
	s_add_co_i32 s58, s58, s26
	s_wait_dscnt 0x0
	s_wait_alu 0xfffe
	v_add_co_u32 v27, vcc_lo, v32, s8
	s_ashr_i32 s59, s58, 31
	s_add_co_i32 s8, s58, s26
	s_wait_alu 0xfffd
	v_add_co_ci_u32_e64 v28, null, s9, v33, vcc_lo
	s_wait_alu 0xfffe
	s_lshl_b64 s[58:59], s[58:59], 2
	s_ashr_i32 s9, s8, 31
	s_wait_alu 0xfffe
	v_add_co_u32 v38, vcc_lo, v32, s58
	s_lshl_b64 s[8:9], s[8:9], 2
	s_wait_alu 0xfffd
	v_add_co_ci_u32_e64 v39, null, s59, v33, vcc_lo
	s_wait_alu 0xfffe
	v_add_co_u32 v53, vcc_lo, v32, s8
	s_wait_alu 0xfffd
	v_add_co_ci_u32_e64 v54, null, s9, v33, vcc_lo
	flat_load_b32 v1, v[19:20]
	s_clause 0x3
	flat_load_b128 v[41:44], v[2:3]
	flat_load_b128 v[45:48], v[27:28]
	;; [unrolled: 1-line block ×4, first 2 shown]
	s_clause 0x2
	flat_load_b32 v2, v[21:22]
	flat_load_b32 v3, v[23:24]
	;; [unrolled: 1-line block ×3, first 2 shown]
	s_wait_loadcnt_dscnt 0x606
	v_fma_f32 v41, v1, v41, 0
	s_wait_loadcnt_dscnt 0x505
	v_fma_f32 v40, v1, v45, 0
	;; [unrolled: 2-line block ×4, first 2 shown]
	s_wait_loadcnt_dscnt 0x202
	v_fmac_f32_e32 v40, v2, v46
	v_fmac_f32_e32 v41, v2, v42
	s_delay_alu instid0(VALU_DEP_3) | instskip(SKIP_1) | instid1(VALU_DEP_3)
	v_fmac_f32_e32 v38, v2, v54
	s_wait_loadcnt_dscnt 0x101
	v_dual_fmac_f32 v39, v2, v50 :: v_dual_fmac_f32 v40, v3, v47
	s_delay_alu instid0(VALU_DEP_3) | instskip(NEXT) | instid1(VALU_DEP_3)
	v_fmac_f32_e32 v41, v3, v43
	v_fmac_f32_e32 v38, v3, v55
	s_wait_loadcnt_dscnt 0x0
	s_delay_alu instid0(VALU_DEP_3) | instskip(NEXT) | instid1(VALU_DEP_3)
	v_dual_fmac_f32 v39, v3, v51 :: v_dual_fmac_f32 v40, v4, v48
	v_fmac_f32_e32 v41, v4, v44
	s_delay_alu instid0(VALU_DEP_3) | instskip(NEXT) | instid1(VALU_DEP_3)
	v_fmac_f32_e32 v38, v4, v56
	v_fmac_f32_e32 v39, v4, v52
	s_and_not1_saveexec_b32 s20, s6
	s_cbranch_execz .LBB212_20
.LBB212_46:                             ;   in Loop: Header=BB212_18 Depth=2
	s_wait_dscnt 0x0
	v_dual_mov_b32 v38, 0 :: v_dual_mov_b32 v39, 0
	v_dual_mov_b32 v40, 0 :: v_dual_mov_b32 v41, 0
	s_and_saveexec_b32 s25, s5
	s_cbranch_execz .LBB212_63
; %bb.47:                               ;   in Loop: Header=BB212_18 Depth=2
	s_and_not1_b32 vcc_lo, exec_lo, s66
	s_wait_alu 0xfffe
	s_cbranch_vccnz .LBB212_50
; %bb.48:                               ;   in Loop: Header=BB212_18 Depth=2
	v_mov_b32_e32 v27, v5
	s_mov_b64 s[58:59], 0
.LBB212_49:                             ;   Parent Loop BB212_3 Depth=1
                                        ;     Parent Loop BB212_18 Depth=2
                                        ; =>    This Inner Loop Header: Depth=3
	s_delay_alu instid0(VALU_DEP_1) | instskip(SKIP_2) | instid1(VALU_DEP_1)
	v_ashrrev_i32_e32 v28, 31, v27
	s_wait_alu 0xfffe
	s_cmp_eq_u32 s58, 3
	v_lshlrev_b64_e32 v[38:39], 2, v[27:28]
	s_delay_alu instid0(VALU_DEP_1) | instskip(SKIP_1) | instid1(VALU_DEP_2)
	v_add_co_u32 v38, vcc_lo, v17, v38
	s_wait_alu 0xfffd
	v_add_co_ci_u32_e64 v39, null, v18, v39, vcc_lo
	s_cselect_b32 vcc_lo, -1, 0
	s_cmp_eq_u32 s58, 2
	s_cselect_b32 s6, -1, 0
	flat_load_b32 v28, v[38:39]
	s_cmp_eq_u32 s58, 1
	v_add_nc_u32_e32 v27, s33, v27
	s_cselect_b32 s7, -1, 0
	s_cmp_eq_u32 s58, 0
	s_add_nc_u64 s[58:59], s[58:59], 1
	s_cselect_b32 s8, -1, 0
	s_wait_alu 0xfffe
	s_cmp_eq_u32 s64, s58
	s_wait_loadcnt_dscnt 0x0
	v_cndmask_b32_e32 v4, v4, v28, vcc_lo
	v_cndmask_b32_e64 v3, v3, v28, s6
	v_cndmask_b32_e64 v2, v2, v28, s7
	;; [unrolled: 1-line block ×3, first 2 shown]
	s_cbranch_scc0 .LBB212_49
.LBB212_50:                             ;   in Loop: Header=BB212_18 Depth=2
	s_and_not1_b32 vcc_lo, exec_lo, s66
	s_wait_alu 0xfffe
	s_cbranch_vccnz .LBB212_62
; %bb.51:                               ;   in Loop: Header=BB212_18 Depth=2
	s_ashr_i32 s51, s50, 31
	v_dual_mov_b32 v41, 0 :: v_dual_mov_b32 v40, 0
	s_lshl_b64 s[6:7], s[50:51], 2
	v_dual_mov_b32 v39, 0 :: v_dual_mov_b32 v38, 0
	s_wait_alu 0xfffe
	v_add_co_u32 v27, vcc_lo, v32, s6
	s_wait_alu 0xfffd
	v_add_co_ci_u32_e64 v28, null, s7, v33, vcc_lo
	s_mov_b64 s[8:9], 0
.LBB212_52:                             ;   Parent Loop BB212_3 Depth=1
                                        ;     Parent Loop BB212_18 Depth=2
                                        ; =>    This Inner Loop Header: Depth=3
	s_wait_alu 0xfffe
	s_cmp_eq_u32 s8, 1
	s_cselect_b32 vcc_lo, -1, 0
	s_cmp_eq_u32 s8, 2
	s_wait_alu 0xfffe
	v_cndmask_b32_e32 v42, v1, v2, vcc_lo
	s_cselect_b32 vcc_lo, -1, 0
	s_cmp_eq_u32 s8, 3
	s_wait_alu 0xfffe
	s_delay_alu instid0(VALU_DEP_1)
	v_cndmask_b32_e32 v48, v42, v3, vcc_lo
	s_cselect_b32 vcc_lo, -1, 0
	s_add_co_i32 s6, s56, s8
	s_add_co_i32 s58, s54, s8
	s_wait_alu 0xfffe
	s_ashr_i32 s7, s6, 31
	s_add_co_i32 s68, s52, s8
	s_ashr_i32 s59, s58, 31
	s_wait_alu 0xfffe
	s_lshl_b64 s[6:7], s[6:7], 2
	s_ashr_i32 s69, s68, 31
	s_lshl_b64 s[58:59], s[58:59], 2
	s_wait_alu 0xfffe
	v_add_co_u32 v42, s6, v32, s6
	s_lshl_b64 s[68:69], s[68:69], 2
	v_add_co_ci_u32_e64 v43, null, s7, v33, s6
	v_add_co_u32 v44, s6, v32, s58
	s_wait_alu 0xf1ff
	v_add_co_ci_u32_e64 v45, null, s59, v33, s6
	s_wait_alu 0xfffe
	v_add_co_u32 v46, s6, v32, s68
	s_wait_alu 0xf1ff
	v_add_co_ci_u32_e64 v47, null, s69, v33, s6
	flat_load_b32 v49, v[27:28]
	s_clause 0x2
	flat_load_b32 v42, v[42:43]
	flat_load_b32 v43, v[44:45]
	;; [unrolled: 1-line block ×3, first 2 shown]
	v_cndmask_b32_e32 v45, v48, v4, vcc_lo
	v_add_co_u32 v27, s6, v27, 4
	s_wait_alu 0xf1ff
	v_add_co_ci_u32_e64 v28, null, 0, v28, s6
	s_add_nc_u64 s[8:9], s[8:9], 1
	s_wait_alu 0xfffe
	s_cmp_lg_u32 s64, s8
	s_wait_loadcnt_dscnt 0x303
	v_fmac_f32_e32 v41, v45, v49
	s_wait_loadcnt_dscnt 0x202
	v_fmac_f32_e32 v40, v45, v42
	;; [unrolled: 2-line block ×4, first 2 shown]
	s_cbranch_scc1 .LBB212_52
	s_branch .LBB212_63
.LBB212_53:                             ;   in Loop: Header=BB212_18 Depth=2
	ds_load_b32 v27, v29
	s_wait_alu 0xfffe
	s_or_b32 exec_lo, exec_lo, s6
	s_and_saveexec_b32 s6, s1
	s_cbranch_execz .LBB212_26
.LBB212_54:                             ;   in Loop: Header=BB212_18 Depth=2
	s_wait_dscnt 0x0
	ds_bpermute_b32 v28, v35, v27
	s_wait_dscnt 0x0
	v_add_f32_e32 v27, v27, v28
	ds_bpermute_b32 v28, v36, v27
	s_wait_dscnt 0x0
	v_add_f32_e32 v27, v27, v28
	;; [unrolled: 3-line block ×3, first 2 shown]
	s_wait_alu 0xfffe
	s_or_b32 exec_lo, exec_lo, s6
	s_and_saveexec_b32 s6, s1
	s_cbranch_execnz .LBB212_27
	s_branch .LBB212_28
.LBB212_55:                             ;   in Loop: Header=BB212_18 Depth=2
	ds_load_b32 v28, v29
	s_wait_alu 0xfffe
	s_or_b32 exec_lo, exec_lo, s6
	s_and_saveexec_b32 s6, s1
	s_cbranch_execz .LBB212_32
.LBB212_56:                             ;   in Loop: Header=BB212_18 Depth=2
	s_wait_dscnt 0x0
	ds_bpermute_b32 v40, v35, v28
	s_wait_dscnt 0x0
	v_add_f32_e32 v28, v28, v40
	ds_bpermute_b32 v40, v36, v28
	s_wait_dscnt 0x0
	v_add_f32_e32 v28, v28, v40
	;; [unrolled: 3-line block ×3, first 2 shown]
	s_wait_alu 0xfffe
	s_or_b32 exec_lo, exec_lo, s6
	s_and_saveexec_b32 s6, s1
	s_cbranch_execnz .LBB212_33
	s_branch .LBB212_34
.LBB212_57:                             ;   in Loop: Header=BB212_18 Depth=2
	ds_load_b32 v39, v29
	s_wait_alu 0xfffe
	s_or_b32 exec_lo, exec_lo, s6
	s_and_saveexec_b32 s6, s1
	s_cbranch_execz .LBB212_38
.LBB212_58:                             ;   in Loop: Header=BB212_18 Depth=2
	s_wait_dscnt 0x0
	ds_bpermute_b32 v40, v35, v39
	s_wait_dscnt 0x0
	v_add_f32_e32 v39, v39, v40
	ds_bpermute_b32 v40, v36, v39
	s_wait_dscnt 0x0
	v_add_f32_e32 v39, v39, v40
	;; [unrolled: 3-line block ×3, first 2 shown]
	s_wait_alu 0xfffe
	s_or_b32 exec_lo, exec_lo, s6
	s_and_saveexec_b32 s6, s1
	s_cbranch_execnz .LBB212_39
	s_branch .LBB212_40
.LBB212_59:                             ;   in Loop: Header=BB212_18 Depth=2
	ds_load_b32 v38, v29
	s_wait_alu 0xfffe
	s_or_b32 exec_lo, exec_lo, s6
	s_and_saveexec_b32 s6, s1
	s_cbranch_execz .LBB212_44
.LBB212_60:                             ;   in Loop: Header=BB212_18 Depth=2
	s_wait_dscnt 0x0
	ds_bpermute_b32 v40, v35, v38
	s_wait_dscnt 0x0
	v_add_f32_e32 v38, v38, v40
	ds_bpermute_b32 v40, v36, v38
	s_wait_dscnt 0x0
	v_add_f32_e32 v38, v38, v40
	;; [unrolled: 3-line block ×3, first 2 shown]
	s_wait_alu 0xfffe
	s_or_b32 exec_lo, exec_lo, s6
	s_and_saveexec_b32 s6, s0
	s_cbranch_execz .LBB212_17
.LBB212_61:                             ;   in Loop: Header=BB212_18 Depth=2
	s_mul_i32 s7, s11, s30
	v_dual_mul_f32 v27, s22, v27 :: v_dual_mul_f32 v28, s22, v28
	s_wait_alu 0xfffe
	s_add_co_i32 s34, s7, s24
	s_wait_alu 0xfffe
	s_lshl_b64 s[8:9], s[34:35], 2
	s_add_co_i32 s34, s34, s30
	s_wait_alu 0xfffe
	s_add_nc_u64 s[8:9], s[48:49], s[8:9]
	s_lshl_b64 s[58:59], s[34:35], 2
	s_add_co_i32 s34, s34, s30
	s_wait_alu 0xfffe
	s_add_nc_u64 s[58:59], s[48:49], s[58:59]
	s_clause 0x1
	global_store_b32 v0, v27, s[8:9]
	global_store_b32 v0, v28, s[58:59]
	s_wait_dscnt 0x0
	v_dual_mul_f32 v27, s22, v39 :: v_dual_mul_f32 v28, s22, v38
	s_lshl_b64 s[8:9], s[34:35], 2
	s_add_co_i32 s34, s34, s30
	s_wait_alu 0xfffe
	s_add_nc_u64 s[8:9], s[48:49], s[8:9]
	s_lshl_b64 s[58:59], s[34:35], 2
	s_wait_alu 0xfffe
	s_add_nc_u64 s[58:59], s[48:49], s[58:59]
	s_clause 0x1
	global_store_b32 v0, v27, s[8:9]
	global_store_b32 v0, v28, s[58:59]
	s_branch .LBB212_17
.LBB212_62:                             ;   in Loop: Header=BB212_18 Depth=2
	v_dual_mov_b32 v38, 0 :: v_dual_mov_b32 v39, 0
	v_dual_mov_b32 v40, 0 :: v_dual_mov_b32 v41, 0
.LBB212_63:                             ;   in Loop: Header=BB212_18 Depth=2
	s_or_b32 exec_lo, exec_lo, s25
	s_wait_alu 0xfffe
	s_or_b32 exec_lo, exec_lo, s20
	s_and_saveexec_b32 s6, s1
	s_cbranch_execnz .LBB212_21
	s_branch .LBB212_22
.LBB212_64:                             ;   in Loop: Header=BB212_3 Depth=1
	v_mov_b32_e32 v3, v0
	v_dual_mov_b32 v1, v0 :: v_dual_mov_b32 v2, v0
	s_mov_b32 s11, 0
	s_delay_alu instid0(VALU_DEP_2) | instskip(NEXT) | instid1(VALU_DEP_2)
	v_mov_b32_e32 v4, v3
	v_mov_b32_e32 v3, v2
	s_delay_alu instid0(VALU_DEP_3)
	v_mov_b32_e32 v2, v1
	v_mov_b32_e32 v1, v0
.LBB212_65:                             ;   in Loop: Header=BB212_3 Depth=1
	s_cmp_ge_i32 s11, s21
	s_cbranch_scc1 .LBB212_2
; %bb.66:                               ;   in Loop: Header=BB212_3 Depth=1
	v_cmp_gt_u32_e32 vcc_lo, 24, v31
	s_add_nc_u64 s[48:49], s[48:49], s[46:47]
	s_mul_i32 s50, s26, s11
	s_mov_b32 s34, s11
	s_wait_alu 0xfffd
	v_cndmask_b32_e64 v19, 0, 8, vcc_lo
	v_cmp_gt_u32_e32 vcc_lo, 28, v31
	s_delay_alu instid0(VALU_DEP_2) | instskip(SKIP_3) | instid1(VALU_DEP_2)
	v_add_lshl_u32 v34, v19, v31, 2
	s_wait_alu 0xfffd
	v_cndmask_b32_e64 v20, 0, 4, vcc_lo
	v_cmp_gt_u32_e32 vcc_lo, 30, v31
	v_add_lshl_u32 v35, v20, v31, 2
	s_wait_alu 0xfffd
	v_cndmask_b32_e64 v21, 0, 2, vcc_lo
	v_cmp_ne_u32_e32 vcc_lo, 31, v31
	s_delay_alu instid0(VALU_DEP_2)
	v_add_lshl_u32 v36, v21, v31, 2
	s_wait_alu 0xfffd
	v_add_co_ci_u32_e64 v22, null, 0, v31, vcc_lo
	v_add_co_u32 v19, vcc_lo, v17, v9
	s_wait_alu 0xfffd
	v_add_co_ci_u32_e64 v20, null, v18, v10, vcc_lo
	v_add_co_u32 v21, vcc_lo, v17, v11
	v_lshlrev_b32_e32 v37, 2, v22
	s_wait_alu 0xfffd
	v_add_co_ci_u32_e64 v22, null, v18, v12, vcc_lo
	v_add_co_u32 v23, vcc_lo, v17, v13
	s_wait_alu 0xfffd
	v_add_co_ci_u32_e64 v24, null, v18, v14, vcc_lo
	v_add_co_u32 v25, vcc_lo, v17, v15
	s_wait_alu 0xfffd
	v_add_co_ci_u32_e64 v26, null, v18, v16, vcc_lo
	s_branch .LBB212_68
.LBB212_67:                             ;   in Loop: Header=BB212_68 Depth=2
	s_wait_alu 0xfffe
	s_or_b32 exec_lo, exec_lo, s6
	s_add_co_i32 s34, s34, 1
	s_add_co_i32 s50, s50, s26
	s_wait_alu 0xfffe
	s_cmp_ge_i32 s34, s21
	s_cbranch_scc1 .LBB212_2
.LBB212_68:                             ;   Parent Loop BB212_3 Depth=1
                                        ; =>  This Loop Header: Depth=2
                                        ;       Child Loop BB212_81 Depth 3
                                        ;       Child Loop BB212_84 Depth 3
	s_wait_dscnt 0x0
	v_mov_b32_e32 v38, s35
	s_and_saveexec_b32 s6, s4
	s_wait_alu 0xfffe
	s_xor_b32 s6, exec_lo, s6
	s_cbranch_execnz .LBB212_77
; %bb.69:                               ;   in Loop: Header=BB212_68 Depth=2
	s_wait_alu 0xfffe
	s_and_not1_saveexec_b32 s9, s6
	s_cbranch_execnz .LBB212_78
.LBB212_70:                             ;   in Loop: Header=BB212_68 Depth=2
	s_wait_alu 0xfffe
	s_or_b32 exec_lo, exec_lo, s9
	s_and_saveexec_b32 s6, s1
.LBB212_71:                             ;   in Loop: Header=BB212_68 Depth=2
	ds_store_b32 v29, v0
.LBB212_72:                             ;   in Loop: Header=BB212_68 Depth=2
	s_wait_alu 0xfffe
	s_or_b32 exec_lo, exec_lo, s6
	ds_bpermute_b32 v27, v6, v38
	s_wait_storecnt 0x0
	s_wait_loadcnt_dscnt 0x0
	s_barrier_signal -1
	s_barrier_wait -1
	global_inv scope:SCOPE_SE
	v_add_f32_e32 v27, v38, v27
	ds_bpermute_b32 v28, v34, v27
	s_wait_dscnt 0x0
	v_add_f32_e32 v27, v27, v28
	ds_bpermute_b32 v28, v35, v27
	s_wait_dscnt 0x0
	;; [unrolled: 3-line block ×3, first 2 shown]
	v_add_f32_e32 v27, v27, v28
	ds_bpermute_b32 v28, v37, v27
	s_and_saveexec_b32 s6, s3
	s_cbranch_execz .LBB212_74
; %bb.73:                               ;   in Loop: Header=BB212_68 Depth=2
	s_wait_dscnt 0x0
	v_add_f32_e32 v27, v27, v28
	ds_store_b32 v30, v27
.LBB212_74:                             ;   in Loop: Header=BB212_68 Depth=2
	s_wait_alu 0xfffe
	s_or_b32 exec_lo, exec_lo, s6
	v_mov_b32_e32 v27, 0
	s_wait_loadcnt_dscnt 0x0
	s_barrier_signal -1
	s_barrier_wait -1
	global_inv scope:SCOPE_SE
	s_and_saveexec_b32 s6, s2
	s_cbranch_execnz .LBB212_86
; %bb.75:                               ;   in Loop: Header=BB212_68 Depth=2
	s_wait_alu 0xfffe
	s_or_b32 exec_lo, exec_lo, s6
	s_and_saveexec_b32 s6, s1
	s_cbranch_execnz .LBB212_87
.LBB212_76:                             ;   in Loop: Header=BB212_68 Depth=2
	s_wait_alu 0xfffe
	s_or_b32 exec_lo, exec_lo, s6
	s_and_saveexec_b32 s6, s0
	s_cbranch_execz .LBB212_67
	s_branch .LBB212_88
.LBB212_77:                             ;   in Loop: Header=BB212_68 Depth=2
	s_mul_i32 s8, s34, s26
	s_wait_alu 0xfffe
	s_ashr_i32 s9, s8, 31
	s_wait_alu 0xfffe
	s_lshl_b64 s[8:9], s[8:9], 2
	s_wait_alu 0xfffe
	v_add_co_u32 v1, vcc_lo, v32, s8
	s_wait_alu 0xfffd
	v_add_co_ci_u32_e64 v2, null, s9, v33, vcc_lo
	flat_load_b128 v[38:41], v[1:2]
	s_clause 0x3
	flat_load_b32 v1, v[19:20]
	flat_load_b32 v2, v[21:22]
	;; [unrolled: 1-line block ×4, first 2 shown]
	s_wait_loadcnt_dscnt 0x303
	v_fma_f32 v38, v1, v38, 0
	s_wait_loadcnt_dscnt 0x202
	s_delay_alu instid0(VALU_DEP_1) | instskip(SKIP_1) | instid1(VALU_DEP_1)
	v_fmac_f32_e32 v38, v2, v39
	s_wait_loadcnt_dscnt 0x101
	v_fmac_f32_e32 v38, v3, v40
	s_wait_loadcnt_dscnt 0x0
	s_delay_alu instid0(VALU_DEP_1)
	v_fmac_f32_e32 v38, v4, v41
	s_and_not1_saveexec_b32 s9, s6
	s_cbranch_execz .LBB212_70
.LBB212_78:                             ;   in Loop: Header=BB212_68 Depth=2
	s_and_saveexec_b32 s11, s5
	s_cbranch_execz .LBB212_85
; %bb.79:                               ;   in Loop: Header=BB212_68 Depth=2
	s_and_not1_b32 vcc_lo, exec_lo, s66
	s_wait_alu 0xfffe
	s_cbranch_vccnz .LBB212_82
; %bb.80:                               ;   in Loop: Header=BB212_68 Depth=2
	v_mov_b32_e32 v27, v5
	s_mov_b64 s[52:53], 0
.LBB212_81:                             ;   Parent Loop BB212_3 Depth=1
                                        ;     Parent Loop BB212_68 Depth=2
                                        ; =>    This Inner Loop Header: Depth=3
	s_delay_alu instid0(VALU_DEP_1) | instskip(SKIP_1) | instid1(VALU_DEP_1)
	v_ashrrev_i32_e32 v28, 31, v27
	s_cmp_eq_u32 s52, 3
	v_lshlrev_b64_e32 v[39:40], 2, v[27:28]
	s_delay_alu instid0(VALU_DEP_1) | instskip(SKIP_1) | instid1(VALU_DEP_2)
	v_add_co_u32 v39, vcc_lo, v17, v39
	s_wait_alu 0xfffd
	v_add_co_ci_u32_e64 v40, null, v18, v40, vcc_lo
	s_cselect_b32 vcc_lo, -1, 0
	s_cmp_eq_u32 s52, 2
	s_cselect_b32 s6, -1, 0
	flat_load_b32 v28, v[39:40]
	s_cmp_eq_u32 s52, 1
	v_add_nc_u32_e32 v27, s33, v27
	s_cselect_b32 s7, -1, 0
	s_cmp_eq_u32 s52, 0
	s_add_nc_u64 s[52:53], s[52:53], 1
	s_cselect_b32 s8, -1, 0
	s_cmp_eq_u32 s64, s52
	s_wait_loadcnt_dscnt 0x0
	s_wait_alu 0xfffe
	v_cndmask_b32_e32 v4, v4, v28, vcc_lo
	v_cndmask_b32_e64 v3, v3, v28, s6
	v_cndmask_b32_e64 v2, v2, v28, s7
	;; [unrolled: 1-line block ×3, first 2 shown]
	s_cbranch_scc0 .LBB212_81
.LBB212_82:                             ;   in Loop: Header=BB212_68 Depth=2
	s_and_not1_b32 vcc_lo, exec_lo, s66
	s_wait_alu 0xfffe
	s_cbranch_vccnz .LBB212_85
; %bb.83:                               ;   in Loop: Header=BB212_68 Depth=2
	s_ashr_i32 s51, s50, 31
	s_delay_alu instid0(SALU_CYCLE_1)
	s_lshl_b64 s[6:7], s[50:51], 2
	s_wait_alu 0xfffe
	v_add_co_u32 v27, vcc_lo, v32, s6
	s_wait_alu 0xfffd
	v_add_co_ci_u32_e64 v28, null, s7, v33, vcc_lo
	s_mov_b64 s[6:7], 0
.LBB212_84:                             ;   Parent Loop BB212_3 Depth=1
                                        ;     Parent Loop BB212_68 Depth=2
                                        ; =>    This Inner Loop Header: Depth=3
	flat_load_b32 v39, v[27:28]
	s_wait_alu 0xfffe
	s_cmp_eq_u32 s6, 1
	s_cselect_b32 vcc_lo, -1, 0
	s_cmp_eq_u32 s6, 2
	s_wait_alu 0xfffe
	v_cndmask_b32_e32 v40, v1, v2, vcc_lo
	s_cselect_b32 vcc_lo, -1, 0
	s_cmp_eq_u32 s6, 3
	s_add_nc_u64 s[6:7], s[6:7], 1
	s_wait_alu 0xfffe
	v_cndmask_b32_e32 v40, v40, v3, vcc_lo
	s_cselect_b32 vcc_lo, -1, 0
	s_cmp_lg_u32 s64, s6
	s_wait_alu 0xfffe
	s_delay_alu instid0(VALU_DEP_1)
	v_cndmask_b32_e32 v40, v40, v4, vcc_lo
	v_add_co_u32 v27, vcc_lo, v27, 4
	s_wait_alu 0xfffd
	v_add_co_ci_u32_e64 v28, null, 0, v28, vcc_lo
	s_wait_loadcnt_dscnt 0x0
	v_fmac_f32_e32 v38, v40, v39
	s_cbranch_scc1 .LBB212_84
.LBB212_85:                             ;   in Loop: Header=BB212_68 Depth=2
	s_or_b32 exec_lo, exec_lo, s11
	s_wait_alu 0xfffe
	s_or_b32 exec_lo, exec_lo, s9
	s_and_saveexec_b32 s6, s1
	s_cbranch_execnz .LBB212_71
	s_branch .LBB212_72
.LBB212_86:                             ;   in Loop: Header=BB212_68 Depth=2
	ds_load_b32 v27, v29
	s_wait_alu 0xfffe
	s_or_b32 exec_lo, exec_lo, s6
	s_and_saveexec_b32 s6, s1
	s_cbranch_execz .LBB212_76
.LBB212_87:                             ;   in Loop: Header=BB212_68 Depth=2
	s_wait_dscnt 0x0
	ds_bpermute_b32 v28, v35, v27
	s_wait_dscnt 0x0
	v_add_f32_e32 v27, v27, v28
	ds_bpermute_b32 v28, v36, v27
	s_wait_dscnt 0x0
	v_add_f32_e32 v27, v27, v28
	ds_bpermute_b32 v28, v37, v27
	s_wait_dscnt 0x0
	v_add_f32_e32 v27, v27, v28
	s_wait_alu 0xfffe
	s_or_b32 exec_lo, exec_lo, s6
	s_and_saveexec_b32 s6, s0
	s_cbranch_execz .LBB212_67
.LBB212_88:                             ;   in Loop: Header=BB212_68 Depth=2
	s_mul_u64 s[8:9], s[34:35], s[30:31]
	s_wait_dscnt 0x0
	v_mul_f32_e32 v27, s22, v27
	s_wait_alu 0xfffe
	s_lshl_b64 s[8:9], s[8:9], 2
	s_wait_alu 0xfffe
	s_add_nc_u64 s[8:9], s[48:49], s[8:9]
	global_store_b32 v0, v27, s[8:9]
	s_branch .LBB212_67
.LBB212_89:
	s_endpgm
	.section	.rodata,"a",@progbits
	.p2align	6, 0x0
	.amdhsa_kernel _ZL23rocblas_gemvt_sn_kernelILb0ELi256ELi4EiPKfffEviiT4_lPKT3_lilS5_lilPT5_i
		.amdhsa_group_segment_fixed_size 128
		.amdhsa_private_segment_fixed_size 0
		.amdhsa_kernarg_size 360
		.amdhsa_user_sgpr_count 2
		.amdhsa_user_sgpr_dispatch_ptr 0
		.amdhsa_user_sgpr_queue_ptr 0
		.amdhsa_user_sgpr_kernarg_segment_ptr 1
		.amdhsa_user_sgpr_dispatch_id 0
		.amdhsa_user_sgpr_private_segment_size 0
		.amdhsa_wavefront_size32 1
		.amdhsa_uses_dynamic_stack 0
		.amdhsa_enable_private_segment 0
		.amdhsa_system_sgpr_workgroup_id_x 1
		.amdhsa_system_sgpr_workgroup_id_y 0
		.amdhsa_system_sgpr_workgroup_id_z 1
		.amdhsa_system_sgpr_workgroup_info 0
		.amdhsa_system_vgpr_workitem_id 0
		.amdhsa_next_free_vgpr 57
		.amdhsa_next_free_sgpr 70
		.amdhsa_reserve_vcc 1
		.amdhsa_float_round_mode_32 0
		.amdhsa_float_round_mode_16_64 0
		.amdhsa_float_denorm_mode_32 3
		.amdhsa_float_denorm_mode_16_64 3
		.amdhsa_fp16_overflow 0
		.amdhsa_workgroup_processor_mode 1
		.amdhsa_memory_ordered 1
		.amdhsa_forward_progress 1
		.amdhsa_inst_pref_size 36
		.amdhsa_round_robin_scheduling 0
		.amdhsa_exception_fp_ieee_invalid_op 0
		.amdhsa_exception_fp_denorm_src 0
		.amdhsa_exception_fp_ieee_div_zero 0
		.amdhsa_exception_fp_ieee_overflow 0
		.amdhsa_exception_fp_ieee_underflow 0
		.amdhsa_exception_fp_ieee_inexact 0
		.amdhsa_exception_int_div_zero 0
	.end_amdhsa_kernel
	.section	.text._ZL23rocblas_gemvt_sn_kernelILb0ELi256ELi4EiPKfffEviiT4_lPKT3_lilS5_lilPT5_i,"axG",@progbits,_ZL23rocblas_gemvt_sn_kernelILb0ELi256ELi4EiPKfffEviiT4_lPKT3_lilS5_lilPT5_i,comdat
.Lfunc_end212:
	.size	_ZL23rocblas_gemvt_sn_kernelILb0ELi256ELi4EiPKfffEviiT4_lPKT3_lilS5_lilPT5_i, .Lfunc_end212-_ZL23rocblas_gemvt_sn_kernelILb0ELi256ELi4EiPKfffEviiT4_lPKT3_lilS5_lilPT5_i
                                        ; -- End function
	.set _ZL23rocblas_gemvt_sn_kernelILb0ELi256ELi4EiPKfffEviiT4_lPKT3_lilS5_lilPT5_i.num_vgpr, 57
	.set _ZL23rocblas_gemvt_sn_kernelILb0ELi256ELi4EiPKfffEviiT4_lPKT3_lilS5_lilPT5_i.num_agpr, 0
	.set _ZL23rocblas_gemvt_sn_kernelILb0ELi256ELi4EiPKfffEviiT4_lPKT3_lilS5_lilPT5_i.numbered_sgpr, 70
	.set _ZL23rocblas_gemvt_sn_kernelILb0ELi256ELi4EiPKfffEviiT4_lPKT3_lilS5_lilPT5_i.num_named_barrier, 0
	.set _ZL23rocblas_gemvt_sn_kernelILb0ELi256ELi4EiPKfffEviiT4_lPKT3_lilS5_lilPT5_i.private_seg_size, 0
	.set _ZL23rocblas_gemvt_sn_kernelILb0ELi256ELi4EiPKfffEviiT4_lPKT3_lilS5_lilPT5_i.uses_vcc, 1
	.set _ZL23rocblas_gemvt_sn_kernelILb0ELi256ELi4EiPKfffEviiT4_lPKT3_lilS5_lilPT5_i.uses_flat_scratch, 1
	.set _ZL23rocblas_gemvt_sn_kernelILb0ELi256ELi4EiPKfffEviiT4_lPKT3_lilS5_lilPT5_i.has_dyn_sized_stack, 0
	.set _ZL23rocblas_gemvt_sn_kernelILb0ELi256ELi4EiPKfffEviiT4_lPKT3_lilS5_lilPT5_i.has_recursion, 0
	.set _ZL23rocblas_gemvt_sn_kernelILb0ELi256ELi4EiPKfffEviiT4_lPKT3_lilS5_lilPT5_i.has_indirect_call, 0
	.section	.AMDGPU.csdata,"",@progbits
; Kernel info:
; codeLenInByte = 4548
; TotalNumSgprs: 72
; NumVgprs: 57
; ScratchSize: 0
; MemoryBound: 0
; FloatMode: 240
; IeeeMode: 1
; LDSByteSize: 128 bytes/workgroup (compile time only)
; SGPRBlocks: 0
; VGPRBlocks: 7
; NumSGPRsForWavesPerEU: 72
; NumVGPRsForWavesPerEU: 57
; Occupancy: 16
; WaveLimiterHint : 0
; COMPUTE_PGM_RSRC2:SCRATCH_EN: 0
; COMPUTE_PGM_RSRC2:USER_SGPR: 2
; COMPUTE_PGM_RSRC2:TRAP_HANDLER: 0
; COMPUTE_PGM_RSRC2:TGID_X_EN: 1
; COMPUTE_PGM_RSRC2:TGID_Y_EN: 0
; COMPUTE_PGM_RSRC2:TGID_Z_EN: 1
; COMPUTE_PGM_RSRC2:TIDIG_COMP_CNT: 0
	.section	.text._ZL23rocblas_gemvt_sn_kernelILb0ELi256ELi4ElPKfffEviiT4_lPKT3_lilS5_lilPT5_i,"axG",@progbits,_ZL23rocblas_gemvt_sn_kernelILb0ELi256ELi4ElPKfffEviiT4_lPKT3_lilS5_lilPT5_i,comdat
	.globl	_ZL23rocblas_gemvt_sn_kernelILb0ELi256ELi4ElPKfffEviiT4_lPKT3_lilS5_lilPT5_i ; -- Begin function _ZL23rocblas_gemvt_sn_kernelILb0ELi256ELi4ElPKfffEviiT4_lPKT3_lilS5_lilPT5_i
	.p2align	8
	.type	_ZL23rocblas_gemvt_sn_kernelILb0ELi256ELi4ElPKfffEviiT4_lPKT3_lilS5_lilPT5_i,@function
_ZL23rocblas_gemvt_sn_kernelILb0ELi256ELi4ElPKfffEviiT4_lPKT3_lilS5_lilPT5_i: ; @_ZL23rocblas_gemvt_sn_kernelILb0ELi256ELi4ElPKfffEviiT4_lPKT3_lilS5_lilPT5_i
; %bb.0:
	s_load_b32 s23, s[0:1], 0x60
	s_lshr_b32 s10, ttmp7, 16
	s_wait_kmcnt 0x0
	s_cmp_ge_u32 s10, s23
	s_cbranch_scc1 .LBB213_89
; %bb.1:
	s_clause 0x6
	s_load_b32 s26, s[0:1], 0x28
	s_load_b32 s6, s[0:1], 0x48
	s_load_b96 s[20:22], s[0:1], 0x0
	s_load_b128 s[12:15], s[0:1], 0x18
	s_load_b32 s28, s[0:1], 0x68
	s_load_b128 s[16:19], s[0:1], 0x38
	s_load_b64 s[30:31], s[0:1], 0x58
	s_mov_b32 s25, 0
	v_cmp_eq_u32_e64 s0, 0, v0
	s_mov_b32 s29, s25
	v_and_b32_e32 v1, 31, v0
	v_cmp_gt_u32_e64 s1, 32, v0
	v_cmp_gt_u32_e64 s2, 8, v0
	v_lshrrev_b32_e32 v2, 3, v0
	v_mbcnt_lo_u32_b32 v33, -1, 0
	v_cmp_eq_u32_e64 s3, 0, v1
	v_lshlrev_b32_e32 v31, 2, v1
	s_mov_b32 s24, ttmp9
	v_and_b32_e32 v32, 28, v2
	v_lshl_or_b32 v34, v33, 2, 64
	s_wait_kmcnt 0x0
	s_ashr_i32 s27, s26, 31
	s_ashr_i32 s7, s6, 31
	s_cmp_neq_f32 s22, 0
	s_mov_b32 s4, s21
	s_mul_u64 s[40:41], s[26:27], 12
	s_cselect_b32 s33, -1, 0
	s_cmp_eq_f32 s22, 0
	s_cselect_b32 s54, -1, 0
	s_ashr_i32 s5, s21, 31
	s_cmp_gt_i32 s21, 0
	s_mul_u64 s[34:35], s[4:5], s[28:29]
	s_cselect_b32 s4, -1, 0
	s_ashr_i32 s9, s20, 31
	s_and_b32 s55, s0, s4
	s_lshr_b32 s4, s9, 30
	s_lshl_b32 s8, ttmp9, 10
	s_add_co_i32 s4, s20, s4
	v_lshl_or_b32 v0, v0, 2, s8
	s_and_b32 s4, s4, -4
	s_lshr_b32 s5, s5, 30
	s_sub_co_i32 s57, s20, s4
	s_add_co_i32 s5, s21, s5
	v_add_nc_u32_e32 v4, s57, v0
	s_and_b32 s56, s5, -4
	v_add_nc_u32_e32 v3, 4, v0
	v_or_b32_e32 v5, 2, v0
	v_or_b32_e32 v6, 3, v0
	v_cmp_ge_i32_e64 s5, s20, v4
	v_or_b32_e32 v4, 1, v0
	v_cmp_ge_i32_e64 s4, s20, v3
	v_mad_co_i64_i32 v[2:3], null, s6, v0, 0
	v_mad_co_i64_i32 v[11:12], null, s6, v5, 0
	s_delay_alu instid0(VALU_DEP_4)
	v_mad_co_i64_i32 v[9:10], null, s6, v4, 0
	v_mad_co_i64_i32 v[13:14], null, s6, v6, 0
	v_ashrrev_i32_e32 v1, 31, v0
	s_wait_alu 0xfffe
	s_cmp_gt_i32 s56, 0
	v_lshlrev_b64_e32 v[5:6], 2, v[2:3]
	v_lshlrev_b64_e32 v[11:12], 2, v[11:12]
	;; [unrolled: 1-line block ×5, first 2 shown]
	v_mov_b32_e32 v0, 0
	s_cselect_b32 s58, -1, 0
	s_cmp_gt_i32 s57, 0
	s_cselect_b32 s59, -1, 0
	s_lshl_b64 s[36:37], s[28:29], 2
	s_lshl_b64 s[38:39], s[6:7], 2
	;; [unrolled: 1-line block ×8, first 2 shown]
	s_branch .LBB213_3
.LBB213_2:                              ;   in Loop: Header=BB213_3 Depth=1
	s_add_co_i32 s10, s10, 0x10000
	s_delay_alu instid0(SALU_CYCLE_1)
	s_cmp_lt_u32 s10, s23
	s_cbranch_scc0 .LBB213_89
.LBB213_3:                              ; =>This Loop Header: Depth=1
                                        ;     Child Loop BB213_12 Depth 2
                                        ;     Child Loop BB213_18 Depth 2
                                        ;       Child Loop BB213_49 Depth 3
                                        ;       Child Loop BB213_52 Depth 3
                                        ;     Child Loop BB213_68 Depth 2
                                        ;       Child Loop BB213_81 Depth 3
                                        ;       Child Loop BB213_84 Depth 3
	s_mov_b32 s11, s25
	s_and_not1_b32 vcc_lo, exec_lo, s54
	s_mov_b32 s6, -1
	s_wait_alu 0xfffe
	s_cbranch_vccnz .LBB213_5
; %bb.4:                                ;   in Loop: Header=BB213_3 Depth=1
	s_mov_b32 s6, 0
.LBB213_5:                              ;   in Loop: Header=BB213_3 Depth=1
	v_mov_b32_e32 v17, 0
	v_dual_mov_b32 v18, 0 :: v_dual_mov_b32 v1, 0
	v_mov_b32_e32 v2, 0
	s_wait_alu 0xfffe
	s_and_not1_b32 vcc_lo, exec_lo, s6
	s_wait_alu 0xfffe
	s_cbranch_vccnz .LBB213_7
; %bb.6:                                ;   in Loop: Header=BB213_3 Depth=1
	s_lshl_b64 s[6:7], s[10:11], 3
	s_wait_alu 0xfffe
	s_add_nc_u64 s[6:7], s[12:13], s[6:7]
	global_load_b64 v[1:2], v0, s[6:7]
	s_wait_loadcnt 0x0
	v_add_co_u32 v1, vcc_lo, v1, s14
	s_wait_alu 0xfffd
	v_add_co_ci_u32_e64 v2, null, s15, v2, vcc_lo
.LBB213_7:                              ;   in Loop: Header=BB213_3 Depth=1
	s_and_not1_b32 vcc_lo, exec_lo, s33
	s_wait_alu 0xfffe
	s_cbranch_vccnz .LBB213_9
; %bb.8:                                ;   in Loop: Header=BB213_3 Depth=1
	s_lshl_b64 s[6:7], s[10:11], 3
	s_wait_alu 0xfffe
	s_add_nc_u64 s[6:7], s[16:17], s[6:7]
	global_load_b64 v[3:4], v0, s[6:7]
	s_wait_loadcnt 0x0
	v_add_co_u32 v17, vcc_lo, v3, s18
	s_wait_alu 0xfffd
	v_add_co_ci_u32_e64 v18, null, s19, v4, vcc_lo
.LBB213_9:                              ;   in Loop: Header=BB213_3 Depth=1
	s_mul_u64 s[6:7], s[34:35], s[10:11]
	s_and_not1_b32 vcc_lo, exec_lo, s54
	s_wait_alu 0xfffe
	s_lshl_b64 s[6:7], s[6:7], 2
	s_wait_alu 0xfffe
	s_add_nc_u64 s[50:51], s[30:31], s[6:7]
	s_mov_b32 s6, -1
	s_cbranch_vccnz .LBB213_14
; %bb.10:                               ;   in Loop: Header=BB213_3 Depth=1
	s_and_saveexec_b32 s8, s55
	s_cbranch_execz .LBB213_13
; %bb.11:                               ;   in Loop: Header=BB213_3 Depth=1
	s_add_nc_u64 s[6:7], s[50:51], s[48:49]
	s_mov_b32 s9, s21
.LBB213_12:                             ;   Parent Loop BB213_3 Depth=1
                                        ; =>  This Inner Loop Header: Depth=2
	s_wait_alu 0xfffe
	s_add_co_i32 s9, s9, -1
	global_store_b32 v0, v0, s[6:7]
	s_wait_alu 0xfffe
	s_cmp_eq_u32 s9, 0
	s_add_nc_u64 s[6:7], s[6:7], s[36:37]
	s_cbranch_scc0 .LBB213_12
.LBB213_13:                             ;   in Loop: Header=BB213_3 Depth=1
	s_wait_alu 0xfffe
	s_or_b32 exec_lo, exec_lo, s8
	s_mov_b32 s6, 0
.LBB213_14:                             ;   in Loop: Header=BB213_3 Depth=1
	s_wait_alu 0xfffe
	s_and_not1_b32 vcc_lo, exec_lo, s6
	s_wait_alu 0xfffe
	s_cbranch_vccnz .LBB213_2
; %bb.15:                               ;   in Loop: Header=BB213_3 Depth=1
	v_add_co_u32 v15, vcc_lo, v1, v7
	s_wait_alu 0xfffd
	v_add_co_ci_u32_e64 v16, null, v2, v8, vcc_lo
	v_cmp_gt_u32_e64 s9, 24, v33
	v_cmp_gt_u32_e64 s8, 28, v33
	;; [unrolled: 1-line block ×3, first 2 shown]
	v_cmp_ne_u32_e64 s6, 31, v33
	s_and_not1_b32 vcc_lo, exec_lo, s58
	s_add_nc_u64 s[50:51], s[50:51], s[48:49]
	s_wait_alu 0xfffe
	s_cbranch_vccnz .LBB213_64
; %bb.16:                               ;   in Loop: Header=BB213_3 Depth=1
	s_wait_alu 0xf1ff
	v_cndmask_b32_e64 v2, 0, 4, s8
	v_cndmask_b32_e64 v3, 0, 2, s7
	v_add_co_u32 v19, vcc_lo, v17, v5
	v_cndmask_b32_e64 v1, 0, 8, s9
	v_add_co_ci_u32_e64 v4, null, 0, v33, s6
	v_add_lshl_u32 v36, v2, v33, 2
	v_add_lshl_u32 v37, v3, v33, 2
	s_wait_alu 0xfffd
	v_add_co_ci_u32_e64 v20, null, v18, v6, vcc_lo
	v_add_co_u32 v21, vcc_lo, v17, v9
	v_dual_mov_b32 v2, v0 :: v_dual_mov_b32 v3, v0
	s_wait_alu 0xfffd
	v_add_co_ci_u32_e64 v22, null, v18, v10, vcc_lo
	v_add_co_u32 v23, vcc_lo, v17, v11
	v_add_lshl_u32 v35, v1, v33, 2
	v_dual_mov_b32 v1, v0 :: v_dual_lshlrev_b32 v38, 2, v4
	s_wait_alu 0xfffd
	v_add_co_ci_u32_e64 v24, null, v18, v12, vcc_lo
	v_add_co_u32 v25, vcc_lo, v17, v13
	v_mov_b32_e32 v4, v3
	s_wait_alu 0xfffd
	v_add_co_ci_u32_e64 v26, null, v18, v14, vcc_lo
	s_wait_dscnt 0x0
	v_dual_mov_b32 v28, v16 :: v_dual_mov_b32 v27, v15
	v_mov_b32_e32 v3, v2
	v_mov_b32_e32 v2, v1
	v_mov_b32_e32 v1, v0
	s_mov_b32 s24, 0
	s_branch .LBB213_18
.LBB213_17:                             ;   in Loop: Header=BB213_18 Depth=2
	s_wait_alu 0xfffe
	s_or_b32 exec_lo, exec_lo, s6
	v_add_co_u32 v27, vcc_lo, v27, s42
	s_wait_alu 0xfffd
	v_add_co_ci_u32_e64 v28, null, s43, v28, vcc_lo
	s_add_co_i32 s24, s24, 4
	s_wait_alu 0xfffe
	s_cmp_ge_i32 s24, s56
	s_cbranch_scc1 .LBB213_65
.LBB213_18:                             ;   Parent Loop BB213_3 Depth=1
                                        ; =>  This Loop Header: Depth=2
                                        ;       Child Loop BB213_49 Depth 3
                                        ;       Child Loop BB213_52 Depth 3
                                        ; implicit-def: $vgpr39
                                        ; implicit-def: $vgpr40
                                        ; implicit-def: $vgpr41
                                        ; implicit-def: $vgpr42
	s_and_saveexec_b32 s6, s4
	s_wait_alu 0xfffe
	s_xor_b32 s6, exec_lo, s6
	s_cbranch_execnz .LBB213_45
; %bb.19:                               ;   in Loop: Header=BB213_18 Depth=2
	s_wait_alu 0xfffe
	s_and_not1_saveexec_b32 s11, s6
	s_cbranch_execnz .LBB213_46
.LBB213_20:                             ;   in Loop: Header=BB213_18 Depth=2
	s_or_b32 exec_lo, exec_lo, s11
	s_and_saveexec_b32 s6, s1
.LBB213_21:                             ;   in Loop: Header=BB213_18 Depth=2
	ds_store_b32 v31, v0
.LBB213_22:                             ;   in Loop: Header=BB213_18 Depth=2
	s_wait_alu 0xfffe
	s_or_b32 exec_lo, exec_lo, s6
	ds_bpermute_b32 v29, v34, v42
	s_wait_storecnt_dscnt 0x0
	s_barrier_signal -1
	s_barrier_wait -1
	global_inv scope:SCOPE_SE
	v_add_f32_e32 v29, v42, v29
	ds_bpermute_b32 v30, v35, v29
	s_wait_dscnt 0x0
	v_add_f32_e32 v29, v29, v30
	ds_bpermute_b32 v30, v36, v29
	s_wait_dscnt 0x0
	;; [unrolled: 3-line block ×3, first 2 shown]
	v_add_f32_e32 v29, v29, v30
	ds_bpermute_b32 v30, v38, v29
	s_and_saveexec_b32 s6, s3
	s_cbranch_execz .LBB213_24
; %bb.23:                               ;   in Loop: Header=BB213_18 Depth=2
	s_wait_dscnt 0x0
	v_add_f32_e32 v29, v29, v30
	ds_store_b32 v32, v29
.LBB213_24:                             ;   in Loop: Header=BB213_18 Depth=2
	s_wait_alu 0xfffe
	s_or_b32 exec_lo, exec_lo, s6
	v_mov_b32_e32 v29, 0
	s_wait_loadcnt_dscnt 0x0
	s_barrier_signal -1
	s_barrier_wait -1
	global_inv scope:SCOPE_SE
	s_and_saveexec_b32 s6, s2
	s_cbranch_execnz .LBB213_53
; %bb.25:                               ;   in Loop: Header=BB213_18 Depth=2
	s_wait_alu 0xfffe
	s_or_b32 exec_lo, exec_lo, s6
	s_and_saveexec_b32 s6, s1
	s_cbranch_execnz .LBB213_54
.LBB213_26:                             ;   in Loop: Header=BB213_18 Depth=2
	s_wait_alu 0xfffe
	s_or_b32 exec_lo, exec_lo, s6
	s_and_saveexec_b32 s6, s1
.LBB213_27:                             ;   in Loop: Header=BB213_18 Depth=2
	ds_store_b32 v31, v0
.LBB213_28:                             ;   in Loop: Header=BB213_18 Depth=2
	s_wait_alu 0xfffe
	s_or_b32 exec_lo, exec_lo, s6
	ds_bpermute_b32 v30, v34, v41
	s_wait_loadcnt_dscnt 0x0
	s_barrier_signal -1
	s_barrier_wait -1
	global_inv scope:SCOPE_SE
	v_add_f32_e32 v30, v41, v30
	ds_bpermute_b32 v41, v35, v30
	s_wait_dscnt 0x0
	v_add_f32_e32 v30, v30, v41
	ds_bpermute_b32 v41, v36, v30
	s_wait_dscnt 0x0
	;; [unrolled: 3-line block ×3, first 2 shown]
	v_add_f32_e32 v30, v30, v41
	ds_bpermute_b32 v41, v38, v30
	s_and_saveexec_b32 s6, s3
	s_cbranch_execz .LBB213_30
; %bb.29:                               ;   in Loop: Header=BB213_18 Depth=2
	s_wait_dscnt 0x0
	v_add_f32_e32 v30, v30, v41
	ds_store_b32 v32, v30
.LBB213_30:                             ;   in Loop: Header=BB213_18 Depth=2
	s_wait_alu 0xfffe
	s_or_b32 exec_lo, exec_lo, s6
	v_mov_b32_e32 v30, 0
	s_wait_loadcnt_dscnt 0x0
	s_barrier_signal -1
	s_barrier_wait -1
	global_inv scope:SCOPE_SE
	s_and_saveexec_b32 s6, s2
	s_cbranch_execnz .LBB213_55
; %bb.31:                               ;   in Loop: Header=BB213_18 Depth=2
	s_wait_alu 0xfffe
	s_or_b32 exec_lo, exec_lo, s6
	s_and_saveexec_b32 s6, s1
	s_cbranch_execnz .LBB213_56
.LBB213_32:                             ;   in Loop: Header=BB213_18 Depth=2
	s_wait_alu 0xfffe
	s_or_b32 exec_lo, exec_lo, s6
	s_and_saveexec_b32 s6, s1
.LBB213_33:                             ;   in Loop: Header=BB213_18 Depth=2
	ds_store_b32 v31, v0
.LBB213_34:                             ;   in Loop: Header=BB213_18 Depth=2
	s_wait_alu 0xfffe
	s_or_b32 exec_lo, exec_lo, s6
	ds_bpermute_b32 v41, v34, v40
	s_wait_loadcnt_dscnt 0x0
	s_barrier_signal -1
	s_barrier_wait -1
	global_inv scope:SCOPE_SE
	v_add_f32_e32 v40, v40, v41
	ds_bpermute_b32 v41, v35, v40
	s_wait_dscnt 0x0
	v_add_f32_e32 v40, v40, v41
	ds_bpermute_b32 v41, v36, v40
	s_wait_dscnt 0x0
	;; [unrolled: 3-line block ×3, first 2 shown]
	v_add_f32_e32 v40, v40, v41
	ds_bpermute_b32 v41, v38, v40
	s_and_saveexec_b32 s6, s3
	s_cbranch_execz .LBB213_36
; %bb.35:                               ;   in Loop: Header=BB213_18 Depth=2
	s_wait_dscnt 0x0
	v_add_f32_e32 v40, v40, v41
	ds_store_b32 v32, v40
.LBB213_36:                             ;   in Loop: Header=BB213_18 Depth=2
	s_wait_alu 0xfffe
	s_or_b32 exec_lo, exec_lo, s6
	v_mov_b32_e32 v40, 0
	s_wait_loadcnt_dscnt 0x0
	s_barrier_signal -1
	s_barrier_wait -1
	global_inv scope:SCOPE_SE
	s_and_saveexec_b32 s6, s2
	s_cbranch_execnz .LBB213_57
; %bb.37:                               ;   in Loop: Header=BB213_18 Depth=2
	s_wait_alu 0xfffe
	s_or_b32 exec_lo, exec_lo, s6
	s_and_saveexec_b32 s6, s1
	s_cbranch_execnz .LBB213_58
.LBB213_38:                             ;   in Loop: Header=BB213_18 Depth=2
	s_wait_alu 0xfffe
	s_or_b32 exec_lo, exec_lo, s6
	s_and_saveexec_b32 s6, s1
.LBB213_39:                             ;   in Loop: Header=BB213_18 Depth=2
	ds_store_b32 v31, v0
.LBB213_40:                             ;   in Loop: Header=BB213_18 Depth=2
	s_wait_alu 0xfffe
	s_or_b32 exec_lo, exec_lo, s6
	ds_bpermute_b32 v41, v34, v39
	s_wait_loadcnt_dscnt 0x0
	s_barrier_signal -1
	s_barrier_wait -1
	global_inv scope:SCOPE_SE
	v_add_f32_e32 v39, v39, v41
	ds_bpermute_b32 v41, v35, v39
	s_wait_dscnt 0x0
	v_add_f32_e32 v39, v39, v41
	ds_bpermute_b32 v41, v36, v39
	s_wait_dscnt 0x0
	;; [unrolled: 3-line block ×3, first 2 shown]
	v_add_f32_e32 v39, v39, v41
	ds_bpermute_b32 v41, v38, v39
	s_and_saveexec_b32 s6, s3
	s_cbranch_execz .LBB213_42
; %bb.41:                               ;   in Loop: Header=BB213_18 Depth=2
	s_wait_dscnt 0x0
	v_add_f32_e32 v39, v39, v41
	ds_store_b32 v32, v39
.LBB213_42:                             ;   in Loop: Header=BB213_18 Depth=2
	s_wait_alu 0xfffe
	s_or_b32 exec_lo, exec_lo, s6
	v_mov_b32_e32 v39, 0
	s_wait_loadcnt_dscnt 0x0
	s_barrier_signal -1
	s_barrier_wait -1
	global_inv scope:SCOPE_SE
	s_and_saveexec_b32 s6, s2
	s_cbranch_execnz .LBB213_59
; %bb.43:                               ;   in Loop: Header=BB213_18 Depth=2
	s_wait_alu 0xfffe
	s_or_b32 exec_lo, exec_lo, s6
	s_and_saveexec_b32 s6, s1
	s_cbranch_execnz .LBB213_60
.LBB213_44:                             ;   in Loop: Header=BB213_18 Depth=2
	s_wait_alu 0xfffe
	s_or_b32 exec_lo, exec_lo, s6
	s_and_saveexec_b32 s6, s0
	s_cbranch_execz .LBB213_17
	s_branch .LBB213_61
.LBB213_45:                             ;   in Loop: Header=BB213_18 Depth=2
	s_mul_u64 s[8:9], s[24:25], s[26:27]
	s_or_b32 s52, s24, 1
	s_mov_b32 s53, s25
	s_wait_alu 0xfffe
	s_lshl_b64 s[8:9], s[8:9], 2
	s_mul_u64 s[52:53], s[52:53], s[26:27]
	s_wait_alu 0xfffe
	v_add_co_u32 v2, vcc_lo, v15, s8
	s_wait_alu 0xfffd
	v_add_co_ci_u32_e64 v3, null, s9, v16, vcc_lo
	s_lshl_b64 s[8:9], s[52:53], 2
	s_or_b32 s52, s24, 2
	s_mov_b32 s53, s25
	s_wait_alu 0xfffe
	v_add_co_u32 v29, vcc_lo, v15, s8
	s_wait_alu 0xfffd
	v_add_co_ci_u32_e64 v30, null, s9, v16, vcc_lo
	s_mul_u64 s[8:9], s[52:53], s[26:27]
	s_or_b32 s52, s24, 3
	s_wait_alu 0xfffe
	s_lshl_b64 s[8:9], s[8:9], 2
	s_mul_u64 s[52:53], s[52:53], s[26:27]
	s_wait_dscnt 0x0
	s_wait_alu 0xfffe
	v_add_co_u32 v39, vcc_lo, v15, s8
	s_wait_alu 0xfffd
	v_add_co_ci_u32_e64 v40, null, s9, v16, vcc_lo
	s_lshl_b64 s[8:9], s[52:53], 2
	s_wait_alu 0xfffe
	v_add_co_u32 v54, vcc_lo, v15, s8
	s_wait_alu 0xfffd
	v_add_co_ci_u32_e64 v55, null, s9, v16, vcc_lo
	flat_load_b32 v1, v[19:20]
	s_clause 0x3
	flat_load_b128 v[42:45], v[2:3]
	flat_load_b128 v[46:49], v[29:30]
	;; [unrolled: 1-line block ×4, first 2 shown]
	s_clause 0x2
	flat_load_b32 v2, v[21:22]
	flat_load_b32 v3, v[23:24]
	;; [unrolled: 1-line block ×3, first 2 shown]
	s_wait_loadcnt_dscnt 0x606
	v_fma_f32 v42, v1, v42, 0
	s_wait_loadcnt_dscnt 0x505
	v_fma_f32 v41, v1, v46, 0
	;; [unrolled: 2-line block ×4, first 2 shown]
	s_wait_loadcnt_dscnt 0x202
	v_fmac_f32_e32 v41, v2, v47
	v_fmac_f32_e32 v42, v2, v43
	s_delay_alu instid0(VALU_DEP_3) | instskip(SKIP_1) | instid1(VALU_DEP_3)
	v_fmac_f32_e32 v39, v2, v55
	s_wait_loadcnt_dscnt 0x101
	v_dual_fmac_f32 v40, v2, v51 :: v_dual_fmac_f32 v41, v3, v48
	s_delay_alu instid0(VALU_DEP_3) | instskip(NEXT) | instid1(VALU_DEP_3)
	v_fmac_f32_e32 v42, v3, v44
	v_fmac_f32_e32 v39, v3, v56
	s_wait_loadcnt_dscnt 0x0
	s_delay_alu instid0(VALU_DEP_3) | instskip(NEXT) | instid1(VALU_DEP_3)
	v_dual_fmac_f32 v40, v3, v52 :: v_dual_fmac_f32 v41, v4, v49
	v_fmac_f32_e32 v42, v4, v45
	s_delay_alu instid0(VALU_DEP_3) | instskip(NEXT) | instid1(VALU_DEP_3)
	v_fmac_f32_e32 v39, v4, v57
	v_fmac_f32_e32 v40, v4, v53
	s_and_not1_saveexec_b32 s11, s6
	s_cbranch_execz .LBB213_20
.LBB213_46:                             ;   in Loop: Header=BB213_18 Depth=2
	s_wait_dscnt 0x0
	v_dual_mov_b32 v39, 0 :: v_dual_mov_b32 v40, 0
	v_dual_mov_b32 v41, 0 :: v_dual_mov_b32 v42, 0
	s_and_saveexec_b32 s20, s5
	s_cbranch_execz .LBB213_63
; %bb.47:                               ;   in Loop: Header=BB213_18 Depth=2
	s_and_not1_b32 vcc_lo, exec_lo, s59
	s_wait_alu 0xfffe
	s_cbranch_vccnz .LBB213_50
; %bb.48:                               ;   in Loop: Header=BB213_18 Depth=2
	v_dual_mov_b32 v30, v20 :: v_dual_mov_b32 v29, v19
	s_mov_b64 s[52:53], 0
.LBB213_49:                             ;   Parent Loop BB213_3 Depth=1
                                        ;     Parent Loop BB213_18 Depth=2
                                        ; =>    This Inner Loop Header: Depth=3
	flat_load_b32 v39, v[29:30]
	s_cmp_eq_u32 s52, 3
	v_add_co_u32 v29, vcc_lo, v29, s38
	s_wait_alu 0xfffd
	v_add_co_ci_u32_e64 v30, null, s39, v30, vcc_lo
	s_cselect_b32 vcc_lo, -1, 0
	s_cmp_eq_u32 s52, 2
	s_cselect_b32 s6, -1, 0
	s_cmp_eq_u32 s52, 1
	s_cselect_b32 s7, -1, 0
	s_cmp_eq_u32 s52, 0
	s_add_nc_u64 s[52:53], s[52:53], 1
	s_cselect_b32 s8, -1, 0
	s_cmp_eq_u32 s57, s52
	s_wait_loadcnt_dscnt 0x0
	s_wait_alu 0xfffe
	v_cndmask_b32_e32 v4, v4, v39, vcc_lo
	v_cndmask_b32_e64 v3, v3, v39, s6
	v_cndmask_b32_e64 v2, v2, v39, s7
	;; [unrolled: 1-line block ×3, first 2 shown]
	s_cbranch_scc0 .LBB213_49
.LBB213_50:                             ;   in Loop: Header=BB213_18 Depth=2
	s_and_not1_b32 vcc_lo, exec_lo, s59
	s_wait_alu 0xfffe
	s_cbranch_vccnz .LBB213_62
; %bb.51:                               ;   in Loop: Header=BB213_18 Depth=2
	v_dual_mov_b32 v30, v28 :: v_dual_mov_b32 v41, 0
	v_dual_mov_b32 v42, 0 :: v_dual_mov_b32 v29, v27
	;; [unrolled: 1-line block ×3, first 2 shown]
	s_mov_b64 s[8:9], 0
.LBB213_52:                             ;   Parent Loop BB213_3 Depth=1
                                        ;     Parent Loop BB213_18 Depth=2
                                        ; =>    This Inner Loop Header: Depth=3
	s_delay_alu instid0(VALU_DEP_2)
	v_add_co_u32 v43, vcc_lo, v29, s46
	s_wait_alu 0xfffd
	v_add_co_ci_u32_e64 v44, null, s47, v30, vcc_lo
	v_add_co_u32 v45, vcc_lo, v29, s44
	s_wait_alu 0xfffd
	v_add_co_ci_u32_e64 v46, null, s45, v30, vcc_lo
	;; [unrolled: 3-line block ×3, first 2 shown]
	s_clause 0x3
	flat_load_b32 v49, v[29:30]
	flat_load_b32 v43, v[43:44]
	;; [unrolled: 1-line block ×4, first 2 shown]
	s_wait_alu 0xfffe
	s_cmp_eq_u32 s8, 1
	v_add_co_u32 v29, s6, v29, 4
	s_cselect_b32 vcc_lo, -1, 0
	s_cmp_eq_u32 s8, 2
	s_wait_alu 0xfffe
	v_cndmask_b32_e32 v46, v1, v2, vcc_lo
	s_cselect_b32 vcc_lo, -1, 0
	s_cmp_eq_u32 s8, 3
	v_add_co_ci_u32_e64 v30, null, 0, v30, s6
	s_wait_alu 0xfffe
	v_cndmask_b32_e32 v46, v46, v3, vcc_lo
	s_cselect_b32 vcc_lo, -1, 0
	s_add_nc_u64 s[8:9], s[8:9], 1
	s_wait_alu 0xfffe
	s_cmp_lg_u32 s57, s8
	v_cndmask_b32_e32 v46, v46, v4, vcc_lo
	s_wait_loadcnt_dscnt 0x303
	s_delay_alu instid0(VALU_DEP_1)
	v_fmac_f32_e32 v42, v46, v49
	s_wait_loadcnt_dscnt 0x202
	v_fmac_f32_e32 v41, v46, v43
	s_wait_loadcnt_dscnt 0x101
	;; [unrolled: 2-line block ×3, first 2 shown]
	v_fmac_f32_e32 v39, v46, v45
	s_cbranch_scc1 .LBB213_52
	s_branch .LBB213_63
.LBB213_53:                             ;   in Loop: Header=BB213_18 Depth=2
	ds_load_b32 v29, v31
	s_wait_alu 0xfffe
	s_or_b32 exec_lo, exec_lo, s6
	s_and_saveexec_b32 s6, s1
	s_cbranch_execz .LBB213_26
.LBB213_54:                             ;   in Loop: Header=BB213_18 Depth=2
	s_wait_dscnt 0x0
	ds_bpermute_b32 v30, v36, v29
	s_wait_dscnt 0x0
	v_add_f32_e32 v29, v29, v30
	ds_bpermute_b32 v30, v37, v29
	s_wait_dscnt 0x0
	v_add_f32_e32 v29, v29, v30
	;; [unrolled: 3-line block ×3, first 2 shown]
	s_wait_alu 0xfffe
	s_or_b32 exec_lo, exec_lo, s6
	s_and_saveexec_b32 s6, s1
	s_cbranch_execnz .LBB213_27
	s_branch .LBB213_28
.LBB213_55:                             ;   in Loop: Header=BB213_18 Depth=2
	ds_load_b32 v30, v31
	s_wait_alu 0xfffe
	s_or_b32 exec_lo, exec_lo, s6
	s_and_saveexec_b32 s6, s1
	s_cbranch_execz .LBB213_32
.LBB213_56:                             ;   in Loop: Header=BB213_18 Depth=2
	s_wait_dscnt 0x0
	ds_bpermute_b32 v41, v36, v30
	s_wait_dscnt 0x0
	v_add_f32_e32 v30, v30, v41
	ds_bpermute_b32 v41, v37, v30
	s_wait_dscnt 0x0
	v_add_f32_e32 v30, v30, v41
	;; [unrolled: 3-line block ×3, first 2 shown]
	s_wait_alu 0xfffe
	s_or_b32 exec_lo, exec_lo, s6
	s_and_saveexec_b32 s6, s1
	s_cbranch_execnz .LBB213_33
	s_branch .LBB213_34
.LBB213_57:                             ;   in Loop: Header=BB213_18 Depth=2
	ds_load_b32 v40, v31
	s_wait_alu 0xfffe
	s_or_b32 exec_lo, exec_lo, s6
	s_and_saveexec_b32 s6, s1
	s_cbranch_execz .LBB213_38
.LBB213_58:                             ;   in Loop: Header=BB213_18 Depth=2
	s_wait_dscnt 0x0
	ds_bpermute_b32 v41, v36, v40
	s_wait_dscnt 0x0
	v_add_f32_e32 v40, v40, v41
	ds_bpermute_b32 v41, v37, v40
	s_wait_dscnt 0x0
	v_add_f32_e32 v40, v40, v41
	ds_bpermute_b32 v41, v38, v40
	s_wait_dscnt 0x0
	v_add_f32_e32 v40, v40, v41
	s_wait_alu 0xfffe
	s_or_b32 exec_lo, exec_lo, s6
	s_and_saveexec_b32 s6, s1
	s_cbranch_execnz .LBB213_39
	s_branch .LBB213_40
.LBB213_59:                             ;   in Loop: Header=BB213_18 Depth=2
	ds_load_b32 v39, v31
	s_wait_alu 0xfffe
	s_or_b32 exec_lo, exec_lo, s6
	s_and_saveexec_b32 s6, s1
	s_cbranch_execz .LBB213_44
.LBB213_60:                             ;   in Loop: Header=BB213_18 Depth=2
	s_wait_dscnt 0x0
	ds_bpermute_b32 v41, v36, v39
	s_wait_dscnt 0x0
	v_add_f32_e32 v39, v39, v41
	ds_bpermute_b32 v41, v37, v39
	s_wait_dscnt 0x0
	v_add_f32_e32 v39, v39, v41
	;; [unrolled: 3-line block ×3, first 2 shown]
	s_wait_alu 0xfffe
	s_or_b32 exec_lo, exec_lo, s6
	s_and_saveexec_b32 s6, s0
	s_cbranch_execz .LBB213_17
.LBB213_61:                             ;   in Loop: Header=BB213_18 Depth=2
	s_mul_u64 s[8:9], s[24:25], s[28:29]
	v_dual_mul_f32 v29, s22, v29 :: v_dual_mul_f32 v30, s22, v30
	s_or_b32 s52, s24, 1
	s_mov_b32 s53, s25
	s_wait_alu 0xfffe
	s_lshl_b64 s[8:9], s[8:9], 2
	s_mul_u64 s[52:53], s[52:53], s[28:29]
	s_wait_alu 0xfffe
	s_add_nc_u64 s[8:9], s[50:51], s[8:9]
	s_or_b32 s60, s24, 2
	s_mov_b32 s61, s25
	global_store_b32 v0, v29, s[8:9]
	s_lshl_b64 s[8:9], s[52:53], 2
	s_mul_u64 s[52:53], s[60:61], s[28:29]
	s_or_b32 s60, s24, 3
	s_wait_alu 0xfffe
	s_add_nc_u64 s[8:9], s[50:51], s[8:9]
	s_mul_u64 s[60:61], s[60:61], s[28:29]
	v_mul_f32_e32 v29, s22, v40
	global_store_b32 v0, v30, s[8:9]
	s_lshl_b64 s[8:9], s[52:53], 2
	s_wait_dscnt 0x0
	v_mul_f32_e32 v30, s22, v39
	s_lshl_b64 s[52:53], s[60:61], 2
	s_wait_alu 0xfffe
	s_add_nc_u64 s[8:9], s[50:51], s[8:9]
	s_add_nc_u64 s[52:53], s[50:51], s[52:53]
	s_clause 0x1
	global_store_b32 v0, v29, s[8:9]
	global_store_b32 v0, v30, s[52:53]
	s_branch .LBB213_17
.LBB213_62:                             ;   in Loop: Header=BB213_18 Depth=2
	v_dual_mov_b32 v39, 0 :: v_dual_mov_b32 v40, 0
	v_dual_mov_b32 v41, 0 :: v_dual_mov_b32 v42, 0
.LBB213_63:                             ;   in Loop: Header=BB213_18 Depth=2
	s_wait_alu 0xfffe
	s_or_b32 exec_lo, exec_lo, s20
	s_delay_alu instid0(SALU_CYCLE_1)
	s_or_b32 exec_lo, exec_lo, s11
	s_and_saveexec_b32 s6, s1
	s_cbranch_execnz .LBB213_21
	s_branch .LBB213_22
.LBB213_64:                             ;   in Loop: Header=BB213_3 Depth=1
	v_mov_b32_e32 v3, v0
	v_dual_mov_b32 v1, v0 :: v_dual_mov_b32 v2, v0
	s_mov_b32 s24, 0
	s_delay_alu instid0(VALU_DEP_2) | instskip(NEXT) | instid1(VALU_DEP_2)
	v_mov_b32_e32 v4, v3
	v_mov_b32_e32 v3, v2
	s_delay_alu instid0(VALU_DEP_3)
	v_mov_b32_e32 v2, v1
	v_mov_b32_e32 v1, v0
.LBB213_65:                             ;   in Loop: Header=BB213_3 Depth=1
	s_wait_alu 0xfffe
	s_cmp_ge_i32 s24, s21
	s_cbranch_scc1 .LBB213_2
; %bb.66:                               ;   in Loop: Header=BB213_3 Depth=1
	v_cmp_gt_u32_e32 vcc_lo, 24, v33
	s_wait_alu 0xfffd
	v_cndmask_b32_e64 v19, 0, 8, vcc_lo
	v_cmp_gt_u32_e32 vcc_lo, 28, v33
	s_delay_alu instid0(VALU_DEP_2) | instskip(SKIP_4) | instid1(VALU_DEP_3)
	v_add_lshl_u32 v29, v19, v33, 2
	s_wait_alu 0xfffd
	v_cndmask_b32_e64 v21, 0, 4, vcc_lo
	v_cmp_gt_u32_e32 vcc_lo, 30, v33
	v_mad_co_u64_u32 v[19:20], null, s46, s24, v[15:16]
	v_add_lshl_u32 v30, v21, v33, 2
	s_wait_alu 0xfffd
	v_cndmask_b32_e64 v22, 0, 2, vcc_lo
	v_cmp_ne_u32_e32 vcc_lo, 31, v33
	s_delay_alu instid0(VALU_DEP_2)
	v_add_lshl_u32 v35, v22, v33, 2
	s_wait_alu 0xfffd
	v_add_co_ci_u32_e64 v23, null, 0, v33, vcc_lo
	v_add_co_u32 v21, vcc_lo, v17, v5
	s_wait_alu 0xfffd
	v_add_co_ci_u32_e64 v22, null, v18, v6, vcc_lo
	s_delay_alu instid0(VALU_DEP_3)
	v_lshlrev_b32_e32 v36, 2, v23
	s_wait_dscnt 0x0
	v_mad_co_u64_u32 v[27:28], null, s47, s24, v[20:21]
	v_add_co_u32 v23, vcc_lo, v17, v9
	s_wait_alu 0xfffd
	v_add_co_ci_u32_e64 v24, null, v18, v10, vcc_lo
	v_add_co_u32 v25, vcc_lo, v17, v11
	s_wait_alu 0xfffd
	v_add_co_ci_u32_e64 v26, null, v18, v12, vcc_lo
	;; [unrolled: 3-line block ×3, first 2 shown]
	v_mov_b32_e32 v20, v27
	s_branch .LBB213_68
.LBB213_67:                             ;   in Loop: Header=BB213_68 Depth=2
	s_wait_alu 0xfffe
	s_or_b32 exec_lo, exec_lo, s6
	v_add_co_u32 v19, vcc_lo, v19, s46
	s_wait_alu 0xfffd
	v_add_co_ci_u32_e64 v20, null, s47, v20, vcc_lo
	s_add_co_i32 s24, s24, 1
	s_wait_alu 0xfffe
	s_cmp_ge_i32 s24, s21
	s_cbranch_scc1 .LBB213_2
.LBB213_68:                             ;   Parent Loop BB213_3 Depth=1
                                        ; =>  This Loop Header: Depth=2
                                        ;       Child Loop BB213_81 Depth 3
                                        ;       Child Loop BB213_84 Depth 3
	v_mov_b32_e32 v37, s25
	s_and_saveexec_b32 s6, s4
	s_wait_alu 0xfffe
	s_xor_b32 s6, exec_lo, s6
	s_cbranch_execnz .LBB213_77
; %bb.69:                               ;   in Loop: Header=BB213_68 Depth=2
	s_wait_alu 0xfffe
	s_and_not1_saveexec_b32 s9, s6
	s_cbranch_execnz .LBB213_78
.LBB213_70:                             ;   in Loop: Header=BB213_68 Depth=2
	s_wait_alu 0xfffe
	s_or_b32 exec_lo, exec_lo, s9
	s_and_saveexec_b32 s6, s1
.LBB213_71:                             ;   in Loop: Header=BB213_68 Depth=2
	ds_store_b32 v31, v0
.LBB213_72:                             ;   in Loop: Header=BB213_68 Depth=2
	s_wait_alu 0xfffe
	s_or_b32 exec_lo, exec_lo, s6
	s_wait_dscnt 0x0
	ds_bpermute_b32 v27, v34, v37
	s_wait_storecnt 0x0
	s_wait_loadcnt_dscnt 0x0
	s_barrier_signal -1
	s_barrier_wait -1
	global_inv scope:SCOPE_SE
	v_add_f32_e32 v27, v37, v27
	ds_bpermute_b32 v28, v29, v27
	s_wait_dscnt 0x0
	v_add_f32_e32 v27, v27, v28
	ds_bpermute_b32 v28, v30, v27
	s_wait_dscnt 0x0
	;; [unrolled: 3-line block ×3, first 2 shown]
	v_add_f32_e32 v27, v27, v28
	ds_bpermute_b32 v28, v36, v27
	s_and_saveexec_b32 s6, s3
	s_cbranch_execz .LBB213_74
; %bb.73:                               ;   in Loop: Header=BB213_68 Depth=2
	s_wait_dscnt 0x0
	v_add_f32_e32 v27, v27, v28
	ds_store_b32 v32, v27
.LBB213_74:                             ;   in Loop: Header=BB213_68 Depth=2
	s_wait_alu 0xfffe
	s_or_b32 exec_lo, exec_lo, s6
	v_mov_b32_e32 v27, 0
	s_wait_loadcnt_dscnt 0x0
	s_barrier_signal -1
	s_barrier_wait -1
	global_inv scope:SCOPE_SE
	s_and_saveexec_b32 s6, s2
	s_cbranch_execnz .LBB213_86
; %bb.75:                               ;   in Loop: Header=BB213_68 Depth=2
	s_wait_alu 0xfffe
	s_or_b32 exec_lo, exec_lo, s6
	s_and_saveexec_b32 s6, s1
	s_cbranch_execnz .LBB213_87
.LBB213_76:                             ;   in Loop: Header=BB213_68 Depth=2
	s_wait_alu 0xfffe
	s_or_b32 exec_lo, exec_lo, s6
	s_and_saveexec_b32 s6, s0
	s_cbranch_execz .LBB213_67
	s_branch .LBB213_88
.LBB213_77:                             ;   in Loop: Header=BB213_68 Depth=2
	s_mul_u64 s[8:9], s[24:25], s[26:27]
	s_wait_alu 0xfffe
	s_lshl_b64 s[8:9], s[8:9], 2
	s_wait_alu 0xfffe
	v_add_co_u32 v1, vcc_lo, v15, s8
	s_wait_alu 0xfffd
	v_add_co_ci_u32_e64 v2, null, s9, v16, vcc_lo
	s_wait_dscnt 0x0
	flat_load_b128 v[37:40], v[1:2]
	s_clause 0x3
	flat_load_b32 v1, v[21:22]
	flat_load_b32 v2, v[23:24]
	;; [unrolled: 1-line block ×4, first 2 shown]
	s_wait_loadcnt_dscnt 0x303
	v_fma_f32 v37, v1, v37, 0
	s_wait_loadcnt_dscnt 0x202
	s_delay_alu instid0(VALU_DEP_1) | instskip(SKIP_1) | instid1(VALU_DEP_1)
	v_fmac_f32_e32 v37, v2, v38
	s_wait_loadcnt_dscnt 0x101
	v_fmac_f32_e32 v37, v3, v39
	s_wait_loadcnt_dscnt 0x0
	s_delay_alu instid0(VALU_DEP_1)
	v_fmac_f32_e32 v37, v4, v40
	s_and_not1_saveexec_b32 s9, s6
	s_cbranch_execz .LBB213_70
.LBB213_78:                             ;   in Loop: Header=BB213_68 Depth=2
	s_and_saveexec_b32 s11, s5
	s_cbranch_execz .LBB213_85
; %bb.79:                               ;   in Loop: Header=BB213_68 Depth=2
	s_and_not1_b32 vcc_lo, exec_lo, s59
	s_wait_alu 0xfffe
	s_cbranch_vccnz .LBB213_82
; %bb.80:                               ;   in Loop: Header=BB213_68 Depth=2
	s_wait_dscnt 0x0
	v_dual_mov_b32 v28, v22 :: v_dual_mov_b32 v27, v21
	s_mov_b64 s[52:53], 0
.LBB213_81:                             ;   Parent Loop BB213_3 Depth=1
                                        ;     Parent Loop BB213_68 Depth=2
                                        ; =>    This Inner Loop Header: Depth=3
	flat_load_b32 v38, v[27:28]
	s_cmp_eq_u32 s52, 3
	v_add_co_u32 v27, vcc_lo, v27, s38
	s_wait_alu 0xfffd
	v_add_co_ci_u32_e64 v28, null, s39, v28, vcc_lo
	s_cselect_b32 vcc_lo, -1, 0
	s_cmp_eq_u32 s52, 2
	s_cselect_b32 s6, -1, 0
	s_cmp_eq_u32 s52, 1
	s_cselect_b32 s7, -1, 0
	s_cmp_eq_u32 s52, 0
	s_add_nc_u64 s[52:53], s[52:53], 1
	s_cselect_b32 s8, -1, 0
	s_cmp_eq_u32 s57, s52
	s_wait_loadcnt_dscnt 0x0
	s_wait_alu 0xfffe
	v_cndmask_b32_e32 v4, v4, v38, vcc_lo
	v_cndmask_b32_e64 v3, v3, v38, s6
	v_cndmask_b32_e64 v2, v2, v38, s7
	;; [unrolled: 1-line block ×3, first 2 shown]
	s_cbranch_scc0 .LBB213_81
.LBB213_82:                             ;   in Loop: Header=BB213_68 Depth=2
	s_and_not1_b32 vcc_lo, exec_lo, s59
	s_wait_alu 0xfffe
	s_cbranch_vccnz .LBB213_85
; %bb.83:                               ;   in Loop: Header=BB213_68 Depth=2
	s_wait_dscnt 0x0
	v_dual_mov_b32 v28, v20 :: v_dual_mov_b32 v27, v19
	s_mov_b64 s[6:7], 0
.LBB213_84:                             ;   Parent Loop BB213_3 Depth=1
                                        ;     Parent Loop BB213_68 Depth=2
                                        ; =>    This Inner Loop Header: Depth=3
	flat_load_b32 v38, v[27:28]
	s_wait_alu 0xfffe
	s_cmp_eq_u32 s6, 1
	s_cselect_b32 vcc_lo, -1, 0
	s_cmp_eq_u32 s6, 2
	s_wait_dscnt 0x1
	s_wait_alu 0xfffe
	v_cndmask_b32_e32 v39, v1, v2, vcc_lo
	s_cselect_b32 vcc_lo, -1, 0
	s_cmp_eq_u32 s6, 3
	s_add_nc_u64 s[6:7], s[6:7], 1
	s_wait_alu 0xfffe
	v_cndmask_b32_e32 v39, v39, v3, vcc_lo
	s_cselect_b32 vcc_lo, -1, 0
	s_cmp_lg_u32 s57, s6
	s_wait_alu 0xfffe
	s_delay_alu instid0(VALU_DEP_1)
	v_cndmask_b32_e32 v39, v39, v4, vcc_lo
	v_add_co_u32 v27, vcc_lo, v27, 4
	s_wait_alu 0xfffd
	v_add_co_ci_u32_e64 v28, null, 0, v28, vcc_lo
	s_wait_loadcnt_dscnt 0x0
	v_fmac_f32_e32 v37, v39, v38
	s_cbranch_scc1 .LBB213_84
.LBB213_85:                             ;   in Loop: Header=BB213_68 Depth=2
	s_or_b32 exec_lo, exec_lo, s11
	s_wait_alu 0xfffe
	s_or_b32 exec_lo, exec_lo, s9
	s_and_saveexec_b32 s6, s1
	s_cbranch_execnz .LBB213_71
	s_branch .LBB213_72
.LBB213_86:                             ;   in Loop: Header=BB213_68 Depth=2
	ds_load_b32 v27, v31
	s_wait_alu 0xfffe
	s_or_b32 exec_lo, exec_lo, s6
	s_and_saveexec_b32 s6, s1
	s_cbranch_execz .LBB213_76
.LBB213_87:                             ;   in Loop: Header=BB213_68 Depth=2
	s_wait_dscnt 0x0
	ds_bpermute_b32 v28, v30, v27
	s_wait_dscnt 0x0
	v_add_f32_e32 v27, v27, v28
	ds_bpermute_b32 v28, v35, v27
	s_wait_dscnt 0x0
	v_add_f32_e32 v27, v27, v28
	;; [unrolled: 3-line block ×3, first 2 shown]
	s_wait_alu 0xfffe
	s_or_b32 exec_lo, exec_lo, s6
	s_and_saveexec_b32 s6, s0
	s_cbranch_execz .LBB213_67
.LBB213_88:                             ;   in Loop: Header=BB213_68 Depth=2
	s_mul_u64 s[8:9], s[24:25], s[28:29]
	s_wait_dscnt 0x0
	v_mul_f32_e32 v27, s22, v27
	s_wait_alu 0xfffe
	s_lshl_b64 s[8:9], s[8:9], 2
	s_wait_alu 0xfffe
	s_add_nc_u64 s[8:9], s[50:51], s[8:9]
	global_store_b32 v0, v27, s[8:9]
	s_branch .LBB213_67
.LBB213_89:
	s_endpgm
	.section	.rodata,"a",@progbits
	.p2align	6, 0x0
	.amdhsa_kernel _ZL23rocblas_gemvt_sn_kernelILb0ELi256ELi4ElPKfffEviiT4_lPKT3_lilS5_lilPT5_i
		.amdhsa_group_segment_fixed_size 128
		.amdhsa_private_segment_fixed_size 0
		.amdhsa_kernarg_size 360
		.amdhsa_user_sgpr_count 2
		.amdhsa_user_sgpr_dispatch_ptr 0
		.amdhsa_user_sgpr_queue_ptr 0
		.amdhsa_user_sgpr_kernarg_segment_ptr 1
		.amdhsa_user_sgpr_dispatch_id 0
		.amdhsa_user_sgpr_private_segment_size 0
		.amdhsa_wavefront_size32 1
		.amdhsa_uses_dynamic_stack 0
		.amdhsa_enable_private_segment 0
		.amdhsa_system_sgpr_workgroup_id_x 1
		.amdhsa_system_sgpr_workgroup_id_y 0
		.amdhsa_system_sgpr_workgroup_id_z 1
		.amdhsa_system_sgpr_workgroup_info 0
		.amdhsa_system_vgpr_workitem_id 0
		.amdhsa_next_free_vgpr 58
		.amdhsa_next_free_sgpr 62
		.amdhsa_reserve_vcc 1
		.amdhsa_float_round_mode_32 0
		.amdhsa_float_round_mode_16_64 0
		.amdhsa_float_denorm_mode_32 3
		.amdhsa_float_denorm_mode_16_64 3
		.amdhsa_fp16_overflow 0
		.amdhsa_workgroup_processor_mode 1
		.amdhsa_memory_ordered 1
		.amdhsa_forward_progress 1
		.amdhsa_inst_pref_size 35
		.amdhsa_round_robin_scheduling 0
		.amdhsa_exception_fp_ieee_invalid_op 0
		.amdhsa_exception_fp_denorm_src 0
		.amdhsa_exception_fp_ieee_div_zero 0
		.amdhsa_exception_fp_ieee_overflow 0
		.amdhsa_exception_fp_ieee_underflow 0
		.amdhsa_exception_fp_ieee_inexact 0
		.amdhsa_exception_int_div_zero 0
	.end_amdhsa_kernel
	.section	.text._ZL23rocblas_gemvt_sn_kernelILb0ELi256ELi4ElPKfffEviiT4_lPKT3_lilS5_lilPT5_i,"axG",@progbits,_ZL23rocblas_gemvt_sn_kernelILb0ELi256ELi4ElPKfffEviiT4_lPKT3_lilS5_lilPT5_i,comdat
.Lfunc_end213:
	.size	_ZL23rocblas_gemvt_sn_kernelILb0ELi256ELi4ElPKfffEviiT4_lPKT3_lilS5_lilPT5_i, .Lfunc_end213-_ZL23rocblas_gemvt_sn_kernelILb0ELi256ELi4ElPKfffEviiT4_lPKT3_lilS5_lilPT5_i
                                        ; -- End function
	.set _ZL23rocblas_gemvt_sn_kernelILb0ELi256ELi4ElPKfffEviiT4_lPKT3_lilS5_lilPT5_i.num_vgpr, 58
	.set _ZL23rocblas_gemvt_sn_kernelILb0ELi256ELi4ElPKfffEviiT4_lPKT3_lilS5_lilPT5_i.num_agpr, 0
	.set _ZL23rocblas_gemvt_sn_kernelILb0ELi256ELi4ElPKfffEviiT4_lPKT3_lilS5_lilPT5_i.numbered_sgpr, 62
	.set _ZL23rocblas_gemvt_sn_kernelILb0ELi256ELi4ElPKfffEviiT4_lPKT3_lilS5_lilPT5_i.num_named_barrier, 0
	.set _ZL23rocblas_gemvt_sn_kernelILb0ELi256ELi4ElPKfffEviiT4_lPKT3_lilS5_lilPT5_i.private_seg_size, 0
	.set _ZL23rocblas_gemvt_sn_kernelILb0ELi256ELi4ElPKfffEviiT4_lPKT3_lilS5_lilPT5_i.uses_vcc, 1
	.set _ZL23rocblas_gemvt_sn_kernelILb0ELi256ELi4ElPKfffEviiT4_lPKT3_lilS5_lilPT5_i.uses_flat_scratch, 1
	.set _ZL23rocblas_gemvt_sn_kernelILb0ELi256ELi4ElPKfffEviiT4_lPKT3_lilS5_lilPT5_i.has_dyn_sized_stack, 0
	.set _ZL23rocblas_gemvt_sn_kernelILb0ELi256ELi4ElPKfffEviiT4_lPKT3_lilS5_lilPT5_i.has_recursion, 0
	.set _ZL23rocblas_gemvt_sn_kernelILb0ELi256ELi4ElPKfffEviiT4_lPKT3_lilS5_lilPT5_i.has_indirect_call, 0
	.section	.AMDGPU.csdata,"",@progbits
; Kernel info:
; codeLenInByte = 4476
; TotalNumSgprs: 64
; NumVgprs: 58
; ScratchSize: 0
; MemoryBound: 0
; FloatMode: 240
; IeeeMode: 1
; LDSByteSize: 128 bytes/workgroup (compile time only)
; SGPRBlocks: 0
; VGPRBlocks: 7
; NumSGPRsForWavesPerEU: 64
; NumVGPRsForWavesPerEU: 58
; Occupancy: 16
; WaveLimiterHint : 0
; COMPUTE_PGM_RSRC2:SCRATCH_EN: 0
; COMPUTE_PGM_RSRC2:USER_SGPR: 2
; COMPUTE_PGM_RSRC2:TRAP_HANDLER: 0
; COMPUTE_PGM_RSRC2:TGID_X_EN: 1
; COMPUTE_PGM_RSRC2:TGID_Y_EN: 0
; COMPUTE_PGM_RSRC2:TGID_Z_EN: 1
; COMPUTE_PGM_RSRC2:TIDIG_COMP_CNT: 0
	.section	.text._ZL36rocblas_gemvt_double_buffered_kernelILb0ELi128ELi8ELi8EPKfS1_KPfEviiT4_lPKT3_lilS7_lilPT5_lili,"axG",@progbits,_ZL36rocblas_gemvt_double_buffered_kernelILb0ELi128ELi8ELi8EPKfS1_KPfEviiT4_lPKT3_lilS7_lilPT5_lili,comdat
	.globl	_ZL36rocblas_gemvt_double_buffered_kernelILb0ELi128ELi8ELi8EPKfS1_KPfEviiT4_lPKT3_lilS7_lilPT5_lili ; -- Begin function _ZL36rocblas_gemvt_double_buffered_kernelILb0ELi128ELi8ELi8EPKfS1_KPfEviiT4_lPKT3_lilS7_lilPT5_lili
	.p2align	8
	.type	_ZL36rocblas_gemvt_double_buffered_kernelILb0ELi128ELi8ELi8EPKfS1_KPfEviiT4_lPKT3_lilS7_lilPT5_lili,@function
_ZL36rocblas_gemvt_double_buffered_kernelILb0ELi128ELi8ELi8EPKfS1_KPfEviiT4_lPKT3_lilS7_lilPT5_lili: ; @_ZL36rocblas_gemvt_double_buffered_kernelILb0ELi128ELi8ELi8EPKfS1_KPfEviiT4_lPKT3_lilS7_lilPT5_lili
; %bb.0:
	s_load_b32 s33, s[0:1], 0x78
	s_lshr_b32 s2, ttmp7, 16
	s_wait_kmcnt 0x0
	s_cmp_ge_u32 s2, s33
	s_cbranch_scc1 .LBB214_15
; %bb.1:
	s_clause 0x3
	s_load_b32 s3, s[0:1], 0x0
	s_load_b32 s28, s[0:1], 0x28
	;; [unrolled: 1-line block ×4, first 2 shown]
	v_dual_mov_b32 v1, 0 :: v_dual_and_b32 v8, 0x3ff, v0
	v_bfe_u32 v2, v0, 10, 10
	s_clause 0x2
	s_load_b128 s[12:15], s[0:1], 0x38
	s_load_b128 s[16:19], s[0:1], 0x58
	s_load_b256 s[4:11], s[0:1], 0x8
	v_add_nc_u32_e32 v12, 1, v8
	v_add_nc_u32_e32 v13, 2, v8
	;; [unrolled: 1-line block ×3, first 2 shown]
	s_add_nc_u64 s[22:23], s[0:1], 0x80
	v_lshl_add_u32 v3, v2, 7, v8
	v_lshlrev_b32_e32 v11, 8, v8
	v_and_b32_e32 v12, 63, v12
	v_add_nc_u32_e32 v15, 4, v8
	v_and_b32_e32 v13, 63, v13
	v_lshrrev_b32_e32 v10, 3, v3
	v_and_b32_e32 v0, 63, v0
	s_wait_kmcnt 0x0
	s_ashr_i32 s0, s3, 31
	v_lshl_or_b32 v19, v12, 2, v11
	s_lshr_b32 s0, s0, 25
	v_and_b32_e32 v12, 63, v15
	s_add_co_i32 s3, s3, s0
	v_cmp_eq_u32_e64 s0, 0, v2
	v_and_b32_e32 v2, 63, v14
	v_lshl_or_b32 v20, v13, 2, v11
	v_add_nc_u32_e32 v13, 5, v8
	v_add_nc_u32_e32 v14, 6, v8
	v_lshl_or_b32 v22, v12, 2, v11
	v_lshl_or_b32 v21, v2, 2, v11
	v_add_nc_u32_e32 v2, 7, v8
	v_and_b32_e32 v12, 63, v13
	v_and_b32_e32 v13, 63, v14
	v_add_nc_u32_e32 v14, 8, v8
	v_add_nc_u32_e32 v15, 9, v8
	v_and_b32_e32 v2, 63, v2
	v_lshl_or_b32 v23, v12, 2, v11
	v_lshl_or_b32 v24, v13, 2, v11
	v_and_b32_e32 v12, 63, v14
	v_and_b32_e32 v13, 63, v15
	v_lshl_or_b32 v25, v2, 2, v11
	v_add_nc_u32_e32 v2, 10, v8
	v_add_nc_u32_e32 v14, 11, v8
	v_lshl_or_b32 v26, v12, 2, v11
	v_lshl_or_b32 v27, v13, 2, v11
	v_add_nc_u32_e32 v12, 12, v8
	v_and_b32_e32 v2, 63, v2
	v_and_b32_e32 v13, 63, v14
	v_add_nc_u32_e32 v14, 13, v8
	v_add_nc_u32_e32 v15, 14, v8
	v_and_b32_e32 v12, 63, v12
	v_lshl_or_b32 v28, v2, 2, v11
	v_lshl_or_b32 v29, v13, 2, v11
	v_and_b32_e32 v2, 63, v14
	v_and_b32_e32 v13, 63, v15
	v_lshl_or_b32 v30, v12, 2, v11
	v_add_nc_u32_e32 v12, 15, v8
	v_add_nc_u32_e32 v14, 16, v8
	v_lshl_or_b32 v31, v2, 2, v11
	v_add_nc_u32_e32 v2, 17, v8
	v_lshl_or_b32 v32, v13, 2, v11
	v_and_b32_e32 v12, 63, v12
	v_and_b32_e32 v13, 63, v14
	v_add_nc_u32_e32 v14, 18, v8
	v_add_nc_u32_e32 v15, 19, v8
	v_and_b32_e32 v2, 63, v2
	v_lshl_or_b32 v33, v12, 2, v11
	v_lshl_or_b32 v34, v13, 2, v11
	v_and_b32_e32 v12, 63, v14
	v_and_b32_e32 v13, 63, v15
	v_lshl_or_b32 v35, v2, 2, v11
	v_add_nc_u32_e32 v2, 20, v8
	v_add_nc_u32_e32 v14, 21, v8
	v_lshl_or_b32 v36, v12, 2, v11
	v_lshl_or_b32 v37, v13, 2, v11
	v_add_nc_u32_e32 v12, 22, v8
	v_and_b32_e32 v2, 63, v2
	v_and_b32_e32 v13, 63, v14
	v_add_nc_u32_e32 v14, 23, v8
	v_add_nc_u32_e32 v15, 24, v8
	v_and_b32_e32 v12, 63, v12
	v_lshl_or_b32 v38, v2, 2, v11
	v_lshl_or_b32 v39, v13, 2, v11
	v_and_b32_e32 v2, 63, v14
	v_and_b32_e32 v13, 63, v15
	v_lshl_or_b32 v40, v12, 2, v11
	v_add_nc_u32_e32 v12, 25, v8
	v_add_nc_u32_e32 v14, 26, v8
	v_lshl_or_b32 v41, v2, 2, v11
	v_add_nc_u32_e32 v2, 27, v8
	v_lshl_or_b32 v42, v13, 2, v11
	v_and_b32_e32 v12, 63, v12
	v_and_b32_e32 v13, 63, v14
	v_add_nc_u32_e32 v14, 28, v8
	v_and_b32_e32 v2, 63, v2
	v_add_nc_u32_e32 v15, 29, v8
	v_and_b32_e32 v9, 0x7ff8, v10
	v_lshl_or_b32 v43, v12, 2, v11
	v_lshl_or_b32 v44, v13, 2, v11
	;; [unrolled: 1-line block ×3, first 2 shown]
	v_add_nc_u32_e32 v2, 30, v8
	v_and_b32_e32 v12, 63, v14
	v_and_b32_e32 v13, 63, v15
	v_add_nc_u32_e32 v14, 31, v8
	v_add_nc_u32_e32 v15, 34, v8
	v_and_b32_e32 v2, 63, v2
	v_mad_co_i64_i32 v[6:7], null, s28, v9, v[0:1]
	v_lshlrev_b32_e32 v18, 2, v0
	v_lshl_or_b32 v46, v12, 2, v11
	v_lshl_or_b32 v47, v13, 2, v11
	v_add_nc_u32_e32 v12, 33, v8
	v_and_b32_e32 v13, 63, v14
	v_xor_b32_e32 v14, 32, v0
	v_lshl_or_b32 v0, v2, 2, v11
	v_and_b32_e32 v2, 63, v15
	v_and_b32_e32 v12, 63, v12
	v_add_nc_u32_e32 v15, 39, v8
	v_lshl_or_b32 v49, v14, 2, v11
	v_add_nc_u32_e32 v14, 37, v8
	v_lshl_or_b32 v51, v2, 2, v11
	;; [unrolled: 2-line block ×4, first 2 shown]
	v_add_nc_u32_e32 v13, 36, v8
	v_and_b32_e32 v2, 63, v2
	v_and_b32_e32 v14, 63, v14
	;; [unrolled: 1-line block ×3, first 2 shown]
	s_and_b32 s40, ttmp7, 0xffff
	v_and_b32_e32 v13, 63, v13
	v_lshl_or_b32 v55, v2, 2, v11
	v_add_nc_u32_e32 v2, 40, v8
	v_lshl_or_b32 v52, v12, 2, v11
	v_and_b32_e32 v12, 63, v15
	v_add_nc_u32_e32 v15, 44, v8
	v_lshl_or_b32 v54, v14, 2, v11
	v_and_b32_e32 v2, 63, v2
	v_add_nc_u32_e32 v14, 42, v8
	v_lshl_or_b32 v56, v12, 2, v11
	v_add_nc_u32_e32 v12, 43, v8
	v_lshl_or_b32 v53, v13, 2, v11
	v_lshl_or_b32 v57, v2, 2, v11
	v_and_b32_e32 v2, 63, v15
	v_add_nc_u32_e32 v13, 41, v8
	v_and_b32_e32 v12, 63, v12
	v_and_b32_e32 v14, 63, v14
	v_add_nc_u32_e32 v15, 49, v8
	v_lshl_or_b32 v61, v2, 2, v11
	v_add_nc_u32_e32 v2, 48, v8
	v_lshl_or_b32 v60, v12, 2, v11
	v_add_nc_u32_e32 v12, 45, v8
	v_and_b32_e32 v13, 63, v13
	v_cvt_f64_i32_e32 v[4:5], s40
	v_and_b32_e32 v2, 63, v2
	v_lshl_or_b32 v59, v14, 2, v11
	v_and_b32_e32 v12, 63, v12
	v_add_nc_u32_e32 v14, 47, v8
	v_lshl_or_b32 v58, v13, 2, v11
	v_lshl_or_b32 v65, v2, 2, v11
	v_add_nc_u32_e32 v2, 50, v8
	v_add_nc_u32_e32 v13, 46, v8
	v_lshl_or_b32 v62, v12, 2, v11
	v_and_b32_e32 v12, 63, v15
	v_add_nc_u32_e32 v15, 54, v8
	v_and_b32_e32 v2, 63, v2
	v_and_b32_e32 v14, 63, v14
	;; [unrolled: 1-line block ×3, first 2 shown]
	v_lshl_or_b32 v66, v12, 2, v11
	v_add_nc_u32_e32 v12, 53, v8
	v_lshl_or_b32 v67, v2, 2, v11
	v_and_b32_e32 v2, 63, v15
	v_lshl_or_b32 v64, v14, 2, v11
	v_add_nc_u32_e32 v14, 52, v8
	v_lshrrev_b32_e32 v3, 1, v3
	v_lshl_or_b32 v63, v13, 2, v11
	v_add_nc_u32_e32 v13, 51, v8
	v_and_b32_e32 v12, 63, v12
	v_lshl_or_b32 v71, v2, 2, v11
	v_add_nc_u32_e32 v2, 58, v8
	s_lshl_b32 s38, ttmp9, 7
	v_and_b32_e32 v14, 63, v14
	v_and_b32_e32 v3, 0x1ffe0, v3
	s_ashr_i32 s39, s38, 31
	s_ashr_i32 s29, s28, 31
	;; [unrolled: 1-line block ×3, first 2 shown]
	v_and_b32_e32 v13, 63, v13
	v_lshl_or_b32 v70, v12, 2, v11
	v_add_nc_u32_e32 v12, 55, v8
	v_and_b32_e32 v2, 63, v2
	s_wait_alu 0xfffe
	s_mul_u64 s[34:35], s[28:29], s[38:39]
	s_mul_u64 s[36:37], s[30:31], s[38:39]
	s_lshl_b64 s[38:39], s[38:39], 2
	v_lshl_or_b32 v69, v14, 2, v11
	v_add_nc_u32_e32 v14, 57, v8
	v_add_co_u32 v17, s1, v3, s38
	v_lshl_or_b32 v68, v13, 2, v11
	v_add_nc_u32_e32 v13, 56, v8
	v_and_b32_e32 v12, 63, v12
	v_lshl_or_b32 v75, v2, 2, v11
	v_add_co_ci_u32_e64 v2, null, 0, s39, s1
	v_and_b32_e32 v14, 63, v14
	v_add_nc_u32_e32 v15, 60, v8
	s_lshl_b64 s[10:11], s[10:11], 2
	v_and_b32_e32 v13, 63, v13
	v_lshl_or_b32 v72, v12, 2, v11
	v_or_b32_e32 v12, 4, v17
	v_mul_lo_u32 v16, v17, s29
	v_mul_lo_u32 v82, v2, s28
	v_mad_co_u64_u32 v[2:3], null, v17, s28, s[10:11]
	v_lshl_or_b32 v74, v14, 2, v11
	v_add_nc_u32_e32 v14, 59, v8
	v_and_b32_e32 v78, 63, v15
	v_or_b32_e32 v15, 12, v17
	v_lshl_or_b32 v73, v13, 2, v11
	v_mul_lo_u32 v76, v12, s29
	v_mad_co_u64_u32 v[12:13], null, v12, s28, s[10:11]
	v_and_b32_e32 v77, 63, v14
	v_or_b32_e32 v14, 8, v17
	v_add3_u32 v3, v82, v3, v16
	v_mul_lo_u32 v85, v15, s29
	v_mad_co_u64_u32 v[15:16], null, v15, s28, s[10:11]
	v_max_num_f64_e32 v[4:5], v[4:5], v[4:5]
	v_or_b32_e32 v84, 16, v17
	v_add3_u32 v83, v82, v13, v76
	v_mul_lo_u32 v76, v14, s29
	v_mad_co_u64_u32 v[13:14], null, v14, s28, s[10:11]
	s_delay_alu instid0(VALU_DEP_4)
	v_mul_lo_u32 v86, v84, s29
	v_or_b32_e32 v87, 20, v17
	v_mad_co_u64_u32 v[88:89], null, v84, s28, s[10:11]
	v_or_b32_e32 v84, 24, v17
	v_add3_u32 v94, v82, v16, v85
	v_or_b32_e32 v16, 28, v17
	v_add_nc_u32_e32 v79, 61, v8
	v_add_nc_u32_e32 v80, 62, v8
	v_add_nc_u32_e32 v81, -1, v8
	v_add3_u32 v14, v82, v14, v76
	v_mul_lo_u32 v76, v87, s29
	v_mad_co_u64_u32 v[90:91], null, v87, s28, s[10:11]
	v_mul_lo_u32 v87, v84, s29
	v_mad_co_u64_u32 v[92:93], null, v84, s28, s[10:11]
	;; [unrolled: 2-line block ×3, first 2 shown]
	v_and_b32_e32 v79, 63, v79
	v_and_b32_e32 v80, 63, v80
	;; [unrolled: 1-line block ×3, first 2 shown]
	v_add3_u32 v89, v82, v89, v86
	v_add3_u32 v91, v82, v91, v76
	;; [unrolled: 1-line block ×3, first 2 shown]
	v_lshl_or_b32 v76, v77, 2, v11
	v_lshl_or_b32 v77, v78, 2, v11
	;; [unrolled: 1-line block ×5, first 2 shown]
	v_or_b32_e32 v81, v11, v18
	v_add3_u32 v11, v82, v17, v84
	v_add_co_u32 v82, vcc_lo, 0x200, v12
	s_delay_alu instid0(VALU_DEP_1)
	v_add_co_ci_u32_e64 v83, null, 0, v83, vcc_lo
	v_add_co_u32 v84, vcc_lo, 0x200, v13
	s_wait_alu 0xfffd
	v_add_co_ci_u32_e64 v85, null, 0, v14, vcc_lo
	v_add_co_u32 v86, vcc_lo, 0x200, v15
	v_mad_co_i64_i32 v[98:99], null, s30, v8, 0
	s_wait_alu 0xfffd
	v_add_co_ci_u32_e64 v87, null, 0, v94, vcc_lo
	v_add_co_u32 v88, vcc_lo, 0x200, v88
	v_lshlrev_b32_e32 v9, 8, v9
	s_wait_alu 0xfffd
	v_add_co_ci_u32_e64 v89, null, 0, v89, vcc_lo
	v_add_co_u32 v90, vcc_lo, 0x200, v90
	v_lshl_or_b32 v10, v10, 8, 0x700
	s_wait_alu 0xfffd
	v_add_co_ci_u32_e64 v91, null, 0, v91, vcc_lo
	v_add_co_u32 v92, vcc_lo, 0x200, v92
	s_wait_alu 0xfffd
	v_add_co_ci_u32_e64 v93, null, 0, v93, vcc_lo
	v_add_co_u32 v94, vcc_lo, 0x200, v16
	v_lshlrev_b64_e32 v[6:7], 2, v[6:7]
	v_add_nc_u32_e32 v97, v18, v9
	v_lshlrev_b64_e32 v[8:9], 2, v[98:99]
	s_wait_alu 0xfffd
	v_add_co_ci_u32_e64 v95, null, 0, v11, vcc_lo
	v_or_b32_e32 v96, 0x100, v18
	v_add_nc_u32_e32 v98, v18, v10
	s_ashr_i32 s21, s20, 31
	s_ashr_i32 s24, s3, 7
	s_mov_b32 s3, 0
	s_lshl_b64 s[26:27], s[20:21], 9
	s_mov_b32 s25, s3
	s_lshl_b64 s[28:29], s[28:29], 2
	s_lshl_b64 s[14:15], s[14:15], 2
	;; [unrolled: 1-line block ×5, first 2 shown]
	s_branch .LBB214_4
.LBB214_2:                              ;   in Loop: Header=BB214_4 Depth=1
	s_wait_alu 0xfffe
	s_or_b32 exec_lo, exec_lo, s1
.LBB214_3:                              ;   in Loop: Header=BB214_4 Depth=1
	s_add_co_i32 s2, s2, 0x10000
	s_delay_alu instid0(SALU_CYCLE_1)
	s_cmp_lt_u32 s2, s33
	s_cbranch_scc0 .LBB214_15
.LBB214_4:                              ; =>This Loop Header: Depth=1
                                        ;     Child Loop BB214_8 Depth 2
	s_mul_u64 s[36:37], s[6:7], s[2:3]
	s_wait_alu 0xfffe
	s_lshl_b64 s[36:37], s[36:37], 2
	s_wait_alu 0xfffe
	s_add_nc_u64 s[36:37], s[4:5], s[36:37]
	global_load_b32 v99, v1, s[36:37]
	s_wait_loadcnt 0x0
	v_cmp_eq_f32_e32 vcc_lo, 0, v99
	s_cbranch_vccnz .LBB214_3
; %bb.5:                                ;   in Loop: Header=BB214_4 Depth=1
	s_load_b32 s38, s[22:23], 0x4
	s_mov_b32 s37, s3
	s_wait_kmcnt 0x0
	s_cvt_f32_u32 s1, s38
	s_sub_co_i32 s36, 0, s38
	s_wait_alu 0xfffe
	s_delay_alu instid0(SALU_CYCLE_1) | instskip(NEXT) | instid1(TRANS32_DEP_1)
	v_rcp_iflag_f32_e32 v10, s1
	v_readfirstlane_b32 s1, v10
	s_mul_f32 s1, s1, 0x4f7ffffe
	s_wait_alu 0xfffe
	s_delay_alu instid0(SALU_CYCLE_2) | instskip(SKIP_1) | instid1(SALU_CYCLE_2)
	s_cvt_u32_f32 s1, s1
	s_wait_alu 0xfffe
	s_mul_i32 s36, s36, s1
	s_wait_alu 0xfffe
	s_mul_hi_u32 s36, s1, s36
	s_wait_alu 0xfffe
	s_add_co_i32 s36, s1, s36
	s_wait_alu 0xfffe
	s_mul_u64 s[36:37], s[24:25], s[36:37]
	s_wait_alu 0xfffe
	s_mul_i32 s1, s37, s38
	s_add_co_i32 s36, s37, 1
	s_wait_alu 0xfffe
	s_sub_co_i32 s1, s24, s1
	s_wait_alu 0xfffe
	s_sub_co_i32 s39, s1, s38
	s_cmp_ge_u32 s1, s38
	s_cselect_b32 s36, s36, s37
	s_wait_alu 0xfffe
	s_cselect_b32 s1, s39, s1
	s_add_co_i32 s37, s36, 1
	s_wait_alu 0xfffe
	s_cmp_ge_u32 s1, s38
	s_cselect_b32 s1, s37, s36
	s_wait_alu 0xfffe
	s_mul_i32 s36, s1, s38
	s_wait_alu 0xfffe
	s_sub_co_i32 s39, s24, s36
	s_wait_alu 0xfffe
	s_cmp_lt_u32 s40, s39
	s_cselect_b32 s36, -1, 0
	s_wait_alu 0xfffe
	s_cmp_lg_u32 s36, 0
	s_add_co_ci_u32 s38, s1, 0
	s_wait_alu 0xfffe
	s_cmp_eq_u32 s38, 0
	s_cbranch_scc1 .LBB214_3
; %bb.6:                                ;   in Loop: Header=BB214_4 Depth=1
	s_lshl_b64 s[36:37], s[2:3], 3
	s_cmp_lt_i32 s38, 1
	s_wait_alu 0xfffe
	s_add_nc_u64 s[42:43], s[16:17], s[36:37]
	global_load_b64 v[10:11], v1, s[42:43]
	s_cbranch_scc1 .LBB214_12
; %bb.7:                                ;   in Loop: Header=BB214_4 Depth=1
	s_add_nc_u64 s[42:43], s[8:9], s[36:37]
	v_cvt_f64_u32_e32 v[12:13], s39
	global_load_b64 v[16:17], v1, s[42:43]
	s_mul_i32 s1, s1, s40
	s_add_nc_u64 s[36:37], s[12:13], s[36:37]
	s_wait_alu 0xfffe
	v_cvt_f64_u32_e32 v[14:15], s1
	v_dual_mov_b32 v121, 0 :: v_dual_mov_b32 v122, 0
	v_dual_mov_b32 v119, 0 :: v_dual_mov_b32 v120, 0
	v_mov_b32_e32 v123, 0
	v_min_num_f64_e32 v[12:13], v[4:5], v[12:13]
	s_delay_alu instid0(VALU_DEP_1) | instskip(NEXT) | instid1(VALU_DEP_1)
	v_add_f64_e32 v[12:13], v[12:13], v[14:15]
	v_cvt_i32_f64_e32 v14, v[12:13]
	global_load_b64 v[12:13], v1, s[36:37]
	v_readfirstlane_b32 s1, v14
	s_lshl_b32 s36, s1, 7
	s_wait_alu 0xfffe
	s_ashr_i32 s37, s36, 31
	s_wait_alu 0xfffe
	s_lshl_b64 s[36:37], s[36:37], 2
	s_wait_alu 0xfffe
	s_mul_i32 s1, s20, s37
	s_wait_loadcnt 0x1
	v_add_co_u32 v14, vcc_lo, v16, s10
	s_wait_alu 0xfffd
	v_add_co_ci_u32_e64 v15, null, s11, v17, vcc_lo
	s_delay_alu instid0(VALU_DEP_2) | instskip(SKIP_1) | instid1(VALU_DEP_2)
	v_add_co_u32 v14, vcc_lo, v14, s30
	s_wait_alu 0xfffd
	v_add_co_ci_u32_e64 v15, null, s31, v15, vcc_lo
	s_delay_alu instid0(VALU_DEP_2) | instskip(SKIP_1) | instid1(VALU_DEP_2)
	;; [unrolled: 4-line block ×10, first 2 shown]
	v_add_co_u32 v112, vcc_lo, v110, s28
	s_wait_alu 0xfffd
	v_add_co_ci_u32_e64 v113, null, s29, v111, vcc_lo
	s_clause 0x6
	flat_load_b32 v126, v[14:15]
	flat_load_b32 v127, v[100:101]
	;; [unrolled: 1-line block ×8, first 2 shown]
	v_mov_b32_e32 v117, 0
	s_wait_loadcnt 0x8
	v_add_co_u32 v100, vcc_lo, v12, s14
	s_wait_alu 0xfffd
	v_add_co_ci_u32_e64 v101, null, s15, v13, vcc_lo
	v_add_co_u32 v12, vcc_lo, v16, v2
	s_wait_alu 0xfffd
	v_add_co_ci_u32_e64 v13, null, v17, v3, vcc_lo
	;; [unrolled: 3-line block ×14, first 2 shown]
	v_or_b32_e32 v14, s36, v96
	v_or_b32_e32 v15, s36, v18
	v_add_co_u32 v116, vcc_lo, v12, s36
	s_wait_alu 0xfffd
	v_add_co_ci_u32_e64 v118, null, s37, v13, vcc_lo
	v_mul_lo_u32 v114, s21, v14
	v_mad_co_u64_u32 v[12:13], null, s20, v14, 0
	v_mul_lo_u32 v115, s21, v15
	v_mad_co_u64_u32 v[14:15], null, s20, v15, 0
	v_add_co_u32 v16, vcc_lo, v16, v94
	s_wait_alu 0xfffd
	v_add_co_ci_u32_e64 v17, null, v17, v95, vcc_lo
	s_wait_alu 0xfffe
	v_add3_u32 v13, v13, s1, v114
	v_add_co_u32 v124, vcc_lo, v16, s36
	s_wait_alu 0xfffd
	v_add_co_ci_u32_e64 v125, null, s37, v17, vcc_lo
	v_add3_u32 v15, v15, s1, v115
	v_dual_mov_b32 v114, 0 :: v_dual_mov_b32 v115, 0
	s_add_co_i32 s36, s38, -1
	s_mov_b32 s37, 0
	s_wait_loadcnt_dscnt 0x606
	v_dual_mov_b32 v134, v126 :: v_dual_mov_b32 v135, v127
	s_wait_loadcnt_dscnt 0x404
	v_dual_mov_b32 v136, v128 :: v_dual_mov_b32 v137, v129
	;; [unrolled: 2-line block ×4, first 2 shown]
.LBB214_8:                              ;   Parent Loop BB214_4 Depth=1
                                        ; =>  This Inner Loop Header: Depth=2
	v_add_co_u32 v16, vcc_lo, v102, v18
	s_wait_alu 0xfffd
	v_add_co_ci_u32_e64 v17, null, 0, v103, vcc_lo
	s_wait_alu 0xfffe
	s_cmp_lg_u32 s36, s37
	v_add_co_u32 v142, vcc_lo, 0x100, v16
	s_wait_alu 0xfffd
	v_add_co_ci_u32_e64 v144, null, 0, v17, vcc_lo
	s_delay_alu instid0(VALU_DEP_2) | instskip(SKIP_1) | instid1(VALU_DEP_2)
	v_add_co_u32 v143, vcc_lo, v142, s28
	s_wait_alu 0xfffd
	v_add_co_ci_u32_e64 v144, null, s29, v144, vcc_lo
	flat_load_b32 v142, v[16:17] offset:256
	v_add_co_u32 v145, vcc_lo, v143, s28
	s_wait_alu 0xfffd
	v_add_co_ci_u32_e64 v146, null, s29, v144, vcc_lo
	v_add_co_u32 v150, vcc_lo, v100, v14
	s_delay_alu instid0(VALU_DEP_3) | instskip(SKIP_1) | instid1(VALU_DEP_3)
	v_add_co_u32 v147, s1, v145, s28
	s_wait_alu 0xf1ff
	v_add_co_ci_u32_e64 v148, null, s29, v146, s1
	s_wait_alu 0xfffd
	v_add_co_ci_u32_e64 v151, null, v101, v15, vcc_lo
	v_add_co_u32 v152, vcc_lo, v147, s28
	s_wait_alu 0xfffd
	v_add_co_ci_u32_e64 v153, null, s29, v148, vcc_lo
	flat_load_b32 v143, v[143:144]
	v_add_co_u32 v154, vcc_lo, v152, s28
	s_wait_alu 0xfffd
	v_add_co_ci_u32_e64 v155, null, s29, v153, vcc_lo
	flat_load_b32 v144, v[145:146]
	v_add_co_u32 v156, vcc_lo, v154, s28
	s_wait_alu 0xfffd
	v_add_co_ci_u32_e64 v157, null, s29, v155, vcc_lo
	s_delay_alu instid0(VALU_DEP_2) | instskip(SKIP_1) | instid1(VALU_DEP_2)
	v_add_co_u32 v158, vcc_lo, v156, s28
	s_wait_alu 0xfffd
	v_add_co_ci_u32_e64 v159, null, s29, v157, vcc_lo
	s_clause 0x4
	flat_load_b32 v145, v[147:148]
	flat_load_b32 v146, v[152:153]
	;; [unrolled: 1-line block ×6, first 2 shown]
	s_cbranch_scc0 .LBB214_10
; %bb.9:                                ;   in Loop: Header=BB214_8 Depth=2
	v_add_co_u32 v135, vcc_lo, v104, v18
	s_wait_alu 0xfffd
	v_add_co_ci_u32_e64 v136, null, 0, v105, vcc_lo
	v_add_co_u32 v137, vcc_lo, v106, v18
	s_wait_alu 0xfffd
	v_add_co_ci_u32_e64 v138, null, 0, v107, vcc_lo
	flat_load_b32 v134, v[16:17] offset:512
	flat_load_b32 v135, v[135:136]
	flat_load_b32 v136, v[137:138]
	v_add_co_u32 v16, vcc_lo, v108, v18
	s_wait_alu 0xfffd
	v_add_co_ci_u32_e64 v17, null, 0, v109, vcc_lo
	v_add_co_u32 v138, vcc_lo, v110, v18
	s_wait_alu 0xfffd
	v_add_co_ci_u32_e64 v139, null, 0, v111, vcc_lo
	v_add_co_u32 v140, vcc_lo, v112, v18
	s_wait_alu 0xfffd
	v_add_co_ci_u32_e64 v141, null, 0, v113, vcc_lo
	v_add_co_u32 v151, vcc_lo, v116, v18
	s_wait_alu 0xfffd
	v_add_co_ci_u32_e64 v152, null, 0, v118, vcc_lo
	v_add_co_u32 v153, vcc_lo, v124, v18
	s_wait_alu 0xfffd
	v_add_co_ci_u32_e64 v154, null, 0, v125, vcc_lo
	flat_load_b32 v137, v[16:17]
	flat_load_b32 v138, v[138:139]
	flat_load_b32 v139, v[140:141]
	flat_load_b32 v140, v[151:152]
	flat_load_b32 v141, v[153:154]
.LBB214_10:                             ;   in Loop: Header=BB214_8 Depth=2
	v_add_co_u32 v16, vcc_lo, v100, v12
	s_wait_alu 0xfffd
	v_add_co_ci_u32_e64 v17, null, v101, v13, vcc_lo
	v_add_co_u32 v102, vcc_lo, 0x200, v102
	s_wait_alu 0xfffd
	v_add_co_ci_u32_e64 v103, null, 0, v103, vcc_lo
	flat_load_b32 v16, v[16:17]
	v_add_co_u32 v104, vcc_lo, 0x200, v104
	s_wait_alu 0xfffd
	v_add_co_ci_u32_e64 v105, null, 0, v105, vcc_lo
	v_add_co_u32 v106, vcc_lo, 0x200, v106
	s_wait_alu 0xfffd
	v_add_co_ci_u32_e64 v107, null, 0, v107, vcc_lo
	;; [unrolled: 3-line block ×5, first 2 shown]
	v_add_co_u32 v116, vcc_lo, 0x200, v116
	s_wait_loadcnt_dscnt 0x101
	v_fmac_f32_e32 v123, v127, v150
	v_fmac_f32_e32 v114, v126, v150
	;; [unrolled: 1-line block ×8, first 2 shown]
	s_wait_alu 0xfffd
	v_add_co_ci_u32_e64 v118, null, 0, v118, vcc_lo
	v_add_co_u32 v124, vcc_lo, 0x200, v124
	s_wait_alu 0xfffd
	v_add_co_ci_u32_e64 v125, null, 0, v125, vcc_lo
	v_add_co_u32 v100, vcc_lo, v100, s26
	s_wait_alu 0xfffd
	v_add_co_ci_u32_e64 v101, null, s27, v101, vcc_lo
	s_add_co_i32 s37, s37, 1
	s_wait_alu 0xfffe
	s_cmp_ge_i32 s37, s38
	s_wait_loadcnt_dscnt 0x0
	v_fmac_f32_e32 v123, v143, v16
	v_fmac_f32_e32 v114, v142, v16
	;; [unrolled: 1-line block ×8, first 2 shown]
	s_cbranch_scc1 .LBB214_13
; %bb.11:                               ;   in Loop: Header=BB214_8 Depth=2
	v_dual_mov_b32 v126, v134 :: v_dual_mov_b32 v127, v135
	v_dual_mov_b32 v128, v136 :: v_dual_mov_b32 v129, v137
	v_dual_mov_b32 v130, v138 :: v_dual_mov_b32 v131, v139
	v_dual_mov_b32 v132, v140 :: v_dual_mov_b32 v133, v141
	s_branch .LBB214_8
.LBB214_12:                             ;   in Loop: Header=BB214_4 Depth=1
	v_dual_mov_b32 v115, 0 :: v_dual_mov_b32 v120, 0
	v_dual_mov_b32 v117, 0 :: v_dual_mov_b32 v122, 0
	;; [unrolled: 1-line block ×3, first 2 shown]
	v_mov_b32_e32 v121, 0
	v_mov_b32_e32 v123, 0
.LBB214_13:                             ;   in Loop: Header=BB214_4 Depth=1
	ds_store_2addr_stride64_b32 v97, v114, v123 offset1:1
	ds_store_2addr_stride64_b32 v97, v121, v122 offset0:2 offset1:3
	ds_store_2addr_stride64_b32 v97, v119, v120 offset0:4 offset1:5
	ds_store_b32 v97, v117 offset:1536
	ds_store_b32 v98, v115
	s_wait_loadcnt_dscnt 0x0
	s_barrier_signal -1
	s_barrier_wait -1
	global_inv scope:SCOPE_SE
	s_and_saveexec_b32 s1, s0
	s_cbranch_execz .LBB214_2
; %bb.14:                               ;   in Loop: Header=BB214_4 Depth=1
	ds_load_b32 v12, v81
	ds_load_b32 v13, v19
	;; [unrolled: 1-line block ×8, first 2 shown]
	v_add_co_u32 v10, vcc_lo, v10, s18
	s_wait_alu 0xfffd
	v_add_co_ci_u32_e64 v11, null, s19, v11, vcc_lo
	s_delay_alu instid0(VALU_DEP_2) | instskip(SKIP_1) | instid1(VALU_DEP_2)
	v_add_co_u32 v10, vcc_lo, v10, s34
	s_wait_alu 0xfffd
	v_add_co_ci_u32_e64 v11, null, s35, v11, vcc_lo
	s_delay_alu instid0(VALU_DEP_2)
	v_add_co_u32 v10, vcc_lo, v10, v8
	s_wait_dscnt 0x7
	v_add_f32_e32 v12, 0, v12
	s_wait_alu 0xfffd
	v_add_co_ci_u32_e64 v11, null, v11, v9, vcc_lo
	s_wait_dscnt 0x6
	s_delay_alu instid0(VALU_DEP_2)
	v_add_f32_e32 v12, v12, v13
	ds_load_b32 v13, v26
	s_wait_dscnt 0x6
	v_add_f32_e32 v12, v12, v14
	ds_load_b32 v14, v27
	s_wait_dscnt 0x6
	;; [unrolled: 3-line block ×3, first 2 shown]
	v_add_f32_e32 v12, v12, v16
	s_wait_dscnt 0x5
	s_delay_alu instid0(VALU_DEP_1) | instskip(SKIP_1) | instid1(VALU_DEP_1)
	v_add_f32_e32 v12, v12, v17
	s_wait_dscnt 0x4
	v_add_f32_e32 v12, v12, v100
	s_wait_dscnt 0x3
	s_delay_alu instid0(VALU_DEP_1)
	v_add_f32_e32 v12, v12, v101
	ds_load_b32 v16, v29
	ds_load_b32 v17, v30
	ds_load_b32 v100, v31
	ds_load_b32 v101, v32
	ds_load_b32 v102, v33
	s_wait_dscnt 0x7
	v_add_f32_e32 v12, v12, v13
	ds_load_b32 v13, v34
	s_wait_dscnt 0x7
	v_add_f32_e32 v12, v12, v14
	ds_load_b32 v14, v35
	s_wait_dscnt 0x7
	v_add_f32_e32 v12, v12, v15
	ds_load_b32 v15, v36
	s_wait_dscnt 0x7
	v_add_f32_e32 v12, v12, v16
	s_wait_dscnt 0x6
	s_delay_alu instid0(VALU_DEP_1) | instskip(SKIP_1) | instid1(VALU_DEP_1)
	v_add_f32_e32 v12, v12, v17
	s_wait_dscnt 0x5
	v_add_f32_e32 v12, v12, v100
	s_wait_dscnt 0x4
	s_delay_alu instid0(VALU_DEP_1) | instskip(SKIP_1) | instid1(VALU_DEP_1)
	v_add_f32_e32 v12, v12, v101
	s_wait_dscnt 0x3
	v_add_f32_e32 v12, v12, v102
	ds_load_b32 v16, v37
	ds_load_b32 v17, v38
	ds_load_b32 v100, v39
	ds_load_b32 v101, v40
	ds_load_b32 v102, v41
	s_wait_dscnt 0x7
	v_add_f32_e32 v12, v12, v13
	ds_load_b32 v13, v42
	s_wait_dscnt 0x7
	v_add_f32_e32 v12, v12, v14
	ds_load_b32 v14, v43
	s_wait_dscnt 0x7
	v_add_f32_e32 v12, v12, v15
	ds_load_b32 v15, v44
	s_wait_dscnt 0x7
	v_add_f32_e32 v12, v12, v16
	s_wait_dscnt 0x6
	s_delay_alu instid0(VALU_DEP_1) | instskip(SKIP_1) | instid1(VALU_DEP_1)
	v_add_f32_e32 v12, v12, v17
	s_wait_dscnt 0x5
	v_add_f32_e32 v12, v12, v100
	s_wait_dscnt 0x4
	s_delay_alu instid0(VALU_DEP_1) | instskip(SKIP_1) | instid1(VALU_DEP_1)
	v_add_f32_e32 v12, v12, v101
	s_wait_dscnt 0x3
	;; [unrolled: 26-line block ×6, first 2 shown]
	v_add_f32_e32 v12, v12, v102
	ds_load_b32 v16, v76
	ds_load_b32 v17, v77
	;; [unrolled: 1-line block ×5, first 2 shown]
	s_wait_dscnt 0x7
	v_add_f32_e32 v12, v12, v13
	s_wait_dscnt 0x6
	s_delay_alu instid0(VALU_DEP_1) | instskip(SKIP_1) | instid1(VALU_DEP_1)
	v_add_f32_e32 v12, v12, v14
	s_wait_dscnt 0x5
	v_add_f32_e32 v12, v12, v15
	s_wait_dscnt 0x4
	s_delay_alu instid0(VALU_DEP_1) | instskip(SKIP_1) | instid1(VALU_DEP_1)
	v_add_f32_e32 v12, v12, v16
	;; [unrolled: 5-line block ×3, first 2 shown]
	s_wait_dscnt 0x1
	v_add_f32_e32 v12, v12, v101
	s_wait_dscnt 0x0
	s_delay_alu instid0(VALU_DEP_1) | instskip(NEXT) | instid1(VALU_DEP_1)
	v_add_f32_e32 v12, v12, v102
	v_mul_f32_e32 v12, v99, v12
	flat_atomic_add_f32 v[10:11], v12 scope:SCOPE_DEV
	s_branch .LBB214_2
.LBB214_15:
	s_nop 0
	s_sendmsg sendmsg(MSG_DEALLOC_VGPRS)
	s_endpgm
	.section	.rodata,"a",@progbits
	.p2align	6, 0x0
	.amdhsa_kernel _ZL36rocblas_gemvt_double_buffered_kernelILb0ELi128ELi8ELi8EPKfS1_KPfEviiT4_lPKT3_lilS7_lilPT5_lili
		.amdhsa_group_segment_fixed_size 32768
		.amdhsa_private_segment_fixed_size 0
		.amdhsa_kernarg_size 384
		.amdhsa_user_sgpr_count 2
		.amdhsa_user_sgpr_dispatch_ptr 0
		.amdhsa_user_sgpr_queue_ptr 0
		.amdhsa_user_sgpr_kernarg_segment_ptr 1
		.amdhsa_user_sgpr_dispatch_id 0
		.amdhsa_user_sgpr_private_segment_size 0
		.amdhsa_wavefront_size32 1
		.amdhsa_uses_dynamic_stack 0
		.amdhsa_enable_private_segment 0
		.amdhsa_system_sgpr_workgroup_id_x 1
		.amdhsa_system_sgpr_workgroup_id_y 1
		.amdhsa_system_sgpr_workgroup_id_z 1
		.amdhsa_system_sgpr_workgroup_info 0
		.amdhsa_system_vgpr_workitem_id 1
		.amdhsa_next_free_vgpr 160
		.amdhsa_next_free_sgpr 44
		.amdhsa_reserve_vcc 1
		.amdhsa_float_round_mode_32 0
		.amdhsa_float_round_mode_16_64 0
		.amdhsa_float_denorm_mode_32 3
		.amdhsa_float_denorm_mode_16_64 3
		.amdhsa_fp16_overflow 0
		.amdhsa_workgroup_processor_mode 1
		.amdhsa_memory_ordered 1
		.amdhsa_forward_progress 1
		.amdhsa_inst_pref_size 42
		.amdhsa_round_robin_scheduling 0
		.amdhsa_exception_fp_ieee_invalid_op 0
		.amdhsa_exception_fp_denorm_src 0
		.amdhsa_exception_fp_ieee_div_zero 0
		.amdhsa_exception_fp_ieee_overflow 0
		.amdhsa_exception_fp_ieee_underflow 0
		.amdhsa_exception_fp_ieee_inexact 0
		.amdhsa_exception_int_div_zero 0
	.end_amdhsa_kernel
	.section	.text._ZL36rocblas_gemvt_double_buffered_kernelILb0ELi128ELi8ELi8EPKfS1_KPfEviiT4_lPKT3_lilS7_lilPT5_lili,"axG",@progbits,_ZL36rocblas_gemvt_double_buffered_kernelILb0ELi128ELi8ELi8EPKfS1_KPfEviiT4_lPKT3_lilS7_lilPT5_lili,comdat
.Lfunc_end214:
	.size	_ZL36rocblas_gemvt_double_buffered_kernelILb0ELi128ELi8ELi8EPKfS1_KPfEviiT4_lPKT3_lilS7_lilPT5_lili, .Lfunc_end214-_ZL36rocblas_gemvt_double_buffered_kernelILb0ELi128ELi8ELi8EPKfS1_KPfEviiT4_lPKT3_lilS7_lilPT5_lili
                                        ; -- End function
	.set _ZL36rocblas_gemvt_double_buffered_kernelILb0ELi128ELi8ELi8EPKfS1_KPfEviiT4_lPKT3_lilS7_lilPT5_lili.num_vgpr, 160
	.set _ZL36rocblas_gemvt_double_buffered_kernelILb0ELi128ELi8ELi8EPKfS1_KPfEviiT4_lPKT3_lilS7_lilPT5_lili.num_agpr, 0
	.set _ZL36rocblas_gemvt_double_buffered_kernelILb0ELi128ELi8ELi8EPKfS1_KPfEviiT4_lPKT3_lilS7_lilPT5_lili.numbered_sgpr, 44
	.set _ZL36rocblas_gemvt_double_buffered_kernelILb0ELi128ELi8ELi8EPKfS1_KPfEviiT4_lPKT3_lilS7_lilPT5_lili.num_named_barrier, 0
	.set _ZL36rocblas_gemvt_double_buffered_kernelILb0ELi128ELi8ELi8EPKfS1_KPfEviiT4_lPKT3_lilS7_lilPT5_lili.private_seg_size, 0
	.set _ZL36rocblas_gemvt_double_buffered_kernelILb0ELi128ELi8ELi8EPKfS1_KPfEviiT4_lPKT3_lilS7_lilPT5_lili.uses_vcc, 1
	.set _ZL36rocblas_gemvt_double_buffered_kernelILb0ELi128ELi8ELi8EPKfS1_KPfEviiT4_lPKT3_lilS7_lilPT5_lili.uses_flat_scratch, 1
	.set _ZL36rocblas_gemvt_double_buffered_kernelILb0ELi128ELi8ELi8EPKfS1_KPfEviiT4_lPKT3_lilS7_lilPT5_lili.has_dyn_sized_stack, 0
	.set _ZL36rocblas_gemvt_double_buffered_kernelILb0ELi128ELi8ELi8EPKfS1_KPfEviiT4_lPKT3_lilS7_lilPT5_lili.has_recursion, 0
	.set _ZL36rocblas_gemvt_double_buffered_kernelILb0ELi128ELi8ELi8EPKfS1_KPfEviiT4_lPKT3_lilS7_lilPT5_lili.has_indirect_call, 0
	.section	.AMDGPU.csdata,"",@progbits
; Kernel info:
; codeLenInByte = 5268
; TotalNumSgprs: 46
; NumVgprs: 160
; ScratchSize: 0
; MemoryBound: 0
; FloatMode: 240
; IeeeMode: 1
; LDSByteSize: 32768 bytes/workgroup (compile time only)
; SGPRBlocks: 0
; VGPRBlocks: 19
; NumSGPRsForWavesPerEU: 46
; NumVGPRsForWavesPerEU: 160
; Occupancy: 9
; WaveLimiterHint : 1
; COMPUTE_PGM_RSRC2:SCRATCH_EN: 0
; COMPUTE_PGM_RSRC2:USER_SGPR: 2
; COMPUTE_PGM_RSRC2:TRAP_HANDLER: 0
; COMPUTE_PGM_RSRC2:TGID_X_EN: 1
; COMPUTE_PGM_RSRC2:TGID_Y_EN: 1
; COMPUTE_PGM_RSRC2:TGID_Z_EN: 1
; COMPUTE_PGM_RSRC2:TIDIG_COMP_CNT: 1
	.section	.text._ZL36rocblas_gemvt_double_buffered_kernelILb0ELi128ELi8ELi8EPKffKPfEviiT4_lPKT3_lilS7_lilPT5_lili,"axG",@progbits,_ZL36rocblas_gemvt_double_buffered_kernelILb0ELi128ELi8ELi8EPKffKPfEviiT4_lPKT3_lilS7_lilPT5_lili,comdat
	.globl	_ZL36rocblas_gemvt_double_buffered_kernelILb0ELi128ELi8ELi8EPKffKPfEviiT4_lPKT3_lilS7_lilPT5_lili ; -- Begin function _ZL36rocblas_gemvt_double_buffered_kernelILb0ELi128ELi8ELi8EPKffKPfEviiT4_lPKT3_lilS7_lilPT5_lili
	.p2align	8
	.type	_ZL36rocblas_gemvt_double_buffered_kernelILb0ELi128ELi8ELi8EPKffKPfEviiT4_lPKT3_lilS7_lilPT5_lili,@function
_ZL36rocblas_gemvt_double_buffered_kernelILb0ELi128ELi8ELi8EPKffKPfEviiT4_lPKT3_lilS7_lilPT5_lili: ; @_ZL36rocblas_gemvt_double_buffered_kernelILb0ELi128ELi8ELi8EPKffKPfEviiT4_lPKT3_lilS7_lilPT5_lili
; %bb.0:
	s_load_b32 s33, s[0:1], 0x78
	s_lshr_b32 s2, ttmp7, 16
	s_wait_kmcnt 0x0
	s_cmp_ge_u32 s2, s33
	s_cbranch_scc1 .LBB215_15
; %bb.1:
	s_clause 0x5
	s_load_b32 s26, s[0:1], 0x28
	s_load_b32 s16, s[0:1], 0x48
	;; [unrolled: 1-line block ×4, first 2 shown]
	s_load_b128 s[4:7], s[0:1], 0x18
	s_load_b32 s3, s[0:1], 0x0
	v_dual_mov_b32 v1, 0 :: v_dual_and_b32 v8, 0x3ff, v0
	v_bfe_u32 v2, v0, 10, 10
	s_clause 0x1
	s_load_b128 s[8:11], s[0:1], 0x38
	s_load_b128 s[12:15], s[0:1], 0x58
	s_add_nc_u64 s[20:21], s[0:1], 0x80
	v_add_nc_u32_e32 v12, 1, v8
	v_lshlrev_b32_e32 v11, 8, v8
	v_lshl_add_u32 v3, v2, 7, v8
	v_add_nc_u32_e32 v13, 2, v8
	v_add_nc_u32_e32 v14, 5, v8
	v_and_b32_e32 v12, 63, v12
	v_add_nc_u32_e32 v15, 6, v8
	v_lshrrev_b32_e32 v10, 3, v3
	v_and_b32_e32 v13, 63, v13
	v_lshrrev_b32_e32 v3, 1, v3
	s_wait_kmcnt 0x0
	s_ashr_i32 s27, s26, 31
	s_ashr_i32 s17, s16, 31
	s_ashr_i32 s29, s28, 31
	s_cmp_neq_f32 s38, 0
	v_lshl_or_b32 v19, v12, 2, v11
	v_add_nc_u32_e32 v12, 4, v8
	v_lshl_or_b32 v20, v13, 2, v11
	s_cselect_b32 s39, -1, 0
	s_ashr_i32 s0, s3, 31
	v_and_b32_e32 v13, 63, v14
	s_lshr_b32 s0, s0, 25
	v_and_b32_e32 v12, 63, v12
	s_add_co_i32 s3, s3, s0
	v_cmp_eq_u32_e64 s0, 0, v2
	v_add_nc_u32_e32 v2, 3, v8
	v_lshl_or_b32 v23, v13, 2, v11
	v_lshl_or_b32 v22, v12, 2, v11
	v_add_nc_u32_e32 v12, 7, v8
	v_add_nc_u32_e32 v13, 8, v8
	v_and_b32_e32 v2, 63, v2
	v_add_nc_u32_e32 v14, 10, v8
	s_and_b32 s40, ttmp7, 0xffff
	v_and_b32_e32 v12, 63, v12
	v_and_b32_e32 v13, 63, v13
	v_lshl_or_b32 v21, v2, 2, v11
	v_and_b32_e32 v2, 63, v15
	v_add_nc_u32_e32 v15, 11, v8
	v_lshl_or_b32 v25, v12, 2, v11
	v_and_b32_e32 v12, 63, v14
	v_lshl_or_b32 v26, v13, 2, v11
	v_lshl_or_b32 v24, v2, 2, v11
	v_add_nc_u32_e32 v2, 9, v8
	v_and_b32_e32 v13, 63, v15
	v_lshl_or_b32 v28, v12, 2, v11
	v_add_nc_u32_e32 v12, 13, v8
	v_add_nc_u32_e32 v14, 15, v8
	v_and_b32_e32 v2, 63, v2
	v_lshl_or_b32 v29, v13, 2, v11
	v_add_nc_u32_e32 v13, 14, v8
	v_and_b32_e32 v12, 63, v12
	v_add_nc_u32_e32 v15, 16, v8
	v_lshl_or_b32 v27, v2, 2, v11
	v_add_nc_u32_e32 v2, 12, v8
	v_and_b32_e32 v13, 63, v13
	v_lshl_or_b32 v31, v12, 2, v11
	v_and_b32_e32 v12, 63, v15
	v_add_nc_u32_e32 v15, 21, v8
	v_and_b32_e32 v2, 63, v2
	v_lshl_or_b32 v32, v13, 2, v11
	v_add_nc_u32_e32 v13, 17, v8
	v_lshl_or_b32 v34, v12, 2, v11
	v_add_nc_u32_e32 v12, 19, v8
	v_lshl_or_b32 v30, v2, 2, v11
	v_and_b32_e32 v2, 63, v14
	v_and_b32_e32 v13, 63, v13
	v_add_nc_u32_e32 v14, 20, v8
	v_and_b32_e32 v12, 63, v12
	v_cvt_f64_i32_e32 v[4:5], s40
	v_lshl_or_b32 v33, v2, 2, v11
	v_add_nc_u32_e32 v2, 18, v8
	v_lshl_or_b32 v35, v13, 2, v11
	v_and_b32_e32 v13, 63, v14
	v_lshl_or_b32 v37, v12, 2, v11
	v_add_nc_u32_e32 v12, 22, v8
	v_and_b32_e32 v2, 63, v2
	v_add_nc_u32_e32 v14, 25, v8
	v_lshl_or_b32 v38, v13, 2, v11
	v_add_nc_u32_e32 v13, 23, v8
	v_and_b32_e32 v12, 63, v12
	v_lshl_or_b32 v36, v2, 2, v11
	v_and_b32_e32 v2, 63, v15
	v_add_nc_u32_e32 v15, 26, v8
	v_and_b32_e32 v13, 63, v13
	v_lshl_or_b32 v40, v12, 2, v11
	v_and_b32_e32 v12, 63, v14
	v_lshl_or_b32 v39, v2, 2, v11
	v_add_nc_u32_e32 v2, 24, v8
	v_lshl_or_b32 v41, v13, 2, v11
	v_and_b32_e32 v13, 63, v15
	v_lshl_or_b32 v43, v12, 2, v11
	v_add_nc_u32_e32 v12, 28, v8
	v_and_b32_e32 v2, 63, v2
	v_add_nc_u32_e32 v14, 30, v8
	v_lshl_or_b32 v44, v13, 2, v11
	v_add_nc_u32_e32 v13, 29, v8
	v_and_b32_e32 v12, 63, v12
	v_lshl_or_b32 v42, v2, 2, v11
	v_add_nc_u32_e32 v2, 27, v8
	v_add_nc_u32_e32 v15, 31, v8
	v_and_b32_e32 v13, 63, v13
	v_lshl_or_b32 v46, v12, 2, v11
	s_lshl_b32 s36, ttmp9, 7
	v_and_b32_e32 v2, 63, v2
	v_and_b32_e32 v12, 63, v15
	v_lshl_or_b32 v47, v13, 2, v11
	v_add_nc_u32_e32 v13, 33, v8
	v_add_nc_u32_e32 v15, 41, v8
	v_lshl_or_b32 v45, v2, 2, v11
	v_and_b32_e32 v2, 63, v14
	v_lshl_or_b32 v49, v12, 2, v11
	v_and_b32_e32 v12, 63, v13
	v_add_nc_u32_e32 v13, 35, v8
	v_add_nc_u32_e32 v14, 36, v8
	v_lshl_or_b32 v48, v2, 2, v11
	v_add_nc_u32_e32 v2, 34, v8
	v_lshl_or_b32 v50, v12, 2, v11
	v_and_b32_e32 v12, 63, v13
	v_add_nc_u32_e32 v13, 37, v8
	s_ashr_i32 s37, s36, 31
	v_and_b32_e32 v2, 63, v2
	s_mul_u64 s[34:35], s[26:27], s[36:37]
	v_lshl_or_b32 v52, v12, 2, v11
	v_add_nc_u32_e32 v12, 39, v8
	s_mul_u64 s[30:31], s[28:29], s[36:37]
	v_lshl_or_b32 v51, v2, 2, v11
	v_and_b32_e32 v2, 63, v14
	v_add_nc_u32_e32 v14, 38, v8
	v_and_b32_e32 v12, 63, v12
	s_lshl_b64 s[36:37], s[36:37], 2
	s_lshl_b64 s[6:7], s[6:7], 2
	v_lshl_or_b32 v53, v2, 2, v11
	v_and_b32_e32 v2, 63, v13
	v_and_b32_e32 v13, 63, v14
	v_add_nc_u32_e32 v14, 40, v8
	v_lshl_or_b32 v56, v12, 2, v11
	v_and_b32_e32 v12, 63, v15
	v_lshl_or_b32 v54, v2, 2, v11
	v_lshl_or_b32 v55, v13, 2, v11
	v_and_b32_e32 v2, 63, v14
	v_add_nc_u32_e32 v13, 42, v8
	v_add_nc_u32_e32 v14, 43, v8
	v_lshl_or_b32 v58, v12, 2, v11
	v_add_nc_u32_e32 v15, 46, v8
	v_lshl_or_b32 v57, v2, 2, v11
	v_add_nc_u32_e32 v2, 44, v8
	v_and_b32_e32 v12, 63, v13
	v_and_b32_e32 v13, 63, v14
	v_add_nc_u32_e32 v14, 45, v8
	v_max_num_f64_e32 v[4:5], v[4:5], v[4:5]
	v_and_b32_e32 v2, 63, v2
	v_lshl_or_b32 v59, v12, 2, v11
	v_lshl_or_b32 v60, v13, 2, v11
	v_and_b32_e32 v12, 63, v14
	v_add_nc_u32_e32 v13, 47, v8
	v_lshl_or_b32 v61, v2, 2, v11
	v_and_b32_e32 v2, 63, v15
	v_add_nc_u32_e32 v14, 48, v8
	v_lshl_or_b32 v62, v12, 2, v11
	v_add_nc_u32_e32 v12, 49, v8
	v_add_nc_u32_e32 v15, 51, v8
	v_lshl_or_b32 v63, v2, 2, v11
	v_and_b32_e32 v2, 63, v13
	v_and_b32_e32 v13, 63, v14
	v_add_nc_u32_e32 v14, 50, v8
	v_and_b32_e32 v12, 63, v12
	v_add_nc_u32_e32 v16, 62, v8
	v_lshl_or_b32 v64, v2, 2, v11
	v_lshl_or_b32 v65, v13, 2, v11
	v_and_b32_e32 v2, 63, v14
	v_lshl_or_b32 v66, v12, 2, v11
	v_and_b32_e32 v12, 63, v15
	v_add_nc_u32_e32 v13, 52, v8
	v_add_nc_u32_e32 v14, 53, v8
	v_lshl_or_b32 v67, v2, 2, v11
	v_add_nc_u32_e32 v2, 54, v8
	v_lshl_or_b32 v68, v12, 2, v11
	v_and_b32_e32 v12, 63, v13
	v_and_b32_e32 v13, 63, v14
	v_add_nc_u32_e32 v15, 56, v8
	v_and_b32_e32 v2, 63, v2
	v_add_nc_u32_e32 v14, 55, v8
	v_lshl_or_b32 v69, v12, 2, v11
	v_lshl_or_b32 v70, v13, 2, v11
	v_add_nc_u32_e32 v13, 57, v8
	v_lshl_or_b32 v71, v2, 2, v11
	v_and_b32_e32 v2, 63, v15
	v_and_b32_e32 v12, 63, v14
	v_add_nc_u32_e32 v14, 58, v8
	v_and_b32_e32 v81, 63, v16
	v_and_b32_e32 v0, 63, v0
	v_lshl_or_b32 v73, v2, 2, v11
	v_and_b32_e32 v2, 63, v13
	v_lshl_or_b32 v72, v12, 2, v11
	v_add_nc_u32_e32 v12, 59, v8
	v_and_b32_e32 v13, 63, v14
	v_add_nc_u32_e32 v14, 60, v8
	v_lshl_or_b32 v74, v2, 2, v11
	v_and_b32_e32 v2, 0x1ffe0, v3
	v_and_b32_e32 v12, 63, v12
	v_lshl_or_b32 v75, v13, 2, v11
	v_and_b32_e32 v77, 63, v14
	v_add_nc_u32_e32 v14, 61, v8
	v_add_co_u32 v78, s1, v2, s36
	s_delay_alu instid0(VALU_DEP_1) | instskip(SKIP_1) | instid1(VALU_DEP_3)
	v_add_co_ci_u32_e64 v2, null, 0, s37, s1
	v_lshl_or_b32 v76, v12, 2, v11
	v_mul_lo_u32 v15, v78, s27
	v_or_b32_e32 v12, 4, v78
	s_delay_alu instid0(VALU_DEP_4) | instskip(SKIP_2) | instid1(VALU_DEP_4)
	v_mul_lo_u32 v82, v2, s26
	v_mad_co_u64_u32 v[2:3], null, v78, s26, s[6:7]
	v_or_b32_e32 v17, 8, v78
	v_mul_lo_u32 v79, v12, s27
	v_mad_co_u64_u32 v[12:13], null, v12, s26, s[6:7]
	v_or_b32_e32 v84, 16, v78
	v_or_b32_e32 v86, 20, v78
	v_and_b32_e32 v80, 63, v14
	v_add3_u32 v3, v82, v3, v15
	v_mul_lo_u32 v83, v17, s27
	v_mad_co_u64_u32 v[14:15], null, v17, s26, s[6:7]
	v_or_b32_e32 v16, 12, v78
	v_mul_lo_u32 v87, v84, s27
	v_or_b32_e32 v92, 24, v78
	v_mad_co_u64_u32 v[88:89], null, v84, s26, s[6:7]
	v_mul_lo_u32 v84, v86, s27
	v_mad_co_u64_u32 v[90:91], null, v86, s26, s[6:7]
	v_or_b32_e32 v78, 28, v78
	v_and_b32_e32 v9, 0x7ff8, v10
	v_add3_u32 v13, v82, v13, v79
	v_add_nc_u32_e32 v79, -1, v8
	v_mul_lo_u32 v85, v16, s27
	v_mad_co_u64_u32 v[16:17], null, v16, s26, s[6:7]
	v_mul_lo_u32 v86, v92, s27
	v_mad_co_u64_u32 v[92:93], null, v92, s26, s[6:7]
	v_add3_u32 v15, v82, v15, v83
	v_mul_lo_u32 v83, v78, s27
	v_mad_co_u64_u32 v[94:95], null, v78, s26, s[6:7]
	v_mad_co_i64_i32 v[6:7], null, s26, v9, v[0:1]
	v_lshlrev_b32_e32 v18, 2, v0
	v_xor_b32_e32 v0, 32, v0
	v_add3_u32 v91, v82, v91, v84
	v_and_b32_e32 v84, 63, v79
	v_add3_u32 v17, v82, v17, v85
	v_add3_u32 v89, v82, v89, v87
	v_lshl_or_b32 v0, v0, 2, v11
	v_add3_u32 v93, v82, v93, v86
	v_lshl_or_b32 v77, v77, 2, v11
	v_lshl_or_b32 v78, v80, 2, v11
	v_lshl_or_b32 v79, v81, 2, v11
	v_lshl_or_b32 v80, v84, 2, v11
	v_or_b32_e32 v81, v11, v18
	v_add3_u32 v11, v82, v95, v83
	v_add_co_u32 v82, vcc_lo, 0x200, v12
	s_delay_alu instid0(VALU_DEP_1)
	v_add_co_ci_u32_e64 v83, null, 0, v13, vcc_lo
	v_add_co_u32 v84, vcc_lo, 0x200, v14
	s_wait_alu 0xfffd
	v_add_co_ci_u32_e64 v85, null, 0, v15, vcc_lo
	v_add_co_u32 v86, vcc_lo, 0x200, v16
	v_mad_co_i64_i32 v[99:100], null, s28, v8, 0
	s_wait_alu 0xfffd
	v_add_co_ci_u32_e64 v87, null, 0, v17, vcc_lo
	v_add_co_u32 v88, vcc_lo, 0x200, v88
	v_lshlrev_b32_e32 v9, 8, v9
	s_wait_alu 0xfffd
	v_add_co_ci_u32_e64 v89, null, 0, v89, vcc_lo
	v_add_co_u32 v90, vcc_lo, 0x200, v90
	v_lshl_or_b32 v10, v10, 8, 0x700
	s_wait_alu 0xfffd
	v_add_co_ci_u32_e64 v91, null, 0, v91, vcc_lo
	v_add_co_u32 v92, vcc_lo, 0x200, v92
	s_wait_alu 0xfffd
	v_add_co_ci_u32_e64 v93, null, 0, v93, vcc_lo
	v_add_co_u32 v94, vcc_lo, 0x200, v94
	v_lshlrev_b64_e32 v[6:7], 2, v[6:7]
	v_add_nc_u32_e32 v97, v18, v9
	v_lshlrev_b64_e32 v[8:9], 2, v[99:100]
	s_wait_alu 0xfffd
	v_add_co_ci_u32_e64 v95, null, 0, v11, vcc_lo
	v_or_b32_e32 v96, 0x100, v18
	v_add_nc_u32_e32 v98, v18, v10
	s_mov_b32 s19, 0
	s_ashr_i32 s22, s3, 7
	s_lshl_b64 s[24:25], s[16:17], 9
	s_mov_b32 s23, s19
	s_lshl_b64 s[26:27], s[26:27], 2
	s_lshl_b64 s[10:11], s[10:11], 2
	;; [unrolled: 1-line block ×5, first 2 shown]
	s_branch .LBB215_4
.LBB215_2:                              ;   in Loop: Header=BB215_4 Depth=1
	s_wait_alu 0xfffe
	s_or_b32 exec_lo, exec_lo, s1
.LBB215_3:                              ;   in Loop: Header=BB215_4 Depth=1
	s_add_co_i32 s2, s2, 0x10000
	s_delay_alu instid0(SALU_CYCLE_1)
	s_cmp_lt_u32 s2, s33
	s_cbranch_scc0 .LBB215_15
.LBB215_4:                              ; =>This Loop Header: Depth=1
                                        ;     Child Loop BB215_8 Depth 2
	s_and_not1_b32 vcc_lo, exec_lo, s39
	s_wait_alu 0xfffe
	s_cbranch_vccnz .LBB215_3
; %bb.5:                                ;   in Loop: Header=BB215_4 Depth=1
	s_load_b32 s3, s[20:21], 0x4
	s_wait_kmcnt 0x0
	s_cvt_f32_u32 s1, s3
	s_sub_co_i32 s18, 0, s3
	s_wait_alu 0xfffe
	s_delay_alu instid0(SALU_CYCLE_1) | instskip(NEXT) | instid1(TRANS32_DEP_1)
	v_rcp_iflag_f32_e32 v10, s1
	v_readfirstlane_b32 s1, v10
	s_mul_f32 s1, s1, 0x4f7ffffe
	s_wait_alu 0xfffe
	s_delay_alu instid0(SALU_CYCLE_2) | instskip(SKIP_1) | instid1(SALU_CYCLE_2)
	s_cvt_u32_f32 s1, s1
	s_wait_alu 0xfffe
	s_mul_i32 s18, s18, s1
	s_delay_alu instid0(SALU_CYCLE_1) | instskip(NEXT) | instid1(SALU_CYCLE_1)
	s_mul_hi_u32 s18, s1, s18
	s_add_co_i32 s18, s1, s18
	s_delay_alu instid0(SALU_CYCLE_1)
	s_mul_u64 s[34:35], s[22:23], s[18:19]
	s_wait_alu 0xfffe
	s_mul_i32 s1, s35, s3
	s_add_co_i32 s18, s35, 1
	s_wait_alu 0xfffe
	s_sub_co_i32 s1, s22, s1
	s_wait_alu 0xfffe
	s_sub_co_i32 s34, s1, s3
	s_cmp_ge_u32 s1, s3
	s_cselect_b32 s18, s18, s35
	s_wait_alu 0xfffe
	s_cselect_b32 s1, s34, s1
	s_add_co_i32 s34, s18, 1
	s_wait_alu 0xfffe
	s_cmp_ge_u32 s1, s3
	s_cselect_b32 s1, s34, s18
	s_wait_alu 0xfffe
	s_mul_i32 s3, s1, s3
	s_delay_alu instid0(SALU_CYCLE_1) | instskip(SKIP_3) | instid1(SALU_CYCLE_1)
	s_sub_co_i32 s36, s22, s3
	s_wait_alu 0xfffe
	s_cmp_lt_u32 s40, s36
	s_cselect_b32 s3, -1, 0
	s_cmp_lg_u32 s3, 0
	s_add_co_ci_u32 s18, s1, 0
	s_delay_alu instid0(SALU_CYCLE_1)
	s_cmp_eq_u32 s18, 0
	s_cbranch_scc1 .LBB215_3
; %bb.6:                                ;   in Loop: Header=BB215_4 Depth=1
	s_mov_b32 s3, s19
	s_delay_alu instid0(SALU_CYCLE_1)
	s_lshl_b64 s[34:35], s[2:3], 3
	s_cmp_lt_i32 s18, 1
	s_wait_alu 0xfffe
	s_add_nc_u64 s[42:43], s[12:13], s[34:35]
	global_load_b64 v[10:11], v1, s[42:43]
	s_cbranch_scc1 .LBB215_12
; %bb.7:                                ;   in Loop: Header=BB215_4 Depth=1
	s_add_nc_u64 s[42:43], s[4:5], s[34:35]
	v_cvt_f64_u32_e32 v[12:13], s36
	global_load_b64 v[16:17], v1, s[42:43]
	s_mul_i32 s1, s1, s40
	s_add_nc_u64 s[34:35], s[8:9], s[34:35]
	s_wait_alu 0xfffe
	v_cvt_f64_u32_e32 v[14:15], s1
	v_dual_mov_b32 v120, 0 :: v_dual_mov_b32 v121, 0
	v_dual_mov_b32 v118, 0 :: v_dual_mov_b32 v119, 0
	s_add_co_i32 s3, s18, -1
	v_mov_b32_e32 v122, 0
	v_min_num_f64_e32 v[12:13], v[4:5], v[12:13]
	s_delay_alu instid0(VALU_DEP_1) | instskip(NEXT) | instid1(VALU_DEP_1)
	v_add_f64_e32 v[12:13], v[12:13], v[14:15]
	v_cvt_i32_f64_e32 v14, v[12:13]
	global_load_b64 v[12:13], v1, s[34:35]
	v_readfirstlane_b32 s1, v14
	s_lshl_b32 s34, s1, 7
	s_wait_alu 0xfffe
	s_ashr_i32 s35, s34, 31
	s_wait_alu 0xfffe
	s_lshl_b64 s[34:35], s[34:35], 2
	s_wait_alu 0xfffe
	s_mul_i32 s1, s16, s35
	s_wait_loadcnt 0x1
	v_add_co_u32 v14, vcc_lo, v16, s6
	s_wait_alu 0xfffd
	v_add_co_ci_u32_e64 v15, null, s7, v17, vcc_lo
	s_delay_alu instid0(VALU_DEP_2) | instskip(SKIP_1) | instid1(VALU_DEP_2)
	v_add_co_u32 v14, vcc_lo, v14, s28
	s_wait_alu 0xfffd
	v_add_co_ci_u32_e64 v15, null, s29, v15, vcc_lo
	s_delay_alu instid0(VALU_DEP_2) | instskip(SKIP_1) | instid1(VALU_DEP_2)
	;; [unrolled: 4-line block ×10, first 2 shown]
	v_add_co_u32 v111, vcc_lo, v109, s26
	s_wait_alu 0xfffd
	v_add_co_ci_u32_e64 v112, null, s27, v110, vcc_lo
	s_clause 0x6
	flat_load_b32 v125, v[14:15]
	flat_load_b32 v126, v[99:100]
	;; [unrolled: 1-line block ×8, first 2 shown]
	v_mov_b32_e32 v116, 0
	s_wait_loadcnt 0x8
	v_add_co_u32 v99, vcc_lo, v12, s10
	s_wait_alu 0xfffd
	v_add_co_ci_u32_e64 v100, null, s11, v13, vcc_lo
	v_add_co_u32 v12, vcc_lo, v16, v2
	s_wait_alu 0xfffd
	v_add_co_ci_u32_e64 v13, null, v17, v3, vcc_lo
	;; [unrolled: 3-line block ×14, first 2 shown]
	v_or_b32_e32 v14, s34, v96
	v_or_b32_e32 v15, s34, v18
	v_add_co_u32 v115, vcc_lo, v12, s34
	s_wait_alu 0xfffd
	v_add_co_ci_u32_e64 v117, null, s35, v13, vcc_lo
	v_mul_lo_u32 v113, s17, v14
	v_mad_co_u64_u32 v[12:13], null, s16, v14, 0
	v_mul_lo_u32 v114, s17, v15
	v_mad_co_u64_u32 v[14:15], null, s16, v15, 0
	v_add_co_u32 v16, vcc_lo, v16, v94
	s_wait_alu 0xfffd
	v_add_co_ci_u32_e64 v17, null, v17, v95, vcc_lo
	s_wait_alu 0xfffe
	v_add3_u32 v13, v13, s1, v113
	v_add_co_u32 v123, vcc_lo, v16, s34
	s_wait_alu 0xfffd
	v_add_co_ci_u32_e64 v124, null, s35, v17, vcc_lo
	v_add3_u32 v15, v15, s1, v114
	v_dual_mov_b32 v113, 0 :: v_dual_mov_b32 v114, 0
	s_mov_b32 s34, 0
	s_wait_loadcnt_dscnt 0x606
	v_dual_mov_b32 v133, v125 :: v_dual_mov_b32 v134, v126
	s_wait_loadcnt_dscnt 0x404
	v_dual_mov_b32 v135, v127 :: v_dual_mov_b32 v136, v128
	;; [unrolled: 2-line block ×4, first 2 shown]
.LBB215_8:                              ;   Parent Loop BB215_4 Depth=1
                                        ; =>  This Inner Loop Header: Depth=2
	v_add_co_u32 v16, vcc_lo, v101, v18
	s_wait_alu 0xfffd
	v_add_co_ci_u32_e64 v17, null, 0, v102, vcc_lo
	s_wait_alu 0xfffe
	s_cmp_lg_u32 s3, s34
	v_add_co_u32 v141, vcc_lo, 0x100, v16
	s_wait_alu 0xfffd
	v_add_co_ci_u32_e64 v143, null, 0, v17, vcc_lo
	s_delay_alu instid0(VALU_DEP_2) | instskip(SKIP_1) | instid1(VALU_DEP_2)
	v_add_co_u32 v142, vcc_lo, v141, s26
	s_wait_alu 0xfffd
	v_add_co_ci_u32_e64 v143, null, s27, v143, vcc_lo
	flat_load_b32 v141, v[16:17] offset:256
	v_add_co_u32 v144, vcc_lo, v142, s26
	s_wait_alu 0xfffd
	v_add_co_ci_u32_e64 v145, null, s27, v143, vcc_lo
	v_add_co_u32 v149, vcc_lo, v99, v14
	s_delay_alu instid0(VALU_DEP_3) | instskip(SKIP_1) | instid1(VALU_DEP_3)
	v_add_co_u32 v146, s1, v144, s26
	s_wait_alu 0xf1ff
	v_add_co_ci_u32_e64 v147, null, s27, v145, s1
	s_wait_alu 0xfffd
	v_add_co_ci_u32_e64 v150, null, v100, v15, vcc_lo
	v_add_co_u32 v151, vcc_lo, v146, s26
	s_wait_alu 0xfffd
	v_add_co_ci_u32_e64 v152, null, s27, v147, vcc_lo
	flat_load_b32 v142, v[142:143]
	v_add_co_u32 v153, vcc_lo, v151, s26
	s_wait_alu 0xfffd
	v_add_co_ci_u32_e64 v154, null, s27, v152, vcc_lo
	flat_load_b32 v143, v[144:145]
	v_add_co_u32 v155, vcc_lo, v153, s26
	s_wait_alu 0xfffd
	v_add_co_ci_u32_e64 v156, null, s27, v154, vcc_lo
	s_delay_alu instid0(VALU_DEP_2) | instskip(SKIP_1) | instid1(VALU_DEP_2)
	v_add_co_u32 v157, vcc_lo, v155, s26
	s_wait_alu 0xfffd
	v_add_co_ci_u32_e64 v158, null, s27, v156, vcc_lo
	s_clause 0x4
	flat_load_b32 v144, v[146:147]
	flat_load_b32 v145, v[151:152]
	;; [unrolled: 1-line block ×6, first 2 shown]
	s_cbranch_scc0 .LBB215_10
; %bb.9:                                ;   in Loop: Header=BB215_8 Depth=2
	v_add_co_u32 v134, vcc_lo, v103, v18
	s_wait_alu 0xfffd
	v_add_co_ci_u32_e64 v135, null, 0, v104, vcc_lo
	v_add_co_u32 v136, vcc_lo, v105, v18
	s_wait_alu 0xfffd
	v_add_co_ci_u32_e64 v137, null, 0, v106, vcc_lo
	flat_load_b32 v133, v[16:17] offset:512
	flat_load_b32 v134, v[134:135]
	flat_load_b32 v135, v[136:137]
	v_add_co_u32 v16, vcc_lo, v107, v18
	s_wait_alu 0xfffd
	v_add_co_ci_u32_e64 v17, null, 0, v108, vcc_lo
	v_add_co_u32 v137, vcc_lo, v109, v18
	s_wait_alu 0xfffd
	v_add_co_ci_u32_e64 v138, null, 0, v110, vcc_lo
	;; [unrolled: 3-line block ×5, first 2 shown]
	flat_load_b32 v136, v[16:17]
	flat_load_b32 v137, v[137:138]
	;; [unrolled: 1-line block ×5, first 2 shown]
.LBB215_10:                             ;   in Loop: Header=BB215_8 Depth=2
	v_add_co_u32 v16, vcc_lo, v99, v12
	s_wait_alu 0xfffd
	v_add_co_ci_u32_e64 v17, null, v100, v13, vcc_lo
	v_add_co_u32 v101, vcc_lo, 0x200, v101
	s_wait_alu 0xfffd
	v_add_co_ci_u32_e64 v102, null, 0, v102, vcc_lo
	flat_load_b32 v16, v[16:17]
	v_add_co_u32 v103, vcc_lo, 0x200, v103
	s_wait_alu 0xfffd
	v_add_co_ci_u32_e64 v104, null, 0, v104, vcc_lo
	v_add_co_u32 v105, vcc_lo, 0x200, v105
	s_wait_alu 0xfffd
	v_add_co_ci_u32_e64 v106, null, 0, v106, vcc_lo
	;; [unrolled: 3-line block ×5, first 2 shown]
	v_add_co_u32 v115, vcc_lo, 0x200, v115
	s_wait_loadcnt_dscnt 0x101
	v_fmac_f32_e32 v122, v126, v149
	v_fmac_f32_e32 v113, v125, v149
	;; [unrolled: 1-line block ×8, first 2 shown]
	s_wait_alu 0xfffd
	v_add_co_ci_u32_e64 v117, null, 0, v117, vcc_lo
	v_add_co_u32 v123, vcc_lo, 0x200, v123
	s_wait_alu 0xfffd
	v_add_co_ci_u32_e64 v124, null, 0, v124, vcc_lo
	v_add_co_u32 v99, vcc_lo, v99, s24
	s_wait_alu 0xfffd
	v_add_co_ci_u32_e64 v100, null, s25, v100, vcc_lo
	s_add_co_i32 s34, s34, 1
	s_wait_alu 0xfffe
	s_cmp_ge_i32 s34, s18
	s_wait_loadcnt_dscnt 0x0
	v_fmac_f32_e32 v122, v142, v16
	v_fmac_f32_e32 v113, v141, v16
	;; [unrolled: 1-line block ×8, first 2 shown]
	s_cbranch_scc1 .LBB215_13
; %bb.11:                               ;   in Loop: Header=BB215_8 Depth=2
	v_dual_mov_b32 v125, v133 :: v_dual_mov_b32 v126, v134
	v_dual_mov_b32 v127, v135 :: v_dual_mov_b32 v128, v136
	;; [unrolled: 1-line block ×4, first 2 shown]
	s_branch .LBB215_8
.LBB215_12:                             ;   in Loop: Header=BB215_4 Depth=1
	v_dual_mov_b32 v114, 0 :: v_dual_mov_b32 v119, 0
	v_dual_mov_b32 v116, 0 :: v_dual_mov_b32 v121, 0
	;; [unrolled: 1-line block ×3, first 2 shown]
	v_mov_b32_e32 v120, 0
	v_mov_b32_e32 v122, 0
.LBB215_13:                             ;   in Loop: Header=BB215_4 Depth=1
	ds_store_2addr_stride64_b32 v97, v113, v122 offset1:1
	ds_store_2addr_stride64_b32 v97, v120, v121 offset0:2 offset1:3
	ds_store_2addr_stride64_b32 v97, v118, v119 offset0:4 offset1:5
	ds_store_b32 v97, v116 offset:1536
	ds_store_b32 v98, v114
	s_wait_loadcnt_dscnt 0x0
	s_barrier_signal -1
	s_barrier_wait -1
	global_inv scope:SCOPE_SE
	s_and_saveexec_b32 s1, s0
	s_cbranch_execz .LBB215_2
; %bb.14:                               ;   in Loop: Header=BB215_4 Depth=1
	ds_load_b32 v12, v81
	ds_load_b32 v13, v19
	;; [unrolled: 1-line block ×8, first 2 shown]
	v_add_co_u32 v10, vcc_lo, v10, s14
	s_wait_alu 0xfffd
	v_add_co_ci_u32_e64 v11, null, s15, v11, vcc_lo
	s_delay_alu instid0(VALU_DEP_2) | instskip(SKIP_1) | instid1(VALU_DEP_2)
	v_add_co_u32 v10, vcc_lo, v10, s30
	s_wait_alu 0xfffd
	v_add_co_ci_u32_e64 v11, null, s31, v11, vcc_lo
	s_delay_alu instid0(VALU_DEP_2)
	v_add_co_u32 v10, vcc_lo, v10, v8
	s_wait_dscnt 0x7
	v_add_f32_e32 v12, 0, v12
	s_wait_alu 0xfffd
	v_add_co_ci_u32_e64 v11, null, v11, v9, vcc_lo
	s_wait_dscnt 0x6
	s_delay_alu instid0(VALU_DEP_2)
	v_add_f32_e32 v12, v12, v13
	ds_load_b32 v13, v26
	s_wait_dscnt 0x6
	v_add_f32_e32 v12, v12, v14
	ds_load_b32 v14, v27
	s_wait_dscnt 0x6
	;; [unrolled: 3-line block ×3, first 2 shown]
	v_add_f32_e32 v12, v12, v16
	s_wait_dscnt 0x5
	s_delay_alu instid0(VALU_DEP_1) | instskip(SKIP_1) | instid1(VALU_DEP_1)
	v_add_f32_e32 v12, v12, v17
	s_wait_dscnt 0x4
	v_add_f32_e32 v12, v12, v99
	s_wait_dscnt 0x3
	s_delay_alu instid0(VALU_DEP_1)
	v_add_f32_e32 v12, v12, v100
	ds_load_b32 v16, v29
	ds_load_b32 v17, v30
	ds_load_b32 v99, v31
	ds_load_b32 v100, v32
	ds_load_b32 v101, v33
	s_wait_dscnt 0x7
	v_add_f32_e32 v12, v12, v13
	ds_load_b32 v13, v34
	s_wait_dscnt 0x7
	v_add_f32_e32 v12, v12, v14
	ds_load_b32 v14, v35
	s_wait_dscnt 0x7
	v_add_f32_e32 v12, v12, v15
	ds_load_b32 v15, v36
	s_wait_dscnt 0x7
	v_add_f32_e32 v12, v12, v16
	s_wait_dscnt 0x6
	s_delay_alu instid0(VALU_DEP_1) | instskip(SKIP_1) | instid1(VALU_DEP_1)
	v_add_f32_e32 v12, v12, v17
	s_wait_dscnt 0x5
	v_add_f32_e32 v12, v12, v99
	s_wait_dscnt 0x4
	s_delay_alu instid0(VALU_DEP_1) | instskip(SKIP_1) | instid1(VALU_DEP_1)
	v_add_f32_e32 v12, v12, v100
	s_wait_dscnt 0x3
	v_add_f32_e32 v12, v12, v101
	ds_load_b32 v16, v37
	ds_load_b32 v17, v38
	ds_load_b32 v99, v39
	ds_load_b32 v100, v40
	ds_load_b32 v101, v41
	s_wait_dscnt 0x7
	v_add_f32_e32 v12, v12, v13
	ds_load_b32 v13, v42
	s_wait_dscnt 0x7
	v_add_f32_e32 v12, v12, v14
	ds_load_b32 v14, v43
	s_wait_dscnt 0x7
	v_add_f32_e32 v12, v12, v15
	ds_load_b32 v15, v44
	s_wait_dscnt 0x7
	v_add_f32_e32 v12, v12, v16
	s_wait_dscnt 0x6
	s_delay_alu instid0(VALU_DEP_1) | instskip(SKIP_1) | instid1(VALU_DEP_1)
	v_add_f32_e32 v12, v12, v17
	s_wait_dscnt 0x5
	v_add_f32_e32 v12, v12, v99
	s_wait_dscnt 0x4
	s_delay_alu instid0(VALU_DEP_1) | instskip(SKIP_1) | instid1(VALU_DEP_1)
	v_add_f32_e32 v12, v12, v100
	s_wait_dscnt 0x3
	;; [unrolled: 26-line block ×6, first 2 shown]
	v_add_f32_e32 v12, v12, v101
	ds_load_b32 v16, v76
	ds_load_b32 v17, v77
	;; [unrolled: 1-line block ×5, first 2 shown]
	s_wait_dscnt 0x7
	v_add_f32_e32 v12, v12, v13
	s_wait_dscnt 0x6
	s_delay_alu instid0(VALU_DEP_1) | instskip(SKIP_1) | instid1(VALU_DEP_1)
	v_add_f32_e32 v12, v12, v14
	s_wait_dscnt 0x5
	v_add_f32_e32 v12, v12, v15
	s_wait_dscnt 0x4
	s_delay_alu instid0(VALU_DEP_1) | instskip(SKIP_1) | instid1(VALU_DEP_1)
	v_add_f32_e32 v12, v12, v16
	;; [unrolled: 5-line block ×3, first 2 shown]
	s_wait_dscnt 0x1
	v_add_f32_e32 v12, v12, v100
	s_wait_dscnt 0x0
	s_delay_alu instid0(VALU_DEP_1) | instskip(NEXT) | instid1(VALU_DEP_1)
	v_add_f32_e32 v12, v12, v101
	v_mul_f32_e32 v12, s38, v12
	flat_atomic_add_f32 v[10:11], v12 scope:SCOPE_DEV
	s_branch .LBB215_2
.LBB215_15:
	s_nop 0
	s_sendmsg sendmsg(MSG_DEALLOC_VGPRS)
	s_endpgm
	.section	.rodata,"a",@progbits
	.p2align	6, 0x0
	.amdhsa_kernel _ZL36rocblas_gemvt_double_buffered_kernelILb0ELi128ELi8ELi8EPKffKPfEviiT4_lPKT3_lilS7_lilPT5_lili
		.amdhsa_group_segment_fixed_size 32768
		.amdhsa_private_segment_fixed_size 0
		.amdhsa_kernarg_size 384
		.amdhsa_user_sgpr_count 2
		.amdhsa_user_sgpr_dispatch_ptr 0
		.amdhsa_user_sgpr_queue_ptr 0
		.amdhsa_user_sgpr_kernarg_segment_ptr 1
		.amdhsa_user_sgpr_dispatch_id 0
		.amdhsa_user_sgpr_private_segment_size 0
		.amdhsa_wavefront_size32 1
		.amdhsa_uses_dynamic_stack 0
		.amdhsa_enable_private_segment 0
		.amdhsa_system_sgpr_workgroup_id_x 1
		.amdhsa_system_sgpr_workgroup_id_y 1
		.amdhsa_system_sgpr_workgroup_id_z 1
		.amdhsa_system_sgpr_workgroup_info 0
		.amdhsa_system_vgpr_workitem_id 1
		.amdhsa_next_free_vgpr 159
		.amdhsa_next_free_sgpr 44
		.amdhsa_reserve_vcc 1
		.amdhsa_float_round_mode_32 0
		.amdhsa_float_round_mode_16_64 0
		.amdhsa_float_denorm_mode_32 3
		.amdhsa_float_denorm_mode_16_64 3
		.amdhsa_fp16_overflow 0
		.amdhsa_workgroup_processor_mode 1
		.amdhsa_memory_ordered 1
		.amdhsa_forward_progress 1
		.amdhsa_inst_pref_size 41
		.amdhsa_round_robin_scheduling 0
		.amdhsa_exception_fp_ieee_invalid_op 0
		.amdhsa_exception_fp_denorm_src 0
		.amdhsa_exception_fp_ieee_div_zero 0
		.amdhsa_exception_fp_ieee_overflow 0
		.amdhsa_exception_fp_ieee_underflow 0
		.amdhsa_exception_fp_ieee_inexact 0
		.amdhsa_exception_int_div_zero 0
	.end_amdhsa_kernel
	.section	.text._ZL36rocblas_gemvt_double_buffered_kernelILb0ELi128ELi8ELi8EPKffKPfEviiT4_lPKT3_lilS7_lilPT5_lili,"axG",@progbits,_ZL36rocblas_gemvt_double_buffered_kernelILb0ELi128ELi8ELi8EPKffKPfEviiT4_lPKT3_lilS7_lilPT5_lili,comdat
.Lfunc_end215:
	.size	_ZL36rocblas_gemvt_double_buffered_kernelILb0ELi128ELi8ELi8EPKffKPfEviiT4_lPKT3_lilS7_lilPT5_lili, .Lfunc_end215-_ZL36rocblas_gemvt_double_buffered_kernelILb0ELi128ELi8ELi8EPKffKPfEviiT4_lPKT3_lilS7_lilPT5_lili
                                        ; -- End function
	.set _ZL36rocblas_gemvt_double_buffered_kernelILb0ELi128ELi8ELi8EPKffKPfEviiT4_lPKT3_lilS7_lilPT5_lili.num_vgpr, 159
	.set _ZL36rocblas_gemvt_double_buffered_kernelILb0ELi128ELi8ELi8EPKffKPfEviiT4_lPKT3_lilS7_lilPT5_lili.num_agpr, 0
	.set _ZL36rocblas_gemvt_double_buffered_kernelILb0ELi128ELi8ELi8EPKffKPfEviiT4_lPKT3_lilS7_lilPT5_lili.numbered_sgpr, 44
	.set _ZL36rocblas_gemvt_double_buffered_kernelILb0ELi128ELi8ELi8EPKffKPfEviiT4_lPKT3_lilS7_lilPT5_lili.num_named_barrier, 0
	.set _ZL36rocblas_gemvt_double_buffered_kernelILb0ELi128ELi8ELi8EPKffKPfEviiT4_lPKT3_lilS7_lilPT5_lili.private_seg_size, 0
	.set _ZL36rocblas_gemvt_double_buffered_kernelILb0ELi128ELi8ELi8EPKffKPfEviiT4_lPKT3_lilS7_lilPT5_lili.uses_vcc, 1
	.set _ZL36rocblas_gemvt_double_buffered_kernelILb0ELi128ELi8ELi8EPKffKPfEviiT4_lPKT3_lilS7_lilPT5_lili.uses_flat_scratch, 1
	.set _ZL36rocblas_gemvt_double_buffered_kernelILb0ELi128ELi8ELi8EPKffKPfEviiT4_lPKT3_lilS7_lilPT5_lili.has_dyn_sized_stack, 0
	.set _ZL36rocblas_gemvt_double_buffered_kernelILb0ELi128ELi8ELi8EPKffKPfEviiT4_lPKT3_lilS7_lilPT5_lili.has_recursion, 0
	.set _ZL36rocblas_gemvt_double_buffered_kernelILb0ELi128ELi8ELi8EPKffKPfEviiT4_lPKT3_lilS7_lilPT5_lili.has_indirect_call, 0
	.section	.AMDGPU.csdata,"",@progbits
; Kernel info:
; codeLenInByte = 5248
; TotalNumSgprs: 46
; NumVgprs: 159
; ScratchSize: 0
; MemoryBound: 0
; FloatMode: 240
; IeeeMode: 1
; LDSByteSize: 32768 bytes/workgroup (compile time only)
; SGPRBlocks: 0
; VGPRBlocks: 19
; NumSGPRsForWavesPerEU: 46
; NumVGPRsForWavesPerEU: 159
; Occupancy: 9
; WaveLimiterHint : 1
; COMPUTE_PGM_RSRC2:SCRATCH_EN: 0
; COMPUTE_PGM_RSRC2:USER_SGPR: 2
; COMPUTE_PGM_RSRC2:TRAP_HANDLER: 0
; COMPUTE_PGM_RSRC2:TGID_X_EN: 1
; COMPUTE_PGM_RSRC2:TGID_Y_EN: 1
; COMPUTE_PGM_RSRC2:TGID_Z_EN: 1
; COMPUTE_PGM_RSRC2:TIDIG_COMP_CNT: 1
	.section	.text._ZL32rocblas_gemvt_warp_reduce_kernelILb0ELi256EiPKfS1_KPfEviiT3_lPKT2_lT1_lS7_lS8_lS4_lPT4_lS8_li,"axG",@progbits,_ZL32rocblas_gemvt_warp_reduce_kernelILb0ELi256EiPKfS1_KPfEviiT3_lPKT2_lT1_lS7_lS8_lS4_lPT4_lS8_li,comdat
	.globl	_ZL32rocblas_gemvt_warp_reduce_kernelILb0ELi256EiPKfS1_KPfEviiT3_lPKT2_lT1_lS7_lS8_lS4_lPT4_lS8_li ; -- Begin function _ZL32rocblas_gemvt_warp_reduce_kernelILb0ELi256EiPKfS1_KPfEviiT3_lPKT2_lT1_lS7_lS8_lS4_lPT4_lS8_li
	.p2align	8
	.type	_ZL32rocblas_gemvt_warp_reduce_kernelILb0ELi256EiPKfS1_KPfEviiT3_lPKT2_lT1_lS7_lS8_lS4_lPT4_lS8_li,@function
_ZL32rocblas_gemvt_warp_reduce_kernelILb0ELi256EiPKfS1_KPfEviiT3_lPKT2_lT1_lS7_lS8_lS4_lPT4_lS8_li: ; @_ZL32rocblas_gemvt_warp_reduce_kernelILb0ELi256EiPKfS1_KPfEviiT3_lPKT2_lT1_lS7_lS8_lS4_lPT4_lS8_li
; %bb.0:
	s_load_b32 s33, s[0:1], 0x88
	s_lshr_b32 s28, ttmp7, 16
	s_wait_kmcnt 0x0
	s_cmp_ge_u32 s28, s33
	s_cbranch_scc1 .LBB216_38
; %bb.1:
	s_clause 0x6
	s_load_b32 s5, s[0:1], 0x0
	s_load_b256 s[8:15], s[0:1], 0x8
	s_load_b32 s4, s[0:1], 0x78
	s_load_b32 s7, s[0:1], 0x28
	s_load_b128 s[24:27], s[0:1], 0x38
	s_load_b32 s31, s[0:1], 0x48
	s_load_b256 s[16:23], s[0:1], 0x58
	v_lshrrev_b32_e32 v2, 3, v0
	v_and_b32_e32 v1, 31, v0
	v_mov_b32_e32 v11, 0
	v_mbcnt_lo_u32_b32 v15, -1, 0
	v_cmp_eq_u32_e64 s0, 0, v0
	v_and_b32_e32 v13, 28, v2
	v_lshlrev_b32_e32 v12, 2, v1
	v_cmp_gt_u32_e64 s1, 32, v0
	v_cmp_gt_u32_e64 s2, 8, v0
	v_lshl_or_b32 v17, v15, 2, 64
	s_mov_b32 s29, 0
	s_wait_kmcnt 0x0
	s_ashr_i32 s3, s5, 31
	v_cmp_gt_i32_e32 vcc_lo, s5, v0
	s_lshr_b32 s3, s3, 24
	s_mul_i32 s36, s7, ttmp9
	s_add_co_i32 s6, s5, s3
	v_cmp_eq_u32_e64 s3, 0, v1
	s_and_b32 s30, s6, 0xffffff00
	v_cndmask_b32_e32 v3, 0, v0, vcc_lo
	v_or_b32_e32 v2, s30, v0
	v_mul_lo_u32 v14, v0, s31
	s_mul_i32 s6, s4, ttmp9
	v_cmp_gt_i32_e64 s4, s30, v0
	v_lshlrev_b32_e32 v16, 2, v3
	v_mul_lo_u32 v1, s31, v2
	v_cmp_gt_i32_e64 s5, s5, v2
	s_lshl_b32 s40, s31, 8
	s_ashr_i32 s7, s6, 31
	s_ashr_i32 s37, s36, 31
	;; [unrolled: 1-line block ×3, first 2 shown]
	s_lshl_b64 s[14:15], s[14:15], 2
	s_lshl_b64 s[26:27], s[26:27], 2
	v_ashrrev_i32_e32 v2, 31, v1
	s_lshl_b64 s[22:23], s[22:23], 2
	s_lshl_b64 s[34:35], s[6:7], 2
	;; [unrolled: 1-line block ×3, first 2 shown]
	s_wait_alu 0xfffe
	s_lshl_b64 s[38:39], s[30:31], 2
	v_lshlrev_b64_e32 v[1:2], 2, v[1:2]
	s_branch .LBB216_4
.LBB216_2:                              ;   in Loop: Header=BB216_4 Depth=1
	s_or_b32 exec_lo, exec_lo, s6
.LBB216_3:                              ;   in Loop: Header=BB216_4 Depth=1
	s_add_co_i32 s28, s28, 0x10000
	s_delay_alu instid0(SALU_CYCLE_1)
	s_cmp_lt_u32 s28, s33
	s_cbranch_scc0 .LBB216_38
.LBB216_4:                              ; =>This Loop Header: Depth=1
                                        ;     Child Loop BB216_27 Depth 2
	s_mul_u64 s[6:7], s[10:11], s[28:29]
	s_mul_u64 s[42:43], s[18:19], s[28:29]
	s_lshl_b64 s[6:7], s[6:7], 2
	s_lshl_b64 s[42:43], s[42:43], 2
	s_add_nc_u64 s[6:7], s[8:9], s[6:7]
	s_add_nc_u64 s[42:43], s[16:17], s[42:43]
	s_clause 0x1
	global_load_b32 v18, v11, s[6:7]
	global_load_b32 v3, v11, s[42:43]
	s_wait_loadcnt 0x1
	v_cmp_eq_f32_e64 s6, 0, v18
	s_wait_loadcnt 0x0
	v_cmp_eq_f32_e32 vcc_lo, 1.0, v3
	v_readfirstlane_b32 s31, v3
	s_and_b32 s7, s6, vcc_lo
	s_delay_alu instid0(SALU_CYCLE_1)
	s_and_b32 vcc_lo, exec_lo, s7
	s_wait_alu 0xfffe
	s_cbranch_vccnz .LBB216_3
; %bb.5:                                ;   in Loop: Header=BB216_4 Depth=1
	v_mov_b32_e32 v3, 0
	s_wait_dscnt 0x0
	v_dual_mov_b32 v4, 0 :: v_dual_mov_b32 v5, 0
	v_cmp_neq_f32_e64 s7, 0, v18
	v_mov_b32_e32 v6, 0
	s_and_b32 vcc_lo, exec_lo, s6
	s_wait_alu 0xfffe
	s_cbranch_vccnz .LBB216_7
; %bb.6:                                ;   in Loop: Header=BB216_4 Depth=1
	s_lshl_b64 s[42:43], s[28:29], 3
	s_delay_alu instid0(SALU_CYCLE_1)
	s_add_nc_u64 s[42:43], s[12:13], s[42:43]
	global_load_b64 v[5:6], v11, s[42:43]
	s_wait_loadcnt 0x0
	v_add_co_u32 v5, vcc_lo, v5, s14
	s_wait_alu 0xfffd
	v_add_co_ci_u32_e64 v6, null, s15, v6, vcc_lo
.LBB216_7:                              ;   in Loop: Header=BB216_4 Depth=1
	s_and_not1_b32 vcc_lo, exec_lo, s7
	s_wait_alu 0xfffe
	s_cbranch_vccnz .LBB216_9
; %bb.8:                                ;   in Loop: Header=BB216_4 Depth=1
	s_lshl_b64 s[42:43], s[28:29], 3
	s_delay_alu instid0(SALU_CYCLE_1)
	s_add_nc_u64 s[42:43], s[24:25], s[42:43]
	global_load_b64 v[3:4], v11, s[42:43]
	s_wait_loadcnt 0x0
	v_add_co_u32 v3, vcc_lo, v3, s26
	s_wait_alu 0xfffd
	v_add_co_ci_u32_e64 v4, null, s27, v4, vcc_lo
.LBB216_9:                              ;   in Loop: Header=BB216_4 Depth=1
	s_lshl_b64 s[42:43], s[28:29], 3
	s_delay_alu instid0(SALU_CYCLE_1)
	s_add_nc_u64 s[42:43], s[20:21], s[42:43]
	global_load_b64 v[7:8], v11, s[42:43]
	s_wait_loadcnt 0x0
	v_add_co_u32 v19, vcc_lo, v7, s22
	s_wait_alu 0xfffd
	v_add_co_ci_u32_e64 v20, null, s23, v8, vcc_lo
	s_and_not1_b32 vcc_lo, exec_lo, s6
	s_wait_alu 0xfffe
	s_cbranch_vccnz .LBB216_13
; %bb.10:                               ;   in Loop: Header=BB216_4 Depth=1
	s_mov_b32 s6, 0
	s_mov_b32 s7, 0
                                        ; implicit-def: $vgpr7
	s_and_saveexec_b32 s41, s0
	s_cbranch_execz .LBB216_14
; %bb.11:                               ;   in Loop: Header=BB216_4 Depth=1
	s_cmp_eq_f32 s31, 0
	s_cbranch_scc1 .LBB216_15
; %bb.12:                               ;   in Loop: Header=BB216_4 Depth=1
	v_add_co_u32 v7, vcc_lo, v19, s34
	s_wait_alu 0xfffd
	v_add_co_ci_u32_e64 v8, null, s35, v20, vcc_lo
	flat_load_b32 v7, v[7:8]
	s_wait_loadcnt_dscnt 0x0
	v_mul_f32_e32 v7, s31, v7
	s_branch .LBB216_16
.LBB216_13:                             ;   in Loop: Header=BB216_4 Depth=1
	s_mov_b32 s7, 0
                                        ; implicit-def: $vgpr7
	s_cbranch_execnz .LBB216_17
	s_branch .LBB216_36
.LBB216_14:                             ;   in Loop: Header=BB216_4 Depth=1
	s_wait_alu 0xfffe
	s_or_b32 exec_lo, exec_lo, s41
	s_delay_alu instid0(SALU_CYCLE_1)
	s_and_b32 vcc_lo, exec_lo, s6
	s_wait_alu 0xfffe
	s_cbranch_vccnz .LBB216_17
	s_branch .LBB216_36
.LBB216_15:                             ;   in Loop: Header=BB216_4 Depth=1
	v_mov_b32_e32 v7, 0
.LBB216_16:                             ;   in Loop: Header=BB216_4 Depth=1
	s_mov_b32 s7, exec_lo
	s_wait_alu 0xfffe
	s_or_b32 exec_lo, exec_lo, s41
	s_delay_alu instid0(SALU_CYCLE_1)
	s_and_b32 vcc_lo, exec_lo, s6
	s_wait_alu 0xfffe
	s_cbranch_vccz .LBB216_36
.LBB216_17:                             ;   in Loop: Header=BB216_4 Depth=1
	v_add_co_u32 v5, vcc_lo, v5, v16
	s_wait_alu 0xfffd
	v_add_co_ci_u32_e64 v6, null, 0, v6, vcc_lo
	v_mov_b32_e32 v21, 0
	s_delay_alu instid0(VALU_DEP_3) | instskip(SKIP_1) | instid1(VALU_DEP_3)
	v_add_co_u32 v5, vcc_lo, v5, s36
	s_wait_alu 0xfffd
	v_add_co_ci_u32_e64 v6, null, s37, v6, vcc_lo
	s_and_saveexec_b32 s41, s4
	s_cbranch_execnz .LBB216_26
; %bb.18:                               ;   in Loop: Header=BB216_4 Depth=1
	s_wait_alu 0xfffe
	s_or_b32 exec_lo, exec_lo, s41
	s_and_saveexec_b32 s6, s5
	s_cbranch_execnz .LBB216_29
.LBB216_19:                             ;   in Loop: Header=BB216_4 Depth=1
	s_or_b32 exec_lo, exec_lo, s6
	s_and_saveexec_b32 s6, s1
.LBB216_20:                             ;   in Loop: Header=BB216_4 Depth=1
	ds_store_b32 v12, v11
.LBB216_21:                             ;   in Loop: Header=BB216_4 Depth=1
	s_or_b32 exec_lo, exec_lo, s6
	ds_bpermute_b32 v3, v17, v21
	v_cmp_gt_u32_e32 vcc_lo, 24, v15
	s_wait_dscnt 0x0
	s_barrier_signal -1
	s_barrier_wait -1
	global_inv scope:SCOPE_SE
	s_wait_alu 0xfffd
	v_cndmask_b32_e64 v4, 0, 8, vcc_lo
	v_cmp_gt_u32_e32 vcc_lo, 28, v15
	s_delay_alu instid0(VALU_DEP_2)
	v_add_lshl_u32 v4, v4, v15, 2
	v_add_f32_e32 v5, v21, v3
	s_wait_alu 0xfffd
	v_cndmask_b32_e64 v3, 0, 4, vcc_lo
	v_cmp_gt_u32_e32 vcc_lo, 30, v15
	ds_bpermute_b32 v4, v4, v5
	v_add_lshl_u32 v3, v3, v15, 2
	s_wait_dscnt 0x0
	v_add_f32_e32 v5, v5, v4
	s_wait_alu 0xfffd
	v_cndmask_b32_e64 v4, 0, 2, vcc_lo
	v_cmp_ne_u32_e32 vcc_lo, 31, v15
	ds_bpermute_b32 v6, v3, v5
	v_add_lshl_u32 v4, v4, v15, 2
	s_wait_alu 0xfffd
	v_add_co_ci_u32_e64 v7, null, 0, v15, vcc_lo
	s_wait_dscnt 0x0
	v_add_f32_e32 v5, v5, v6
	ds_bpermute_b32 v6, v4, v5
	s_wait_dscnt 0x0
	v_dual_add_f32 v6, v5, v6 :: v_dual_lshlrev_b32 v5, 2, v7
	ds_bpermute_b32 v7, v5, v6
	s_and_saveexec_b32 s6, s3
	s_cbranch_execz .LBB216_23
; %bb.22:                               ;   in Loop: Header=BB216_4 Depth=1
	s_wait_dscnt 0x0
	v_add_f32_e32 v6, v6, v7
	ds_store_b32 v13, v6
.LBB216_23:                             ;   in Loop: Header=BB216_4 Depth=1
	s_or_b32 exec_lo, exec_lo, s6
	v_mov_b32_e32 v6, 0
	s_wait_loadcnt_dscnt 0x0
	s_barrier_signal -1
	s_barrier_wait -1
	global_inv scope:SCOPE_SE
	s_and_saveexec_b32 s6, s2
	s_cbranch_execnz .LBB216_30
; %bb.24:                               ;   in Loop: Header=BB216_4 Depth=1
	s_or_b32 exec_lo, exec_lo, s6
	s_and_saveexec_b32 s6, s1
	s_cbranch_execnz .LBB216_31
.LBB216_25:                             ;   in Loop: Header=BB216_4 Depth=1
	s_or_b32 exec_lo, exec_lo, s6
                                        ; implicit-def: $vgpr7
	s_and_saveexec_b32 s6, s0
	s_cbranch_execnz .LBB216_32
	s_branch .LBB216_35
.LBB216_26:                             ;   in Loop: Header=BB216_4 Depth=1
	v_dual_mov_b32 v21, 0 :: v_dual_mov_b32 v10, v6
	v_dual_mov_b32 v7, v14 :: v_dual_mov_b32 v22, v0
	v_mov_b32_e32 v9, v5
	s_mov_b32 s42, 0
.LBB216_27:                             ;   Parent Loop BB216_4 Depth=1
                                        ; =>  This Inner Loop Header: Depth=2
	s_delay_alu instid0(VALU_DEP_2) | instskip(NEXT) | instid1(VALU_DEP_1)
	v_ashrrev_i32_e32 v8, 31, v7
	v_lshlrev_b64_e32 v[23:24], 2, v[7:8]
	v_add_nc_u32_e32 v7, s40, v7
	s_delay_alu instid0(VALU_DEP_2) | instskip(SKIP_1) | instid1(VALU_DEP_3)
	v_add_co_u32 v23, vcc_lo, v3, v23
	s_wait_alu 0xfffd
	v_add_co_ci_u32_e64 v24, null, v4, v24, vcc_lo
	flat_load_b32 v8, v[9:10]
	flat_load_b32 v23, v[23:24]
	v_add_nc_u32_e32 v22, 0x100, v22
	v_add_co_u32 v9, vcc_lo, 0x400, v9
	s_wait_alu 0xfffd
	v_add_co_ci_u32_e64 v10, null, 0, v10, vcc_lo
	s_wait_loadcnt_dscnt 0x0
	v_fmac_f32_e32 v21, v8, v23
	v_cmp_le_i32_e64 s6, s30, v22
	s_or_b32 s42, s6, s42
	s_delay_alu instid0(SALU_CYCLE_1)
	s_and_not1_b32 exec_lo, exec_lo, s42
	s_cbranch_execnz .LBB216_27
; %bb.28:                               ;   in Loop: Header=BB216_4 Depth=1
	s_or_b32 exec_lo, exec_lo, s42
	s_wait_alu 0xfffe
	s_or_b32 exec_lo, exec_lo, s41
	s_and_saveexec_b32 s6, s5
	s_cbranch_execz .LBB216_19
.LBB216_29:                             ;   in Loop: Header=BB216_4 Depth=1
	v_add_co_u32 v5, vcc_lo, v5, s38
	s_wait_alu 0xfffd
	v_add_co_ci_u32_e64 v6, null, s39, v6, vcc_lo
	v_add_co_u32 v3, vcc_lo, v3, v1
	s_wait_alu 0xfffd
	v_add_co_ci_u32_e64 v4, null, v4, v2, vcc_lo
	flat_load_b32 v5, v[5:6]
	flat_load_b32 v3, v[3:4]
	s_wait_loadcnt_dscnt 0x0
	v_fmac_f32_e32 v21, v5, v3
	s_or_b32 exec_lo, exec_lo, s6
	s_and_saveexec_b32 s6, s1
	s_cbranch_execnz .LBB216_20
	s_branch .LBB216_21
.LBB216_30:                             ;   in Loop: Header=BB216_4 Depth=1
	ds_load_b32 v6, v12
	s_or_b32 exec_lo, exec_lo, s6
	s_and_saveexec_b32 s6, s1
	s_cbranch_execz .LBB216_25
.LBB216_31:                             ;   in Loop: Header=BB216_4 Depth=1
	s_wait_dscnt 0x0
	ds_bpermute_b32 v3, v3, v6
	s_wait_dscnt 0x0
	v_add_f32_e32 v3, v6, v3
	ds_bpermute_b32 v4, v4, v3
	s_wait_dscnt 0x0
	v_add_f32_e32 v3, v3, v4
	;; [unrolled: 3-line block ×3, first 2 shown]
	s_or_b32 exec_lo, exec_lo, s6
                                        ; implicit-def: $vgpr7
	s_and_saveexec_b32 s6, s0
	s_cbranch_execz .LBB216_35
.LBB216_32:                             ;   in Loop: Header=BB216_4 Depth=1
	s_wait_dscnt 0x0
	v_mul_f32_e32 v7, v18, v6
	s_cmp_eq_f32 s31, 0
	s_cbranch_scc1 .LBB216_34
; %bb.33:                               ;   in Loop: Header=BB216_4 Depth=1
	v_add_co_u32 v3, vcc_lo, v19, s34
	s_wait_alu 0xfffd
	v_add_co_ci_u32_e64 v4, null, s35, v20, vcc_lo
	flat_load_b32 v3, v[3:4]
	s_wait_loadcnt_dscnt 0x0
	v_fmac_f32_e32 v7, s31, v3
.LBB216_34:                             ;   in Loop: Header=BB216_4 Depth=1
	s_or_b32 s7, s7, exec_lo
.LBB216_35:                             ;   in Loop: Header=BB216_4 Depth=1
	s_or_b32 exec_lo, exec_lo, s6
.LBB216_36:                             ;   in Loop: Header=BB216_4 Depth=1
	s_and_saveexec_b32 s6, s7
	s_cbranch_execz .LBB216_2
; %bb.37:                               ;   in Loop: Header=BB216_4 Depth=1
	v_add_co_u32 v3, vcc_lo, v19, s34
	s_wait_alu 0xfffd
	v_add_co_ci_u32_e64 v4, null, s35, v20, vcc_lo
	flat_store_b32 v[3:4], v7
	s_branch .LBB216_2
.LBB216_38:
	s_endpgm
	.section	.rodata,"a",@progbits
	.p2align	6, 0x0
	.amdhsa_kernel _ZL32rocblas_gemvt_warp_reduce_kernelILb0ELi256EiPKfS1_KPfEviiT3_lPKT2_lT1_lS7_lS8_lS4_lPT4_lS8_li
		.amdhsa_group_segment_fixed_size 128
		.amdhsa_private_segment_fixed_size 0
		.amdhsa_kernarg_size 140
		.amdhsa_user_sgpr_count 2
		.amdhsa_user_sgpr_dispatch_ptr 0
		.amdhsa_user_sgpr_queue_ptr 0
		.amdhsa_user_sgpr_kernarg_segment_ptr 1
		.amdhsa_user_sgpr_dispatch_id 0
		.amdhsa_user_sgpr_private_segment_size 0
		.amdhsa_wavefront_size32 1
		.amdhsa_uses_dynamic_stack 0
		.amdhsa_enable_private_segment 0
		.amdhsa_system_sgpr_workgroup_id_x 1
		.amdhsa_system_sgpr_workgroup_id_y 0
		.amdhsa_system_sgpr_workgroup_id_z 1
		.amdhsa_system_sgpr_workgroup_info 0
		.amdhsa_system_vgpr_workitem_id 0
		.amdhsa_next_free_vgpr 25
		.amdhsa_next_free_sgpr 44
		.amdhsa_reserve_vcc 1
		.amdhsa_float_round_mode_32 0
		.amdhsa_float_round_mode_16_64 0
		.amdhsa_float_denorm_mode_32 3
		.amdhsa_float_denorm_mode_16_64 3
		.amdhsa_fp16_overflow 0
		.amdhsa_workgroup_processor_mode 1
		.amdhsa_memory_ordered 1
		.amdhsa_forward_progress 1
		.amdhsa_inst_pref_size 13
		.amdhsa_round_robin_scheduling 0
		.amdhsa_exception_fp_ieee_invalid_op 0
		.amdhsa_exception_fp_denorm_src 0
		.amdhsa_exception_fp_ieee_div_zero 0
		.amdhsa_exception_fp_ieee_overflow 0
		.amdhsa_exception_fp_ieee_underflow 0
		.amdhsa_exception_fp_ieee_inexact 0
		.amdhsa_exception_int_div_zero 0
	.end_amdhsa_kernel
	.section	.text._ZL32rocblas_gemvt_warp_reduce_kernelILb0ELi256EiPKfS1_KPfEviiT3_lPKT2_lT1_lS7_lS8_lS4_lPT4_lS8_li,"axG",@progbits,_ZL32rocblas_gemvt_warp_reduce_kernelILb0ELi256EiPKfS1_KPfEviiT3_lPKT2_lT1_lS7_lS8_lS4_lPT4_lS8_li,comdat
.Lfunc_end216:
	.size	_ZL32rocblas_gemvt_warp_reduce_kernelILb0ELi256EiPKfS1_KPfEviiT3_lPKT2_lT1_lS7_lS8_lS4_lPT4_lS8_li, .Lfunc_end216-_ZL32rocblas_gemvt_warp_reduce_kernelILb0ELi256EiPKfS1_KPfEviiT3_lPKT2_lT1_lS7_lS8_lS4_lPT4_lS8_li
                                        ; -- End function
	.set _ZL32rocblas_gemvt_warp_reduce_kernelILb0ELi256EiPKfS1_KPfEviiT3_lPKT2_lT1_lS7_lS8_lS4_lPT4_lS8_li.num_vgpr, 25
	.set _ZL32rocblas_gemvt_warp_reduce_kernelILb0ELi256EiPKfS1_KPfEviiT3_lPKT2_lT1_lS7_lS8_lS4_lPT4_lS8_li.num_agpr, 0
	.set _ZL32rocblas_gemvt_warp_reduce_kernelILb0ELi256EiPKfS1_KPfEviiT3_lPKT2_lT1_lS7_lS8_lS4_lPT4_lS8_li.numbered_sgpr, 44
	.set _ZL32rocblas_gemvt_warp_reduce_kernelILb0ELi256EiPKfS1_KPfEviiT3_lPKT2_lT1_lS7_lS8_lS4_lPT4_lS8_li.num_named_barrier, 0
	.set _ZL32rocblas_gemvt_warp_reduce_kernelILb0ELi256EiPKfS1_KPfEviiT3_lPKT2_lT1_lS7_lS8_lS4_lPT4_lS8_li.private_seg_size, 0
	.set _ZL32rocblas_gemvt_warp_reduce_kernelILb0ELi256EiPKfS1_KPfEviiT3_lPKT2_lT1_lS7_lS8_lS4_lPT4_lS8_li.uses_vcc, 1
	.set _ZL32rocblas_gemvt_warp_reduce_kernelILb0ELi256EiPKfS1_KPfEviiT3_lPKT2_lT1_lS7_lS8_lS4_lPT4_lS8_li.uses_flat_scratch, 0
	.set _ZL32rocblas_gemvt_warp_reduce_kernelILb0ELi256EiPKfS1_KPfEviiT3_lPKT2_lT1_lS7_lS8_lS4_lPT4_lS8_li.has_dyn_sized_stack, 0
	.set _ZL32rocblas_gemvt_warp_reduce_kernelILb0ELi256EiPKfS1_KPfEviiT3_lPKT2_lT1_lS7_lS8_lS4_lPT4_lS8_li.has_recursion, 0
	.set _ZL32rocblas_gemvt_warp_reduce_kernelILb0ELi256EiPKfS1_KPfEviiT3_lPKT2_lT1_lS7_lS8_lS4_lPT4_lS8_li.has_indirect_call, 0
	.section	.AMDGPU.csdata,"",@progbits
; Kernel info:
; codeLenInByte = 1588
; TotalNumSgprs: 46
; NumVgprs: 25
; ScratchSize: 0
; MemoryBound: 0
; FloatMode: 240
; IeeeMode: 1
; LDSByteSize: 128 bytes/workgroup (compile time only)
; SGPRBlocks: 0
; VGPRBlocks: 3
; NumSGPRsForWavesPerEU: 46
; NumVGPRsForWavesPerEU: 25
; Occupancy: 16
; WaveLimiterHint : 1
; COMPUTE_PGM_RSRC2:SCRATCH_EN: 0
; COMPUTE_PGM_RSRC2:USER_SGPR: 2
; COMPUTE_PGM_RSRC2:TRAP_HANDLER: 0
; COMPUTE_PGM_RSRC2:TGID_X_EN: 1
; COMPUTE_PGM_RSRC2:TGID_Y_EN: 0
; COMPUTE_PGM_RSRC2:TGID_Z_EN: 1
; COMPUTE_PGM_RSRC2:TIDIG_COMP_CNT: 0
	.section	.text._ZL32rocblas_gemvt_warp_reduce_kernelILb0ELi256ElPKfS1_KPfEviiT3_lPKT2_lT1_lS7_lS8_lS4_lPT4_lS8_li,"axG",@progbits,_ZL32rocblas_gemvt_warp_reduce_kernelILb0ELi256ElPKfS1_KPfEviiT3_lPKT2_lT1_lS7_lS8_lS4_lPT4_lS8_li,comdat
	.globl	_ZL32rocblas_gemvt_warp_reduce_kernelILb0ELi256ElPKfS1_KPfEviiT3_lPKT2_lT1_lS7_lS8_lS4_lPT4_lS8_li ; -- Begin function _ZL32rocblas_gemvt_warp_reduce_kernelILb0ELi256ElPKfS1_KPfEviiT3_lPKT2_lT1_lS7_lS8_lS4_lPT4_lS8_li
	.p2align	8
	.type	_ZL32rocblas_gemvt_warp_reduce_kernelILb0ELi256ElPKfS1_KPfEviiT3_lPKT2_lT1_lS7_lS8_lS4_lPT4_lS8_li,@function
_ZL32rocblas_gemvt_warp_reduce_kernelILb0ELi256ElPKfS1_KPfEviiT3_lPKT2_lT1_lS7_lS8_lS4_lPT4_lS8_li: ; @_ZL32rocblas_gemvt_warp_reduce_kernelILb0ELi256ElPKfS1_KPfEviiT3_lPKT2_lT1_lS7_lS8_lS4_lPT4_lS8_li
; %bb.0:
	s_load_b32 s33, s[0:1], 0x88
	s_lshr_b32 s28, ttmp7, 16
	s_wait_kmcnt 0x0
	s_cmp_ge_u32 s28, s33
	s_cbranch_scc1 .LBB217_38
; %bb.1:
	s_clause 0x6
	s_load_b32 s40, s[0:1], 0x0
	s_load_b64 s[6:7], s[0:1], 0x48
	s_load_b256 s[8:15], s[0:1], 0x8
	s_load_b64 s[34:35], s[0:1], 0x28
	s_load_b128 s[24:27], s[0:1], 0x38
	s_load_b64 s[36:37], s[0:1], 0x78
	s_load_b256 s[16:23], s[0:1], 0x58
	v_and_b32_e32 v3, 31, v0
	v_lshrrev_b32_e32 v4, 3, v0
	v_mov_b32_e32 v13, 0
	s_mov_b32 s4, ttmp9
	s_ashr_i32 s5, ttmp9, 31
	v_mbcnt_lo_u32_b32 v14, -1, 0
	v_and_b32_e32 v16, 28, v4
	v_cmp_eq_u32_e64 s0, 0, v0
	v_cmp_gt_u32_e64 s1, 32, v0
	v_cmp_gt_u32_e64 s2, 8, v0
	v_lshl_or_b32 v18, v14, 2, 64
	s_mov_b32 s29, 0
	s_wait_kmcnt 0x0
	s_ashr_i32 s3, s40, 31
	v_mad_co_u64_u32 v[1:2], null, s6, v0, 0
	s_lshr_b32 s30, s3, 24
	v_cmp_eq_u32_e64 s3, 0, v3
	s_add_co_i32 s30, s40, s30
	v_cmp_gt_i32_e32 vcc_lo, s40, v0
	s_and_b32 s30, s30, 0xffffff00
	v_lshlrev_b32_e32 v15, 2, v3
	v_or_b32_e32 v5, s30, v0
	v_mad_co_u64_u32 v[2:3], null, s7, v0, v[2:3]
	s_ashr_i32 s31, s30, 31
	s_mul_u64 s[36:37], s[36:37], s[4:5]
	v_mul_lo_u32 v7, s7, v5
	v_mad_co_u64_u32 v[3:4], null, s6, v5, 0
	s_mul_u64 s[38:39], s[34:35], s[4:5]
	s_wait_alu 0xfffe
	s_mul_i32 s5, s6, s31
	v_cndmask_b32_e32 v6, 0, v0, vcc_lo
	v_lshlrev_b64_e32 v[1:2], 2, v[1:2]
	v_cmp_gt_i32_e64 s4, s30, v0
	s_lshl_b64 s[34:35], s[6:7], 10
	v_add3_u32 v4, v4, s5, v7
	v_cmp_gt_i32_e64 s5, s40, v5
	v_lshlrev_b32_e32 v17, 2, v6
	s_lshl_b64 s[14:15], s[14:15], 2
	s_lshl_b64 s[26:27], s[26:27], 2
	v_lshlrev_b64_e32 v[3:4], 2, v[3:4]
	s_lshl_b64 s[22:23], s[22:23], 2
	s_lshl_b64 s[36:37], s[36:37], 2
	s_lshl_b64 s[38:39], s[38:39], 2
	s_lshl_b64 s[40:41], s[30:31], 2
	s_branch .LBB217_4
.LBB217_2:                              ;   in Loop: Header=BB217_4 Depth=1
	s_wait_alu 0xfffe
	s_or_b32 exec_lo, exec_lo, s6
.LBB217_3:                              ;   in Loop: Header=BB217_4 Depth=1
	s_add_co_i32 s28, s28, 0x10000
	s_delay_alu instid0(SALU_CYCLE_1)
	s_cmp_lt_u32 s28, s33
	s_cbranch_scc0 .LBB217_38
.LBB217_4:                              ; =>This Loop Header: Depth=1
                                        ;     Child Loop BB217_27 Depth 2
	s_mul_u64 s[6:7], s[10:11], s[28:29]
	s_mul_u64 s[42:43], s[18:19], s[28:29]
	s_wait_alu 0xfffe
	s_lshl_b64 s[6:7], s[6:7], 2
	s_lshl_b64 s[42:43], s[42:43], 2
	s_wait_alu 0xfffe
	s_add_nc_u64 s[6:7], s[8:9], s[6:7]
	s_add_nc_u64 s[42:43], s[16:17], s[42:43]
	s_clause 0x1
	global_load_b32 v19, v13, s[6:7]
	global_load_b32 v5, v13, s[42:43]
	s_wait_loadcnt 0x1
	v_cmp_eq_f32_e64 s6, 0, v19
	s_wait_loadcnt 0x0
	v_cmp_eq_f32_e32 vcc_lo, 1.0, v5
	v_readfirstlane_b32 s31, v5
	s_wait_alu 0xfffe
	s_and_b32 s7, s6, vcc_lo
	s_wait_alu 0xfffe
	s_and_b32 vcc_lo, exec_lo, s7
	s_wait_alu 0xfffe
	s_cbranch_vccnz .LBB217_3
; %bb.5:                                ;   in Loop: Header=BB217_4 Depth=1
	v_mov_b32_e32 v5, 0
	s_wait_dscnt 0x0
	v_dual_mov_b32 v6, 0 :: v_dual_mov_b32 v7, 0
	v_cmp_neq_f32_e64 s7, 0, v19
	v_mov_b32_e32 v8, 0
	s_and_b32 vcc_lo, exec_lo, s6
	s_wait_alu 0xfffe
	s_cbranch_vccnz .LBB217_7
; %bb.6:                                ;   in Loop: Header=BB217_4 Depth=1
	s_lshl_b64 s[42:43], s[28:29], 3
	s_delay_alu instid0(SALU_CYCLE_1)
	s_add_nc_u64 s[42:43], s[12:13], s[42:43]
	global_load_b64 v[7:8], v13, s[42:43]
	s_wait_loadcnt 0x0
	v_add_co_u32 v7, vcc_lo, v7, s14
	s_wait_alu 0xfffd
	v_add_co_ci_u32_e64 v8, null, s15, v8, vcc_lo
.LBB217_7:                              ;   in Loop: Header=BB217_4 Depth=1
	s_and_not1_b32 vcc_lo, exec_lo, s7
	s_wait_alu 0xfffe
	s_cbranch_vccnz .LBB217_9
; %bb.8:                                ;   in Loop: Header=BB217_4 Depth=1
	s_lshl_b64 s[42:43], s[28:29], 3
	s_delay_alu instid0(SALU_CYCLE_1)
	s_add_nc_u64 s[42:43], s[24:25], s[42:43]
	global_load_b64 v[5:6], v13, s[42:43]
	s_wait_loadcnt 0x0
	v_add_co_u32 v5, vcc_lo, v5, s26
	s_wait_alu 0xfffd
	v_add_co_ci_u32_e64 v6, null, s27, v6, vcc_lo
.LBB217_9:                              ;   in Loop: Header=BB217_4 Depth=1
	s_lshl_b64 s[42:43], s[28:29], 3
	s_delay_alu instid0(SALU_CYCLE_1)
	s_add_nc_u64 s[42:43], s[20:21], s[42:43]
	global_load_b64 v[9:10], v13, s[42:43]
	s_wait_loadcnt 0x0
	v_add_co_u32 v20, vcc_lo, v9, s22
	s_wait_alu 0xfffd
	v_add_co_ci_u32_e64 v21, null, s23, v10, vcc_lo
	s_and_not1_b32 vcc_lo, exec_lo, s6
	s_wait_alu 0xfffe
	s_cbranch_vccnz .LBB217_13
; %bb.10:                               ;   in Loop: Header=BB217_4 Depth=1
	s_mov_b32 s6, 0
	s_mov_b32 s7, 0
                                        ; implicit-def: $vgpr9
	s_and_saveexec_b32 s42, s0
	s_cbranch_execz .LBB217_14
; %bb.11:                               ;   in Loop: Header=BB217_4 Depth=1
	s_cmp_eq_f32 s31, 0
	s_cbranch_scc1 .LBB217_15
; %bb.12:                               ;   in Loop: Header=BB217_4 Depth=1
	v_add_co_u32 v9, vcc_lo, v20, s36
	s_wait_alu 0xfffd
	v_add_co_ci_u32_e64 v10, null, s37, v21, vcc_lo
	flat_load_b32 v9, v[9:10]
	s_wait_loadcnt_dscnt 0x0
	v_mul_f32_e32 v9, s31, v9
	s_branch .LBB217_16
.LBB217_13:                             ;   in Loop: Header=BB217_4 Depth=1
	s_mov_b32 s7, 0
                                        ; implicit-def: $vgpr9
	s_cbranch_execnz .LBB217_17
	s_branch .LBB217_36
.LBB217_14:                             ;   in Loop: Header=BB217_4 Depth=1
	s_or_b32 exec_lo, exec_lo, s42
	s_wait_alu 0xfffe
	s_and_b32 vcc_lo, exec_lo, s6
	s_wait_alu 0xfffe
	s_cbranch_vccnz .LBB217_17
	s_branch .LBB217_36
.LBB217_15:                             ;   in Loop: Header=BB217_4 Depth=1
	v_mov_b32_e32 v9, 0
.LBB217_16:                             ;   in Loop: Header=BB217_4 Depth=1
	s_mov_b32 s7, exec_lo
	s_or_b32 exec_lo, exec_lo, s42
	s_wait_alu 0xfffe
	s_and_b32 vcc_lo, exec_lo, s6
	s_wait_alu 0xfffe
	s_cbranch_vccz .LBB217_36
.LBB217_17:                             ;   in Loop: Header=BB217_4 Depth=1
	v_add_co_u32 v7, vcc_lo, v7, v17
	s_wait_alu 0xfffd
	v_add_co_ci_u32_e64 v8, null, 0, v8, vcc_lo
	v_mov_b32_e32 v22, 0
	s_delay_alu instid0(VALU_DEP_3) | instskip(SKIP_1) | instid1(VALU_DEP_3)
	v_add_co_u32 v7, vcc_lo, v7, s38
	s_wait_alu 0xfffd
	v_add_co_ci_u32_e64 v8, null, s39, v8, vcc_lo
	s_and_saveexec_b32 s42, s4
	s_cbranch_execnz .LBB217_26
; %bb.18:                               ;   in Loop: Header=BB217_4 Depth=1
	s_or_b32 exec_lo, exec_lo, s42
	s_and_saveexec_b32 s6, s5
	s_cbranch_execnz .LBB217_29
.LBB217_19:                             ;   in Loop: Header=BB217_4 Depth=1
	s_wait_alu 0xfffe
	s_or_b32 exec_lo, exec_lo, s6
	s_and_saveexec_b32 s6, s1
.LBB217_20:                             ;   in Loop: Header=BB217_4 Depth=1
	ds_store_b32 v15, v13
.LBB217_21:                             ;   in Loop: Header=BB217_4 Depth=1
	s_wait_alu 0xfffe
	s_or_b32 exec_lo, exec_lo, s6
	ds_bpermute_b32 v5, v18, v22
	v_cmp_gt_u32_e32 vcc_lo, 24, v14
	s_wait_dscnt 0x0
	s_barrier_signal -1
	s_barrier_wait -1
	global_inv scope:SCOPE_SE
	s_wait_alu 0xfffd
	v_cndmask_b32_e64 v6, 0, 8, vcc_lo
	v_cmp_gt_u32_e32 vcc_lo, 28, v14
	s_delay_alu instid0(VALU_DEP_2)
	v_add_lshl_u32 v6, v6, v14, 2
	v_add_f32_e32 v7, v22, v5
	s_wait_alu 0xfffd
	v_cndmask_b32_e64 v5, 0, 4, vcc_lo
	v_cmp_gt_u32_e32 vcc_lo, 30, v14
	ds_bpermute_b32 v6, v6, v7
	v_add_lshl_u32 v5, v5, v14, 2
	s_wait_dscnt 0x0
	v_add_f32_e32 v7, v7, v6
	s_wait_alu 0xfffd
	v_cndmask_b32_e64 v6, 0, 2, vcc_lo
	v_cmp_ne_u32_e32 vcc_lo, 31, v14
	ds_bpermute_b32 v8, v5, v7
	v_add_lshl_u32 v6, v6, v14, 2
	s_wait_alu 0xfffd
	v_add_co_ci_u32_e64 v9, null, 0, v14, vcc_lo
	s_wait_dscnt 0x0
	v_add_f32_e32 v7, v7, v8
	ds_bpermute_b32 v8, v6, v7
	s_wait_dscnt 0x0
	v_dual_add_f32 v8, v7, v8 :: v_dual_lshlrev_b32 v7, 2, v9
	ds_bpermute_b32 v9, v7, v8
	s_and_saveexec_b32 s6, s3
	s_cbranch_execz .LBB217_23
; %bb.22:                               ;   in Loop: Header=BB217_4 Depth=1
	s_wait_dscnt 0x0
	v_add_f32_e32 v8, v8, v9
	ds_store_b32 v16, v8
.LBB217_23:                             ;   in Loop: Header=BB217_4 Depth=1
	s_wait_alu 0xfffe
	s_or_b32 exec_lo, exec_lo, s6
	v_mov_b32_e32 v8, 0
	s_wait_loadcnt_dscnt 0x0
	s_barrier_signal -1
	s_barrier_wait -1
	global_inv scope:SCOPE_SE
	s_and_saveexec_b32 s6, s2
	s_cbranch_execnz .LBB217_30
; %bb.24:                               ;   in Loop: Header=BB217_4 Depth=1
	s_wait_alu 0xfffe
	s_or_b32 exec_lo, exec_lo, s6
	s_and_saveexec_b32 s6, s1
	s_cbranch_execnz .LBB217_31
.LBB217_25:                             ;   in Loop: Header=BB217_4 Depth=1
	s_wait_alu 0xfffe
	s_or_b32 exec_lo, exec_lo, s6
                                        ; implicit-def: $vgpr9
	s_and_saveexec_b32 s6, s0
	s_cbranch_execnz .LBB217_32
	s_branch .LBB217_35
.LBB217_26:                             ;   in Loop: Header=BB217_4 Depth=1
	v_add_co_u32 v9, vcc_lo, v5, v1
	v_dual_mov_b32 v12, v8 :: v_dual_mov_b32 v23, v0
	s_wait_alu 0xfffd
	v_add_co_ci_u32_e64 v10, null, v6, v2, vcc_lo
	v_dual_mov_b32 v22, 0 :: v_dual_mov_b32 v11, v7
	s_mov_b32 s43, 0
.LBB217_27:                             ;   Parent Loop BB217_4 Depth=1
                                        ; =>  This Inner Loop Header: Depth=2
	flat_load_b32 v24, v[11:12]
	flat_load_b32 v25, v[9:10]
	v_add_nc_u32_e32 v23, 0x100, v23
	v_add_co_u32 v11, vcc_lo, 0x400, v11
	s_wait_alu 0xfffd
	v_add_co_ci_u32_e64 v12, null, 0, v12, vcc_lo
	v_add_co_u32 v9, vcc_lo, v9, s34
	s_wait_alu 0xfffd
	v_add_co_ci_u32_e64 v10, null, s35, v10, vcc_lo
	s_wait_loadcnt_dscnt 0x0
	v_fmac_f32_e32 v22, v24, v25
	v_cmp_le_i32_e64 s6, s30, v23
	s_or_b32 s43, s6, s43
	s_delay_alu instid0(SALU_CYCLE_1)
	s_and_not1_b32 exec_lo, exec_lo, s43
	s_cbranch_execnz .LBB217_27
; %bb.28:                               ;   in Loop: Header=BB217_4 Depth=1
	s_or_b32 exec_lo, exec_lo, s43
	s_delay_alu instid0(SALU_CYCLE_1)
	s_or_b32 exec_lo, exec_lo, s42
	s_and_saveexec_b32 s6, s5
	s_cbranch_execz .LBB217_19
.LBB217_29:                             ;   in Loop: Header=BB217_4 Depth=1
	v_add_co_u32 v7, vcc_lo, v7, s40
	s_wait_alu 0xfffd
	v_add_co_ci_u32_e64 v8, null, s41, v8, vcc_lo
	v_add_co_u32 v5, vcc_lo, v5, v3
	s_wait_alu 0xfffd
	v_add_co_ci_u32_e64 v6, null, v6, v4, vcc_lo
	flat_load_b32 v7, v[7:8]
	flat_load_b32 v5, v[5:6]
	s_wait_loadcnt_dscnt 0x0
	v_fmac_f32_e32 v22, v7, v5
	s_wait_alu 0xfffe
	s_or_b32 exec_lo, exec_lo, s6
	s_and_saveexec_b32 s6, s1
	s_cbranch_execnz .LBB217_20
	s_branch .LBB217_21
.LBB217_30:                             ;   in Loop: Header=BB217_4 Depth=1
	ds_load_b32 v8, v15
	s_wait_alu 0xfffe
	s_or_b32 exec_lo, exec_lo, s6
	s_and_saveexec_b32 s6, s1
	s_cbranch_execz .LBB217_25
.LBB217_31:                             ;   in Loop: Header=BB217_4 Depth=1
	s_wait_dscnt 0x0
	ds_bpermute_b32 v5, v5, v8
	s_wait_dscnt 0x0
	v_add_f32_e32 v5, v8, v5
	ds_bpermute_b32 v6, v6, v5
	s_wait_dscnt 0x0
	v_add_f32_e32 v5, v5, v6
	;; [unrolled: 3-line block ×3, first 2 shown]
	s_wait_alu 0xfffe
	s_or_b32 exec_lo, exec_lo, s6
                                        ; implicit-def: $vgpr9
	s_and_saveexec_b32 s6, s0
	s_cbranch_execz .LBB217_35
.LBB217_32:                             ;   in Loop: Header=BB217_4 Depth=1
	s_wait_dscnt 0x0
	v_mul_f32_e32 v9, v19, v8
	s_cmp_eq_f32 s31, 0
	s_cbranch_scc1 .LBB217_34
; %bb.33:                               ;   in Loop: Header=BB217_4 Depth=1
	v_add_co_u32 v5, vcc_lo, v20, s36
	s_wait_alu 0xfffd
	v_add_co_ci_u32_e64 v6, null, s37, v21, vcc_lo
	flat_load_b32 v5, v[5:6]
	s_wait_loadcnt_dscnt 0x0
	v_fmac_f32_e32 v9, s31, v5
.LBB217_34:                             ;   in Loop: Header=BB217_4 Depth=1
	s_or_b32 s7, s7, exec_lo
.LBB217_35:                             ;   in Loop: Header=BB217_4 Depth=1
	s_wait_alu 0xfffe
	s_or_b32 exec_lo, exec_lo, s6
.LBB217_36:                             ;   in Loop: Header=BB217_4 Depth=1
	s_wait_alu 0xfffe
	s_and_saveexec_b32 s6, s7
	s_cbranch_execz .LBB217_2
; %bb.37:                               ;   in Loop: Header=BB217_4 Depth=1
	v_add_co_u32 v5, vcc_lo, v20, s36
	s_wait_alu 0xfffd
	v_add_co_ci_u32_e64 v6, null, s37, v21, vcc_lo
	flat_store_b32 v[5:6], v9
	s_branch .LBB217_2
.LBB217_38:
	s_endpgm
	.section	.rodata,"a",@progbits
	.p2align	6, 0x0
	.amdhsa_kernel _ZL32rocblas_gemvt_warp_reduce_kernelILb0ELi256ElPKfS1_KPfEviiT3_lPKT2_lT1_lS7_lS8_lS4_lPT4_lS8_li
		.amdhsa_group_segment_fixed_size 128
		.amdhsa_private_segment_fixed_size 0
		.amdhsa_kernarg_size 140
		.amdhsa_user_sgpr_count 2
		.amdhsa_user_sgpr_dispatch_ptr 0
		.amdhsa_user_sgpr_queue_ptr 0
		.amdhsa_user_sgpr_kernarg_segment_ptr 1
		.amdhsa_user_sgpr_dispatch_id 0
		.amdhsa_user_sgpr_private_segment_size 0
		.amdhsa_wavefront_size32 1
		.amdhsa_uses_dynamic_stack 0
		.amdhsa_enable_private_segment 0
		.amdhsa_system_sgpr_workgroup_id_x 1
		.amdhsa_system_sgpr_workgroup_id_y 0
		.amdhsa_system_sgpr_workgroup_id_z 1
		.amdhsa_system_sgpr_workgroup_info 0
		.amdhsa_system_vgpr_workitem_id 0
		.amdhsa_next_free_vgpr 26
		.amdhsa_next_free_sgpr 44
		.amdhsa_reserve_vcc 1
		.amdhsa_float_round_mode_32 0
		.amdhsa_float_round_mode_16_64 0
		.amdhsa_float_denorm_mode_32 3
		.amdhsa_float_denorm_mode_16_64 3
		.amdhsa_fp16_overflow 0
		.amdhsa_workgroup_processor_mode 1
		.amdhsa_memory_ordered 1
		.amdhsa_forward_progress 1
		.amdhsa_inst_pref_size 13
		.amdhsa_round_robin_scheduling 0
		.amdhsa_exception_fp_ieee_invalid_op 0
		.amdhsa_exception_fp_denorm_src 0
		.amdhsa_exception_fp_ieee_div_zero 0
		.amdhsa_exception_fp_ieee_overflow 0
		.amdhsa_exception_fp_ieee_underflow 0
		.amdhsa_exception_fp_ieee_inexact 0
		.amdhsa_exception_int_div_zero 0
	.end_amdhsa_kernel
	.section	.text._ZL32rocblas_gemvt_warp_reduce_kernelILb0ELi256ElPKfS1_KPfEviiT3_lPKT2_lT1_lS7_lS8_lS4_lPT4_lS8_li,"axG",@progbits,_ZL32rocblas_gemvt_warp_reduce_kernelILb0ELi256ElPKfS1_KPfEviiT3_lPKT2_lT1_lS7_lS8_lS4_lPT4_lS8_li,comdat
.Lfunc_end217:
	.size	_ZL32rocblas_gemvt_warp_reduce_kernelILb0ELi256ElPKfS1_KPfEviiT3_lPKT2_lT1_lS7_lS8_lS4_lPT4_lS8_li, .Lfunc_end217-_ZL32rocblas_gemvt_warp_reduce_kernelILb0ELi256ElPKfS1_KPfEviiT3_lPKT2_lT1_lS7_lS8_lS4_lPT4_lS8_li
                                        ; -- End function
	.set _ZL32rocblas_gemvt_warp_reduce_kernelILb0ELi256ElPKfS1_KPfEviiT3_lPKT2_lT1_lS7_lS8_lS4_lPT4_lS8_li.num_vgpr, 26
	.set _ZL32rocblas_gemvt_warp_reduce_kernelILb0ELi256ElPKfS1_KPfEviiT3_lPKT2_lT1_lS7_lS8_lS4_lPT4_lS8_li.num_agpr, 0
	.set _ZL32rocblas_gemvt_warp_reduce_kernelILb0ELi256ElPKfS1_KPfEviiT3_lPKT2_lT1_lS7_lS8_lS4_lPT4_lS8_li.numbered_sgpr, 44
	.set _ZL32rocblas_gemvt_warp_reduce_kernelILb0ELi256ElPKfS1_KPfEviiT3_lPKT2_lT1_lS7_lS8_lS4_lPT4_lS8_li.num_named_barrier, 0
	.set _ZL32rocblas_gemvt_warp_reduce_kernelILb0ELi256ElPKfS1_KPfEviiT3_lPKT2_lT1_lS7_lS8_lS4_lPT4_lS8_li.private_seg_size, 0
	.set _ZL32rocblas_gemvt_warp_reduce_kernelILb0ELi256ElPKfS1_KPfEviiT3_lPKT2_lT1_lS7_lS8_lS4_lPT4_lS8_li.uses_vcc, 1
	.set _ZL32rocblas_gemvt_warp_reduce_kernelILb0ELi256ElPKfS1_KPfEviiT3_lPKT2_lT1_lS7_lS8_lS4_lPT4_lS8_li.uses_flat_scratch, 0
	.set _ZL32rocblas_gemvt_warp_reduce_kernelILb0ELi256ElPKfS1_KPfEviiT3_lPKT2_lT1_lS7_lS8_lS4_lPT4_lS8_li.has_dyn_sized_stack, 0
	.set _ZL32rocblas_gemvt_warp_reduce_kernelILb0ELi256ElPKfS1_KPfEviiT3_lPKT2_lT1_lS7_lS8_lS4_lPT4_lS8_li.has_recursion, 0
	.set _ZL32rocblas_gemvt_warp_reduce_kernelILb0ELi256ElPKfS1_KPfEviiT3_lPKT2_lT1_lS7_lS8_lS4_lPT4_lS8_li.has_indirect_call, 0
	.section	.AMDGPU.csdata,"",@progbits
; Kernel info:
; codeLenInByte = 1656
; TotalNumSgprs: 46
; NumVgprs: 26
; ScratchSize: 0
; MemoryBound: 0
; FloatMode: 240
; IeeeMode: 1
; LDSByteSize: 128 bytes/workgroup (compile time only)
; SGPRBlocks: 0
; VGPRBlocks: 3
; NumSGPRsForWavesPerEU: 46
; NumVGPRsForWavesPerEU: 26
; Occupancy: 16
; WaveLimiterHint : 1
; COMPUTE_PGM_RSRC2:SCRATCH_EN: 0
; COMPUTE_PGM_RSRC2:USER_SGPR: 2
; COMPUTE_PGM_RSRC2:TRAP_HANDLER: 0
; COMPUTE_PGM_RSRC2:TGID_X_EN: 1
; COMPUTE_PGM_RSRC2:TGID_Y_EN: 0
; COMPUTE_PGM_RSRC2:TGID_Z_EN: 1
; COMPUTE_PGM_RSRC2:TIDIG_COMP_CNT: 0
	.section	.text._ZL32rocblas_gemvt_warp_reduce_kernelILb0ELi256EiPKffKPfEviiT3_lPKT2_lT1_lS7_lS8_lS4_lPT4_lS8_li,"axG",@progbits,_ZL32rocblas_gemvt_warp_reduce_kernelILb0ELi256EiPKffKPfEviiT3_lPKT2_lT1_lS7_lS8_lS4_lPT4_lS8_li,comdat
	.globl	_ZL32rocblas_gemvt_warp_reduce_kernelILb0ELi256EiPKffKPfEviiT3_lPKT2_lT1_lS7_lS8_lS4_lPT4_lS8_li ; -- Begin function _ZL32rocblas_gemvt_warp_reduce_kernelILb0ELi256EiPKffKPfEviiT3_lPKT2_lT1_lS7_lS8_lS4_lPT4_lS8_li
	.p2align	8
	.type	_ZL32rocblas_gemvt_warp_reduce_kernelILb0ELi256EiPKffKPfEviiT3_lPKT2_lT1_lS7_lS8_lS4_lPT4_lS8_li,@function
_ZL32rocblas_gemvt_warp_reduce_kernelILb0ELi256EiPKffKPfEviiT3_lPKT2_lT1_lS7_lS8_lS4_lPT4_lS8_li: ; @_ZL32rocblas_gemvt_warp_reduce_kernelILb0ELi256EiPKffKPfEviiT3_lPKT2_lT1_lS7_lS8_lS4_lPT4_lS8_li
; %bb.0:
	s_load_b32 s7, s[0:1], 0x88
	s_lshr_b32 s20, ttmp7, 16
	s_wait_kmcnt 0x0
	s_cmp_ge_u32 s20, s7
	s_cbranch_scc1 .LBB218_41
; %bb.1:
	s_clause 0x8
	s_load_b32 s30, s[0:1], 0x8
	s_load_b32 s31, s[0:1], 0x58
	s_load_b128 s[8:11], s[0:1], 0x18
	s_load_b32 s4, s[0:1], 0x28
	s_load_b32 s5, s[0:1], 0x0
	s_load_b128 s[12:15], s[0:1], 0x38
	s_load_b32 s6, s[0:1], 0x48
	s_load_b128 s[16:19], s[0:1], 0x68
	s_load_b32 s22, s[0:1], 0x78
	v_lshrrev_b32_e32 v2, 3, v0
	v_mov_b32_e32 v11, 0
	v_and_b32_e32 v1, 31, v0
	v_mbcnt_lo_u32_b32 v16, -1, 0
	v_cmp_eq_u32_e64 s0, 0, v0
	v_and_b32_e32 v14, 28, v2
	v_cmp_gt_u32_e64 s1, 32, v0
	v_lshlrev_b32_e32 v13, 2, v1
	v_lshl_or_b32 v18, v16, 2, 64
	s_mov_b32 s21, 0
	s_wait_kmcnt 0x0
	s_cmp_eq_f32 s30, 0
	v_cmp_gt_i32_e32 vcc_lo, s5, v0
	s_mul_i32 s26, s4, ttmp9
	s_cselect_b32 s33, -1, 0
	s_cmp_neq_f32 s31, 1.0
	s_mul_i32 s24, s22, ttmp9
	v_cndmask_b32_e32 v3, 0, v0, vcc_lo
	v_mul_lo_u32 v15, v0, s6
	s_cselect_b32 s2, -1, 0
	s_cmp_neq_f32 s30, 0
	s_delay_alu instid0(VALU_DEP_2) | instskip(SKIP_1) | instid1(SALU_CYCLE_1)
	v_lshlrev_b32_e32 v17, 2, v3
	s_cselect_b32 s3, -1, 0
	s_or_b32 s34, s3, s2
	s_cmp_neq_f32 s31, 0
	v_cndmask_b32_e64 v12, 0, 1, s3
	v_cmp_eq_u32_e64 s3, 0, v1
	v_cmp_gt_u32_e64 s2, 8, v0
	s_cselect_b32 s35, -1, 0
	s_ashr_i32 s23, s5, 31
	s_ashr_i32 s25, s24, 31
	s_lshr_b32 s23, s23, 24
	s_ashr_i32 s27, s26, 31
	s_add_co_i32 s23, s5, s23
	s_lshl_b32 s36, s6, 8
	s_and_b32 s22, s23, 0xffffff00
	s_lshl_b64 s[10:11], s[10:11], 2
	v_or_b32_e32 v2, s22, v0
	v_cmp_gt_i32_e64 s4, s22, v0
	s_ashr_i32 s23, s22, 31
	s_lshl_b64 s[14:15], s[14:15], 2
	s_lshl_b64 s[18:19], s[18:19], 2
	v_mul_lo_u32 v1, s6, v2
	v_cmp_gt_i32_e64 s5, s5, v2
	s_lshl_b64 s[24:25], s[24:25], 2
	s_lshl_b64 s[26:27], s[26:27], 2
	s_wait_alu 0xfffe
	s_lshl_b64 s[28:29], s[22:23], 2
	v_ashrrev_i32_e32 v2, 31, v1
	s_delay_alu instid0(VALU_DEP_1)
	v_lshlrev_b64_e32 v[1:2], 2, v[1:2]
	s_branch .LBB218_4
.LBB218_2:                              ;   in Loop: Header=BB218_4 Depth=1
	s_wait_alu 0xfffe
	s_or_b32 exec_lo, exec_lo, s6
.LBB218_3:                              ;   in Loop: Header=BB218_4 Depth=1
	s_add_co_i32 s20, s20, 0x10000
	s_delay_alu instid0(SALU_CYCLE_1)
	s_cmp_lt_u32 s20, s7
	s_cbranch_scc0 .LBB218_41
.LBB218_4:                              ; =>This Loop Header: Depth=1
                                        ;     Child Loop BB218_30 Depth 2
	s_and_not1_b32 vcc_lo, exec_lo, s34
	s_wait_alu 0xfffe
	s_cbranch_vccnz .LBB218_3
; %bb.5:                                ;   in Loop: Header=BB218_4 Depth=1
	s_and_not1_b32 vcc_lo, exec_lo, s33
	s_wait_alu 0xfffe
	s_cbranch_vccnz .LBB218_7
; %bb.6:                                ;   in Loop: Header=BB218_4 Depth=1
	s_mov_b32 s6, 0
	s_branch .LBB218_8
.LBB218_7:                              ;   in Loop: Header=BB218_4 Depth=1
	s_mov_b32 s6, -1
.LBB218_8:                              ;   in Loop: Header=BB218_4 Depth=1
	v_mov_b32_e32 v3, 0
	s_wait_dscnt 0x0
	v_dual_mov_b32 v4, 0 :: v_dual_mov_b32 v5, 0
	v_mov_b32_e32 v6, 0
	s_wait_alu 0xfffe
	s_and_not1_b32 vcc_lo, exec_lo, s6
	s_wait_alu 0xfffe
	s_cbranch_vccnz .LBB218_10
; %bb.9:                                ;   in Loop: Header=BB218_4 Depth=1
	s_lshl_b64 s[38:39], s[20:21], 3
	s_delay_alu instid0(SALU_CYCLE_1)
	s_add_nc_u64 s[38:39], s[8:9], s[38:39]
	global_load_b64 v[5:6], v11, s[38:39]
	s_wait_loadcnt 0x0
	v_add_co_u32 v5, vcc_lo, v5, s10
	s_wait_alu 0xfffd
	v_add_co_ci_u32_e64 v6, null, s11, v6, vcc_lo
.LBB218_10:                             ;   in Loop: Header=BB218_4 Depth=1
	v_cmp_ne_u32_e32 vcc_lo, 1, v12
	s_cbranch_vccnz .LBB218_12
; %bb.11:                               ;   in Loop: Header=BB218_4 Depth=1
	s_lshl_b64 s[38:39], s[20:21], 3
	s_delay_alu instid0(SALU_CYCLE_1)
	s_add_nc_u64 s[38:39], s[12:13], s[38:39]
	global_load_b64 v[3:4], v11, s[38:39]
	s_wait_loadcnt 0x0
	v_add_co_u32 v3, vcc_lo, v3, s14
	s_wait_alu 0xfffd
	v_add_co_ci_u32_e64 v4, null, s15, v4, vcc_lo
.LBB218_12:                             ;   in Loop: Header=BB218_4 Depth=1
	s_lshl_b64 s[38:39], s[20:21], 3
	s_delay_alu instid0(SALU_CYCLE_1)
	s_add_nc_u64 s[38:39], s[16:17], s[38:39]
	global_load_b64 v[7:8], v11, s[38:39]
	s_wait_loadcnt 0x0
	v_add_co_u32 v19, vcc_lo, v7, s18
	s_wait_alu 0xfffd
	v_add_co_ci_u32_e64 v20, null, s19, v8, vcc_lo
	s_and_not1_b32 vcc_lo, exec_lo, s33
	s_wait_alu 0xfffe
	s_cbranch_vccnz .LBB218_16
; %bb.13:                               ;   in Loop: Header=BB218_4 Depth=1
	s_mov_b32 s6, 0
	s_mov_b32 s23, 0
                                        ; implicit-def: $vgpr7
	s_and_saveexec_b32 s37, s0
	s_cbranch_execz .LBB218_17
; %bb.14:                               ;   in Loop: Header=BB218_4 Depth=1
	s_and_not1_b32 vcc_lo, exec_lo, s35
	s_wait_alu 0xfffe
	s_cbranch_vccnz .LBB218_18
; %bb.15:                               ;   in Loop: Header=BB218_4 Depth=1
	v_add_co_u32 v7, vcc_lo, v19, s24
	s_wait_alu 0xfffd
	v_add_co_ci_u32_e64 v8, null, s25, v20, vcc_lo
	flat_load_b32 v7, v[7:8]
	s_wait_loadcnt_dscnt 0x0
	v_mul_f32_e32 v7, s31, v7
	s_branch .LBB218_19
.LBB218_16:                             ;   in Loop: Header=BB218_4 Depth=1
	s_mov_b32 s23, 0
                                        ; implicit-def: $vgpr7
	s_cbranch_execnz .LBB218_20
	s_branch .LBB218_39
.LBB218_17:                             ;   in Loop: Header=BB218_4 Depth=1
	s_wait_alu 0xfffe
	s_or_b32 exec_lo, exec_lo, s37
	s_delay_alu instid0(SALU_CYCLE_1)
	s_and_b32 vcc_lo, exec_lo, s6
	s_wait_alu 0xfffe
	s_cbranch_vccnz .LBB218_20
	s_branch .LBB218_39
.LBB218_18:                             ;   in Loop: Header=BB218_4 Depth=1
	v_mov_b32_e32 v7, 0
.LBB218_19:                             ;   in Loop: Header=BB218_4 Depth=1
	s_mov_b32 s23, exec_lo
	s_or_b32 exec_lo, exec_lo, s37
	s_delay_alu instid0(SALU_CYCLE_1)
	s_and_b32 vcc_lo, exec_lo, s6
	s_wait_alu 0xfffe
	s_cbranch_vccz .LBB218_39
.LBB218_20:                             ;   in Loop: Header=BB218_4 Depth=1
	v_add_co_u32 v5, vcc_lo, v5, v17
	s_wait_alu 0xfffd
	v_add_co_ci_u32_e64 v6, null, 0, v6, vcc_lo
	v_mov_b32_e32 v21, 0
	s_delay_alu instid0(VALU_DEP_3) | instskip(SKIP_1) | instid1(VALU_DEP_3)
	v_add_co_u32 v5, vcc_lo, v5, s26
	s_wait_alu 0xfffd
	v_add_co_ci_u32_e64 v6, null, s27, v6, vcc_lo
	s_and_saveexec_b32 s37, s4
	s_cbranch_execnz .LBB218_29
; %bb.21:                               ;   in Loop: Header=BB218_4 Depth=1
	s_wait_alu 0xfffe
	s_or_b32 exec_lo, exec_lo, s37
	s_and_saveexec_b32 s6, s5
	s_cbranch_execnz .LBB218_32
.LBB218_22:                             ;   in Loop: Header=BB218_4 Depth=1
	s_wait_alu 0xfffe
	s_or_b32 exec_lo, exec_lo, s6
	s_and_saveexec_b32 s6, s1
.LBB218_23:                             ;   in Loop: Header=BB218_4 Depth=1
	ds_store_b32 v13, v11
.LBB218_24:                             ;   in Loop: Header=BB218_4 Depth=1
	s_wait_alu 0xfffe
	s_or_b32 exec_lo, exec_lo, s6
	ds_bpermute_b32 v3, v18, v21
	v_cmp_gt_u32_e32 vcc_lo, 24, v16
	s_wait_dscnt 0x0
	s_barrier_signal -1
	s_barrier_wait -1
	global_inv scope:SCOPE_SE
	s_wait_alu 0xfffd
	v_cndmask_b32_e64 v4, 0, 8, vcc_lo
	v_cmp_gt_u32_e32 vcc_lo, 28, v16
	s_delay_alu instid0(VALU_DEP_2)
	v_add_lshl_u32 v4, v4, v16, 2
	v_add_f32_e32 v5, v21, v3
	s_wait_alu 0xfffd
	v_cndmask_b32_e64 v3, 0, 4, vcc_lo
	v_cmp_gt_u32_e32 vcc_lo, 30, v16
	ds_bpermute_b32 v4, v4, v5
	v_add_lshl_u32 v3, v3, v16, 2
	s_wait_dscnt 0x0
	v_add_f32_e32 v5, v5, v4
	s_wait_alu 0xfffd
	v_cndmask_b32_e64 v4, 0, 2, vcc_lo
	v_cmp_ne_u32_e32 vcc_lo, 31, v16
	ds_bpermute_b32 v6, v3, v5
	v_add_lshl_u32 v4, v4, v16, 2
	s_wait_alu 0xfffd
	v_add_co_ci_u32_e64 v7, null, 0, v16, vcc_lo
	s_wait_dscnt 0x0
	v_add_f32_e32 v5, v5, v6
	ds_bpermute_b32 v6, v4, v5
	s_wait_dscnt 0x0
	v_dual_add_f32 v6, v5, v6 :: v_dual_lshlrev_b32 v5, 2, v7
	ds_bpermute_b32 v7, v5, v6
	s_and_saveexec_b32 s6, s3
	s_cbranch_execz .LBB218_26
; %bb.25:                               ;   in Loop: Header=BB218_4 Depth=1
	s_wait_dscnt 0x0
	v_add_f32_e32 v6, v6, v7
	ds_store_b32 v14, v6
.LBB218_26:                             ;   in Loop: Header=BB218_4 Depth=1
	s_wait_alu 0xfffe
	s_or_b32 exec_lo, exec_lo, s6
	v_mov_b32_e32 v6, 0
	s_wait_loadcnt_dscnt 0x0
	s_barrier_signal -1
	s_barrier_wait -1
	global_inv scope:SCOPE_SE
	s_and_saveexec_b32 s6, s2
	s_cbranch_execnz .LBB218_33
; %bb.27:                               ;   in Loop: Header=BB218_4 Depth=1
	s_wait_alu 0xfffe
	s_or_b32 exec_lo, exec_lo, s6
	s_and_saveexec_b32 s6, s1
	s_cbranch_execnz .LBB218_34
.LBB218_28:                             ;   in Loop: Header=BB218_4 Depth=1
	s_wait_alu 0xfffe
	s_or_b32 exec_lo, exec_lo, s6
                                        ; implicit-def: $vgpr7
	s_and_saveexec_b32 s6, s0
	s_cbranch_execnz .LBB218_35
	s_branch .LBB218_38
.LBB218_29:                             ;   in Loop: Header=BB218_4 Depth=1
	v_dual_mov_b32 v21, 0 :: v_dual_mov_b32 v10, v6
	v_dual_mov_b32 v7, v15 :: v_dual_mov_b32 v22, v0
	v_mov_b32_e32 v9, v5
	s_mov_b32 s38, 0
.LBB218_30:                             ;   Parent Loop BB218_4 Depth=1
                                        ; =>  This Inner Loop Header: Depth=2
	s_delay_alu instid0(VALU_DEP_2) | instskip(NEXT) | instid1(VALU_DEP_1)
	v_ashrrev_i32_e32 v8, 31, v7
	v_lshlrev_b64_e32 v[23:24], 2, v[7:8]
	v_add_nc_u32_e32 v7, s36, v7
	s_delay_alu instid0(VALU_DEP_2) | instskip(SKIP_1) | instid1(VALU_DEP_3)
	v_add_co_u32 v23, vcc_lo, v3, v23
	s_wait_alu 0xfffd
	v_add_co_ci_u32_e64 v24, null, v4, v24, vcc_lo
	flat_load_b32 v8, v[9:10]
	flat_load_b32 v23, v[23:24]
	v_add_nc_u32_e32 v22, 0x100, v22
	v_add_co_u32 v9, vcc_lo, 0x400, v9
	s_wait_alu 0xfffd
	v_add_co_ci_u32_e64 v10, null, 0, v10, vcc_lo
	s_wait_loadcnt_dscnt 0x0
	v_fmac_f32_e32 v21, v8, v23
	v_cmp_le_i32_e64 s6, s22, v22
	s_or_b32 s38, s6, s38
	s_delay_alu instid0(SALU_CYCLE_1)
	s_and_not1_b32 exec_lo, exec_lo, s38
	s_cbranch_execnz .LBB218_30
; %bb.31:                               ;   in Loop: Header=BB218_4 Depth=1
	s_or_b32 exec_lo, exec_lo, s38
	s_wait_alu 0xfffe
	s_or_b32 exec_lo, exec_lo, s37
	s_and_saveexec_b32 s6, s5
	s_cbranch_execz .LBB218_22
.LBB218_32:                             ;   in Loop: Header=BB218_4 Depth=1
	v_add_co_u32 v5, vcc_lo, v5, s28
	s_wait_alu 0xfffd
	v_add_co_ci_u32_e64 v6, null, s29, v6, vcc_lo
	v_add_co_u32 v3, vcc_lo, v3, v1
	s_wait_alu 0xfffd
	v_add_co_ci_u32_e64 v4, null, v4, v2, vcc_lo
	flat_load_b32 v5, v[5:6]
	flat_load_b32 v3, v[3:4]
	s_wait_loadcnt_dscnt 0x0
	v_fmac_f32_e32 v21, v5, v3
	s_wait_alu 0xfffe
	s_or_b32 exec_lo, exec_lo, s6
	s_and_saveexec_b32 s6, s1
	s_cbranch_execnz .LBB218_23
	s_branch .LBB218_24
.LBB218_33:                             ;   in Loop: Header=BB218_4 Depth=1
	ds_load_b32 v6, v13
	s_wait_alu 0xfffe
	s_or_b32 exec_lo, exec_lo, s6
	s_and_saveexec_b32 s6, s1
	s_cbranch_execz .LBB218_28
.LBB218_34:                             ;   in Loop: Header=BB218_4 Depth=1
	s_wait_dscnt 0x0
	ds_bpermute_b32 v3, v3, v6
	s_wait_dscnt 0x0
	v_add_f32_e32 v3, v6, v3
	ds_bpermute_b32 v4, v4, v3
	s_wait_dscnt 0x0
	v_add_f32_e32 v3, v3, v4
	;; [unrolled: 3-line block ×3, first 2 shown]
	s_wait_alu 0xfffe
	s_or_b32 exec_lo, exec_lo, s6
                                        ; implicit-def: $vgpr7
	s_and_saveexec_b32 s6, s0
	s_cbranch_execz .LBB218_38
.LBB218_35:                             ;   in Loop: Header=BB218_4 Depth=1
	s_wait_dscnt 0x0
	v_mul_f32_e32 v7, s30, v6
	s_and_not1_b32 vcc_lo, exec_lo, s35
	s_wait_alu 0xfffe
	s_cbranch_vccnz .LBB218_37
; %bb.36:                               ;   in Loop: Header=BB218_4 Depth=1
	v_add_co_u32 v3, vcc_lo, v19, s24
	s_wait_alu 0xfffd
	v_add_co_ci_u32_e64 v4, null, s25, v20, vcc_lo
	flat_load_b32 v3, v[3:4]
	s_wait_loadcnt_dscnt 0x0
	v_fmac_f32_e32 v7, s31, v3
.LBB218_37:                             ;   in Loop: Header=BB218_4 Depth=1
	s_or_b32 s23, s23, exec_lo
.LBB218_38:                             ;   in Loop: Header=BB218_4 Depth=1
	s_wait_alu 0xfffe
	s_or_b32 exec_lo, exec_lo, s6
.LBB218_39:                             ;   in Loop: Header=BB218_4 Depth=1
	s_wait_alu 0xfffe
	s_and_saveexec_b32 s6, s23
	s_cbranch_execz .LBB218_2
; %bb.40:                               ;   in Loop: Header=BB218_4 Depth=1
	v_add_co_u32 v3, vcc_lo, v19, s24
	s_wait_alu 0xfffd
	v_add_co_ci_u32_e64 v4, null, s25, v20, vcc_lo
	flat_store_b32 v[3:4], v7
	s_branch .LBB218_2
.LBB218_41:
	s_endpgm
	.section	.rodata,"a",@progbits
	.p2align	6, 0x0
	.amdhsa_kernel _ZL32rocblas_gemvt_warp_reduce_kernelILb0ELi256EiPKffKPfEviiT3_lPKT2_lT1_lS7_lS8_lS4_lPT4_lS8_li
		.amdhsa_group_segment_fixed_size 128
		.amdhsa_private_segment_fixed_size 0
		.amdhsa_kernarg_size 140
		.amdhsa_user_sgpr_count 2
		.amdhsa_user_sgpr_dispatch_ptr 0
		.amdhsa_user_sgpr_queue_ptr 0
		.amdhsa_user_sgpr_kernarg_segment_ptr 1
		.amdhsa_user_sgpr_dispatch_id 0
		.amdhsa_user_sgpr_private_segment_size 0
		.amdhsa_wavefront_size32 1
		.amdhsa_uses_dynamic_stack 0
		.amdhsa_enable_private_segment 0
		.amdhsa_system_sgpr_workgroup_id_x 1
		.amdhsa_system_sgpr_workgroup_id_y 0
		.amdhsa_system_sgpr_workgroup_id_z 1
		.amdhsa_system_sgpr_workgroup_info 0
		.amdhsa_system_vgpr_workitem_id 0
		.amdhsa_next_free_vgpr 25
		.amdhsa_next_free_sgpr 40
		.amdhsa_reserve_vcc 1
		.amdhsa_float_round_mode_32 0
		.amdhsa_float_round_mode_16_64 0
		.amdhsa_float_denorm_mode_32 3
		.amdhsa_float_denorm_mode_16_64 3
		.amdhsa_fp16_overflow 0
		.amdhsa_workgroup_processor_mode 1
		.amdhsa_memory_ordered 1
		.amdhsa_forward_progress 1
		.amdhsa_inst_pref_size 13
		.amdhsa_round_robin_scheduling 0
		.amdhsa_exception_fp_ieee_invalid_op 0
		.amdhsa_exception_fp_denorm_src 0
		.amdhsa_exception_fp_ieee_div_zero 0
		.amdhsa_exception_fp_ieee_overflow 0
		.amdhsa_exception_fp_ieee_underflow 0
		.amdhsa_exception_fp_ieee_inexact 0
		.amdhsa_exception_int_div_zero 0
	.end_amdhsa_kernel
	.section	.text._ZL32rocblas_gemvt_warp_reduce_kernelILb0ELi256EiPKffKPfEviiT3_lPKT2_lT1_lS7_lS8_lS4_lPT4_lS8_li,"axG",@progbits,_ZL32rocblas_gemvt_warp_reduce_kernelILb0ELi256EiPKffKPfEviiT3_lPKT2_lT1_lS7_lS8_lS4_lPT4_lS8_li,comdat
.Lfunc_end218:
	.size	_ZL32rocblas_gemvt_warp_reduce_kernelILb0ELi256EiPKffKPfEviiT3_lPKT2_lT1_lS7_lS8_lS4_lPT4_lS8_li, .Lfunc_end218-_ZL32rocblas_gemvt_warp_reduce_kernelILb0ELi256EiPKffKPfEviiT3_lPKT2_lT1_lS7_lS8_lS4_lPT4_lS8_li
                                        ; -- End function
	.set _ZL32rocblas_gemvt_warp_reduce_kernelILb0ELi256EiPKffKPfEviiT3_lPKT2_lT1_lS7_lS8_lS4_lPT4_lS8_li.num_vgpr, 25
	.set _ZL32rocblas_gemvt_warp_reduce_kernelILb0ELi256EiPKffKPfEviiT3_lPKT2_lT1_lS7_lS8_lS4_lPT4_lS8_li.num_agpr, 0
	.set _ZL32rocblas_gemvt_warp_reduce_kernelILb0ELi256EiPKffKPfEviiT3_lPKT2_lT1_lS7_lS8_lS4_lPT4_lS8_li.numbered_sgpr, 40
	.set _ZL32rocblas_gemvt_warp_reduce_kernelILb0ELi256EiPKffKPfEviiT3_lPKT2_lT1_lS7_lS8_lS4_lPT4_lS8_li.num_named_barrier, 0
	.set _ZL32rocblas_gemvt_warp_reduce_kernelILb0ELi256EiPKffKPfEviiT3_lPKT2_lT1_lS7_lS8_lS4_lPT4_lS8_li.private_seg_size, 0
	.set _ZL32rocblas_gemvt_warp_reduce_kernelILb0ELi256EiPKffKPfEviiT3_lPKT2_lT1_lS7_lS8_lS4_lPT4_lS8_li.uses_vcc, 1
	.set _ZL32rocblas_gemvt_warp_reduce_kernelILb0ELi256EiPKffKPfEviiT3_lPKT2_lT1_lS7_lS8_lS4_lPT4_lS8_li.uses_flat_scratch, 0
	.set _ZL32rocblas_gemvt_warp_reduce_kernelILb0ELi256EiPKffKPfEviiT3_lPKT2_lT1_lS7_lS8_lS4_lPT4_lS8_li.has_dyn_sized_stack, 0
	.set _ZL32rocblas_gemvt_warp_reduce_kernelILb0ELi256EiPKffKPfEviiT3_lPKT2_lT1_lS7_lS8_lS4_lPT4_lS8_li.has_recursion, 0
	.set _ZL32rocblas_gemvt_warp_reduce_kernelILb0ELi256EiPKffKPfEviiT3_lPKT2_lT1_lS7_lS8_lS4_lPT4_lS8_li.has_indirect_call, 0
	.section	.AMDGPU.csdata,"",@progbits
; Kernel info:
; codeLenInByte = 1636
; TotalNumSgprs: 42
; NumVgprs: 25
; ScratchSize: 0
; MemoryBound: 0
; FloatMode: 240
; IeeeMode: 1
; LDSByteSize: 128 bytes/workgroup (compile time only)
; SGPRBlocks: 0
; VGPRBlocks: 3
; NumSGPRsForWavesPerEU: 42
; NumVGPRsForWavesPerEU: 25
; Occupancy: 16
; WaveLimiterHint : 1
; COMPUTE_PGM_RSRC2:SCRATCH_EN: 0
; COMPUTE_PGM_RSRC2:USER_SGPR: 2
; COMPUTE_PGM_RSRC2:TRAP_HANDLER: 0
; COMPUTE_PGM_RSRC2:TGID_X_EN: 1
; COMPUTE_PGM_RSRC2:TGID_Y_EN: 0
; COMPUTE_PGM_RSRC2:TGID_Z_EN: 1
; COMPUTE_PGM_RSRC2:TIDIG_COMP_CNT: 0
	.section	.text._ZL32rocblas_gemvt_warp_reduce_kernelILb0ELi256ElPKffKPfEviiT3_lPKT2_lT1_lS7_lS8_lS4_lPT4_lS8_li,"axG",@progbits,_ZL32rocblas_gemvt_warp_reduce_kernelILb0ELi256ElPKffKPfEviiT3_lPKT2_lT1_lS7_lS8_lS4_lPT4_lS8_li,comdat
	.globl	_ZL32rocblas_gemvt_warp_reduce_kernelILb0ELi256ElPKffKPfEviiT3_lPKT2_lT1_lS7_lS8_lS4_lPT4_lS8_li ; -- Begin function _ZL32rocblas_gemvt_warp_reduce_kernelILb0ELi256ElPKffKPfEviiT3_lPKT2_lT1_lS7_lS8_lS4_lPT4_lS8_li
	.p2align	8
	.type	_ZL32rocblas_gemvt_warp_reduce_kernelILb0ELi256ElPKffKPfEviiT3_lPKT2_lT1_lS7_lS8_lS4_lPT4_lS8_li,@function
_ZL32rocblas_gemvt_warp_reduce_kernelILb0ELi256ElPKffKPfEviiT3_lPKT2_lT1_lS7_lS8_lS4_lPT4_lS8_li: ; @_ZL32rocblas_gemvt_warp_reduce_kernelILb0ELi256ElPKffKPfEviiT3_lPKT2_lT1_lS7_lS8_lS4_lPT4_lS8_li
; %bb.0:
	s_load_b32 s7, s[0:1], 0x88
	s_lshr_b32 s20, ttmp7, 16
	s_wait_kmcnt 0x0
	s_cmp_ge_u32 s20, s7
	s_cbranch_scc1 .LBB219_41
; %bb.1:
	s_clause 0x8
	s_load_b32 s33, s[0:1], 0x8
	s_load_b32 s34, s[0:1], 0x58
	s_load_b64 s[26:27], s[0:1], 0x48
	s_load_b128 s[8:11], s[0:1], 0x38
	s_load_b32 s6, s[0:1], 0x0
	s_load_b128 s[12:15], s[0:1], 0x18
	s_load_b64 s[28:29], s[0:1], 0x28
	s_load_b64 s[30:31], s[0:1], 0x78
	s_load_b128 s[16:19], s[0:1], 0x68
	v_and_b32_e32 v3, 31, v0
	v_lshrrev_b32_e32 v4, 3, v0
	v_mov_b32_e32 v13, 0
	v_mbcnt_lo_u32_b32 v17, -1, 0
	s_mov_b32 s4, ttmp9
	v_lshlrev_b32_e32 v14, 2, v3
	v_and_b32_e32 v16, 28, v4
	v_cmp_eq_u32_e64 s0, 0, v0
	v_cmp_gt_u32_e64 s1, 32, v0
	v_cmp_gt_u32_e64 s2, 8, v0
	v_lshl_or_b32 v19, v17, 2, 64
	s_wait_kmcnt 0x0
	s_cmp_eq_f32 s33, 0
	s_mov_b32 s21, 0
	v_mad_co_u64_u32 v[1:2], null, s26, v0, 0
	s_cselect_b32 s35, -1, 0
	s_cmp_neq_f32 s34, 1.0
	v_cmp_gt_i32_e32 vcc_lo, s6, v0
	s_cselect_b32 s3, -1, 0
	s_cmp_neq_f32 s33, 0
	v_cndmask_b32_e32 v5, 0, v0, vcc_lo
	s_cselect_b32 s5, -1, 0
	s_delay_alu instid0(SALU_CYCLE_1)
	s_or_b32 s36, s5, s3
	s_cmp_neq_f32 s34, 0
	v_cndmask_b32_e64 v15, 0, 1, s5
	v_cmp_eq_u32_e64 s3, 0, v3
	v_mad_co_u64_u32 v[2:3], null, s27, v0, v[2:3]
	s_cselect_b32 s37, -1, 0
	s_ashr_i32 s5, s6, 31
	s_lshl_b64 s[24:25], s[26:27], 10
	s_wait_alu 0xfffe
	s_lshr_b32 s5, s5, 24
	v_lshlrev_b32_e32 v18, 2, v5
	s_wait_alu 0xfffe
	s_add_co_i32 s5, s6, s5
	v_lshlrev_b64_e32 v[1:2], 2, v[1:2]
	s_wait_alu 0xfffe
	s_and_b32 s22, s5, 0xffffff00
	s_ashr_i32 s5, ttmp9, 31
	v_or_b32_e32 v6, s22, v0
	s_ashr_i32 s23, s22, 31
	s_wait_alu 0xfffe
	s_mul_u64 s[30:31], s[30:31], s[4:5]
	s_mul_u64 s[28:29], s[28:29], s[4:5]
	v_cmp_gt_i32_e64 s4, s22, v0
	v_mul_lo_u32 v7, s27, v6
	v_mad_co_u64_u32 v[3:4], null, s26, v6, 0
	s_mul_i32 s26, s26, s23
	v_cmp_gt_i32_e64 s5, s6, v6
	s_lshl_b64 s[14:15], s[14:15], 2
	s_lshl_b64 s[10:11], s[10:11], 2
	;; [unrolled: 1-line block ×4, first 2 shown]
	s_wait_alu 0xfffe
	v_add3_u32 v4, v4, s26, v7
	s_lshl_b64 s[26:27], s[30:31], 2
	s_lshl_b64 s[30:31], s[22:23], 2
	s_delay_alu instid0(VALU_DEP_1)
	v_lshlrev_b64_e32 v[3:4], 2, v[3:4]
	s_branch .LBB219_4
.LBB219_2:                              ;   in Loop: Header=BB219_4 Depth=1
	s_wait_alu 0xfffe
	s_or_b32 exec_lo, exec_lo, s6
.LBB219_3:                              ;   in Loop: Header=BB219_4 Depth=1
	s_add_co_i32 s20, s20, 0x10000
	s_delay_alu instid0(SALU_CYCLE_1)
	s_cmp_lt_u32 s20, s7
	s_cbranch_scc0 .LBB219_41
.LBB219_4:                              ; =>This Loop Header: Depth=1
                                        ;     Child Loop BB219_30 Depth 2
	s_and_not1_b32 vcc_lo, exec_lo, s36
	s_wait_alu 0xfffe
	s_cbranch_vccnz .LBB219_3
; %bb.5:                                ;   in Loop: Header=BB219_4 Depth=1
	s_and_not1_b32 vcc_lo, exec_lo, s35
	s_wait_alu 0xfffe
	s_cbranch_vccnz .LBB219_7
; %bb.6:                                ;   in Loop: Header=BB219_4 Depth=1
	s_mov_b32 s6, 0
	s_branch .LBB219_8
.LBB219_7:                              ;   in Loop: Header=BB219_4 Depth=1
	s_mov_b32 s6, -1
.LBB219_8:                              ;   in Loop: Header=BB219_4 Depth=1
	v_mov_b32_e32 v5, 0
	s_wait_dscnt 0x0
	v_dual_mov_b32 v6, 0 :: v_dual_mov_b32 v7, 0
	v_mov_b32_e32 v8, 0
	s_wait_alu 0xfffe
	s_and_not1_b32 vcc_lo, exec_lo, s6
	s_wait_alu 0xfffe
	s_cbranch_vccnz .LBB219_10
; %bb.9:                                ;   in Loop: Header=BB219_4 Depth=1
	s_lshl_b64 s[38:39], s[20:21], 3
	s_delay_alu instid0(SALU_CYCLE_1)
	s_add_nc_u64 s[38:39], s[12:13], s[38:39]
	global_load_b64 v[7:8], v13, s[38:39]
	s_wait_loadcnt 0x0
	v_add_co_u32 v7, vcc_lo, v7, s14
	s_wait_alu 0xfffd
	v_add_co_ci_u32_e64 v8, null, s15, v8, vcc_lo
.LBB219_10:                             ;   in Loop: Header=BB219_4 Depth=1
	v_cmp_ne_u32_e32 vcc_lo, 1, v15
	s_cbranch_vccnz .LBB219_12
; %bb.11:                               ;   in Loop: Header=BB219_4 Depth=1
	s_lshl_b64 s[38:39], s[20:21], 3
	s_delay_alu instid0(SALU_CYCLE_1)
	s_add_nc_u64 s[38:39], s[8:9], s[38:39]
	global_load_b64 v[5:6], v13, s[38:39]
	s_wait_loadcnt 0x0
	v_add_co_u32 v5, vcc_lo, v5, s10
	s_wait_alu 0xfffd
	v_add_co_ci_u32_e64 v6, null, s11, v6, vcc_lo
.LBB219_12:                             ;   in Loop: Header=BB219_4 Depth=1
	s_lshl_b64 s[38:39], s[20:21], 3
	s_delay_alu instid0(SALU_CYCLE_1)
	s_add_nc_u64 s[38:39], s[16:17], s[38:39]
	global_load_b64 v[9:10], v13, s[38:39]
	s_wait_loadcnt 0x0
	v_add_co_u32 v20, vcc_lo, v9, s18
	s_wait_alu 0xfffd
	v_add_co_ci_u32_e64 v21, null, s19, v10, vcc_lo
	s_and_not1_b32 vcc_lo, exec_lo, s35
	s_wait_alu 0xfffe
	s_cbranch_vccnz .LBB219_16
; %bb.13:                               ;   in Loop: Header=BB219_4 Depth=1
	s_mov_b32 s6, 0
	s_mov_b32 s23, 0
                                        ; implicit-def: $vgpr9
	s_and_saveexec_b32 s38, s0
	s_cbranch_execz .LBB219_17
; %bb.14:                               ;   in Loop: Header=BB219_4 Depth=1
	s_and_not1_b32 vcc_lo, exec_lo, s37
	s_wait_alu 0xfffe
	s_cbranch_vccnz .LBB219_18
; %bb.15:                               ;   in Loop: Header=BB219_4 Depth=1
	v_add_co_u32 v9, vcc_lo, v20, s26
	s_wait_alu 0xfffd
	v_add_co_ci_u32_e64 v10, null, s27, v21, vcc_lo
	flat_load_b32 v9, v[9:10]
	s_wait_loadcnt_dscnt 0x0
	v_mul_f32_e32 v9, s34, v9
	s_branch .LBB219_19
.LBB219_16:                             ;   in Loop: Header=BB219_4 Depth=1
	s_mov_b32 s23, 0
                                        ; implicit-def: $vgpr9
	s_cbranch_execnz .LBB219_20
	s_branch .LBB219_39
.LBB219_17:                             ;   in Loop: Header=BB219_4 Depth=1
	s_or_b32 exec_lo, exec_lo, s38
	s_wait_alu 0xfffe
	s_and_b32 vcc_lo, exec_lo, s6
	s_wait_alu 0xfffe
	s_cbranch_vccnz .LBB219_20
	s_branch .LBB219_39
.LBB219_18:                             ;   in Loop: Header=BB219_4 Depth=1
	v_mov_b32_e32 v9, 0
.LBB219_19:                             ;   in Loop: Header=BB219_4 Depth=1
	s_mov_b32 s23, exec_lo
	s_or_b32 exec_lo, exec_lo, s38
	s_delay_alu instid0(SALU_CYCLE_1)
	s_and_b32 vcc_lo, exec_lo, s6
	s_wait_alu 0xfffe
	s_cbranch_vccz .LBB219_39
.LBB219_20:                             ;   in Loop: Header=BB219_4 Depth=1
	v_add_co_u32 v7, vcc_lo, v7, v18
	s_wait_alu 0xfffd
	v_add_co_ci_u32_e64 v8, null, 0, v8, vcc_lo
	v_mov_b32_e32 v22, 0
	s_delay_alu instid0(VALU_DEP_3) | instskip(SKIP_1) | instid1(VALU_DEP_3)
	v_add_co_u32 v7, vcc_lo, v7, s28
	s_wait_alu 0xfffd
	v_add_co_ci_u32_e64 v8, null, s29, v8, vcc_lo
	s_and_saveexec_b32 s38, s4
	s_cbranch_execnz .LBB219_29
; %bb.21:                               ;   in Loop: Header=BB219_4 Depth=1
	s_or_b32 exec_lo, exec_lo, s38
	s_and_saveexec_b32 s6, s5
	s_cbranch_execnz .LBB219_32
.LBB219_22:                             ;   in Loop: Header=BB219_4 Depth=1
	s_wait_alu 0xfffe
	s_or_b32 exec_lo, exec_lo, s6
	s_and_saveexec_b32 s6, s1
.LBB219_23:                             ;   in Loop: Header=BB219_4 Depth=1
	ds_store_b32 v14, v13
.LBB219_24:                             ;   in Loop: Header=BB219_4 Depth=1
	s_wait_alu 0xfffe
	s_or_b32 exec_lo, exec_lo, s6
	ds_bpermute_b32 v5, v19, v22
	v_cmp_gt_u32_e32 vcc_lo, 24, v17
	s_wait_dscnt 0x0
	s_barrier_signal -1
	s_barrier_wait -1
	global_inv scope:SCOPE_SE
	s_wait_alu 0xfffd
	v_cndmask_b32_e64 v6, 0, 8, vcc_lo
	v_cmp_gt_u32_e32 vcc_lo, 28, v17
	s_delay_alu instid0(VALU_DEP_2)
	v_add_lshl_u32 v6, v6, v17, 2
	v_add_f32_e32 v7, v22, v5
	s_wait_alu 0xfffd
	v_cndmask_b32_e64 v5, 0, 4, vcc_lo
	v_cmp_gt_u32_e32 vcc_lo, 30, v17
	ds_bpermute_b32 v6, v6, v7
	v_add_lshl_u32 v5, v5, v17, 2
	s_wait_dscnt 0x0
	v_add_f32_e32 v7, v7, v6
	s_wait_alu 0xfffd
	v_cndmask_b32_e64 v6, 0, 2, vcc_lo
	v_cmp_ne_u32_e32 vcc_lo, 31, v17
	ds_bpermute_b32 v8, v5, v7
	v_add_lshl_u32 v6, v6, v17, 2
	s_wait_alu 0xfffd
	v_add_co_ci_u32_e64 v9, null, 0, v17, vcc_lo
	s_wait_dscnt 0x0
	v_add_f32_e32 v7, v7, v8
	ds_bpermute_b32 v8, v6, v7
	s_wait_dscnt 0x0
	v_dual_add_f32 v8, v7, v8 :: v_dual_lshlrev_b32 v7, 2, v9
	ds_bpermute_b32 v9, v7, v8
	s_and_saveexec_b32 s6, s3
	s_cbranch_execz .LBB219_26
; %bb.25:                               ;   in Loop: Header=BB219_4 Depth=1
	s_wait_dscnt 0x0
	v_add_f32_e32 v8, v8, v9
	ds_store_b32 v16, v8
.LBB219_26:                             ;   in Loop: Header=BB219_4 Depth=1
	s_wait_alu 0xfffe
	s_or_b32 exec_lo, exec_lo, s6
	v_mov_b32_e32 v8, 0
	s_wait_loadcnt_dscnt 0x0
	s_barrier_signal -1
	s_barrier_wait -1
	global_inv scope:SCOPE_SE
	s_and_saveexec_b32 s6, s2
	s_cbranch_execnz .LBB219_33
; %bb.27:                               ;   in Loop: Header=BB219_4 Depth=1
	s_wait_alu 0xfffe
	s_or_b32 exec_lo, exec_lo, s6
	s_and_saveexec_b32 s6, s1
	s_cbranch_execnz .LBB219_34
.LBB219_28:                             ;   in Loop: Header=BB219_4 Depth=1
	s_wait_alu 0xfffe
	s_or_b32 exec_lo, exec_lo, s6
                                        ; implicit-def: $vgpr9
	s_and_saveexec_b32 s6, s0
	s_cbranch_execnz .LBB219_35
	s_branch .LBB219_38
.LBB219_29:                             ;   in Loop: Header=BB219_4 Depth=1
	v_add_co_u32 v9, vcc_lo, v5, v1
	v_dual_mov_b32 v12, v8 :: v_dual_mov_b32 v23, v0
	s_wait_alu 0xfffd
	v_add_co_ci_u32_e64 v10, null, v6, v2, vcc_lo
	v_dual_mov_b32 v22, 0 :: v_dual_mov_b32 v11, v7
	s_mov_b32 s39, 0
.LBB219_30:                             ;   Parent Loop BB219_4 Depth=1
                                        ; =>  This Inner Loop Header: Depth=2
	flat_load_b32 v24, v[11:12]
	flat_load_b32 v25, v[9:10]
	v_add_nc_u32_e32 v23, 0x100, v23
	v_add_co_u32 v11, vcc_lo, 0x400, v11
	s_wait_alu 0xfffd
	v_add_co_ci_u32_e64 v12, null, 0, v12, vcc_lo
	v_add_co_u32 v9, vcc_lo, v9, s24
	s_wait_alu 0xfffd
	v_add_co_ci_u32_e64 v10, null, s25, v10, vcc_lo
	s_wait_loadcnt_dscnt 0x0
	v_fmac_f32_e32 v22, v24, v25
	v_cmp_le_i32_e64 s6, s22, v23
	s_or_b32 s39, s6, s39
	s_delay_alu instid0(SALU_CYCLE_1)
	s_and_not1_b32 exec_lo, exec_lo, s39
	s_cbranch_execnz .LBB219_30
; %bb.31:                               ;   in Loop: Header=BB219_4 Depth=1
	s_or_b32 exec_lo, exec_lo, s39
	s_delay_alu instid0(SALU_CYCLE_1)
	s_or_b32 exec_lo, exec_lo, s38
	s_and_saveexec_b32 s6, s5
	s_cbranch_execz .LBB219_22
.LBB219_32:                             ;   in Loop: Header=BB219_4 Depth=1
	v_add_co_u32 v7, vcc_lo, v7, s30
	s_wait_alu 0xfffd
	v_add_co_ci_u32_e64 v8, null, s31, v8, vcc_lo
	v_add_co_u32 v5, vcc_lo, v5, v3
	s_wait_alu 0xfffd
	v_add_co_ci_u32_e64 v6, null, v6, v4, vcc_lo
	flat_load_b32 v7, v[7:8]
	flat_load_b32 v5, v[5:6]
	s_wait_loadcnt_dscnt 0x0
	v_fmac_f32_e32 v22, v7, v5
	s_wait_alu 0xfffe
	s_or_b32 exec_lo, exec_lo, s6
	s_and_saveexec_b32 s6, s1
	s_cbranch_execnz .LBB219_23
	s_branch .LBB219_24
.LBB219_33:                             ;   in Loop: Header=BB219_4 Depth=1
	ds_load_b32 v8, v14
	s_wait_alu 0xfffe
	s_or_b32 exec_lo, exec_lo, s6
	s_and_saveexec_b32 s6, s1
	s_cbranch_execz .LBB219_28
.LBB219_34:                             ;   in Loop: Header=BB219_4 Depth=1
	s_wait_dscnt 0x0
	ds_bpermute_b32 v5, v5, v8
	s_wait_dscnt 0x0
	v_add_f32_e32 v5, v8, v5
	ds_bpermute_b32 v6, v6, v5
	s_wait_dscnt 0x0
	v_add_f32_e32 v5, v5, v6
	;; [unrolled: 3-line block ×3, first 2 shown]
	s_wait_alu 0xfffe
	s_or_b32 exec_lo, exec_lo, s6
                                        ; implicit-def: $vgpr9
	s_and_saveexec_b32 s6, s0
	s_cbranch_execz .LBB219_38
.LBB219_35:                             ;   in Loop: Header=BB219_4 Depth=1
	s_wait_dscnt 0x0
	v_mul_f32_e32 v9, s33, v8
	s_and_not1_b32 vcc_lo, exec_lo, s37
	s_wait_alu 0xfffe
	s_cbranch_vccnz .LBB219_37
; %bb.36:                               ;   in Loop: Header=BB219_4 Depth=1
	v_add_co_u32 v5, vcc_lo, v20, s26
	s_wait_alu 0xfffd
	v_add_co_ci_u32_e64 v6, null, s27, v21, vcc_lo
	flat_load_b32 v5, v[5:6]
	s_wait_loadcnt_dscnt 0x0
	v_fmac_f32_e32 v9, s34, v5
.LBB219_37:                             ;   in Loop: Header=BB219_4 Depth=1
	s_or_b32 s23, s23, exec_lo
.LBB219_38:                             ;   in Loop: Header=BB219_4 Depth=1
	s_wait_alu 0xfffe
	s_or_b32 exec_lo, exec_lo, s6
.LBB219_39:                             ;   in Loop: Header=BB219_4 Depth=1
	s_wait_alu 0xfffe
	s_and_saveexec_b32 s6, s23
	s_cbranch_execz .LBB219_2
; %bb.40:                               ;   in Loop: Header=BB219_4 Depth=1
	v_add_co_u32 v5, vcc_lo, v20, s26
	s_wait_alu 0xfffd
	v_add_co_ci_u32_e64 v6, null, s27, v21, vcc_lo
	flat_store_b32 v[5:6], v9
	s_branch .LBB219_2
.LBB219_41:
	s_endpgm
	.section	.rodata,"a",@progbits
	.p2align	6, 0x0
	.amdhsa_kernel _ZL32rocblas_gemvt_warp_reduce_kernelILb0ELi256ElPKffKPfEviiT3_lPKT2_lT1_lS7_lS8_lS4_lPT4_lS8_li
		.amdhsa_group_segment_fixed_size 128
		.amdhsa_private_segment_fixed_size 0
		.amdhsa_kernarg_size 140
		.amdhsa_user_sgpr_count 2
		.amdhsa_user_sgpr_dispatch_ptr 0
		.amdhsa_user_sgpr_queue_ptr 0
		.amdhsa_user_sgpr_kernarg_segment_ptr 1
		.amdhsa_user_sgpr_dispatch_id 0
		.amdhsa_user_sgpr_private_segment_size 0
		.amdhsa_wavefront_size32 1
		.amdhsa_uses_dynamic_stack 0
		.amdhsa_enable_private_segment 0
		.amdhsa_system_sgpr_workgroup_id_x 1
		.amdhsa_system_sgpr_workgroup_id_y 0
		.amdhsa_system_sgpr_workgroup_id_z 1
		.amdhsa_system_sgpr_workgroup_info 0
		.amdhsa_system_vgpr_workitem_id 0
		.amdhsa_next_free_vgpr 26
		.amdhsa_next_free_sgpr 40
		.amdhsa_reserve_vcc 1
		.amdhsa_float_round_mode_32 0
		.amdhsa_float_round_mode_16_64 0
		.amdhsa_float_denorm_mode_32 3
		.amdhsa_float_denorm_mode_16_64 3
		.amdhsa_fp16_overflow 0
		.amdhsa_workgroup_processor_mode 1
		.amdhsa_memory_ordered 1
		.amdhsa_forward_progress 1
		.amdhsa_inst_pref_size 14
		.amdhsa_round_robin_scheduling 0
		.amdhsa_exception_fp_ieee_invalid_op 0
		.amdhsa_exception_fp_denorm_src 0
		.amdhsa_exception_fp_ieee_div_zero 0
		.amdhsa_exception_fp_ieee_overflow 0
		.amdhsa_exception_fp_ieee_underflow 0
		.amdhsa_exception_fp_ieee_inexact 0
		.amdhsa_exception_int_div_zero 0
	.end_amdhsa_kernel
	.section	.text._ZL32rocblas_gemvt_warp_reduce_kernelILb0ELi256ElPKffKPfEviiT3_lPKT2_lT1_lS7_lS8_lS4_lPT4_lS8_li,"axG",@progbits,_ZL32rocblas_gemvt_warp_reduce_kernelILb0ELi256ElPKffKPfEviiT3_lPKT2_lT1_lS7_lS8_lS4_lPT4_lS8_li,comdat
.Lfunc_end219:
	.size	_ZL32rocblas_gemvt_warp_reduce_kernelILb0ELi256ElPKffKPfEviiT3_lPKT2_lT1_lS7_lS8_lS4_lPT4_lS8_li, .Lfunc_end219-_ZL32rocblas_gemvt_warp_reduce_kernelILb0ELi256ElPKffKPfEviiT3_lPKT2_lT1_lS7_lS8_lS4_lPT4_lS8_li
                                        ; -- End function
	.set _ZL32rocblas_gemvt_warp_reduce_kernelILb0ELi256ElPKffKPfEviiT3_lPKT2_lT1_lS7_lS8_lS4_lPT4_lS8_li.num_vgpr, 26
	.set _ZL32rocblas_gemvt_warp_reduce_kernelILb0ELi256ElPKffKPfEviiT3_lPKT2_lT1_lS7_lS8_lS4_lPT4_lS8_li.num_agpr, 0
	.set _ZL32rocblas_gemvt_warp_reduce_kernelILb0ELi256ElPKffKPfEviiT3_lPKT2_lT1_lS7_lS8_lS4_lPT4_lS8_li.numbered_sgpr, 40
	.set _ZL32rocblas_gemvt_warp_reduce_kernelILb0ELi256ElPKffKPfEviiT3_lPKT2_lT1_lS7_lS8_lS4_lPT4_lS8_li.num_named_barrier, 0
	.set _ZL32rocblas_gemvt_warp_reduce_kernelILb0ELi256ElPKffKPfEviiT3_lPKT2_lT1_lS7_lS8_lS4_lPT4_lS8_li.private_seg_size, 0
	.set _ZL32rocblas_gemvt_warp_reduce_kernelILb0ELi256ElPKffKPfEviiT3_lPKT2_lT1_lS7_lS8_lS4_lPT4_lS8_li.uses_vcc, 1
	.set _ZL32rocblas_gemvt_warp_reduce_kernelILb0ELi256ElPKffKPfEviiT3_lPKT2_lT1_lS7_lS8_lS4_lPT4_lS8_li.uses_flat_scratch, 0
	.set _ZL32rocblas_gemvt_warp_reduce_kernelILb0ELi256ElPKffKPfEviiT3_lPKT2_lT1_lS7_lS8_lS4_lPT4_lS8_li.has_dyn_sized_stack, 0
	.set _ZL32rocblas_gemvt_warp_reduce_kernelILb0ELi256ElPKffKPfEviiT3_lPKT2_lT1_lS7_lS8_lS4_lPT4_lS8_li.has_recursion, 0
	.set _ZL32rocblas_gemvt_warp_reduce_kernelILb0ELi256ElPKffKPfEviiT3_lPKT2_lT1_lS7_lS8_lS4_lPT4_lS8_li.has_indirect_call, 0
	.section	.AMDGPU.csdata,"",@progbits
; Kernel info:
; codeLenInByte = 1668
; TotalNumSgprs: 42
; NumVgprs: 26
; ScratchSize: 0
; MemoryBound: 0
; FloatMode: 240
; IeeeMode: 1
; LDSByteSize: 128 bytes/workgroup (compile time only)
; SGPRBlocks: 0
; VGPRBlocks: 3
; NumSGPRsForWavesPerEU: 42
; NumVGPRsForWavesPerEU: 26
; Occupancy: 16
; WaveLimiterHint : 1
; COMPUTE_PGM_RSRC2:SCRATCH_EN: 0
; COMPUTE_PGM_RSRC2:USER_SGPR: 2
; COMPUTE_PGM_RSRC2:TRAP_HANDLER: 0
; COMPUTE_PGM_RSRC2:TGID_X_EN: 1
; COMPUTE_PGM_RSRC2:TGID_Y_EN: 0
; COMPUTE_PGM_RSRC2:TGID_Z_EN: 1
; COMPUTE_PGM_RSRC2:TIDIG_COMP_CNT: 0
	.section	.text._ZL20rocblas_gemvt_kernelILb0ELi256EPKfS1_KPfEviiT2_lPKT1_lilS7_lilS4_lPT3_lili,"axG",@progbits,_ZL20rocblas_gemvt_kernelILb0ELi256EPKfS1_KPfEviiT2_lPKT1_lilS7_lilS4_lPT3_lili,comdat
	.globl	_ZL20rocblas_gemvt_kernelILb0ELi256EPKfS1_KPfEviiT2_lPKT1_lilS7_lilS4_lPT3_lili ; -- Begin function _ZL20rocblas_gemvt_kernelILb0ELi256EPKfS1_KPfEviiT2_lPKT1_lilS7_lilS4_lPT3_lili
	.p2align	8
	.type	_ZL20rocblas_gemvt_kernelILb0ELi256EPKfS1_KPfEviiT2_lPKT1_lilS7_lilS4_lPT3_lili,@function
_ZL20rocblas_gemvt_kernelILb0ELi256EPKfS1_KPfEviiT2_lPKT1_lilS7_lilS4_lPT3_lili: ; @_ZL20rocblas_gemvt_kernelILb0ELi256EPKfS1_KPfEviiT2_lPKT1_lilS7_lilS4_lPT3_lili
; %bb.0:
	s_load_b32 s11, s[0:1], 0x88
	s_lshr_b32 s34, ttmp7, 16
	s_wait_kmcnt 0x0
	s_cmp_ge_u32 s34, s11
	s_cbranch_scc1 .LBB220_45
; %bb.1:
	s_clause 0x6
	s_load_b32 s4, s[0:1], 0x28
	s_load_b32 s38, s[0:1], 0x48
	s_load_b32 s8, s[0:1], 0x0
	s_load_b32 s6, s[0:1], 0x78
	s_load_b128 s[28:31], s[0:1], 0x38
	s_load_b256 s[12:19], s[0:1], 0x8
	s_load_b256 s[20:27], s[0:1], 0x58
	s_mov_b32 s2, ttmp9
	s_ashr_i32 s3, ttmp9, 31
	v_cmp_eq_u32_e64 s0, 0, v0
	v_dual_mov_b32 v12, 0 :: v_dual_lshlrev_b32 v13, 2, v0
	v_cmp_gt_u32_e64 s1, 0x80, v0
	s_mov_b32 s35, 0
	s_wait_kmcnt 0x0
	s_ashr_i32 s5, s4, 31
	v_mad_co_i64_i32 v[1:2], null, s38, v0, 0
	s_ashr_i32 s9, s8, 31
	s_ashr_i32 s7, s6, 31
	s_lshr_b32 s9, s9, 24
	v_cmp_gt_i32_e32 vcc_lo, s8, v0
	s_add_co_i32 s9, s8, s9
	s_mul_u64 s[40:41], s[6:7], s[2:3]
	s_wait_alu 0xfffe
	s_and_b32 s36, s9, 0xffffff00
	s_mul_u64 s[42:43], s[4:5], s[2:3]
	v_or_b32_e32 v3, s36, v0
	v_cndmask_b32_e32 v5, 0, v0, vcc_lo
	s_ashr_i32 s39, s38, 31
	s_cmp_gt_i32 s8, 0xff
	v_cmp_gt_u32_e64 s3, 64, v0
	v_cmp_gt_i32_e64 s2, s8, v3
	v_mad_co_i64_i32 v[3:4], null, s38, v3, 0
	v_cmp_gt_u32_e64 s4, 32, v0
	v_cmp_gt_u32_e64 s5, 16, v0
	;; [unrolled: 1-line block ×5, first 2 shown]
	v_lshlrev_b64_e32 v[0:1], 2, v[1:2]
	v_lshlrev_b64_e32 v[2:3], 2, v[3:4]
	v_lshlrev_b32_e32 v14, 2, v5
	s_cselect_b32 s33, -1, 0
	s_ashr_i32 s37, s36, 31
	s_wait_alu 0xfffe
	s_lshl_b64 s[38:39], s[38:39], 10
	s_lshl_b64 s[18:19], s[18:19], 2
	;; [unrolled: 1-line block ×7, first 2 shown]
	s_branch .LBB220_4
.LBB220_2:                              ;   in Loop: Header=BB220_4 Depth=1
	s_or_b32 exec_lo, exec_lo, s10
.LBB220_3:                              ;   in Loop: Header=BB220_4 Depth=1
	s_add_co_i32 s34, s34, 0x10000
	s_delay_alu instid0(SALU_CYCLE_1)
	s_cmp_lt_u32 s34, s11
	s_cbranch_scc0 .LBB220_45
.LBB220_4:                              ; =>This Loop Header: Depth=1
                                        ;     Child Loop BB220_19 Depth 2
	s_mul_u64 s[46:47], s[14:15], s[34:35]
	s_mul_u64 s[48:49], s[22:23], s[34:35]
	s_lshl_b64 s[46:47], s[46:47], 2
	s_lshl_b64 s[48:49], s[48:49], 2
	s_add_nc_u64 s[46:47], s[12:13], s[46:47]
	s_add_nc_u64 s[48:49], s[20:21], s[48:49]
	s_clause 0x1
	global_load_b32 v15, v12, s[46:47]
	global_load_b32 v4, v12, s[48:49]
	s_wait_loadcnt 0x1
	v_cmp_eq_f32_e64 s9, 0, v15
	s_wait_loadcnt 0x0
	v_cmp_eq_f32_e32 vcc_lo, 1.0, v4
	v_readfirstlane_b32 s37, v4
	s_and_b32 s10, s9, vcc_lo
	s_delay_alu instid0(SALU_CYCLE_1)
	s_and_b32 vcc_lo, exec_lo, s10
	s_wait_alu 0xfffe
	s_cbranch_vccnz .LBB220_3
; %bb.5:                                ;   in Loop: Header=BB220_4 Depth=1
	v_mov_b32_e32 v4, 0
	v_dual_mov_b32 v5, 0 :: v_dual_mov_b32 v6, 0
	v_cmp_neq_f32_e64 s10, 0, v15
	v_mov_b32_e32 v7, 0
	s_and_b32 vcc_lo, exec_lo, s9
	s_wait_alu 0xfffe
	s_cbranch_vccnz .LBB220_7
; %bb.6:                                ;   in Loop: Header=BB220_4 Depth=1
	s_lshl_b64 s[46:47], s[34:35], 3
	s_delay_alu instid0(SALU_CYCLE_1)
	s_add_nc_u64 s[46:47], s[16:17], s[46:47]
	global_load_b64 v[6:7], v12, s[46:47]
	s_wait_loadcnt 0x0
	v_add_co_u32 v6, vcc_lo, v6, s18
	s_wait_alu 0xfffd
	v_add_co_ci_u32_e64 v7, null, s19, v7, vcc_lo
.LBB220_7:                              ;   in Loop: Header=BB220_4 Depth=1
	s_and_not1_b32 vcc_lo, exec_lo, s10
	s_wait_alu 0xfffe
	s_cbranch_vccnz .LBB220_9
; %bb.8:                                ;   in Loop: Header=BB220_4 Depth=1
	s_lshl_b64 s[46:47], s[34:35], 3
	s_delay_alu instid0(SALU_CYCLE_1)
	s_add_nc_u64 s[46:47], s[28:29], s[46:47]
	global_load_b64 v[4:5], v12, s[46:47]
	s_wait_loadcnt 0x0
	v_add_co_u32 v4, vcc_lo, v4, s30
	s_wait_alu 0xfffd
	v_add_co_ci_u32_e64 v5, null, s31, v5, vcc_lo
.LBB220_9:                              ;   in Loop: Header=BB220_4 Depth=1
	s_lshl_b64 s[46:47], s[34:35], 3
	s_delay_alu instid0(SALU_CYCLE_1)
	s_add_nc_u64 s[46:47], s[24:25], s[46:47]
	global_load_b64 v[8:9], v12, s[46:47]
	s_wait_loadcnt 0x0
	v_add_co_u32 v16, vcc_lo, v8, s26
	s_wait_alu 0xfffd
	v_add_co_ci_u32_e64 v17, null, s27, v9, vcc_lo
	s_and_not1_b32 vcc_lo, exec_lo, s9
	s_wait_alu 0xfffe
	s_cbranch_vccnz .LBB220_13
; %bb.10:                               ;   in Loop: Header=BB220_4 Depth=1
	s_mov_b32 s10, 0
	s_mov_b32 s9, 0
                                        ; implicit-def: $vgpr8
	s_and_saveexec_b32 s46, s0
	s_cbranch_execz .LBB220_14
; %bb.11:                               ;   in Loop: Header=BB220_4 Depth=1
	s_cmp_eq_f32 s37, 0
	s_cbranch_scc1 .LBB220_15
; %bb.12:                               ;   in Loop: Header=BB220_4 Depth=1
	v_add_co_u32 v8, vcc_lo, v16, s40
	s_wait_alu 0xfffd
	v_add_co_ci_u32_e64 v9, null, s41, v17, vcc_lo
	flat_load_b32 v8, v[8:9]
	s_wait_loadcnt_dscnt 0x0
	v_mul_f32_e32 v8, s37, v8
	s_branch .LBB220_16
.LBB220_13:                             ;   in Loop: Header=BB220_4 Depth=1
	s_mov_b32 s9, 0
                                        ; implicit-def: $vgpr8
	s_cbranch_execnz .LBB220_17
	s_branch .LBB220_43
.LBB220_14:                             ;   in Loop: Header=BB220_4 Depth=1
	s_or_b32 exec_lo, exec_lo, s46
	s_delay_alu instid0(SALU_CYCLE_1)
	s_and_b32 vcc_lo, exec_lo, s10
	s_wait_alu 0xfffe
	s_cbranch_vccnz .LBB220_17
	s_branch .LBB220_43
.LBB220_15:                             ;   in Loop: Header=BB220_4 Depth=1
	v_mov_b32_e32 v8, 0
.LBB220_16:                             ;   in Loop: Header=BB220_4 Depth=1
	s_mov_b32 s9, exec_lo
	s_or_b32 exec_lo, exec_lo, s46
	s_delay_alu instid0(SALU_CYCLE_1)
	s_and_b32 vcc_lo, exec_lo, s10
	s_wait_alu 0xfffe
	s_cbranch_vccz .LBB220_43
.LBB220_17:                             ;   in Loop: Header=BB220_4 Depth=1
	v_add_co_u32 v6, vcc_lo, v6, v14
	s_wait_alu 0xfffd
	v_add_co_ci_u32_e64 v7, null, 0, v7, vcc_lo
	v_mov_b32_e32 v18, 0
	s_delay_alu instid0(VALU_DEP_3) | instskip(SKIP_1) | instid1(VALU_DEP_3)
	v_add_co_u32 v6, vcc_lo, v6, s42
	s_wait_alu 0xfffd
	v_add_co_ci_u32_e64 v7, null, s43, v7, vcc_lo
	s_and_not1_b32 vcc_lo, exec_lo, s33
	s_wait_alu 0xfffe
	s_cbranch_vccnz .LBB220_20
; %bb.18:                               ;   in Loop: Header=BB220_4 Depth=1
	v_add_co_u32 v8, vcc_lo, v4, v0
	v_dual_mov_b32 v18, 0 :: v_dual_mov_b32 v11, v7
	s_wait_alu 0xfffd
	v_add_co_ci_u32_e64 v9, null, v5, v1, vcc_lo
	v_mov_b32_e32 v10, v6
	s_mov_b32 s10, 0
.LBB220_19:                             ;   Parent Loop BB220_4 Depth=1
                                        ; =>  This Inner Loop Header: Depth=2
	flat_load_b32 v19, v[10:11]
	flat_load_b32 v20, v[8:9]
	v_add_co_u32 v8, vcc_lo, v8, s38
	s_wait_alu 0xfffd
	v_add_co_ci_u32_e64 v9, null, s39, v9, vcc_lo
	v_add_co_u32 v10, vcc_lo, 0x400, v10
	s_wait_alu 0xfffd
	v_add_co_ci_u32_e64 v11, null, 0, v11, vcc_lo
	s_addk_co_i32 s10, 0x100
	s_delay_alu instid0(SALU_CYCLE_1)
	s_cmp_ge_i32 s10, s36
	s_wait_loadcnt_dscnt 0x0
	v_fmac_f32_e32 v18, v19, v20
	s_cbranch_scc0 .LBB220_19
.LBB220_20:                             ;   in Loop: Header=BB220_4 Depth=1
	s_and_saveexec_b32 s10, s2
	s_cbranch_execz .LBB220_22
; %bb.21:                               ;   in Loop: Header=BB220_4 Depth=1
	v_add_co_u32 v6, vcc_lo, v6, s44
	s_wait_alu 0xfffd
	v_add_co_ci_u32_e64 v7, null, s45, v7, vcc_lo
	v_add_co_u32 v4, vcc_lo, v4, v2
	s_wait_alu 0xfffd
	v_add_co_ci_u32_e64 v5, null, v5, v3, vcc_lo
	flat_load_b32 v6, v[6:7]
	flat_load_b32 v4, v[4:5]
	s_wait_loadcnt_dscnt 0x0
	v_fmac_f32_e32 v18, v6, v4
.LBB220_22:                             ;   in Loop: Header=BB220_4 Depth=1
	s_or_b32 exec_lo, exec_lo, s10
	ds_store_b32 v13, v18
	s_wait_dscnt 0x0
	s_barrier_signal -1
	s_barrier_wait -1
	global_inv scope:SCOPE_SE
	s_and_saveexec_b32 s10, s1
	s_cbranch_execz .LBB220_24
; %bb.23:                               ;   in Loop: Header=BB220_4 Depth=1
	ds_load_2addr_stride64_b32 v[4:5], v13 offset1:2
	s_wait_dscnt 0x0
	v_add_f32_e32 v4, v5, v4
	ds_store_b32 v13, v4
.LBB220_24:                             ;   in Loop: Header=BB220_4 Depth=1
	s_or_b32 exec_lo, exec_lo, s10
	s_wait_loadcnt_dscnt 0x0
	s_barrier_signal -1
	s_barrier_wait -1
	global_inv scope:SCOPE_SE
	s_and_saveexec_b32 s10, s3
	s_cbranch_execz .LBB220_26
; %bb.25:                               ;   in Loop: Header=BB220_4 Depth=1
	ds_load_2addr_stride64_b32 v[4:5], v13 offset1:1
	s_wait_dscnt 0x0
	v_add_f32_e32 v4, v5, v4
	ds_store_b32 v13, v4
.LBB220_26:                             ;   in Loop: Header=BB220_4 Depth=1
	s_or_b32 exec_lo, exec_lo, s10
	s_wait_loadcnt_dscnt 0x0
	s_barrier_signal -1
	s_barrier_wait -1
	global_inv scope:SCOPE_SE
	s_and_saveexec_b32 s10, s4
	s_cbranch_execz .LBB220_28
; %bb.27:                               ;   in Loop: Header=BB220_4 Depth=1
	ds_load_2addr_b32 v[4:5], v13 offset1:32
	s_wait_dscnt 0x0
	v_add_f32_e32 v4, v5, v4
	ds_store_b32 v13, v4
.LBB220_28:                             ;   in Loop: Header=BB220_4 Depth=1
	s_or_b32 exec_lo, exec_lo, s10
	s_wait_loadcnt_dscnt 0x0
	s_barrier_signal -1
	s_barrier_wait -1
	global_inv scope:SCOPE_SE
	s_and_saveexec_b32 s10, s5
	s_cbranch_execz .LBB220_30
; %bb.29:                               ;   in Loop: Header=BB220_4 Depth=1
	ds_load_2addr_b32 v[4:5], v13 offset1:16
	s_wait_dscnt 0x0
	v_add_f32_e32 v4, v5, v4
	ds_store_b32 v13, v4
.LBB220_30:                             ;   in Loop: Header=BB220_4 Depth=1
	;; [unrolled: 13-line block ×5, first 2 shown]
	s_or_b32 exec_lo, exec_lo, s10
	s_wait_loadcnt_dscnt 0x0
	s_barrier_signal -1
	s_barrier_wait -1
	global_inv scope:SCOPE_SE
	s_and_saveexec_b32 s10, s0
	s_cbranch_execz .LBB220_38
; %bb.37:                               ;   in Loop: Header=BB220_4 Depth=1
	ds_load_b64 v[4:5], v12
	s_wait_dscnt 0x0
	v_add_f32_e32 v4, v5, v4
	ds_store_b32 v12, v4
.LBB220_38:                             ;   in Loop: Header=BB220_4 Depth=1
	s_or_b32 exec_lo, exec_lo, s10
	s_wait_loadcnt_dscnt 0x0
	s_barrier_signal -1
	s_barrier_wait -1
	global_inv scope:SCOPE_SE
                                        ; implicit-def: $vgpr8
	s_and_saveexec_b32 s10, s0
	s_cbranch_execz .LBB220_42
; %bb.39:                               ;   in Loop: Header=BB220_4 Depth=1
	ds_load_b32 v4, v12
	s_cmp_eq_f32 s37, 0
	s_wait_dscnt 0x0
	v_mul_f32_e32 v8, v15, v4
	s_cbranch_scc1 .LBB220_41
; %bb.40:                               ;   in Loop: Header=BB220_4 Depth=1
	v_add_co_u32 v4, vcc_lo, v16, s40
	s_wait_alu 0xfffd
	v_add_co_ci_u32_e64 v5, null, s41, v17, vcc_lo
	flat_load_b32 v4, v[4:5]
	s_wait_loadcnt_dscnt 0x0
	v_fmac_f32_e32 v8, s37, v4
.LBB220_41:                             ;   in Loop: Header=BB220_4 Depth=1
	s_or_b32 s9, s9, exec_lo
.LBB220_42:                             ;   in Loop: Header=BB220_4 Depth=1
	s_or_b32 exec_lo, exec_lo, s10
.LBB220_43:                             ;   in Loop: Header=BB220_4 Depth=1
	s_wait_alu 0xfffe
	s_and_saveexec_b32 s10, s9
	s_cbranch_execz .LBB220_2
; %bb.44:                               ;   in Loop: Header=BB220_4 Depth=1
	v_add_co_u32 v4, vcc_lo, v16, s40
	s_wait_alu 0xfffd
	v_add_co_ci_u32_e64 v5, null, s41, v17, vcc_lo
	flat_store_b32 v[4:5], v8
	s_branch .LBB220_2
.LBB220_45:
	s_endpgm
	.section	.rodata,"a",@progbits
	.p2align	6, 0x0
	.amdhsa_kernel _ZL20rocblas_gemvt_kernelILb0ELi256EPKfS1_KPfEviiT2_lPKT1_lilS7_lilS4_lPT3_lili
		.amdhsa_group_segment_fixed_size 1024
		.amdhsa_private_segment_fixed_size 0
		.amdhsa_kernarg_size 140
		.amdhsa_user_sgpr_count 2
		.amdhsa_user_sgpr_dispatch_ptr 0
		.amdhsa_user_sgpr_queue_ptr 0
		.amdhsa_user_sgpr_kernarg_segment_ptr 1
		.amdhsa_user_sgpr_dispatch_id 0
		.amdhsa_user_sgpr_private_segment_size 0
		.amdhsa_wavefront_size32 1
		.amdhsa_uses_dynamic_stack 0
		.amdhsa_enable_private_segment 0
		.amdhsa_system_sgpr_workgroup_id_x 1
		.amdhsa_system_sgpr_workgroup_id_y 0
		.amdhsa_system_sgpr_workgroup_id_z 1
		.amdhsa_system_sgpr_workgroup_info 0
		.amdhsa_system_vgpr_workitem_id 0
		.amdhsa_next_free_vgpr 21
		.amdhsa_next_free_sgpr 50
		.amdhsa_reserve_vcc 1
		.amdhsa_float_round_mode_32 0
		.amdhsa_float_round_mode_16_64 0
		.amdhsa_float_denorm_mode_32 3
		.amdhsa_float_denorm_mode_16_64 3
		.amdhsa_fp16_overflow 0
		.amdhsa_workgroup_processor_mode 1
		.amdhsa_memory_ordered 1
		.amdhsa_forward_progress 1
		.amdhsa_inst_pref_size 14
		.amdhsa_round_robin_scheduling 0
		.amdhsa_exception_fp_ieee_invalid_op 0
		.amdhsa_exception_fp_denorm_src 0
		.amdhsa_exception_fp_ieee_div_zero 0
		.amdhsa_exception_fp_ieee_overflow 0
		.amdhsa_exception_fp_ieee_underflow 0
		.amdhsa_exception_fp_ieee_inexact 0
		.amdhsa_exception_int_div_zero 0
	.end_amdhsa_kernel
	.section	.text._ZL20rocblas_gemvt_kernelILb0ELi256EPKfS1_KPfEviiT2_lPKT1_lilS7_lilS4_lPT3_lili,"axG",@progbits,_ZL20rocblas_gemvt_kernelILb0ELi256EPKfS1_KPfEviiT2_lPKT1_lilS7_lilS4_lPT3_lili,comdat
.Lfunc_end220:
	.size	_ZL20rocblas_gemvt_kernelILb0ELi256EPKfS1_KPfEviiT2_lPKT1_lilS7_lilS4_lPT3_lili, .Lfunc_end220-_ZL20rocblas_gemvt_kernelILb0ELi256EPKfS1_KPfEviiT2_lPKT1_lilS7_lilS4_lPT3_lili
                                        ; -- End function
	.set _ZL20rocblas_gemvt_kernelILb0ELi256EPKfS1_KPfEviiT2_lPKT1_lilS7_lilS4_lPT3_lili.num_vgpr, 21
	.set _ZL20rocblas_gemvt_kernelILb0ELi256EPKfS1_KPfEviiT2_lPKT1_lilS7_lilS4_lPT3_lili.num_agpr, 0
	.set _ZL20rocblas_gemvt_kernelILb0ELi256EPKfS1_KPfEviiT2_lPKT1_lilS7_lilS4_lPT3_lili.numbered_sgpr, 50
	.set _ZL20rocblas_gemvt_kernelILb0ELi256EPKfS1_KPfEviiT2_lPKT1_lilS7_lilS4_lPT3_lili.num_named_barrier, 0
	.set _ZL20rocblas_gemvt_kernelILb0ELi256EPKfS1_KPfEviiT2_lPKT1_lilS7_lilS4_lPT3_lili.private_seg_size, 0
	.set _ZL20rocblas_gemvt_kernelILb0ELi256EPKfS1_KPfEviiT2_lPKT1_lilS7_lilS4_lPT3_lili.uses_vcc, 1
	.set _ZL20rocblas_gemvt_kernelILb0ELi256EPKfS1_KPfEviiT2_lPKT1_lilS7_lilS4_lPT3_lili.uses_flat_scratch, 0
	.set _ZL20rocblas_gemvt_kernelILb0ELi256EPKfS1_KPfEviiT2_lPKT1_lilS7_lilS4_lPT3_lili.has_dyn_sized_stack, 0
	.set _ZL20rocblas_gemvt_kernelILb0ELi256EPKfS1_KPfEviiT2_lPKT1_lilS7_lilS4_lPT3_lili.has_recursion, 0
	.set _ZL20rocblas_gemvt_kernelILb0ELi256EPKfS1_KPfEviiT2_lPKT1_lilS7_lilS4_lPT3_lili.has_indirect_call, 0
	.section	.AMDGPU.csdata,"",@progbits
; Kernel info:
; codeLenInByte = 1692
; TotalNumSgprs: 52
; NumVgprs: 21
; ScratchSize: 0
; MemoryBound: 0
; FloatMode: 240
; IeeeMode: 1
; LDSByteSize: 1024 bytes/workgroup (compile time only)
; SGPRBlocks: 0
; VGPRBlocks: 2
; NumSGPRsForWavesPerEU: 52
; NumVGPRsForWavesPerEU: 21
; Occupancy: 16
; WaveLimiterHint : 1
; COMPUTE_PGM_RSRC2:SCRATCH_EN: 0
; COMPUTE_PGM_RSRC2:USER_SGPR: 2
; COMPUTE_PGM_RSRC2:TRAP_HANDLER: 0
; COMPUTE_PGM_RSRC2:TGID_X_EN: 1
; COMPUTE_PGM_RSRC2:TGID_Y_EN: 0
; COMPUTE_PGM_RSRC2:TGID_Z_EN: 1
; COMPUTE_PGM_RSRC2:TIDIG_COMP_CNT: 0
	.section	.text._ZL20rocblas_gemvt_kernelILb0ELi256EPKffKPfEviiT2_lPKT1_lilS7_lilS4_lPT3_lili,"axG",@progbits,_ZL20rocblas_gemvt_kernelILb0ELi256EPKffKPfEviiT2_lPKT1_lilS7_lilS4_lPT3_lili,comdat
	.globl	_ZL20rocblas_gemvt_kernelILb0ELi256EPKffKPfEviiT2_lPKT1_lilS7_lilS4_lPT3_lili ; -- Begin function _ZL20rocblas_gemvt_kernelILb0ELi256EPKffKPfEviiT2_lPKT1_lilS7_lilS4_lPT3_lili
	.p2align	8
	.type	_ZL20rocblas_gemvt_kernelILb0ELi256EPKffKPfEviiT2_lPKT1_lilS7_lilS4_lPT3_lili,@function
_ZL20rocblas_gemvt_kernelILb0ELi256EPKffKPfEviiT2_lPKT1_lilS7_lilS4_lPT3_lili: ; @_ZL20rocblas_gemvt_kernelILb0ELi256EPKffKPfEviiT2_lPKT1_lilS7_lilS4_lPT3_lili
; %bb.0:
	s_load_b32 s33, s[0:1], 0x88
	s_lshr_b32 s10, ttmp7, 16
	s_wait_kmcnt 0x0
	s_cmp_ge_u32 s10, s33
	s_cbranch_scc1 .LBB221_48
; %bb.1:
	s_clause 0x8
	s_load_b32 s26, s[0:1], 0x28
	s_load_b32 s28, s[0:1], 0x48
	;; [unrolled: 1-line block ×6, first 2 shown]
	s_load_b128 s[12:15], s[0:1], 0x18
	s_load_b128 s[16:19], s[0:1], 0x38
	;; [unrolled: 1-line block ×3, first 2 shown]
	v_cmp_eq_u32_e64 s0, 0, v0
	v_dual_mov_b32 v13, 0 :: v_dual_lshlrev_b32 v14, 2, v0
	v_cmp_gt_u32_e64 s1, 0x80, v0
	v_cmp_gt_u32_e64 s2, 64, v0
	;; [unrolled: 1-line block ×5, first 2 shown]
	s_mov_b32 s8, ttmp9
	s_mov_b32 s11, 0
	s_wait_kmcnt 0x0
	s_ashr_i32 s27, s26, 31
	s_ashr_i32 s29, s28, 31
	;; [unrolled: 1-line block ×3, first 2 shown]
	s_cmp_eq_f32 s36, 0
	v_mad_co_i64_i32 v[1:2], null, s28, v0, 0
	v_cmp_gt_i32_e32 vcc_lo, s41, v0
	s_cselect_b32 s38, -1, 0
	s_cmp_neq_f32 s37, 1.0
	v_cndmask_b32_e32 v5, 0, v0, vcc_lo
	s_cselect_b32 s6, -1, 0
	s_cmp_neq_f32 s36, 0
	s_delay_alu instid0(VALU_DEP_3) | instskip(SKIP_1) | instid1(SALU_CYCLE_1)
	v_lshlrev_b64_e32 v[1:2], 2, v[1:2]
	s_cselect_b32 s7, -1, 0
	s_or_b32 s39, s7, s6
	s_cmp_neq_f32 s37, 0
	v_cndmask_b32_e64 v15, 0, 1, s7
	v_cmp_gt_u32_e64 s6, 4, v0
	v_cmp_gt_u32_e64 s7, 2, v0
	s_cselect_b32 s40, -1, 0
	s_ashr_i32 s9, s41, 31
	s_delay_alu instid0(SALU_CYCLE_1) | instskip(NEXT) | instid1(SALU_CYCLE_1)
	s_lshr_b32 s9, s9, 24
	s_add_co_i32 s24, s41, s9
	s_ashr_i32 s9, ttmp9, 31
	s_and_b32 s24, s24, 0xffffff00
	s_cmp_gt_i32 s41, 0xff
	v_or_b32_e32 v0, s24, v0
	s_mul_u64 s[30:31], s[30:31], s[8:9]
	s_mul_u64 s[34:35], s[26:27], s[8:9]
	s_cselect_b32 s9, -1, 0
	s_ashr_i32 s25, s24, 31
	v_mad_co_i64_i32 v[3:4], null, s28, v0, 0
	v_cmp_gt_i32_e64 s8, s41, v0
	v_lshlrev_b32_e32 v0, 2, v5
	s_lshl_b64 s[26:27], s[28:29], 10
	s_lshl_b64 s[14:15], s[14:15], 2
	;; [unrolled: 1-line block ×4, first 2 shown]
	v_lshlrev_b64_e32 v[3:4], 2, v[3:4]
	s_lshl_b64 s[28:29], s[30:31], 2
	s_lshl_b64 s[30:31], s[34:35], 2
	s_wait_alu 0xfffe
	s_lshl_b64 s[34:35], s[24:25], 2
	s_branch .LBB221_4
.LBB221_2:                              ;   in Loop: Header=BB221_4 Depth=1
	s_wait_alu 0xfffe
	s_or_b32 exec_lo, exec_lo, s41
.LBB221_3:                              ;   in Loop: Header=BB221_4 Depth=1
	s_add_co_i32 s10, s10, 0x10000
	s_delay_alu instid0(SALU_CYCLE_1)
	s_cmp_lt_u32 s10, s33
	s_cbranch_scc0 .LBB221_48
.LBB221_4:                              ; =>This Loop Header: Depth=1
                                        ;     Child Loop BB221_22 Depth 2
	s_and_not1_b32 vcc_lo, exec_lo, s39
	s_wait_alu 0xfffe
	s_cbranch_vccnz .LBB221_3
; %bb.5:                                ;   in Loop: Header=BB221_4 Depth=1
	s_and_not1_b32 vcc_lo, exec_lo, s38
	s_wait_alu 0xfffe
	s_cbranch_vccnz .LBB221_7
; %bb.6:                                ;   in Loop: Header=BB221_4 Depth=1
	s_mov_b32 s25, 0
	s_branch .LBB221_8
.LBB221_7:                              ;   in Loop: Header=BB221_4 Depth=1
	s_mov_b32 s25, -1
.LBB221_8:                              ;   in Loop: Header=BB221_4 Depth=1
	v_mov_b32_e32 v5, 0
	v_dual_mov_b32 v6, 0 :: v_dual_mov_b32 v7, 0
	v_mov_b32_e32 v8, 0
	s_wait_alu 0xfffe
	s_and_not1_b32 vcc_lo, exec_lo, s25
	s_wait_alu 0xfffe
	s_cbranch_vccnz .LBB221_10
; %bb.9:                                ;   in Loop: Header=BB221_4 Depth=1
	s_lshl_b64 s[42:43], s[10:11], 3
	s_delay_alu instid0(SALU_CYCLE_1)
	s_add_nc_u64 s[42:43], s[12:13], s[42:43]
	global_load_b64 v[7:8], v13, s[42:43]
	s_wait_loadcnt 0x0
	v_add_co_u32 v7, vcc_lo, v7, s14
	s_wait_alu 0xfffd
	v_add_co_ci_u32_e64 v8, null, s15, v8, vcc_lo
.LBB221_10:                             ;   in Loop: Header=BB221_4 Depth=1
	v_cmp_ne_u32_e32 vcc_lo, 1, v15
	s_cbranch_vccnz .LBB221_12
; %bb.11:                               ;   in Loop: Header=BB221_4 Depth=1
	s_lshl_b64 s[42:43], s[10:11], 3
	s_delay_alu instid0(SALU_CYCLE_1)
	s_add_nc_u64 s[42:43], s[16:17], s[42:43]
	global_load_b64 v[5:6], v13, s[42:43]
	s_wait_loadcnt 0x0
	v_add_co_u32 v5, vcc_lo, v5, s18
	s_wait_alu 0xfffd
	v_add_co_ci_u32_e64 v6, null, s19, v6, vcc_lo
.LBB221_12:                             ;   in Loop: Header=BB221_4 Depth=1
	s_lshl_b64 s[42:43], s[10:11], 3
	s_delay_alu instid0(SALU_CYCLE_1)
	s_add_nc_u64 s[42:43], s[20:21], s[42:43]
	global_load_b64 v[9:10], v13, s[42:43]
	s_wait_loadcnt 0x0
	v_add_co_u32 v16, vcc_lo, v9, s22
	s_wait_alu 0xfffd
	v_add_co_ci_u32_e64 v17, null, s23, v10, vcc_lo
	s_and_not1_b32 vcc_lo, exec_lo, s38
	s_wait_alu 0xfffe
	s_cbranch_vccnz .LBB221_16
; %bb.13:                               ;   in Loop: Header=BB221_4 Depth=1
	s_mov_b32 s41, 0
	s_mov_b32 s25, 0
                                        ; implicit-def: $vgpr9
	s_and_saveexec_b32 s42, s0
	s_cbranch_execz .LBB221_17
; %bb.14:                               ;   in Loop: Header=BB221_4 Depth=1
	s_and_not1_b32 vcc_lo, exec_lo, s40
	s_wait_alu 0xfffe
	s_cbranch_vccnz .LBB221_18
; %bb.15:                               ;   in Loop: Header=BB221_4 Depth=1
	v_add_co_u32 v9, vcc_lo, v16, s28
	s_wait_alu 0xfffd
	v_add_co_ci_u32_e64 v10, null, s29, v17, vcc_lo
	flat_load_b32 v9, v[9:10]
	s_wait_loadcnt_dscnt 0x0
	v_mul_f32_e32 v9, s37, v9
	s_branch .LBB221_19
.LBB221_16:                             ;   in Loop: Header=BB221_4 Depth=1
	s_mov_b32 s25, 0
                                        ; implicit-def: $vgpr9
	s_cbranch_execnz .LBB221_20
	s_branch .LBB221_46
.LBB221_17:                             ;   in Loop: Header=BB221_4 Depth=1
	s_or_b32 exec_lo, exec_lo, s42
	s_wait_alu 0xfffe
	s_and_b32 vcc_lo, exec_lo, s41
	s_wait_alu 0xfffe
	s_cbranch_vccnz .LBB221_20
	s_branch .LBB221_46
.LBB221_18:                             ;   in Loop: Header=BB221_4 Depth=1
	v_mov_b32_e32 v9, 0
.LBB221_19:                             ;   in Loop: Header=BB221_4 Depth=1
	s_mov_b32 s25, exec_lo
	s_or_b32 exec_lo, exec_lo, s42
	s_delay_alu instid0(SALU_CYCLE_1)
	s_and_b32 vcc_lo, exec_lo, s41
	s_wait_alu 0xfffe
	s_cbranch_vccz .LBB221_46
.LBB221_20:                             ;   in Loop: Header=BB221_4 Depth=1
	v_add_co_u32 v7, vcc_lo, v7, v0
	s_wait_alu 0xfffd
	v_add_co_ci_u32_e64 v8, null, 0, v8, vcc_lo
	v_mov_b32_e32 v18, 0
	s_delay_alu instid0(VALU_DEP_3) | instskip(SKIP_1) | instid1(VALU_DEP_3)
	v_add_co_u32 v7, vcc_lo, v7, s30
	s_wait_alu 0xfffd
	v_add_co_ci_u32_e64 v8, null, s31, v8, vcc_lo
	s_and_not1_b32 vcc_lo, exec_lo, s9
	s_wait_alu 0xfffe
	s_cbranch_vccnz .LBB221_23
; %bb.21:                               ;   in Loop: Header=BB221_4 Depth=1
	v_add_co_u32 v9, vcc_lo, v5, v1
	v_mov_b32_e32 v12, v8
	s_wait_alu 0xfffd
	v_add_co_ci_u32_e64 v10, null, v6, v2, vcc_lo
	v_dual_mov_b32 v18, 0 :: v_dual_mov_b32 v11, v7
	s_mov_b32 s41, 0
.LBB221_22:                             ;   Parent Loop BB221_4 Depth=1
                                        ; =>  This Inner Loop Header: Depth=2
	flat_load_b32 v19, v[11:12]
	flat_load_b32 v20, v[9:10]
	v_add_co_u32 v9, vcc_lo, v9, s26
	s_wait_alu 0xfffd
	v_add_co_ci_u32_e64 v10, null, s27, v10, vcc_lo
	v_add_co_u32 v11, vcc_lo, 0x400, v11
	s_wait_alu 0xfffd
	v_add_co_ci_u32_e64 v12, null, 0, v12, vcc_lo
	s_wait_alu 0xfffe
	s_addk_co_i32 s41, 0x100
	s_wait_alu 0xfffe
	s_cmp_ge_i32 s41, s24
	s_wait_loadcnt_dscnt 0x0
	v_fmac_f32_e32 v18, v19, v20
	s_cbranch_scc0 .LBB221_22
.LBB221_23:                             ;   in Loop: Header=BB221_4 Depth=1
	s_and_saveexec_b32 s41, s8
	s_cbranch_execz .LBB221_25
; %bb.24:                               ;   in Loop: Header=BB221_4 Depth=1
	v_add_co_u32 v7, vcc_lo, v7, s34
	s_wait_alu 0xfffd
	v_add_co_ci_u32_e64 v8, null, s35, v8, vcc_lo
	v_add_co_u32 v5, vcc_lo, v5, v3
	s_wait_alu 0xfffd
	v_add_co_ci_u32_e64 v6, null, v6, v4, vcc_lo
	flat_load_b32 v7, v[7:8]
	flat_load_b32 v5, v[5:6]
	s_wait_loadcnt_dscnt 0x0
	v_fmac_f32_e32 v18, v7, v5
.LBB221_25:                             ;   in Loop: Header=BB221_4 Depth=1
	s_wait_alu 0xfffe
	s_or_b32 exec_lo, exec_lo, s41
	ds_store_b32 v14, v18
	s_wait_dscnt 0x0
	s_barrier_signal -1
	s_barrier_wait -1
	global_inv scope:SCOPE_SE
	s_and_saveexec_b32 s41, s1
	s_cbranch_execz .LBB221_27
; %bb.26:                               ;   in Loop: Header=BB221_4 Depth=1
	ds_load_2addr_stride64_b32 v[5:6], v14 offset1:2
	s_wait_dscnt 0x0
	v_add_f32_e32 v5, v6, v5
	ds_store_b32 v14, v5
.LBB221_27:                             ;   in Loop: Header=BB221_4 Depth=1
	s_wait_alu 0xfffe
	s_or_b32 exec_lo, exec_lo, s41
	s_wait_loadcnt_dscnt 0x0
	s_barrier_signal -1
	s_barrier_wait -1
	global_inv scope:SCOPE_SE
	s_and_saveexec_b32 s41, s2
	s_cbranch_execz .LBB221_29
; %bb.28:                               ;   in Loop: Header=BB221_4 Depth=1
	ds_load_2addr_stride64_b32 v[5:6], v14 offset1:1
	s_wait_dscnt 0x0
	v_add_f32_e32 v5, v6, v5
	ds_store_b32 v14, v5
.LBB221_29:                             ;   in Loop: Header=BB221_4 Depth=1
	s_wait_alu 0xfffe
	s_or_b32 exec_lo, exec_lo, s41
	s_wait_loadcnt_dscnt 0x0
	s_barrier_signal -1
	s_barrier_wait -1
	global_inv scope:SCOPE_SE
	s_and_saveexec_b32 s41, s3
	s_cbranch_execz .LBB221_31
; %bb.30:                               ;   in Loop: Header=BB221_4 Depth=1
	ds_load_2addr_b32 v[5:6], v14 offset1:32
	s_wait_dscnt 0x0
	v_add_f32_e32 v5, v6, v5
	ds_store_b32 v14, v5
.LBB221_31:                             ;   in Loop: Header=BB221_4 Depth=1
	s_wait_alu 0xfffe
	s_or_b32 exec_lo, exec_lo, s41
	s_wait_loadcnt_dscnt 0x0
	s_barrier_signal -1
	s_barrier_wait -1
	global_inv scope:SCOPE_SE
	s_and_saveexec_b32 s41, s4
	s_cbranch_execz .LBB221_33
; %bb.32:                               ;   in Loop: Header=BB221_4 Depth=1
	ds_load_2addr_b32 v[5:6], v14 offset1:16
	s_wait_dscnt 0x0
	v_add_f32_e32 v5, v6, v5
	ds_store_b32 v14, v5
.LBB221_33:                             ;   in Loop: Header=BB221_4 Depth=1
	;; [unrolled: 14-line block ×5, first 2 shown]
	s_wait_alu 0xfffe
	s_or_b32 exec_lo, exec_lo, s41
	s_wait_loadcnt_dscnt 0x0
	s_barrier_signal -1
	s_barrier_wait -1
	global_inv scope:SCOPE_SE
	s_and_saveexec_b32 s41, s0
	s_cbranch_execz .LBB221_41
; %bb.40:                               ;   in Loop: Header=BB221_4 Depth=1
	ds_load_b64 v[5:6], v13
	s_wait_dscnt 0x0
	v_add_f32_e32 v5, v6, v5
	ds_store_b32 v13, v5
.LBB221_41:                             ;   in Loop: Header=BB221_4 Depth=1
	s_wait_alu 0xfffe
	s_or_b32 exec_lo, exec_lo, s41
	s_wait_loadcnt_dscnt 0x0
	s_barrier_signal -1
	s_barrier_wait -1
	global_inv scope:SCOPE_SE
                                        ; implicit-def: $vgpr9
	s_and_saveexec_b32 s41, s0
	s_cbranch_execz .LBB221_45
; %bb.42:                               ;   in Loop: Header=BB221_4 Depth=1
	ds_load_b32 v5, v13
	s_and_not1_b32 vcc_lo, exec_lo, s40
	s_wait_dscnt 0x0
	v_mul_f32_e32 v9, s36, v5
	s_wait_alu 0xfffe
	s_cbranch_vccnz .LBB221_44
; %bb.43:                               ;   in Loop: Header=BB221_4 Depth=1
	v_add_co_u32 v5, vcc_lo, v16, s28
	s_wait_alu 0xfffd
	v_add_co_ci_u32_e64 v6, null, s29, v17, vcc_lo
	flat_load_b32 v5, v[5:6]
	s_wait_loadcnt_dscnt 0x0
	v_fmac_f32_e32 v9, s37, v5
.LBB221_44:                             ;   in Loop: Header=BB221_4 Depth=1
	s_or_b32 s25, s25, exec_lo
.LBB221_45:                             ;   in Loop: Header=BB221_4 Depth=1
	s_wait_alu 0xfffe
	s_or_b32 exec_lo, exec_lo, s41
.LBB221_46:                             ;   in Loop: Header=BB221_4 Depth=1
	s_wait_alu 0xfffe
	s_and_saveexec_b32 s41, s25
	s_cbranch_execz .LBB221_2
; %bb.47:                               ;   in Loop: Header=BB221_4 Depth=1
	v_add_co_u32 v5, vcc_lo, v16, s28
	s_wait_alu 0xfffd
	v_add_co_ci_u32_e64 v6, null, s29, v17, vcc_lo
	flat_store_b32 v[5:6], v9
	s_branch .LBB221_2
.LBB221_48:
	s_endpgm
	.section	.rodata,"a",@progbits
	.p2align	6, 0x0
	.amdhsa_kernel _ZL20rocblas_gemvt_kernelILb0ELi256EPKffKPfEviiT2_lPKT1_lilS7_lilS4_lPT3_lili
		.amdhsa_group_segment_fixed_size 1024
		.amdhsa_private_segment_fixed_size 0
		.amdhsa_kernarg_size 140
		.amdhsa_user_sgpr_count 2
		.amdhsa_user_sgpr_dispatch_ptr 0
		.amdhsa_user_sgpr_queue_ptr 0
		.amdhsa_user_sgpr_kernarg_segment_ptr 1
		.amdhsa_user_sgpr_dispatch_id 0
		.amdhsa_user_sgpr_private_segment_size 0
		.amdhsa_wavefront_size32 1
		.amdhsa_uses_dynamic_stack 0
		.amdhsa_enable_private_segment 0
		.amdhsa_system_sgpr_workgroup_id_x 1
		.amdhsa_system_sgpr_workgroup_id_y 0
		.amdhsa_system_sgpr_workgroup_id_z 1
		.amdhsa_system_sgpr_workgroup_info 0
		.amdhsa_system_vgpr_workitem_id 0
		.amdhsa_next_free_vgpr 21
		.amdhsa_next_free_sgpr 44
		.amdhsa_reserve_vcc 1
		.amdhsa_float_round_mode_32 0
		.amdhsa_float_round_mode_16_64 0
		.amdhsa_float_denorm_mode_32 3
		.amdhsa_float_denorm_mode_16_64 3
		.amdhsa_fp16_overflow 0
		.amdhsa_workgroup_processor_mode 1
		.amdhsa_memory_ordered 1
		.amdhsa_forward_progress 1
		.amdhsa_inst_pref_size 14
		.amdhsa_round_robin_scheduling 0
		.amdhsa_exception_fp_ieee_invalid_op 0
		.amdhsa_exception_fp_denorm_src 0
		.amdhsa_exception_fp_ieee_div_zero 0
		.amdhsa_exception_fp_ieee_overflow 0
		.amdhsa_exception_fp_ieee_underflow 0
		.amdhsa_exception_fp_ieee_inexact 0
		.amdhsa_exception_int_div_zero 0
	.end_amdhsa_kernel
	.section	.text._ZL20rocblas_gemvt_kernelILb0ELi256EPKffKPfEviiT2_lPKT1_lilS7_lilS4_lPT3_lili,"axG",@progbits,_ZL20rocblas_gemvt_kernelILb0ELi256EPKffKPfEviiT2_lPKT1_lilS7_lilS4_lPT3_lili,comdat
.Lfunc_end221:
	.size	_ZL20rocblas_gemvt_kernelILb0ELi256EPKffKPfEviiT2_lPKT1_lilS7_lilS4_lPT3_lili, .Lfunc_end221-_ZL20rocblas_gemvt_kernelILb0ELi256EPKffKPfEviiT2_lPKT1_lilS7_lilS4_lPT3_lili
                                        ; -- End function
	.set _ZL20rocblas_gemvt_kernelILb0ELi256EPKffKPfEviiT2_lPKT1_lilS7_lilS4_lPT3_lili.num_vgpr, 21
	.set _ZL20rocblas_gemvt_kernelILb0ELi256EPKffKPfEviiT2_lPKT1_lilS7_lilS4_lPT3_lili.num_agpr, 0
	.set _ZL20rocblas_gemvt_kernelILb0ELi256EPKffKPfEviiT2_lPKT1_lilS7_lilS4_lPT3_lili.numbered_sgpr, 44
	.set _ZL20rocblas_gemvt_kernelILb0ELi256EPKffKPfEviiT2_lPKT1_lilS7_lilS4_lPT3_lili.num_named_barrier, 0
	.set _ZL20rocblas_gemvt_kernelILb0ELi256EPKffKPfEviiT2_lPKT1_lilS7_lilS4_lPT3_lili.private_seg_size, 0
	.set _ZL20rocblas_gemvt_kernelILb0ELi256EPKffKPfEviiT2_lPKT1_lilS7_lilS4_lPT3_lili.uses_vcc, 1
	.set _ZL20rocblas_gemvt_kernelILb0ELi256EPKffKPfEviiT2_lPKT1_lilS7_lilS4_lPT3_lili.uses_flat_scratch, 0
	.set _ZL20rocblas_gemvt_kernelILb0ELi256EPKffKPfEviiT2_lPKT1_lilS7_lilS4_lPT3_lili.has_dyn_sized_stack, 0
	.set _ZL20rocblas_gemvt_kernelILb0ELi256EPKffKPfEviiT2_lPKT1_lilS7_lilS4_lPT3_lili.has_recursion, 0
	.set _ZL20rocblas_gemvt_kernelILb0ELi256EPKffKPfEviiT2_lPKT1_lilS7_lilS4_lPT3_lili.has_indirect_call, 0
	.section	.AMDGPU.csdata,"",@progbits
; Kernel info:
; codeLenInByte = 1744
; TotalNumSgprs: 46
; NumVgprs: 21
; ScratchSize: 0
; MemoryBound: 0
; FloatMode: 240
; IeeeMode: 1
; LDSByteSize: 1024 bytes/workgroup (compile time only)
; SGPRBlocks: 0
; VGPRBlocks: 2
; NumSGPRsForWavesPerEU: 46
; NumVGPRsForWavesPerEU: 21
; Occupancy: 16
; WaveLimiterHint : 1
; COMPUTE_PGM_RSRC2:SCRATCH_EN: 0
; COMPUTE_PGM_RSRC2:USER_SGPR: 2
; COMPUTE_PGM_RSRC2:TRAP_HANDLER: 0
; COMPUTE_PGM_RSRC2:TGID_X_EN: 1
; COMPUTE_PGM_RSRC2:TGID_Y_EN: 0
; COMPUTE_PGM_RSRC2:TGID_Z_EN: 1
; COMPUTE_PGM_RSRC2:TIDIG_COMP_CNT: 0
	.section	.text._ZL32rocblas_gemvt_warp_reduce_kernelILb0ELi1024EiPKfS1_KPfEviiT3_lPKT2_lT1_lS7_lS8_lS4_lPT4_lS8_li,"axG",@progbits,_ZL32rocblas_gemvt_warp_reduce_kernelILb0ELi1024EiPKfS1_KPfEviiT3_lPKT2_lT1_lS7_lS8_lS4_lPT4_lS8_li,comdat
	.globl	_ZL32rocblas_gemvt_warp_reduce_kernelILb0ELi1024EiPKfS1_KPfEviiT3_lPKT2_lT1_lS7_lS8_lS4_lPT4_lS8_li ; -- Begin function _ZL32rocblas_gemvt_warp_reduce_kernelILb0ELi1024EiPKfS1_KPfEviiT3_lPKT2_lT1_lS7_lS8_lS4_lPT4_lS8_li
	.p2align	8
	.type	_ZL32rocblas_gemvt_warp_reduce_kernelILb0ELi1024EiPKfS1_KPfEviiT3_lPKT2_lT1_lS7_lS8_lS4_lPT4_lS8_li,@function
_ZL32rocblas_gemvt_warp_reduce_kernelILb0ELi1024EiPKfS1_KPfEviiT3_lPKT2_lT1_lS7_lS8_lS4_lPT4_lS8_li: ; @_ZL32rocblas_gemvt_warp_reduce_kernelILb0ELi1024EiPKfS1_KPfEviiT3_lPKT2_lT1_lS7_lS8_lS4_lPT4_lS8_li
; %bb.0:
	s_load_b32 s7, s[0:1], 0x88
	s_lshr_b32 s28, ttmp7, 16
	s_wait_kmcnt 0x0
	s_cmp_ge_u32 s28, s7
	s_cbranch_scc1 .LBB222_38
; %bb.1:
	s_clause 0x6
	s_load_b32 s4, s[0:1], 0x0
	s_load_b32 s3, s[0:1], 0x78
	s_load_b256 s[8:15], s[0:1], 0x8
	s_load_b32 s5, s[0:1], 0x28
	s_load_b128 s[24:27], s[0:1], 0x38
	s_load_b32 s6, s[0:1], 0x48
	s_load_b256 s[16:23], s[0:1], 0x58
	v_lshrrev_b32_e32 v2, 3, v0
	v_and_b32_e32 v1, 31, v0
	v_mov_b32_e32 v11, 0
	v_mbcnt_lo_u32_b32 v15, -1, 0
	v_cmp_eq_u32_e64 s0, 0, v0
	v_and_b32_e32 v13, 0x7c, v2
	v_lshlrev_b32_e32 v12, 2, v1
	v_cmp_gt_u32_e64 s1, 32, v0
	v_lshl_or_b32 v17, v15, 2, 64
	s_mov_b32 s29, 0
	s_wait_kmcnt 0x0
	s_ashr_i32 s2, s4, 31
	v_cmp_gt_i32_e32 vcc_lo, s4, v0
	s_lshr_b32 s2, s2, 22
	s_mul_i32 s34, s3, ttmp9
	s_add_co_i32 s30, s4, s2
	v_cmp_eq_u32_e64 s2, 0, v1
	s_and_b32 s30, s30, 0xfffffc00
	v_cndmask_b32_e32 v3, 0, v0, vcc_lo
	v_or_b32_e32 v2, s30, v0
	v_mul_lo_u32 v14, v0, s6
	s_mul_i32 s36, s5, ttmp9
	v_cmp_gt_i32_e64 s3, s30, v0
	v_lshlrev_b32_e32 v16, 2, v3
	v_mul_lo_u32 v1, s6, v2
	v_cmp_gt_i32_e64 s4, s4, v2
	s_ashr_i32 s35, s34, 31
	s_ashr_i32 s37, s36, 31
	;; [unrolled: 1-line block ×3, first 2 shown]
	s_lshl_b32 s33, s6, 10
	s_lshl_b64 s[14:15], s[14:15], 2
	s_lshl_b64 s[26:27], s[26:27], 2
	v_ashrrev_i32_e32 v2, 31, v1
	s_lshl_b64 s[22:23], s[22:23], 2
	s_lshl_b64 s[34:35], s[34:35], 2
	;; [unrolled: 1-line block ×3, first 2 shown]
	s_wait_alu 0xfffe
	s_lshl_b64 s[38:39], s[30:31], 2
	v_lshlrev_b64_e32 v[1:2], 2, v[1:2]
	s_branch .LBB222_4
.LBB222_2:                              ;   in Loop: Header=BB222_4 Depth=1
	s_wait_alu 0xfffe
	s_or_b32 exec_lo, exec_lo, s5
.LBB222_3:                              ;   in Loop: Header=BB222_4 Depth=1
	s_add_co_i32 s28, s28, 0x10000
	s_delay_alu instid0(SALU_CYCLE_1)
	s_cmp_lt_u32 s28, s7
	s_cbranch_scc0 .LBB222_38
.LBB222_4:                              ; =>This Loop Header: Depth=1
                                        ;     Child Loop BB222_27 Depth 2
	s_mul_u64 s[40:41], s[10:11], s[28:29]
	s_mul_u64 s[42:43], s[18:19], s[28:29]
	s_lshl_b64 s[40:41], s[40:41], 2
	s_lshl_b64 s[42:43], s[42:43], 2
	s_add_nc_u64 s[40:41], s[8:9], s[40:41]
	s_add_nc_u64 s[42:43], s[16:17], s[42:43]
	s_clause 0x1
	global_load_b32 v18, v11, s[40:41]
	global_load_b32 v3, v11, s[42:43]
	s_wait_loadcnt 0x1
	v_cmp_eq_f32_e64 s5, 0, v18
	s_wait_loadcnt 0x0
	v_cmp_eq_f32_e32 vcc_lo, 1.0, v3
	v_readfirstlane_b32 s31, v3
	s_and_b32 s6, s5, vcc_lo
	s_wait_alu 0xfffe
	s_and_b32 vcc_lo, exec_lo, s6
	s_wait_alu 0xfffe
	s_cbranch_vccnz .LBB222_3
; %bb.5:                                ;   in Loop: Header=BB222_4 Depth=1
	v_mov_b32_e32 v3, 0
	v_dual_mov_b32 v4, 0 :: v_dual_mov_b32 v5, 0
	v_cmp_neq_f32_e64 s6, 0, v18
	v_mov_b32_e32 v6, 0
	s_and_b32 vcc_lo, exec_lo, s5
	s_wait_alu 0xfffe
	s_cbranch_vccnz .LBB222_7
; %bb.6:                                ;   in Loop: Header=BB222_4 Depth=1
	s_lshl_b64 s[40:41], s[28:29], 3
	s_delay_alu instid0(SALU_CYCLE_1)
	s_add_nc_u64 s[40:41], s[12:13], s[40:41]
	global_load_b64 v[5:6], v11, s[40:41]
	s_wait_loadcnt 0x0
	v_add_co_u32 v5, vcc_lo, v5, s14
	s_wait_alu 0xfffd
	v_add_co_ci_u32_e64 v6, null, s15, v6, vcc_lo
.LBB222_7:                              ;   in Loop: Header=BB222_4 Depth=1
	s_and_not1_b32 vcc_lo, exec_lo, s6
	s_wait_alu 0xfffe
	s_cbranch_vccnz .LBB222_9
; %bb.8:                                ;   in Loop: Header=BB222_4 Depth=1
	s_lshl_b64 s[40:41], s[28:29], 3
	s_delay_alu instid0(SALU_CYCLE_1)
	s_add_nc_u64 s[40:41], s[24:25], s[40:41]
	global_load_b64 v[3:4], v11, s[40:41]
	s_wait_loadcnt 0x0
	v_add_co_u32 v3, vcc_lo, v3, s26
	s_wait_alu 0xfffd
	v_add_co_ci_u32_e64 v4, null, s27, v4, vcc_lo
.LBB222_9:                              ;   in Loop: Header=BB222_4 Depth=1
	s_lshl_b64 s[40:41], s[28:29], 3
	s_delay_alu instid0(SALU_CYCLE_1)
	s_add_nc_u64 s[40:41], s[20:21], s[40:41]
	s_wait_dscnt 0x0
	global_load_b64 v[7:8], v11, s[40:41]
	s_wait_loadcnt 0x0
	v_add_co_u32 v19, vcc_lo, v7, s22
	s_wait_alu 0xfffd
	v_add_co_ci_u32_e64 v20, null, s23, v8, vcc_lo
	s_and_not1_b32 vcc_lo, exec_lo, s5
	s_wait_alu 0xfffe
	s_cbranch_vccnz .LBB222_13
; %bb.10:                               ;   in Loop: Header=BB222_4 Depth=1
	s_mov_b32 s5, 0
	s_mov_b32 s6, 0
                                        ; implicit-def: $vgpr7
	s_and_saveexec_b32 s40, s0
	s_cbranch_execz .LBB222_14
; %bb.11:                               ;   in Loop: Header=BB222_4 Depth=1
	s_cmp_eq_f32 s31, 0
	s_cbranch_scc1 .LBB222_15
; %bb.12:                               ;   in Loop: Header=BB222_4 Depth=1
	v_add_co_u32 v7, vcc_lo, v19, s34
	s_wait_alu 0xfffd
	v_add_co_ci_u32_e64 v8, null, s35, v20, vcc_lo
	flat_load_b32 v7, v[7:8]
	s_wait_loadcnt_dscnt 0x0
	v_mul_f32_e32 v7, s31, v7
	s_branch .LBB222_16
.LBB222_13:                             ;   in Loop: Header=BB222_4 Depth=1
	s_mov_b32 s6, 0
                                        ; implicit-def: $vgpr7
	s_cbranch_execnz .LBB222_17
	s_branch .LBB222_36
.LBB222_14:                             ;   in Loop: Header=BB222_4 Depth=1
	s_or_b32 exec_lo, exec_lo, s40
	s_wait_alu 0xfffe
	s_and_b32 vcc_lo, exec_lo, s5
	s_wait_alu 0xfffe
	s_cbranch_vccnz .LBB222_17
	s_branch .LBB222_36
.LBB222_15:                             ;   in Loop: Header=BB222_4 Depth=1
	v_mov_b32_e32 v7, 0
.LBB222_16:                             ;   in Loop: Header=BB222_4 Depth=1
	s_mov_b32 s6, exec_lo
	s_or_b32 exec_lo, exec_lo, s40
	s_wait_alu 0xfffe
	s_and_b32 vcc_lo, exec_lo, s5
	s_wait_alu 0xfffe
	s_cbranch_vccz .LBB222_36
.LBB222_17:                             ;   in Loop: Header=BB222_4 Depth=1
	v_add_co_u32 v5, vcc_lo, v5, v16
	s_wait_alu 0xfffd
	v_add_co_ci_u32_e64 v6, null, 0, v6, vcc_lo
	v_mov_b32_e32 v21, 0
	s_delay_alu instid0(VALU_DEP_3) | instskip(SKIP_1) | instid1(VALU_DEP_3)
	v_add_co_u32 v5, vcc_lo, v5, s36
	s_wait_alu 0xfffd
	v_add_co_ci_u32_e64 v6, null, s37, v6, vcc_lo
	s_and_saveexec_b32 s40, s3
	s_cbranch_execnz .LBB222_26
; %bb.18:                               ;   in Loop: Header=BB222_4 Depth=1
	s_or_b32 exec_lo, exec_lo, s40
	s_and_saveexec_b32 s5, s4
	s_cbranch_execnz .LBB222_29
.LBB222_19:                             ;   in Loop: Header=BB222_4 Depth=1
	s_wait_alu 0xfffe
	s_or_b32 exec_lo, exec_lo, s5
	s_and_saveexec_b32 s5, s1
.LBB222_20:                             ;   in Loop: Header=BB222_4 Depth=1
	ds_store_b32 v12, v11
.LBB222_21:                             ;   in Loop: Header=BB222_4 Depth=1
	s_wait_alu 0xfffe
	s_or_b32 exec_lo, exec_lo, s5
	ds_bpermute_b32 v4, v17, v21
	v_cmp_gt_u32_e32 vcc_lo, 24, v15
	s_wait_dscnt 0x0
	s_barrier_signal -1
	s_barrier_wait -1
	global_inv scope:SCOPE_SE
	s_wait_alu 0xfffd
	v_cndmask_b32_e64 v3, 0, 8, vcc_lo
	v_cmp_gt_u32_e32 vcc_lo, 28, v15
	s_delay_alu instid0(VALU_DEP_2)
	v_add_lshl_u32 v3, v3, v15, 2
	v_add_f32_e32 v5, v21, v4
	s_wait_alu 0xfffd
	v_cndmask_b32_e64 v4, 0, 4, vcc_lo
	v_cmp_gt_u32_e32 vcc_lo, 30, v15
	ds_bpermute_b32 v6, v3, v5
	v_add_lshl_u32 v4, v4, v15, 2
	s_wait_dscnt 0x0
	v_add_f32_e32 v6, v5, v6
	s_wait_alu 0xfffd
	v_cndmask_b32_e64 v5, 0, 2, vcc_lo
	v_cmp_ne_u32_e32 vcc_lo, 31, v15
	ds_bpermute_b32 v7, v4, v6
	v_add_lshl_u32 v5, v5, v15, 2
	s_wait_alu 0xfffd
	v_add_co_ci_u32_e64 v8, null, 0, v15, vcc_lo
	s_wait_dscnt 0x0
	v_add_f32_e32 v6, v6, v7
	ds_bpermute_b32 v7, v5, v6
	s_wait_dscnt 0x0
	v_dual_add_f32 v7, v6, v7 :: v_dual_lshlrev_b32 v6, 2, v8
	ds_bpermute_b32 v8, v6, v7
	s_and_saveexec_b32 s5, s2
	s_cbranch_execz .LBB222_23
; %bb.22:                               ;   in Loop: Header=BB222_4 Depth=1
	s_wait_dscnt 0x0
	v_add_f32_e32 v7, v7, v8
	ds_store_b32 v13, v7
.LBB222_23:                             ;   in Loop: Header=BB222_4 Depth=1
	s_wait_alu 0xfffe
	s_or_b32 exec_lo, exec_lo, s5
	s_wait_dscnt 0x0
	v_mov_b32_e32 v8, 0
	s_wait_loadcnt 0x0
	s_barrier_signal -1
	s_barrier_wait -1
	global_inv scope:SCOPE_SE
	s_and_saveexec_b32 s5, s1
	s_cbranch_execnz .LBB222_30
; %bb.24:                               ;   in Loop: Header=BB222_4 Depth=1
	s_wait_alu 0xfffe
	s_or_b32 exec_lo, exec_lo, s5
	s_and_saveexec_b32 s5, s1
	s_cbranch_execnz .LBB222_31
.LBB222_25:                             ;   in Loop: Header=BB222_4 Depth=1
	s_wait_alu 0xfffe
	s_or_b32 exec_lo, exec_lo, s5
                                        ; implicit-def: $vgpr7
	s_and_saveexec_b32 s5, s0
	s_cbranch_execnz .LBB222_32
	s_branch .LBB222_35
.LBB222_26:                             ;   in Loop: Header=BB222_4 Depth=1
	v_dual_mov_b32 v21, 0 :: v_dual_mov_b32 v8, v6
	v_dual_mov_b32 v7, v5 :: v_dual_mov_b32 v22, v0
	v_mov_b32_e32 v9, v14
	s_mov_b32 s41, 0
.LBB222_27:                             ;   Parent Loop BB222_4 Depth=1
                                        ; =>  This Inner Loop Header: Depth=2
	s_delay_alu instid0(VALU_DEP_1) | instskip(NEXT) | instid1(VALU_DEP_1)
	v_ashrrev_i32_e32 v10, 31, v9
	v_lshlrev_b64_e32 v[23:24], 2, v[9:10]
	v_add_nc_u32_e32 v9, s33, v9
	s_delay_alu instid0(VALU_DEP_2) | instskip(SKIP_1) | instid1(VALU_DEP_3)
	v_add_co_u32 v23, vcc_lo, v3, v23
	s_wait_alu 0xfffd
	v_add_co_ci_u32_e64 v24, null, v4, v24, vcc_lo
	flat_load_b32 v10, v[7:8]
	flat_load_b32 v23, v[23:24]
	v_add_nc_u32_e32 v22, 0x400, v22
	v_add_co_u32 v7, vcc_lo, 0x1000, v7
	s_wait_alu 0xfffd
	v_add_co_ci_u32_e64 v8, null, 0, v8, vcc_lo
	s_wait_loadcnt_dscnt 0x0
	v_fmac_f32_e32 v21, v10, v23
	v_cmp_le_i32_e64 s5, s30, v22
	s_or_b32 s41, s5, s41
	s_delay_alu instid0(SALU_CYCLE_1)
	s_and_not1_b32 exec_lo, exec_lo, s41
	s_cbranch_execnz .LBB222_27
; %bb.28:                               ;   in Loop: Header=BB222_4 Depth=1
	s_or_b32 exec_lo, exec_lo, s41
	s_delay_alu instid0(SALU_CYCLE_1)
	s_or_b32 exec_lo, exec_lo, s40
	s_and_saveexec_b32 s5, s4
	s_cbranch_execz .LBB222_19
.LBB222_29:                             ;   in Loop: Header=BB222_4 Depth=1
	v_add_co_u32 v5, vcc_lo, v5, s38
	s_wait_alu 0xfffd
	v_add_co_ci_u32_e64 v6, null, s39, v6, vcc_lo
	v_add_co_u32 v3, vcc_lo, v3, v1
	s_wait_alu 0xfffd
	v_add_co_ci_u32_e64 v4, null, v4, v2, vcc_lo
	flat_load_b32 v5, v[5:6]
	flat_load_b32 v3, v[3:4]
	s_wait_loadcnt_dscnt 0x0
	v_fmac_f32_e32 v21, v5, v3
	s_wait_alu 0xfffe
	s_or_b32 exec_lo, exec_lo, s5
	s_and_saveexec_b32 s5, s1
	s_cbranch_execnz .LBB222_20
	s_branch .LBB222_21
.LBB222_30:                             ;   in Loop: Header=BB222_4 Depth=1
	ds_load_b32 v8, v12
	s_wait_alu 0xfffe
	s_or_b32 exec_lo, exec_lo, s5
	s_and_saveexec_b32 s5, s1
	s_cbranch_execz .LBB222_25
.LBB222_31:                             ;   in Loop: Header=BB222_4 Depth=1
	s_wait_dscnt 0x0
	ds_bpermute_b32 v7, v17, v8
	s_wait_dscnt 0x0
	v_add_f32_e32 v7, v8, v7
	ds_bpermute_b32 v3, v3, v7
	s_wait_dscnt 0x0
	v_add_f32_e32 v3, v7, v3
	;; [unrolled: 3-line block ×5, first 2 shown]
	s_wait_alu 0xfffe
	s_or_b32 exec_lo, exec_lo, s5
                                        ; implicit-def: $vgpr7
	s_and_saveexec_b32 s5, s0
	s_cbranch_execz .LBB222_35
.LBB222_32:                             ;   in Loop: Header=BB222_4 Depth=1
	s_wait_dscnt 0x0
	v_mul_f32_e32 v7, v18, v8
	s_cmp_eq_f32 s31, 0
	s_cbranch_scc1 .LBB222_34
; %bb.33:                               ;   in Loop: Header=BB222_4 Depth=1
	v_add_co_u32 v3, vcc_lo, v19, s34
	s_wait_alu 0xfffd
	v_add_co_ci_u32_e64 v4, null, s35, v20, vcc_lo
	flat_load_b32 v3, v[3:4]
	s_wait_loadcnt_dscnt 0x0
	v_fmac_f32_e32 v7, s31, v3
.LBB222_34:                             ;   in Loop: Header=BB222_4 Depth=1
	s_or_b32 s6, s6, exec_lo
.LBB222_35:                             ;   in Loop: Header=BB222_4 Depth=1
	s_wait_alu 0xfffe
	s_or_b32 exec_lo, exec_lo, s5
.LBB222_36:                             ;   in Loop: Header=BB222_4 Depth=1
	s_wait_alu 0xfffe
	s_and_saveexec_b32 s5, s6
	s_cbranch_execz .LBB222_2
; %bb.37:                               ;   in Loop: Header=BB222_4 Depth=1
	v_add_co_u32 v3, vcc_lo, v19, s34
	s_wait_alu 0xfffd
	v_add_co_ci_u32_e64 v4, null, s35, v20, vcc_lo
	flat_store_b32 v[3:4], v7
	s_branch .LBB222_2
.LBB222_38:
	s_endpgm
	.section	.rodata,"a",@progbits
	.p2align	6, 0x0
	.amdhsa_kernel _ZL32rocblas_gemvt_warp_reduce_kernelILb0ELi1024EiPKfS1_KPfEviiT3_lPKT2_lT1_lS7_lS8_lS4_lPT4_lS8_li
		.amdhsa_group_segment_fixed_size 128
		.amdhsa_private_segment_fixed_size 0
		.amdhsa_kernarg_size 140
		.amdhsa_user_sgpr_count 2
		.amdhsa_user_sgpr_dispatch_ptr 0
		.amdhsa_user_sgpr_queue_ptr 0
		.amdhsa_user_sgpr_kernarg_segment_ptr 1
		.amdhsa_user_sgpr_dispatch_id 0
		.amdhsa_user_sgpr_private_segment_size 0
		.amdhsa_wavefront_size32 1
		.amdhsa_uses_dynamic_stack 0
		.amdhsa_enable_private_segment 0
		.amdhsa_system_sgpr_workgroup_id_x 1
		.amdhsa_system_sgpr_workgroup_id_y 0
		.amdhsa_system_sgpr_workgroup_id_z 1
		.amdhsa_system_sgpr_workgroup_info 0
		.amdhsa_system_vgpr_workitem_id 0
		.amdhsa_next_free_vgpr 25
		.amdhsa_next_free_sgpr 44
		.amdhsa_reserve_vcc 1
		.amdhsa_float_round_mode_32 0
		.amdhsa_float_round_mode_16_64 0
		.amdhsa_float_denorm_mode_32 3
		.amdhsa_float_denorm_mode_16_64 3
		.amdhsa_fp16_overflow 0
		.amdhsa_workgroup_processor_mode 1
		.amdhsa_memory_ordered 1
		.amdhsa_forward_progress 1
		.amdhsa_inst_pref_size 13
		.amdhsa_round_robin_scheduling 0
		.amdhsa_exception_fp_ieee_invalid_op 0
		.amdhsa_exception_fp_denorm_src 0
		.amdhsa_exception_fp_ieee_div_zero 0
		.amdhsa_exception_fp_ieee_overflow 0
		.amdhsa_exception_fp_ieee_underflow 0
		.amdhsa_exception_fp_ieee_inexact 0
		.amdhsa_exception_int_div_zero 0
	.end_amdhsa_kernel
	.section	.text._ZL32rocblas_gemvt_warp_reduce_kernelILb0ELi1024EiPKfS1_KPfEviiT3_lPKT2_lT1_lS7_lS8_lS4_lPT4_lS8_li,"axG",@progbits,_ZL32rocblas_gemvt_warp_reduce_kernelILb0ELi1024EiPKfS1_KPfEviiT3_lPKT2_lT1_lS7_lS8_lS4_lPT4_lS8_li,comdat
.Lfunc_end222:
	.size	_ZL32rocblas_gemvt_warp_reduce_kernelILb0ELi1024EiPKfS1_KPfEviiT3_lPKT2_lT1_lS7_lS8_lS4_lPT4_lS8_li, .Lfunc_end222-_ZL32rocblas_gemvt_warp_reduce_kernelILb0ELi1024EiPKfS1_KPfEviiT3_lPKT2_lT1_lS7_lS8_lS4_lPT4_lS8_li
                                        ; -- End function
	.set _ZL32rocblas_gemvt_warp_reduce_kernelILb0ELi1024EiPKfS1_KPfEviiT3_lPKT2_lT1_lS7_lS8_lS4_lPT4_lS8_li.num_vgpr, 25
	.set _ZL32rocblas_gemvt_warp_reduce_kernelILb0ELi1024EiPKfS1_KPfEviiT3_lPKT2_lT1_lS7_lS8_lS4_lPT4_lS8_li.num_agpr, 0
	.set _ZL32rocblas_gemvt_warp_reduce_kernelILb0ELi1024EiPKfS1_KPfEviiT3_lPKT2_lT1_lS7_lS8_lS4_lPT4_lS8_li.numbered_sgpr, 44
	.set _ZL32rocblas_gemvt_warp_reduce_kernelILb0ELi1024EiPKfS1_KPfEviiT3_lPKT2_lT1_lS7_lS8_lS4_lPT4_lS8_li.num_named_barrier, 0
	.set _ZL32rocblas_gemvt_warp_reduce_kernelILb0ELi1024EiPKfS1_KPfEviiT3_lPKT2_lT1_lS7_lS8_lS4_lPT4_lS8_li.private_seg_size, 0
	.set _ZL32rocblas_gemvt_warp_reduce_kernelILb0ELi1024EiPKfS1_KPfEviiT3_lPKT2_lT1_lS7_lS8_lS4_lPT4_lS8_li.uses_vcc, 1
	.set _ZL32rocblas_gemvt_warp_reduce_kernelILb0ELi1024EiPKfS1_KPfEviiT3_lPKT2_lT1_lS7_lS8_lS4_lPT4_lS8_li.uses_flat_scratch, 0
	.set _ZL32rocblas_gemvt_warp_reduce_kernelILb0ELi1024EiPKfS1_KPfEviiT3_lPKT2_lT1_lS7_lS8_lS4_lPT4_lS8_li.has_dyn_sized_stack, 0
	.set _ZL32rocblas_gemvt_warp_reduce_kernelILb0ELi1024EiPKfS1_KPfEviiT3_lPKT2_lT1_lS7_lS8_lS4_lPT4_lS8_li.has_recursion, 0
	.set _ZL32rocblas_gemvt_warp_reduce_kernelILb0ELi1024EiPKfS1_KPfEviiT3_lPKT2_lT1_lS7_lS8_lS4_lPT4_lS8_li.has_indirect_call, 0
	.section	.AMDGPU.csdata,"",@progbits
; Kernel info:
; codeLenInByte = 1652
; TotalNumSgprs: 46
; NumVgprs: 25
; ScratchSize: 0
; MemoryBound: 0
; FloatMode: 240
; IeeeMode: 1
; LDSByteSize: 128 bytes/workgroup (compile time only)
; SGPRBlocks: 0
; VGPRBlocks: 3
; NumSGPRsForWavesPerEU: 46
; NumVGPRsForWavesPerEU: 25
; Occupancy: 16
; WaveLimiterHint : 1
; COMPUTE_PGM_RSRC2:SCRATCH_EN: 0
; COMPUTE_PGM_RSRC2:USER_SGPR: 2
; COMPUTE_PGM_RSRC2:TRAP_HANDLER: 0
; COMPUTE_PGM_RSRC2:TGID_X_EN: 1
; COMPUTE_PGM_RSRC2:TGID_Y_EN: 0
; COMPUTE_PGM_RSRC2:TGID_Z_EN: 1
; COMPUTE_PGM_RSRC2:TIDIG_COMP_CNT: 0
	.section	.text._ZL32rocblas_gemvt_warp_reduce_kernelILb0ELi1024ElPKfS1_KPfEviiT3_lPKT2_lT1_lS7_lS8_lS4_lPT4_lS8_li,"axG",@progbits,_ZL32rocblas_gemvt_warp_reduce_kernelILb0ELi1024ElPKfS1_KPfEviiT3_lPKT2_lT1_lS7_lS8_lS4_lPT4_lS8_li,comdat
	.globl	_ZL32rocblas_gemvt_warp_reduce_kernelILb0ELi1024ElPKfS1_KPfEviiT3_lPKT2_lT1_lS7_lS8_lS4_lPT4_lS8_li ; -- Begin function _ZL32rocblas_gemvt_warp_reduce_kernelILb0ELi1024ElPKfS1_KPfEviiT3_lPKT2_lT1_lS7_lS8_lS4_lPT4_lS8_li
	.p2align	8
	.type	_ZL32rocblas_gemvt_warp_reduce_kernelILb0ELi1024ElPKfS1_KPfEviiT3_lPKT2_lT1_lS7_lS8_lS4_lPT4_lS8_li,@function
_ZL32rocblas_gemvt_warp_reduce_kernelILb0ELi1024ElPKfS1_KPfEviiT3_lPKT2_lT1_lS7_lS8_lS4_lPT4_lS8_li: ; @_ZL32rocblas_gemvt_warp_reduce_kernelILb0ELi1024ElPKfS1_KPfEviiT3_lPKT2_lT1_lS7_lS8_lS4_lPT4_lS8_li
; %bb.0:
	s_load_b32 s7, s[0:1], 0x88
	s_lshr_b32 s28, ttmp7, 16
	s_wait_kmcnt 0x0
	s_cmp_ge_u32 s28, s7
	s_cbranch_scc1 .LBB223_38
; %bb.1:
	s_clause 0x6
	s_load_b32 s6, s[0:1], 0x0
	s_load_b64 s[36:37], s[0:1], 0x48
	s_load_b256 s[8:15], s[0:1], 0x8
	s_load_b64 s[34:35], s[0:1], 0x78
	s_load_b64 s[38:39], s[0:1], 0x28
	s_load_b128 s[24:27], s[0:1], 0x38
	s_load_b256 s[16:23], s[0:1], 0x58
	v_and_b32_e32 v3, 31, v0
	v_lshrrev_b32_e32 v4, 3, v0
	v_mov_b32_e32 v13, 0
	v_mbcnt_lo_u32_b32 v14, -1, 0
	s_mov_b32 s4, ttmp9
	s_ashr_i32 s5, ttmp9, 31
	v_and_b32_e32 v16, 0x7c, v4
	v_cmp_eq_u32_e64 s0, 0, v0
	v_cmp_gt_u32_e64 s1, 32, v0
	v_lshl_or_b32 v18, v14, 2, 64
	s_mov_b32 s29, 0
	s_wait_kmcnt 0x0
	s_ashr_i32 s2, s6, 31
	v_mad_co_u64_u32 v[1:2], null, s36, v0, 0
	s_lshr_b32 s3, s2, 22
	v_cmp_eq_u32_e64 s2, 0, v3
	s_add_co_i32 s3, s6, s3
	v_cmp_gt_i32_e32 vcc_lo, s6, v0
	s_and_b32 s30, s3, 0xfffffc00
	v_lshlrev_b32_e32 v15, 2, v3
	v_or_b32_e32 v5, s30, v0
	v_mad_co_u64_u32 v[2:3], null, s37, v0, v[2:3]
	s_ashr_i32 s31, s30, 31
	v_cndmask_b32_e32 v6, 0, v0, vcc_lo
	v_mul_lo_u32 v7, s37, v5
	v_mad_co_u64_u32 v[3:4], null, s36, v5, 0
	s_wait_alu 0xfffe
	s_mul_i32 s3, s36, s31
	v_lshlrev_b64_e32 v[1:2], 2, v[1:2]
	s_mul_u64 s[40:41], s[34:35], s[4:5]
	s_mul_u64 s[38:39], s[38:39], s[4:5]
	v_cmp_gt_i32_e64 s4, s6, v5
	v_lshlrev_b32_e32 v17, 2, v6
	v_add3_u32 v4, v4, s3, v7
	v_cmp_gt_i32_e64 s3, s30, v0
	s_lshl_b64 s[34:35], s[36:37], 12
	s_lshl_b64 s[14:15], s[14:15], 2
	;; [unrolled: 1-line block ×3, first 2 shown]
	v_lshlrev_b64_e32 v[3:4], 2, v[3:4]
	s_lshl_b64 s[22:23], s[22:23], 2
	s_lshl_b64 s[36:37], s[40:41], 2
	;; [unrolled: 1-line block ×4, first 2 shown]
	s_branch .LBB223_4
.LBB223_2:                              ;   in Loop: Header=BB223_4 Depth=1
	s_or_b32 exec_lo, exec_lo, s5
.LBB223_3:                              ;   in Loop: Header=BB223_4 Depth=1
	s_add_co_i32 s28, s28, 0x10000
	s_delay_alu instid0(SALU_CYCLE_1)
	s_cmp_lt_u32 s28, s7
	s_cbranch_scc0 .LBB223_38
.LBB223_4:                              ; =>This Loop Header: Depth=1
                                        ;     Child Loop BB223_27 Depth 2
	s_mul_u64 s[42:43], s[10:11], s[28:29]
	s_mul_u64 s[44:45], s[18:19], s[28:29]
	s_lshl_b64 s[42:43], s[42:43], 2
	s_lshl_b64 s[44:45], s[44:45], 2
	s_add_nc_u64 s[42:43], s[8:9], s[42:43]
	s_add_nc_u64 s[44:45], s[16:17], s[44:45]
	s_clause 0x1
	global_load_b32 v19, v13, s[42:43]
	global_load_b32 v5, v13, s[44:45]
	s_wait_loadcnt 0x1
	v_cmp_eq_f32_e64 s5, 0, v19
	s_wait_loadcnt 0x0
	v_cmp_eq_f32_e32 vcc_lo, 1.0, v5
	v_readfirstlane_b32 s31, v5
	s_and_b32 s6, s5, vcc_lo
	s_wait_alu 0xfffe
	s_and_b32 vcc_lo, exec_lo, s6
	s_wait_alu 0xfffe
	s_cbranch_vccnz .LBB223_3
; %bb.5:                                ;   in Loop: Header=BB223_4 Depth=1
	v_mov_b32_e32 v5, 0
	v_dual_mov_b32 v6, 0 :: v_dual_mov_b32 v7, 0
	v_cmp_neq_f32_e64 s6, 0, v19
	v_mov_b32_e32 v8, 0
	s_and_b32 vcc_lo, exec_lo, s5
	s_wait_alu 0xfffe
	s_cbranch_vccnz .LBB223_7
; %bb.6:                                ;   in Loop: Header=BB223_4 Depth=1
	s_lshl_b64 s[42:43], s[28:29], 3
	s_delay_alu instid0(SALU_CYCLE_1)
	s_add_nc_u64 s[42:43], s[12:13], s[42:43]
	global_load_b64 v[7:8], v13, s[42:43]
	s_wait_loadcnt 0x0
	v_add_co_u32 v7, vcc_lo, v7, s14
	s_wait_alu 0xfffd
	v_add_co_ci_u32_e64 v8, null, s15, v8, vcc_lo
.LBB223_7:                              ;   in Loop: Header=BB223_4 Depth=1
	s_and_not1_b32 vcc_lo, exec_lo, s6
	s_wait_alu 0xfffe
	s_cbranch_vccnz .LBB223_9
; %bb.8:                                ;   in Loop: Header=BB223_4 Depth=1
	s_lshl_b64 s[42:43], s[28:29], 3
	s_delay_alu instid0(SALU_CYCLE_1)
	s_add_nc_u64 s[42:43], s[24:25], s[42:43]
	global_load_b64 v[5:6], v13, s[42:43]
	s_wait_loadcnt 0x0
	v_add_co_u32 v5, vcc_lo, v5, s26
	s_wait_alu 0xfffd
	v_add_co_ci_u32_e64 v6, null, s27, v6, vcc_lo
.LBB223_9:                              ;   in Loop: Header=BB223_4 Depth=1
	s_lshl_b64 s[42:43], s[28:29], 3
	s_delay_alu instid0(SALU_CYCLE_1)
	s_add_nc_u64 s[42:43], s[20:21], s[42:43]
	s_wait_dscnt 0x0
	global_load_b64 v[9:10], v13, s[42:43]
	s_wait_loadcnt 0x0
	v_add_co_u32 v20, vcc_lo, v9, s22
	s_wait_alu 0xfffd
	v_add_co_ci_u32_e64 v21, null, s23, v10, vcc_lo
	s_and_not1_b32 vcc_lo, exec_lo, s5
	s_wait_alu 0xfffe
	s_cbranch_vccnz .LBB223_13
; %bb.10:                               ;   in Loop: Header=BB223_4 Depth=1
	s_mov_b32 s5, 0
	s_mov_b32 s6, 0
                                        ; implicit-def: $vgpr9
	s_and_saveexec_b32 s33, s0
	s_cbranch_execz .LBB223_14
; %bb.11:                               ;   in Loop: Header=BB223_4 Depth=1
	s_cmp_eq_f32 s31, 0
	s_cbranch_scc1 .LBB223_15
; %bb.12:                               ;   in Loop: Header=BB223_4 Depth=1
	v_add_co_u32 v9, vcc_lo, v20, s36
	s_wait_alu 0xfffd
	v_add_co_ci_u32_e64 v10, null, s37, v21, vcc_lo
	flat_load_b32 v9, v[9:10]
	s_wait_loadcnt_dscnt 0x0
	v_mul_f32_e32 v9, s31, v9
	s_branch .LBB223_16
.LBB223_13:                             ;   in Loop: Header=BB223_4 Depth=1
	s_mov_b32 s6, 0
                                        ; implicit-def: $vgpr9
	s_cbranch_execnz .LBB223_17
	s_branch .LBB223_36
.LBB223_14:                             ;   in Loop: Header=BB223_4 Depth=1
	s_or_b32 exec_lo, exec_lo, s33
	s_delay_alu instid0(SALU_CYCLE_1)
	s_and_b32 vcc_lo, exec_lo, s5
	s_wait_alu 0xfffe
	s_cbranch_vccnz .LBB223_17
	s_branch .LBB223_36
.LBB223_15:                             ;   in Loop: Header=BB223_4 Depth=1
	v_mov_b32_e32 v9, 0
.LBB223_16:                             ;   in Loop: Header=BB223_4 Depth=1
	s_mov_b32 s6, exec_lo
	s_or_b32 exec_lo, exec_lo, s33
	s_delay_alu instid0(SALU_CYCLE_1)
	s_and_b32 vcc_lo, exec_lo, s5
	s_wait_alu 0xfffe
	s_cbranch_vccz .LBB223_36
.LBB223_17:                             ;   in Loop: Header=BB223_4 Depth=1
	v_add_co_u32 v7, vcc_lo, v7, v17
	s_wait_alu 0xfffd
	v_add_co_ci_u32_e64 v8, null, 0, v8, vcc_lo
	v_mov_b32_e32 v22, 0
	s_delay_alu instid0(VALU_DEP_3) | instskip(SKIP_1) | instid1(VALU_DEP_3)
	v_add_co_u32 v7, vcc_lo, v7, s38
	s_wait_alu 0xfffd
	v_add_co_ci_u32_e64 v8, null, s39, v8, vcc_lo
	s_and_saveexec_b32 s33, s3
	s_cbranch_execnz .LBB223_26
; %bb.18:                               ;   in Loop: Header=BB223_4 Depth=1
	s_or_b32 exec_lo, exec_lo, s33
	s_and_saveexec_b32 s5, s4
	s_cbranch_execnz .LBB223_29
.LBB223_19:                             ;   in Loop: Header=BB223_4 Depth=1
	s_or_b32 exec_lo, exec_lo, s5
	s_and_saveexec_b32 s5, s1
.LBB223_20:                             ;   in Loop: Header=BB223_4 Depth=1
	ds_store_b32 v15, v13
.LBB223_21:                             ;   in Loop: Header=BB223_4 Depth=1
	s_or_b32 exec_lo, exec_lo, s5
	ds_bpermute_b32 v6, v18, v22
	v_cmp_gt_u32_e32 vcc_lo, 24, v14
	s_wait_dscnt 0x0
	s_barrier_signal -1
	s_barrier_wait -1
	global_inv scope:SCOPE_SE
	s_wait_alu 0xfffd
	v_cndmask_b32_e64 v5, 0, 8, vcc_lo
	v_cmp_gt_u32_e32 vcc_lo, 28, v14
	s_delay_alu instid0(VALU_DEP_2)
	v_add_lshl_u32 v5, v5, v14, 2
	v_add_f32_e32 v7, v22, v6
	s_wait_alu 0xfffd
	v_cndmask_b32_e64 v6, 0, 4, vcc_lo
	v_cmp_gt_u32_e32 vcc_lo, 30, v14
	ds_bpermute_b32 v8, v5, v7
	v_add_lshl_u32 v6, v6, v14, 2
	s_wait_dscnt 0x0
	v_add_f32_e32 v8, v7, v8
	s_wait_alu 0xfffd
	v_cndmask_b32_e64 v7, 0, 2, vcc_lo
	v_cmp_ne_u32_e32 vcc_lo, 31, v14
	ds_bpermute_b32 v9, v6, v8
	v_add_lshl_u32 v7, v7, v14, 2
	s_wait_alu 0xfffd
	v_add_co_ci_u32_e64 v10, null, 0, v14, vcc_lo
	s_wait_dscnt 0x0
	v_add_f32_e32 v8, v8, v9
	ds_bpermute_b32 v9, v7, v8
	s_wait_dscnt 0x0
	v_dual_add_f32 v9, v8, v9 :: v_dual_lshlrev_b32 v8, 2, v10
	ds_bpermute_b32 v10, v8, v9
	s_and_saveexec_b32 s5, s2
	s_cbranch_execz .LBB223_23
; %bb.22:                               ;   in Loop: Header=BB223_4 Depth=1
	s_wait_dscnt 0x0
	v_add_f32_e32 v9, v9, v10
	ds_store_b32 v16, v9
.LBB223_23:                             ;   in Loop: Header=BB223_4 Depth=1
	s_or_b32 exec_lo, exec_lo, s5
	s_wait_dscnt 0x0
	v_mov_b32_e32 v10, 0
	s_wait_loadcnt 0x0
	s_barrier_signal -1
	s_barrier_wait -1
	global_inv scope:SCOPE_SE
	s_and_saveexec_b32 s5, s1
	s_cbranch_execnz .LBB223_30
; %bb.24:                               ;   in Loop: Header=BB223_4 Depth=1
	s_or_b32 exec_lo, exec_lo, s5
	s_and_saveexec_b32 s5, s1
	s_cbranch_execnz .LBB223_31
.LBB223_25:                             ;   in Loop: Header=BB223_4 Depth=1
	s_or_b32 exec_lo, exec_lo, s5
                                        ; implicit-def: $vgpr9
	s_and_saveexec_b32 s5, s0
	s_cbranch_execnz .LBB223_32
	s_branch .LBB223_35
.LBB223_26:                             ;   in Loop: Header=BB223_4 Depth=1
	v_add_co_u32 v9, vcc_lo, v5, v1
	v_dual_mov_b32 v12, v8 :: v_dual_mov_b32 v23, v0
	s_wait_alu 0xfffd
	v_add_co_ci_u32_e64 v10, null, v6, v2, vcc_lo
	v_dual_mov_b32 v22, 0 :: v_dual_mov_b32 v11, v7
	s_mov_b32 s42, 0
.LBB223_27:                             ;   Parent Loop BB223_4 Depth=1
                                        ; =>  This Inner Loop Header: Depth=2
	flat_load_b32 v24, v[11:12]
	flat_load_b32 v25, v[9:10]
	v_add_nc_u32_e32 v23, 0x400, v23
	v_add_co_u32 v11, vcc_lo, 0x1000, v11
	s_wait_alu 0xfffd
	v_add_co_ci_u32_e64 v12, null, 0, v12, vcc_lo
	v_add_co_u32 v9, vcc_lo, v9, s34
	s_wait_alu 0xfffd
	v_add_co_ci_u32_e64 v10, null, s35, v10, vcc_lo
	s_wait_loadcnt_dscnt 0x0
	v_fmac_f32_e32 v22, v24, v25
	v_cmp_le_i32_e64 s5, s30, v23
	s_or_b32 s42, s5, s42
	s_delay_alu instid0(SALU_CYCLE_1)
	s_and_not1_b32 exec_lo, exec_lo, s42
	s_cbranch_execnz .LBB223_27
; %bb.28:                               ;   in Loop: Header=BB223_4 Depth=1
	s_or_b32 exec_lo, exec_lo, s42
	s_delay_alu instid0(SALU_CYCLE_1)
	s_or_b32 exec_lo, exec_lo, s33
	s_and_saveexec_b32 s5, s4
	s_cbranch_execz .LBB223_19
.LBB223_29:                             ;   in Loop: Header=BB223_4 Depth=1
	v_add_co_u32 v7, vcc_lo, v7, s40
	s_wait_alu 0xfffd
	v_add_co_ci_u32_e64 v8, null, s41, v8, vcc_lo
	v_add_co_u32 v5, vcc_lo, v5, v3
	s_wait_alu 0xfffd
	v_add_co_ci_u32_e64 v6, null, v6, v4, vcc_lo
	flat_load_b32 v7, v[7:8]
	flat_load_b32 v5, v[5:6]
	s_wait_loadcnt_dscnt 0x0
	v_fmac_f32_e32 v22, v7, v5
	s_or_b32 exec_lo, exec_lo, s5
	s_and_saveexec_b32 s5, s1
	s_cbranch_execnz .LBB223_20
	s_branch .LBB223_21
.LBB223_30:                             ;   in Loop: Header=BB223_4 Depth=1
	ds_load_b32 v10, v15
	s_or_b32 exec_lo, exec_lo, s5
	s_and_saveexec_b32 s5, s1
	s_cbranch_execz .LBB223_25
.LBB223_31:                             ;   in Loop: Header=BB223_4 Depth=1
	s_wait_dscnt 0x0
	ds_bpermute_b32 v9, v18, v10
	s_wait_dscnt 0x0
	v_add_f32_e32 v9, v10, v9
	ds_bpermute_b32 v5, v5, v9
	s_wait_dscnt 0x0
	v_add_f32_e32 v5, v9, v5
	;; [unrolled: 3-line block ×5, first 2 shown]
	s_or_b32 exec_lo, exec_lo, s5
                                        ; implicit-def: $vgpr9
	s_and_saveexec_b32 s5, s0
	s_cbranch_execz .LBB223_35
.LBB223_32:                             ;   in Loop: Header=BB223_4 Depth=1
	s_wait_dscnt 0x0
	v_mul_f32_e32 v9, v19, v10
	s_cmp_eq_f32 s31, 0
	s_cbranch_scc1 .LBB223_34
; %bb.33:                               ;   in Loop: Header=BB223_4 Depth=1
	v_add_co_u32 v5, vcc_lo, v20, s36
	s_wait_alu 0xfffd
	v_add_co_ci_u32_e64 v6, null, s37, v21, vcc_lo
	flat_load_b32 v5, v[5:6]
	s_wait_loadcnt_dscnt 0x0
	v_fmac_f32_e32 v9, s31, v5
.LBB223_34:                             ;   in Loop: Header=BB223_4 Depth=1
	s_wait_alu 0xfffe
	s_or_b32 s6, s6, exec_lo
.LBB223_35:                             ;   in Loop: Header=BB223_4 Depth=1
	s_or_b32 exec_lo, exec_lo, s5
.LBB223_36:                             ;   in Loop: Header=BB223_4 Depth=1
	s_wait_alu 0xfffe
	s_and_saveexec_b32 s5, s6
	s_cbranch_execz .LBB223_2
; %bb.37:                               ;   in Loop: Header=BB223_4 Depth=1
	v_add_co_u32 v5, vcc_lo, v20, s36
	s_wait_alu 0xfffd
	v_add_co_ci_u32_e64 v6, null, s37, v21, vcc_lo
	flat_store_b32 v[5:6], v9
	s_branch .LBB223_2
.LBB223_38:
	s_endpgm
	.section	.rodata,"a",@progbits
	.p2align	6, 0x0
	.amdhsa_kernel _ZL32rocblas_gemvt_warp_reduce_kernelILb0ELi1024ElPKfS1_KPfEviiT3_lPKT2_lT1_lS7_lS8_lS4_lPT4_lS8_li
		.amdhsa_group_segment_fixed_size 128
		.amdhsa_private_segment_fixed_size 0
		.amdhsa_kernarg_size 140
		.amdhsa_user_sgpr_count 2
		.amdhsa_user_sgpr_dispatch_ptr 0
		.amdhsa_user_sgpr_queue_ptr 0
		.amdhsa_user_sgpr_kernarg_segment_ptr 1
		.amdhsa_user_sgpr_dispatch_id 0
		.amdhsa_user_sgpr_private_segment_size 0
		.amdhsa_wavefront_size32 1
		.amdhsa_uses_dynamic_stack 0
		.amdhsa_enable_private_segment 0
		.amdhsa_system_sgpr_workgroup_id_x 1
		.amdhsa_system_sgpr_workgroup_id_y 0
		.amdhsa_system_sgpr_workgroup_id_z 1
		.amdhsa_system_sgpr_workgroup_info 0
		.amdhsa_system_vgpr_workitem_id 0
		.amdhsa_next_free_vgpr 26
		.amdhsa_next_free_sgpr 46
		.amdhsa_reserve_vcc 1
		.amdhsa_float_round_mode_32 0
		.amdhsa_float_round_mode_16_64 0
		.amdhsa_float_denorm_mode_32 3
		.amdhsa_float_denorm_mode_16_64 3
		.amdhsa_fp16_overflow 0
		.amdhsa_workgroup_processor_mode 1
		.amdhsa_memory_ordered 1
		.amdhsa_forward_progress 1
		.amdhsa_inst_pref_size 13
		.amdhsa_round_robin_scheduling 0
		.amdhsa_exception_fp_ieee_invalid_op 0
		.amdhsa_exception_fp_denorm_src 0
		.amdhsa_exception_fp_ieee_div_zero 0
		.amdhsa_exception_fp_ieee_overflow 0
		.amdhsa_exception_fp_ieee_underflow 0
		.amdhsa_exception_fp_ieee_inexact 0
		.amdhsa_exception_int_div_zero 0
	.end_amdhsa_kernel
	.section	.text._ZL32rocblas_gemvt_warp_reduce_kernelILb0ELi1024ElPKfS1_KPfEviiT3_lPKT2_lT1_lS7_lS8_lS4_lPT4_lS8_li,"axG",@progbits,_ZL32rocblas_gemvt_warp_reduce_kernelILb0ELi1024ElPKfS1_KPfEviiT3_lPKT2_lT1_lS7_lS8_lS4_lPT4_lS8_li,comdat
.Lfunc_end223:
	.size	_ZL32rocblas_gemvt_warp_reduce_kernelILb0ELi1024ElPKfS1_KPfEviiT3_lPKT2_lT1_lS7_lS8_lS4_lPT4_lS8_li, .Lfunc_end223-_ZL32rocblas_gemvt_warp_reduce_kernelILb0ELi1024ElPKfS1_KPfEviiT3_lPKT2_lT1_lS7_lS8_lS4_lPT4_lS8_li
                                        ; -- End function
	.set _ZL32rocblas_gemvt_warp_reduce_kernelILb0ELi1024ElPKfS1_KPfEviiT3_lPKT2_lT1_lS7_lS8_lS4_lPT4_lS8_li.num_vgpr, 26
	.set _ZL32rocblas_gemvt_warp_reduce_kernelILb0ELi1024ElPKfS1_KPfEviiT3_lPKT2_lT1_lS7_lS8_lS4_lPT4_lS8_li.num_agpr, 0
	.set _ZL32rocblas_gemvt_warp_reduce_kernelILb0ELi1024ElPKfS1_KPfEviiT3_lPKT2_lT1_lS7_lS8_lS4_lPT4_lS8_li.numbered_sgpr, 46
	.set _ZL32rocblas_gemvt_warp_reduce_kernelILb0ELi1024ElPKfS1_KPfEviiT3_lPKT2_lT1_lS7_lS8_lS4_lPT4_lS8_li.num_named_barrier, 0
	.set _ZL32rocblas_gemvt_warp_reduce_kernelILb0ELi1024ElPKfS1_KPfEviiT3_lPKT2_lT1_lS7_lS8_lS4_lPT4_lS8_li.private_seg_size, 0
	.set _ZL32rocblas_gemvt_warp_reduce_kernelILb0ELi1024ElPKfS1_KPfEviiT3_lPKT2_lT1_lS7_lS8_lS4_lPT4_lS8_li.uses_vcc, 1
	.set _ZL32rocblas_gemvt_warp_reduce_kernelILb0ELi1024ElPKfS1_KPfEviiT3_lPKT2_lT1_lS7_lS8_lS4_lPT4_lS8_li.uses_flat_scratch, 0
	.set _ZL32rocblas_gemvt_warp_reduce_kernelILb0ELi1024ElPKfS1_KPfEviiT3_lPKT2_lT1_lS7_lS8_lS4_lPT4_lS8_li.has_dyn_sized_stack, 0
	.set _ZL32rocblas_gemvt_warp_reduce_kernelILb0ELi1024ElPKfS1_KPfEviiT3_lPKT2_lT1_lS7_lS8_lS4_lPT4_lS8_li.has_recursion, 0
	.set _ZL32rocblas_gemvt_warp_reduce_kernelILb0ELi1024ElPKfS1_KPfEviiT3_lPKT2_lT1_lS7_lS8_lS4_lPT4_lS8_li.has_indirect_call, 0
	.section	.AMDGPU.csdata,"",@progbits
; Kernel info:
; codeLenInByte = 1640
; TotalNumSgprs: 48
; NumVgprs: 26
; ScratchSize: 0
; MemoryBound: 0
; FloatMode: 240
; IeeeMode: 1
; LDSByteSize: 128 bytes/workgroup (compile time only)
; SGPRBlocks: 0
; VGPRBlocks: 3
; NumSGPRsForWavesPerEU: 48
; NumVGPRsForWavesPerEU: 26
; Occupancy: 16
; WaveLimiterHint : 1
; COMPUTE_PGM_RSRC2:SCRATCH_EN: 0
; COMPUTE_PGM_RSRC2:USER_SGPR: 2
; COMPUTE_PGM_RSRC2:TRAP_HANDLER: 0
; COMPUTE_PGM_RSRC2:TGID_X_EN: 1
; COMPUTE_PGM_RSRC2:TGID_Y_EN: 0
; COMPUTE_PGM_RSRC2:TGID_Z_EN: 1
; COMPUTE_PGM_RSRC2:TIDIG_COMP_CNT: 0
	.section	.text._ZL32rocblas_gemvt_warp_reduce_kernelILb0ELi1024EiPKffKPfEviiT3_lPKT2_lT1_lS7_lS8_lS4_lPT4_lS8_li,"axG",@progbits,_ZL32rocblas_gemvt_warp_reduce_kernelILb0ELi1024EiPKffKPfEviiT3_lPKT2_lT1_lS7_lS8_lS4_lPT4_lS8_li,comdat
	.globl	_ZL32rocblas_gemvt_warp_reduce_kernelILb0ELi1024EiPKffKPfEviiT3_lPKT2_lT1_lS7_lS8_lS4_lPT4_lS8_li ; -- Begin function _ZL32rocblas_gemvt_warp_reduce_kernelILb0ELi1024EiPKffKPfEviiT3_lPKT2_lT1_lS7_lS8_lS4_lPT4_lS8_li
	.p2align	8
	.type	_ZL32rocblas_gemvt_warp_reduce_kernelILb0ELi1024EiPKffKPfEviiT3_lPKT2_lT1_lS7_lS8_lS4_lPT4_lS8_li,@function
_ZL32rocblas_gemvt_warp_reduce_kernelILb0ELi1024EiPKffKPfEviiT3_lPKT2_lT1_lS7_lS8_lS4_lPT4_lS8_li: ; @_ZL32rocblas_gemvt_warp_reduce_kernelILb0ELi1024EiPKffKPfEviiT3_lPKT2_lT1_lS7_lS8_lS4_lPT4_lS8_li
; %bb.0:
	s_load_b32 s28, s[0:1], 0x88
	s_lshr_b32 s6, ttmp7, 16
	s_wait_kmcnt 0x0
	s_cmp_ge_u32 s6, s28
	s_cbranch_scc1 .LBB224_41
; %bb.1:
	s_clause 0x8
	s_load_b32 s29, s[0:1], 0x8
	s_load_b32 s30, s[0:1], 0x58
	s_load_b128 s[8:11], s[0:1], 0x18
	s_load_b32 s3, s[0:1], 0x28
	s_load_b32 s4, s[0:1], 0x0
	s_load_b128 s[12:15], s[0:1], 0x38
	s_load_b32 s5, s[0:1], 0x48
	s_load_b128 s[16:19], s[0:1], 0x68
	s_load_b32 s20, s[0:1], 0x78
	v_lshrrev_b32_e32 v2, 3, v0
	v_mov_b32_e32 v11, 0
	v_and_b32_e32 v1, 31, v0
	v_mbcnt_lo_u32_b32 v16, -1, 0
	v_cmp_eq_u32_e64 s0, 0, v0
	v_and_b32_e32 v14, 0x7c, v2
	s_mov_b32 s7, 0
	v_lshlrev_b32_e32 v13, 2, v1
	v_lshl_or_b32 v18, v16, 2, 64
	s_wait_kmcnt 0x0
	s_cmp_eq_f32 s29, 0
	v_cmp_gt_i32_e32 vcc_lo, s4, v0
	s_mul_i32 s24, s3, ttmp9
	s_cselect_b32 s31, -1, 0
	s_cmp_neq_f32 s30, 1.0
	s_mul_i32 s22, s20, ttmp9
	v_cndmask_b32_e32 v3, 0, v0, vcc_lo
	v_mul_lo_u32 v15, v0, s5
	s_cselect_b32 s1, -1, 0
	s_cmp_neq_f32 s29, 0
	s_delay_alu instid0(VALU_DEP_2) | instskip(SKIP_1) | instid1(SALU_CYCLE_1)
	v_lshlrev_b32_e32 v17, 2, v3
	s_cselect_b32 s2, -1, 0
	s_or_b32 s33, s2, s1
	s_cmp_neq_f32 s30, 0
	v_cndmask_b32_e64 v12, 0, 1, s2
	v_cmp_eq_u32_e64 s2, 0, v1
	v_cmp_gt_u32_e64 s1, 32, v0
	s_cselect_b32 s34, -1, 0
	s_ashr_i32 s21, s4, 31
	s_ashr_i32 s23, s22, 31
	s_lshr_b32 s21, s21, 22
	s_ashr_i32 s25, s24, 31
	s_add_co_i32 s21, s4, s21
	s_lshl_b32 s35, s5, 10
	s_and_b32 s20, s21, 0xfffffc00
	s_lshl_b64 s[10:11], s[10:11], 2
	v_or_b32_e32 v2, s20, v0
	v_cmp_gt_i32_e64 s3, s20, v0
	s_ashr_i32 s21, s20, 31
	s_lshl_b64 s[14:15], s[14:15], 2
	s_lshl_b64 s[18:19], s[18:19], 2
	v_mul_lo_u32 v1, s5, v2
	v_cmp_gt_i32_e64 s4, s4, v2
	s_lshl_b64 s[22:23], s[22:23], 2
	s_lshl_b64 s[24:25], s[24:25], 2
	s_wait_alu 0xfffe
	s_lshl_b64 s[26:27], s[20:21], 2
	v_ashrrev_i32_e32 v2, 31, v1
	s_delay_alu instid0(VALU_DEP_1)
	v_lshlrev_b64_e32 v[1:2], 2, v[1:2]
	s_branch .LBB224_4
.LBB224_2:                              ;   in Loop: Header=BB224_4 Depth=1
	s_wait_alu 0xfffe
	s_or_b32 exec_lo, exec_lo, s5
.LBB224_3:                              ;   in Loop: Header=BB224_4 Depth=1
	s_add_co_i32 s6, s6, 0x10000
	s_delay_alu instid0(SALU_CYCLE_1)
	s_cmp_lt_u32 s6, s28
	s_cbranch_scc0 .LBB224_41
.LBB224_4:                              ; =>This Loop Header: Depth=1
                                        ;     Child Loop BB224_30 Depth 2
	s_and_not1_b32 vcc_lo, exec_lo, s33
	s_wait_alu 0xfffe
	s_cbranch_vccnz .LBB224_3
; %bb.5:                                ;   in Loop: Header=BB224_4 Depth=1
	s_and_not1_b32 vcc_lo, exec_lo, s31
	s_wait_alu 0xfffe
	s_cbranch_vccnz .LBB224_7
; %bb.6:                                ;   in Loop: Header=BB224_4 Depth=1
	s_mov_b32 s5, 0
	s_branch .LBB224_8
.LBB224_7:                              ;   in Loop: Header=BB224_4 Depth=1
	s_mov_b32 s5, -1
.LBB224_8:                              ;   in Loop: Header=BB224_4 Depth=1
	v_mov_b32_e32 v3, 0
	v_dual_mov_b32 v4, 0 :: v_dual_mov_b32 v5, 0
	v_mov_b32_e32 v6, 0
	s_wait_alu 0xfffe
	s_and_not1_b32 vcc_lo, exec_lo, s5
	s_wait_alu 0xfffe
	s_cbranch_vccnz .LBB224_10
; %bb.9:                                ;   in Loop: Header=BB224_4 Depth=1
	s_lshl_b64 s[36:37], s[6:7], 3
	s_delay_alu instid0(SALU_CYCLE_1)
	s_add_nc_u64 s[36:37], s[8:9], s[36:37]
	global_load_b64 v[5:6], v11, s[36:37]
	s_wait_loadcnt 0x0
	v_add_co_u32 v5, vcc_lo, v5, s10
	s_wait_alu 0xfffd
	v_add_co_ci_u32_e64 v6, null, s11, v6, vcc_lo
.LBB224_10:                             ;   in Loop: Header=BB224_4 Depth=1
	v_cmp_ne_u32_e32 vcc_lo, 1, v12
	s_cbranch_vccnz .LBB224_12
; %bb.11:                               ;   in Loop: Header=BB224_4 Depth=1
	s_lshl_b64 s[36:37], s[6:7], 3
	s_delay_alu instid0(SALU_CYCLE_1)
	s_add_nc_u64 s[36:37], s[12:13], s[36:37]
	global_load_b64 v[3:4], v11, s[36:37]
	s_wait_loadcnt 0x0
	v_add_co_u32 v3, vcc_lo, v3, s14
	s_wait_alu 0xfffd
	v_add_co_ci_u32_e64 v4, null, s15, v4, vcc_lo
.LBB224_12:                             ;   in Loop: Header=BB224_4 Depth=1
	s_lshl_b64 s[36:37], s[6:7], 3
	s_delay_alu instid0(SALU_CYCLE_1)
	s_add_nc_u64 s[36:37], s[16:17], s[36:37]
	s_wait_dscnt 0x0
	global_load_b64 v[7:8], v11, s[36:37]
	s_wait_loadcnt 0x0
	v_add_co_u32 v19, vcc_lo, v7, s18
	s_wait_alu 0xfffd
	v_add_co_ci_u32_e64 v20, null, s19, v8, vcc_lo
	s_and_not1_b32 vcc_lo, exec_lo, s31
	s_wait_alu 0xfffe
	s_cbranch_vccnz .LBB224_16
; %bb.13:                               ;   in Loop: Header=BB224_4 Depth=1
	s_mov_b32 s5, 0
	s_mov_b32 s21, 0
                                        ; implicit-def: $vgpr7
	s_and_saveexec_b32 s36, s0
	s_cbranch_execz .LBB224_17
; %bb.14:                               ;   in Loop: Header=BB224_4 Depth=1
	s_and_not1_b32 vcc_lo, exec_lo, s34
	s_wait_alu 0xfffe
	s_cbranch_vccnz .LBB224_18
; %bb.15:                               ;   in Loop: Header=BB224_4 Depth=1
	v_add_co_u32 v7, vcc_lo, v19, s22
	s_wait_alu 0xfffd
	v_add_co_ci_u32_e64 v8, null, s23, v20, vcc_lo
	flat_load_b32 v7, v[7:8]
	s_wait_loadcnt_dscnt 0x0
	v_mul_f32_e32 v7, s30, v7
	s_branch .LBB224_19
.LBB224_16:                             ;   in Loop: Header=BB224_4 Depth=1
	s_mov_b32 s21, 0
                                        ; implicit-def: $vgpr7
	s_cbranch_execnz .LBB224_20
	s_branch .LBB224_39
.LBB224_17:                             ;   in Loop: Header=BB224_4 Depth=1
	s_or_b32 exec_lo, exec_lo, s36
	s_wait_alu 0xfffe
	s_and_b32 vcc_lo, exec_lo, s5
	s_wait_alu 0xfffe
	s_cbranch_vccnz .LBB224_20
	s_branch .LBB224_39
.LBB224_18:                             ;   in Loop: Header=BB224_4 Depth=1
	v_mov_b32_e32 v7, 0
.LBB224_19:                             ;   in Loop: Header=BB224_4 Depth=1
	s_mov_b32 s21, exec_lo
	s_or_b32 exec_lo, exec_lo, s36
	s_delay_alu instid0(SALU_CYCLE_1)
	s_and_b32 vcc_lo, exec_lo, s5
	s_wait_alu 0xfffe
	s_cbranch_vccz .LBB224_39
.LBB224_20:                             ;   in Loop: Header=BB224_4 Depth=1
	v_add_co_u32 v5, vcc_lo, v5, v17
	s_wait_alu 0xfffd
	v_add_co_ci_u32_e64 v6, null, 0, v6, vcc_lo
	v_mov_b32_e32 v21, 0
	s_delay_alu instid0(VALU_DEP_3) | instskip(SKIP_1) | instid1(VALU_DEP_3)
	v_add_co_u32 v5, vcc_lo, v5, s24
	s_wait_alu 0xfffd
	v_add_co_ci_u32_e64 v6, null, s25, v6, vcc_lo
	s_and_saveexec_b32 s36, s3
	s_cbranch_execnz .LBB224_29
; %bb.21:                               ;   in Loop: Header=BB224_4 Depth=1
	s_or_b32 exec_lo, exec_lo, s36
	s_and_saveexec_b32 s5, s4
	s_cbranch_execnz .LBB224_32
.LBB224_22:                             ;   in Loop: Header=BB224_4 Depth=1
	s_wait_alu 0xfffe
	s_or_b32 exec_lo, exec_lo, s5
	s_and_saveexec_b32 s5, s1
.LBB224_23:                             ;   in Loop: Header=BB224_4 Depth=1
	ds_store_b32 v13, v11
.LBB224_24:                             ;   in Loop: Header=BB224_4 Depth=1
	s_wait_alu 0xfffe
	s_or_b32 exec_lo, exec_lo, s5
	ds_bpermute_b32 v4, v18, v21
	v_cmp_gt_u32_e32 vcc_lo, 24, v16
	s_wait_dscnt 0x0
	s_barrier_signal -1
	s_barrier_wait -1
	global_inv scope:SCOPE_SE
	s_wait_alu 0xfffd
	v_cndmask_b32_e64 v3, 0, 8, vcc_lo
	v_cmp_gt_u32_e32 vcc_lo, 28, v16
	s_delay_alu instid0(VALU_DEP_2)
	v_add_lshl_u32 v3, v3, v16, 2
	v_add_f32_e32 v5, v21, v4
	s_wait_alu 0xfffd
	v_cndmask_b32_e64 v4, 0, 4, vcc_lo
	v_cmp_gt_u32_e32 vcc_lo, 30, v16
	ds_bpermute_b32 v6, v3, v5
	v_add_lshl_u32 v4, v4, v16, 2
	s_wait_dscnt 0x0
	v_add_f32_e32 v6, v5, v6
	s_wait_alu 0xfffd
	v_cndmask_b32_e64 v5, 0, 2, vcc_lo
	v_cmp_ne_u32_e32 vcc_lo, 31, v16
	ds_bpermute_b32 v7, v4, v6
	v_add_lshl_u32 v5, v5, v16, 2
	s_wait_alu 0xfffd
	v_add_co_ci_u32_e64 v8, null, 0, v16, vcc_lo
	s_wait_dscnt 0x0
	v_add_f32_e32 v6, v6, v7
	ds_bpermute_b32 v7, v5, v6
	s_wait_dscnt 0x0
	v_dual_add_f32 v7, v6, v7 :: v_dual_lshlrev_b32 v6, 2, v8
	ds_bpermute_b32 v8, v6, v7
	s_and_saveexec_b32 s5, s2
	s_cbranch_execz .LBB224_26
; %bb.25:                               ;   in Loop: Header=BB224_4 Depth=1
	s_wait_dscnt 0x0
	v_add_f32_e32 v7, v7, v8
	ds_store_b32 v14, v7
.LBB224_26:                             ;   in Loop: Header=BB224_4 Depth=1
	s_wait_alu 0xfffe
	s_or_b32 exec_lo, exec_lo, s5
	s_wait_dscnt 0x0
	v_mov_b32_e32 v8, 0
	s_wait_loadcnt 0x0
	s_barrier_signal -1
	s_barrier_wait -1
	global_inv scope:SCOPE_SE
	s_and_saveexec_b32 s5, s1
	s_cbranch_execnz .LBB224_33
; %bb.27:                               ;   in Loop: Header=BB224_4 Depth=1
	s_wait_alu 0xfffe
	s_or_b32 exec_lo, exec_lo, s5
	s_and_saveexec_b32 s5, s1
	s_cbranch_execnz .LBB224_34
.LBB224_28:                             ;   in Loop: Header=BB224_4 Depth=1
	s_wait_alu 0xfffe
	s_or_b32 exec_lo, exec_lo, s5
                                        ; implicit-def: $vgpr7
	s_and_saveexec_b32 s5, s0
	s_cbranch_execnz .LBB224_35
	s_branch .LBB224_38
.LBB224_29:                             ;   in Loop: Header=BB224_4 Depth=1
	v_dual_mov_b32 v21, 0 :: v_dual_mov_b32 v8, v6
	v_dual_mov_b32 v7, v5 :: v_dual_mov_b32 v22, v0
	v_mov_b32_e32 v9, v15
	s_mov_b32 s37, 0
.LBB224_30:                             ;   Parent Loop BB224_4 Depth=1
                                        ; =>  This Inner Loop Header: Depth=2
	s_delay_alu instid0(VALU_DEP_1) | instskip(NEXT) | instid1(VALU_DEP_1)
	v_ashrrev_i32_e32 v10, 31, v9
	v_lshlrev_b64_e32 v[23:24], 2, v[9:10]
	v_add_nc_u32_e32 v9, s35, v9
	s_delay_alu instid0(VALU_DEP_2) | instskip(SKIP_1) | instid1(VALU_DEP_3)
	v_add_co_u32 v23, vcc_lo, v3, v23
	s_wait_alu 0xfffd
	v_add_co_ci_u32_e64 v24, null, v4, v24, vcc_lo
	flat_load_b32 v10, v[7:8]
	flat_load_b32 v23, v[23:24]
	v_add_nc_u32_e32 v22, 0x400, v22
	v_add_co_u32 v7, vcc_lo, 0x1000, v7
	s_wait_alu 0xfffd
	v_add_co_ci_u32_e64 v8, null, 0, v8, vcc_lo
	s_wait_loadcnt_dscnt 0x0
	v_fmac_f32_e32 v21, v10, v23
	v_cmp_le_i32_e64 s5, s20, v22
	s_or_b32 s37, s5, s37
	s_delay_alu instid0(SALU_CYCLE_1)
	s_and_not1_b32 exec_lo, exec_lo, s37
	s_cbranch_execnz .LBB224_30
; %bb.31:                               ;   in Loop: Header=BB224_4 Depth=1
	s_or_b32 exec_lo, exec_lo, s37
	s_delay_alu instid0(SALU_CYCLE_1)
	s_or_b32 exec_lo, exec_lo, s36
	s_and_saveexec_b32 s5, s4
	s_cbranch_execz .LBB224_22
.LBB224_32:                             ;   in Loop: Header=BB224_4 Depth=1
	v_add_co_u32 v5, vcc_lo, v5, s26
	s_wait_alu 0xfffd
	v_add_co_ci_u32_e64 v6, null, s27, v6, vcc_lo
	v_add_co_u32 v3, vcc_lo, v3, v1
	s_wait_alu 0xfffd
	v_add_co_ci_u32_e64 v4, null, v4, v2, vcc_lo
	flat_load_b32 v5, v[5:6]
	flat_load_b32 v3, v[3:4]
	s_wait_loadcnt_dscnt 0x0
	v_fmac_f32_e32 v21, v5, v3
	s_wait_alu 0xfffe
	s_or_b32 exec_lo, exec_lo, s5
	s_and_saveexec_b32 s5, s1
	s_cbranch_execnz .LBB224_23
	s_branch .LBB224_24
.LBB224_33:                             ;   in Loop: Header=BB224_4 Depth=1
	ds_load_b32 v8, v13
	s_wait_alu 0xfffe
	s_or_b32 exec_lo, exec_lo, s5
	s_and_saveexec_b32 s5, s1
	s_cbranch_execz .LBB224_28
.LBB224_34:                             ;   in Loop: Header=BB224_4 Depth=1
	s_wait_dscnt 0x0
	ds_bpermute_b32 v7, v18, v8
	s_wait_dscnt 0x0
	v_add_f32_e32 v7, v8, v7
	ds_bpermute_b32 v3, v3, v7
	s_wait_dscnt 0x0
	v_add_f32_e32 v3, v7, v3
	;; [unrolled: 3-line block ×5, first 2 shown]
	s_wait_alu 0xfffe
	s_or_b32 exec_lo, exec_lo, s5
                                        ; implicit-def: $vgpr7
	s_and_saveexec_b32 s5, s0
	s_cbranch_execz .LBB224_38
.LBB224_35:                             ;   in Loop: Header=BB224_4 Depth=1
	s_wait_dscnt 0x0
	v_mul_f32_e32 v7, s29, v8
	s_and_not1_b32 vcc_lo, exec_lo, s34
	s_wait_alu 0xfffe
	s_cbranch_vccnz .LBB224_37
; %bb.36:                               ;   in Loop: Header=BB224_4 Depth=1
	v_add_co_u32 v3, vcc_lo, v19, s22
	s_wait_alu 0xfffd
	v_add_co_ci_u32_e64 v4, null, s23, v20, vcc_lo
	flat_load_b32 v3, v[3:4]
	s_wait_loadcnt_dscnt 0x0
	v_fmac_f32_e32 v7, s30, v3
.LBB224_37:                             ;   in Loop: Header=BB224_4 Depth=1
	s_or_b32 s21, s21, exec_lo
.LBB224_38:                             ;   in Loop: Header=BB224_4 Depth=1
	s_wait_alu 0xfffe
	s_or_b32 exec_lo, exec_lo, s5
.LBB224_39:                             ;   in Loop: Header=BB224_4 Depth=1
	s_wait_alu 0xfffe
	s_and_saveexec_b32 s5, s21
	s_cbranch_execz .LBB224_2
; %bb.40:                               ;   in Loop: Header=BB224_4 Depth=1
	v_add_co_u32 v3, vcc_lo, v19, s22
	s_wait_alu 0xfffd
	v_add_co_ci_u32_e64 v4, null, s23, v20, vcc_lo
	flat_store_b32 v[3:4], v7
	s_branch .LBB224_2
.LBB224_41:
	s_endpgm
	.section	.rodata,"a",@progbits
	.p2align	6, 0x0
	.amdhsa_kernel _ZL32rocblas_gemvt_warp_reduce_kernelILb0ELi1024EiPKffKPfEviiT3_lPKT2_lT1_lS7_lS8_lS4_lPT4_lS8_li
		.amdhsa_group_segment_fixed_size 128
		.amdhsa_private_segment_fixed_size 0
		.amdhsa_kernarg_size 140
		.amdhsa_user_sgpr_count 2
		.amdhsa_user_sgpr_dispatch_ptr 0
		.amdhsa_user_sgpr_queue_ptr 0
		.amdhsa_user_sgpr_kernarg_segment_ptr 1
		.amdhsa_user_sgpr_dispatch_id 0
		.amdhsa_user_sgpr_private_segment_size 0
		.amdhsa_wavefront_size32 1
		.amdhsa_uses_dynamic_stack 0
		.amdhsa_enable_private_segment 0
		.amdhsa_system_sgpr_workgroup_id_x 1
		.amdhsa_system_sgpr_workgroup_id_y 0
		.amdhsa_system_sgpr_workgroup_id_z 1
		.amdhsa_system_sgpr_workgroup_info 0
		.amdhsa_system_vgpr_workitem_id 0
		.amdhsa_next_free_vgpr 25
		.amdhsa_next_free_sgpr 38
		.amdhsa_reserve_vcc 1
		.amdhsa_float_round_mode_32 0
		.amdhsa_float_round_mode_16_64 0
		.amdhsa_float_denorm_mode_32 3
		.amdhsa_float_denorm_mode_16_64 3
		.amdhsa_fp16_overflow 0
		.amdhsa_workgroup_processor_mode 1
		.amdhsa_memory_ordered 1
		.amdhsa_forward_progress 1
		.amdhsa_inst_pref_size 13
		.amdhsa_round_robin_scheduling 0
		.amdhsa_exception_fp_ieee_invalid_op 0
		.amdhsa_exception_fp_denorm_src 0
		.amdhsa_exception_fp_ieee_div_zero 0
		.amdhsa_exception_fp_ieee_overflow 0
		.amdhsa_exception_fp_ieee_underflow 0
		.amdhsa_exception_fp_ieee_inexact 0
		.amdhsa_exception_int_div_zero 0
	.end_amdhsa_kernel
	.section	.text._ZL32rocblas_gemvt_warp_reduce_kernelILb0ELi1024EiPKffKPfEviiT3_lPKT2_lT1_lS7_lS8_lS4_lPT4_lS8_li,"axG",@progbits,_ZL32rocblas_gemvt_warp_reduce_kernelILb0ELi1024EiPKffKPfEviiT3_lPKT2_lT1_lS7_lS8_lS4_lPT4_lS8_li,comdat
.Lfunc_end224:
	.size	_ZL32rocblas_gemvt_warp_reduce_kernelILb0ELi1024EiPKffKPfEviiT3_lPKT2_lT1_lS7_lS8_lS4_lPT4_lS8_li, .Lfunc_end224-_ZL32rocblas_gemvt_warp_reduce_kernelILb0ELi1024EiPKffKPfEviiT3_lPKT2_lT1_lS7_lS8_lS4_lPT4_lS8_li
                                        ; -- End function
	.set _ZL32rocblas_gemvt_warp_reduce_kernelILb0ELi1024EiPKffKPfEviiT3_lPKT2_lT1_lS7_lS8_lS4_lPT4_lS8_li.num_vgpr, 25
	.set _ZL32rocblas_gemvt_warp_reduce_kernelILb0ELi1024EiPKffKPfEviiT3_lPKT2_lT1_lS7_lS8_lS4_lPT4_lS8_li.num_agpr, 0
	.set _ZL32rocblas_gemvt_warp_reduce_kernelILb0ELi1024EiPKffKPfEviiT3_lPKT2_lT1_lS7_lS8_lS4_lPT4_lS8_li.numbered_sgpr, 38
	.set _ZL32rocblas_gemvt_warp_reduce_kernelILb0ELi1024EiPKffKPfEviiT3_lPKT2_lT1_lS7_lS8_lS4_lPT4_lS8_li.num_named_barrier, 0
	.set _ZL32rocblas_gemvt_warp_reduce_kernelILb0ELi1024EiPKffKPfEviiT3_lPKT2_lT1_lS7_lS8_lS4_lPT4_lS8_li.private_seg_size, 0
	.set _ZL32rocblas_gemvt_warp_reduce_kernelILb0ELi1024EiPKffKPfEviiT3_lPKT2_lT1_lS7_lS8_lS4_lPT4_lS8_li.uses_vcc, 1
	.set _ZL32rocblas_gemvt_warp_reduce_kernelILb0ELi1024EiPKffKPfEviiT3_lPKT2_lT1_lS7_lS8_lS4_lPT4_lS8_li.uses_flat_scratch, 0
	.set _ZL32rocblas_gemvt_warp_reduce_kernelILb0ELi1024EiPKffKPfEviiT3_lPKT2_lT1_lS7_lS8_lS4_lPT4_lS8_li.has_dyn_sized_stack, 0
	.set _ZL32rocblas_gemvt_warp_reduce_kernelILb0ELi1024EiPKffKPfEviiT3_lPKT2_lT1_lS7_lS8_lS4_lPT4_lS8_li.has_recursion, 0
	.set _ZL32rocblas_gemvt_warp_reduce_kernelILb0ELi1024EiPKffKPfEviiT3_lPKT2_lT1_lS7_lS8_lS4_lPT4_lS8_li.has_indirect_call, 0
	.section	.AMDGPU.csdata,"",@progbits
; Kernel info:
; codeLenInByte = 1660
; TotalNumSgprs: 40
; NumVgprs: 25
; ScratchSize: 0
; MemoryBound: 0
; FloatMode: 240
; IeeeMode: 1
; LDSByteSize: 128 bytes/workgroup (compile time only)
; SGPRBlocks: 0
; VGPRBlocks: 3
; NumSGPRsForWavesPerEU: 40
; NumVGPRsForWavesPerEU: 25
; Occupancy: 16
; WaveLimiterHint : 1
; COMPUTE_PGM_RSRC2:SCRATCH_EN: 0
; COMPUTE_PGM_RSRC2:USER_SGPR: 2
; COMPUTE_PGM_RSRC2:TRAP_HANDLER: 0
; COMPUTE_PGM_RSRC2:TGID_X_EN: 1
; COMPUTE_PGM_RSRC2:TGID_Y_EN: 0
; COMPUTE_PGM_RSRC2:TGID_Z_EN: 1
; COMPUTE_PGM_RSRC2:TIDIG_COMP_CNT: 0
	.section	.text._ZL32rocblas_gemvt_warp_reduce_kernelILb0ELi1024ElPKffKPfEviiT3_lPKT2_lT1_lS7_lS8_lS4_lPT4_lS8_li,"axG",@progbits,_ZL32rocblas_gemvt_warp_reduce_kernelILb0ELi1024ElPKffKPfEviiT3_lPKT2_lT1_lS7_lS8_lS4_lPT4_lS8_li,comdat
	.globl	_ZL32rocblas_gemvt_warp_reduce_kernelILb0ELi1024ElPKffKPfEviiT3_lPKT2_lT1_lS7_lS8_lS4_lPT4_lS8_li ; -- Begin function _ZL32rocblas_gemvt_warp_reduce_kernelILb0ELi1024ElPKffKPfEviiT3_lPKT2_lT1_lS7_lS8_lS4_lPT4_lS8_li
	.p2align	8
	.type	_ZL32rocblas_gemvt_warp_reduce_kernelILb0ELi1024ElPKffKPfEviiT3_lPKT2_lT1_lS7_lS8_lS4_lPT4_lS8_li,@function
_ZL32rocblas_gemvt_warp_reduce_kernelILb0ELi1024ElPKffKPfEviiT3_lPKT2_lT1_lS7_lS8_lS4_lPT4_lS8_li: ; @_ZL32rocblas_gemvt_warp_reduce_kernelILb0ELi1024ElPKffKPfEviiT3_lPKT2_lT1_lS7_lS8_lS4_lPT4_lS8_li
; %bb.0:
	s_load_b32 s30, s[0:1], 0x88
	s_lshr_b32 s6, ttmp7, 16
	s_wait_kmcnt 0x0
	s_cmp_ge_u32 s6, s30
	s_cbranch_scc1 .LBB225_41
; %bb.1:
	s_clause 0x8
	s_load_b32 s31, s[0:1], 0x8
	s_load_b32 s33, s[0:1], 0x58
	s_load_b64 s[24:25], s[0:1], 0x48
	s_load_b128 s[8:11], s[0:1], 0x38
	s_load_b32 s37, s[0:1], 0x0
	s_load_b128 s[12:15], s[0:1], 0x18
	s_load_b64 s[26:27], s[0:1], 0x28
	s_load_b64 s[28:29], s[0:1], 0x78
	s_load_b128 s[16:19], s[0:1], 0x68
	v_and_b32_e32 v3, 31, v0
	v_lshrrev_b32_e32 v4, 3, v0
	v_mov_b32_e32 v13, 0
	s_mov_b32 s4, ttmp9
	v_mbcnt_lo_u32_b32 v17, -1, 0
	v_lshlrev_b32_e32 v14, 2, v3
	v_and_b32_e32 v16, 0x7c, v4
	v_cmp_eq_u32_e64 s0, 0, v0
	v_cmp_gt_u32_e64 s1, 32, v0
	v_lshl_or_b32 v19, v17, 2, 64
	s_mov_b32 s7, 0
	s_wait_kmcnt 0x0
	s_cmp_eq_f32 s31, 0
	v_mad_co_u64_u32 v[1:2], null, s24, v0, 0
	s_cselect_b32 s34, -1, 0
	s_cmp_neq_f32 s33, 1.0
	v_cmp_gt_i32_e32 vcc_lo, s37, v0
	s_cselect_b32 s2, -1, 0
	s_cmp_neq_f32 s31, 0
	v_cndmask_b32_e32 v5, 0, v0, vcc_lo
	s_cselect_b32 s3, -1, 0
	s_delay_alu instid0(SALU_CYCLE_1)
	s_or_b32 s35, s3, s2
	s_cmp_neq_f32 s33, 0
	v_cndmask_b32_e64 v15, 0, 1, s3
	v_cmp_eq_u32_e64 s2, 0, v3
	v_mad_co_u64_u32 v[2:3], null, s25, v0, v[2:3]
	s_cselect_b32 s36, -1, 0
	s_ashr_i32 s3, s37, 31
	s_ashr_i32 s5, ttmp9, 31
	s_wait_alu 0xfffe
	s_lshr_b32 s3, s3, 22
	s_mul_u64 s[28:29], s[28:29], s[4:5]
	s_wait_alu 0xfffe
	s_add_co_i32 s3, s37, s3
	s_mul_u64 s[26:27], s[26:27], s[4:5]
	s_wait_alu 0xfffe
	s_and_b32 s20, s3, 0xfffffc00
	v_lshlrev_b64_e32 v[1:2], 2, v[1:2]
	v_or_b32_e32 v6, s20, v0
	s_ashr_i32 s21, s20, 31
	v_cmp_gt_i32_e64 s3, s20, v0
	s_wait_alu 0xfffe
	s_mul_i32 s5, s24, s21
	v_lshlrev_b32_e32 v18, 2, v5
	v_mul_lo_u32 v7, s25, v6
	v_mad_co_u64_u32 v[3:4], null, s24, v6, 0
	v_cmp_gt_i32_e64 s4, s37, v6
	s_lshl_b64 s[22:23], s[24:25], 12
	s_lshl_b64 s[14:15], s[14:15], 2
	;; [unrolled: 1-line block ×5, first 2 shown]
	v_add3_u32 v4, v4, s5, v7
	s_lshl_b64 s[26:27], s[26:27], 2
	s_lshl_b64 s[28:29], s[20:21], 2
	s_delay_alu instid0(VALU_DEP_1)
	v_lshlrev_b64_e32 v[3:4], 2, v[3:4]
	s_branch .LBB225_4
.LBB225_2:                              ;   in Loop: Header=BB225_4 Depth=1
	s_wait_alu 0xfffe
	s_or_b32 exec_lo, exec_lo, s5
.LBB225_3:                              ;   in Loop: Header=BB225_4 Depth=1
	s_add_co_i32 s6, s6, 0x10000
	s_delay_alu instid0(SALU_CYCLE_1)
	s_cmp_lt_u32 s6, s30
	s_cbranch_scc0 .LBB225_41
.LBB225_4:                              ; =>This Loop Header: Depth=1
                                        ;     Child Loop BB225_30 Depth 2
	s_and_not1_b32 vcc_lo, exec_lo, s35
	s_wait_alu 0xfffe
	s_cbranch_vccnz .LBB225_3
; %bb.5:                                ;   in Loop: Header=BB225_4 Depth=1
	s_and_not1_b32 vcc_lo, exec_lo, s34
	s_wait_alu 0xfffe
	s_cbranch_vccnz .LBB225_7
; %bb.6:                                ;   in Loop: Header=BB225_4 Depth=1
	s_mov_b32 s5, 0
	s_branch .LBB225_8
.LBB225_7:                              ;   in Loop: Header=BB225_4 Depth=1
	s_mov_b32 s5, -1
.LBB225_8:                              ;   in Loop: Header=BB225_4 Depth=1
	v_mov_b32_e32 v5, 0
	v_dual_mov_b32 v6, 0 :: v_dual_mov_b32 v7, 0
	v_mov_b32_e32 v8, 0
	s_wait_alu 0xfffe
	s_and_not1_b32 vcc_lo, exec_lo, s5
	s_wait_alu 0xfffe
	s_cbranch_vccnz .LBB225_10
; %bb.9:                                ;   in Loop: Header=BB225_4 Depth=1
	s_lshl_b64 s[38:39], s[6:7], 3
	s_delay_alu instid0(SALU_CYCLE_1)
	s_add_nc_u64 s[38:39], s[12:13], s[38:39]
	global_load_b64 v[7:8], v13, s[38:39]
	s_wait_loadcnt 0x0
	v_add_co_u32 v7, vcc_lo, v7, s14
	s_wait_alu 0xfffd
	v_add_co_ci_u32_e64 v8, null, s15, v8, vcc_lo
.LBB225_10:                             ;   in Loop: Header=BB225_4 Depth=1
	v_cmp_ne_u32_e32 vcc_lo, 1, v15
	s_cbranch_vccnz .LBB225_12
; %bb.11:                               ;   in Loop: Header=BB225_4 Depth=1
	s_lshl_b64 s[38:39], s[6:7], 3
	s_delay_alu instid0(SALU_CYCLE_1)
	s_add_nc_u64 s[38:39], s[8:9], s[38:39]
	global_load_b64 v[5:6], v13, s[38:39]
	s_wait_loadcnt 0x0
	v_add_co_u32 v5, vcc_lo, v5, s10
	s_wait_alu 0xfffd
	v_add_co_ci_u32_e64 v6, null, s11, v6, vcc_lo
.LBB225_12:                             ;   in Loop: Header=BB225_4 Depth=1
	s_lshl_b64 s[38:39], s[6:7], 3
	s_delay_alu instid0(SALU_CYCLE_1)
	s_add_nc_u64 s[38:39], s[16:17], s[38:39]
	s_wait_dscnt 0x0
	global_load_b64 v[9:10], v13, s[38:39]
	s_wait_loadcnt 0x0
	v_add_co_u32 v20, vcc_lo, v9, s18
	s_wait_alu 0xfffd
	v_add_co_ci_u32_e64 v21, null, s19, v10, vcc_lo
	s_and_not1_b32 vcc_lo, exec_lo, s34
	s_wait_alu 0xfffe
	s_cbranch_vccnz .LBB225_16
; %bb.13:                               ;   in Loop: Header=BB225_4 Depth=1
	s_mov_b32 s5, 0
	s_mov_b32 s21, 0
                                        ; implicit-def: $vgpr9
	s_and_saveexec_b32 s37, s0
	s_cbranch_execz .LBB225_17
; %bb.14:                               ;   in Loop: Header=BB225_4 Depth=1
	s_and_not1_b32 vcc_lo, exec_lo, s36
	s_wait_alu 0xfffe
	s_cbranch_vccnz .LBB225_18
; %bb.15:                               ;   in Loop: Header=BB225_4 Depth=1
	v_add_co_u32 v9, vcc_lo, v20, s24
	s_wait_alu 0xfffd
	v_add_co_ci_u32_e64 v10, null, s25, v21, vcc_lo
	flat_load_b32 v9, v[9:10]
	s_wait_loadcnt_dscnt 0x0
	v_mul_f32_e32 v9, s33, v9
	s_branch .LBB225_19
.LBB225_16:                             ;   in Loop: Header=BB225_4 Depth=1
	s_mov_b32 s21, 0
                                        ; implicit-def: $vgpr9
	s_cbranch_execnz .LBB225_20
	s_branch .LBB225_39
.LBB225_17:                             ;   in Loop: Header=BB225_4 Depth=1
	s_wait_alu 0xfffe
	s_or_b32 exec_lo, exec_lo, s37
	s_delay_alu instid0(SALU_CYCLE_1)
	s_and_b32 vcc_lo, exec_lo, s5
	s_wait_alu 0xfffe
	s_cbranch_vccnz .LBB225_20
	s_branch .LBB225_39
.LBB225_18:                             ;   in Loop: Header=BB225_4 Depth=1
	v_mov_b32_e32 v9, 0
.LBB225_19:                             ;   in Loop: Header=BB225_4 Depth=1
	s_mov_b32 s21, exec_lo
	s_or_b32 exec_lo, exec_lo, s37
	s_delay_alu instid0(SALU_CYCLE_1)
	s_and_b32 vcc_lo, exec_lo, s5
	s_wait_alu 0xfffe
	s_cbranch_vccz .LBB225_39
.LBB225_20:                             ;   in Loop: Header=BB225_4 Depth=1
	v_add_co_u32 v7, vcc_lo, v7, v18
	s_wait_alu 0xfffd
	v_add_co_ci_u32_e64 v8, null, 0, v8, vcc_lo
	v_mov_b32_e32 v22, 0
	s_delay_alu instid0(VALU_DEP_3) | instskip(SKIP_1) | instid1(VALU_DEP_3)
	v_add_co_u32 v7, vcc_lo, v7, s26
	s_wait_alu 0xfffd
	v_add_co_ci_u32_e64 v8, null, s27, v8, vcc_lo
	s_and_saveexec_b32 s37, s3
	s_cbranch_execnz .LBB225_29
; %bb.21:                               ;   in Loop: Header=BB225_4 Depth=1
	s_wait_alu 0xfffe
	s_or_b32 exec_lo, exec_lo, s37
	s_and_saveexec_b32 s5, s4
	s_cbranch_execnz .LBB225_32
.LBB225_22:                             ;   in Loop: Header=BB225_4 Depth=1
	s_wait_alu 0xfffe
	s_or_b32 exec_lo, exec_lo, s5
	s_and_saveexec_b32 s5, s1
.LBB225_23:                             ;   in Loop: Header=BB225_4 Depth=1
	ds_store_b32 v14, v13
.LBB225_24:                             ;   in Loop: Header=BB225_4 Depth=1
	s_wait_alu 0xfffe
	s_or_b32 exec_lo, exec_lo, s5
	ds_bpermute_b32 v6, v19, v22
	v_cmp_gt_u32_e32 vcc_lo, 24, v17
	s_wait_dscnt 0x0
	s_barrier_signal -1
	s_barrier_wait -1
	global_inv scope:SCOPE_SE
	s_wait_alu 0xfffd
	v_cndmask_b32_e64 v5, 0, 8, vcc_lo
	v_cmp_gt_u32_e32 vcc_lo, 28, v17
	s_delay_alu instid0(VALU_DEP_2)
	v_add_lshl_u32 v5, v5, v17, 2
	v_add_f32_e32 v7, v22, v6
	s_wait_alu 0xfffd
	v_cndmask_b32_e64 v6, 0, 4, vcc_lo
	v_cmp_gt_u32_e32 vcc_lo, 30, v17
	ds_bpermute_b32 v8, v5, v7
	v_add_lshl_u32 v6, v6, v17, 2
	s_wait_dscnt 0x0
	v_add_f32_e32 v8, v7, v8
	s_wait_alu 0xfffd
	v_cndmask_b32_e64 v7, 0, 2, vcc_lo
	v_cmp_ne_u32_e32 vcc_lo, 31, v17
	ds_bpermute_b32 v9, v6, v8
	v_add_lshl_u32 v7, v7, v17, 2
	s_wait_alu 0xfffd
	v_add_co_ci_u32_e64 v10, null, 0, v17, vcc_lo
	s_wait_dscnt 0x0
	v_add_f32_e32 v8, v8, v9
	ds_bpermute_b32 v9, v7, v8
	s_wait_dscnt 0x0
	v_dual_add_f32 v9, v8, v9 :: v_dual_lshlrev_b32 v8, 2, v10
	ds_bpermute_b32 v10, v8, v9
	s_and_saveexec_b32 s5, s2
	s_cbranch_execz .LBB225_26
; %bb.25:                               ;   in Loop: Header=BB225_4 Depth=1
	s_wait_dscnt 0x0
	v_add_f32_e32 v9, v9, v10
	ds_store_b32 v16, v9
.LBB225_26:                             ;   in Loop: Header=BB225_4 Depth=1
	s_wait_alu 0xfffe
	s_or_b32 exec_lo, exec_lo, s5
	s_wait_dscnt 0x0
	v_mov_b32_e32 v10, 0
	s_wait_loadcnt 0x0
	s_barrier_signal -1
	s_barrier_wait -1
	global_inv scope:SCOPE_SE
	s_and_saveexec_b32 s5, s1
	s_cbranch_execnz .LBB225_33
; %bb.27:                               ;   in Loop: Header=BB225_4 Depth=1
	s_wait_alu 0xfffe
	s_or_b32 exec_lo, exec_lo, s5
	s_and_saveexec_b32 s5, s1
	s_cbranch_execnz .LBB225_34
.LBB225_28:                             ;   in Loop: Header=BB225_4 Depth=1
	s_wait_alu 0xfffe
	s_or_b32 exec_lo, exec_lo, s5
                                        ; implicit-def: $vgpr9
	s_and_saveexec_b32 s5, s0
	s_cbranch_execnz .LBB225_35
	s_branch .LBB225_38
.LBB225_29:                             ;   in Loop: Header=BB225_4 Depth=1
	v_add_co_u32 v9, vcc_lo, v5, v1
	v_dual_mov_b32 v12, v8 :: v_dual_mov_b32 v23, v0
	s_wait_alu 0xfffd
	v_add_co_ci_u32_e64 v10, null, v6, v2, vcc_lo
	v_dual_mov_b32 v22, 0 :: v_dual_mov_b32 v11, v7
	s_mov_b32 s38, 0
.LBB225_30:                             ;   Parent Loop BB225_4 Depth=1
                                        ; =>  This Inner Loop Header: Depth=2
	flat_load_b32 v24, v[11:12]
	flat_load_b32 v25, v[9:10]
	v_add_nc_u32_e32 v23, 0x400, v23
	v_add_co_u32 v11, vcc_lo, 0x1000, v11
	s_wait_alu 0xfffd
	v_add_co_ci_u32_e64 v12, null, 0, v12, vcc_lo
	v_add_co_u32 v9, vcc_lo, v9, s22
	s_wait_alu 0xfffd
	v_add_co_ci_u32_e64 v10, null, s23, v10, vcc_lo
	s_wait_loadcnt_dscnt 0x0
	v_fmac_f32_e32 v22, v24, v25
	v_cmp_le_i32_e64 s5, s20, v23
	s_or_b32 s38, s5, s38
	s_delay_alu instid0(SALU_CYCLE_1)
	s_and_not1_b32 exec_lo, exec_lo, s38
	s_cbranch_execnz .LBB225_30
; %bb.31:                               ;   in Loop: Header=BB225_4 Depth=1
	s_or_b32 exec_lo, exec_lo, s38
	s_wait_alu 0xfffe
	s_or_b32 exec_lo, exec_lo, s37
	s_and_saveexec_b32 s5, s4
	s_cbranch_execz .LBB225_22
.LBB225_32:                             ;   in Loop: Header=BB225_4 Depth=1
	v_add_co_u32 v7, vcc_lo, v7, s28
	s_wait_alu 0xfffd
	v_add_co_ci_u32_e64 v8, null, s29, v8, vcc_lo
	v_add_co_u32 v5, vcc_lo, v5, v3
	s_wait_alu 0xfffd
	v_add_co_ci_u32_e64 v6, null, v6, v4, vcc_lo
	flat_load_b32 v7, v[7:8]
	flat_load_b32 v5, v[5:6]
	s_wait_loadcnt_dscnt 0x0
	v_fmac_f32_e32 v22, v7, v5
	s_wait_alu 0xfffe
	s_or_b32 exec_lo, exec_lo, s5
	s_and_saveexec_b32 s5, s1
	s_cbranch_execnz .LBB225_23
	s_branch .LBB225_24
.LBB225_33:                             ;   in Loop: Header=BB225_4 Depth=1
	ds_load_b32 v10, v14
	s_wait_alu 0xfffe
	s_or_b32 exec_lo, exec_lo, s5
	s_and_saveexec_b32 s5, s1
	s_cbranch_execz .LBB225_28
.LBB225_34:                             ;   in Loop: Header=BB225_4 Depth=1
	s_wait_dscnt 0x0
	ds_bpermute_b32 v9, v19, v10
	s_wait_dscnt 0x0
	v_add_f32_e32 v9, v10, v9
	ds_bpermute_b32 v5, v5, v9
	s_wait_dscnt 0x0
	v_add_f32_e32 v5, v9, v5
	;; [unrolled: 3-line block ×5, first 2 shown]
	s_wait_alu 0xfffe
	s_or_b32 exec_lo, exec_lo, s5
                                        ; implicit-def: $vgpr9
	s_and_saveexec_b32 s5, s0
	s_cbranch_execz .LBB225_38
.LBB225_35:                             ;   in Loop: Header=BB225_4 Depth=1
	s_wait_dscnt 0x0
	v_mul_f32_e32 v9, s31, v10
	s_and_not1_b32 vcc_lo, exec_lo, s36
	s_wait_alu 0xfffe
	s_cbranch_vccnz .LBB225_37
; %bb.36:                               ;   in Loop: Header=BB225_4 Depth=1
	v_add_co_u32 v5, vcc_lo, v20, s24
	s_wait_alu 0xfffd
	v_add_co_ci_u32_e64 v6, null, s25, v21, vcc_lo
	flat_load_b32 v5, v[5:6]
	s_wait_loadcnt_dscnt 0x0
	v_fmac_f32_e32 v9, s33, v5
.LBB225_37:                             ;   in Loop: Header=BB225_4 Depth=1
	s_or_b32 s21, s21, exec_lo
.LBB225_38:                             ;   in Loop: Header=BB225_4 Depth=1
	s_wait_alu 0xfffe
	s_or_b32 exec_lo, exec_lo, s5
.LBB225_39:                             ;   in Loop: Header=BB225_4 Depth=1
	s_wait_alu 0xfffe
	s_and_saveexec_b32 s5, s21
	s_cbranch_execz .LBB225_2
; %bb.40:                               ;   in Loop: Header=BB225_4 Depth=1
	v_add_co_u32 v5, vcc_lo, v20, s24
	s_wait_alu 0xfffd
	v_add_co_ci_u32_e64 v6, null, s25, v21, vcc_lo
	flat_store_b32 v[5:6], v9
	s_branch .LBB225_2
.LBB225_41:
	s_endpgm
	.section	.rodata,"a",@progbits
	.p2align	6, 0x0
	.amdhsa_kernel _ZL32rocblas_gemvt_warp_reduce_kernelILb0ELi1024ElPKffKPfEviiT3_lPKT2_lT1_lS7_lS8_lS4_lPT4_lS8_li
		.amdhsa_group_segment_fixed_size 128
		.amdhsa_private_segment_fixed_size 0
		.amdhsa_kernarg_size 140
		.amdhsa_user_sgpr_count 2
		.amdhsa_user_sgpr_dispatch_ptr 0
		.amdhsa_user_sgpr_queue_ptr 0
		.amdhsa_user_sgpr_kernarg_segment_ptr 1
		.amdhsa_user_sgpr_dispatch_id 0
		.amdhsa_user_sgpr_private_segment_size 0
		.amdhsa_wavefront_size32 1
		.amdhsa_uses_dynamic_stack 0
		.amdhsa_enable_private_segment 0
		.amdhsa_system_sgpr_workgroup_id_x 1
		.amdhsa_system_sgpr_workgroup_id_y 0
		.amdhsa_system_sgpr_workgroup_id_z 1
		.amdhsa_system_sgpr_workgroup_info 0
		.amdhsa_system_vgpr_workitem_id 0
		.amdhsa_next_free_vgpr 26
		.amdhsa_next_free_sgpr 40
		.amdhsa_reserve_vcc 1
		.amdhsa_float_round_mode_32 0
		.amdhsa_float_round_mode_16_64 0
		.amdhsa_float_denorm_mode_32 3
		.amdhsa_float_denorm_mode_16_64 3
		.amdhsa_fp16_overflow 0
		.amdhsa_workgroup_processor_mode 1
		.amdhsa_memory_ordered 1
		.amdhsa_forward_progress 1
		.amdhsa_inst_pref_size 14
		.amdhsa_round_robin_scheduling 0
		.amdhsa_exception_fp_ieee_invalid_op 0
		.amdhsa_exception_fp_denorm_src 0
		.amdhsa_exception_fp_ieee_div_zero 0
		.amdhsa_exception_fp_ieee_overflow 0
		.amdhsa_exception_fp_ieee_underflow 0
		.amdhsa_exception_fp_ieee_inexact 0
		.amdhsa_exception_int_div_zero 0
	.end_amdhsa_kernel
	.section	.text._ZL32rocblas_gemvt_warp_reduce_kernelILb0ELi1024ElPKffKPfEviiT3_lPKT2_lT1_lS7_lS8_lS4_lPT4_lS8_li,"axG",@progbits,_ZL32rocblas_gemvt_warp_reduce_kernelILb0ELi1024ElPKffKPfEviiT3_lPKT2_lT1_lS7_lS8_lS4_lPT4_lS8_li,comdat
.Lfunc_end225:
	.size	_ZL32rocblas_gemvt_warp_reduce_kernelILb0ELi1024ElPKffKPfEviiT3_lPKT2_lT1_lS7_lS8_lS4_lPT4_lS8_li, .Lfunc_end225-_ZL32rocblas_gemvt_warp_reduce_kernelILb0ELi1024ElPKffKPfEviiT3_lPKT2_lT1_lS7_lS8_lS4_lPT4_lS8_li
                                        ; -- End function
	.set _ZL32rocblas_gemvt_warp_reduce_kernelILb0ELi1024ElPKffKPfEviiT3_lPKT2_lT1_lS7_lS8_lS4_lPT4_lS8_li.num_vgpr, 26
	.set _ZL32rocblas_gemvt_warp_reduce_kernelILb0ELi1024ElPKffKPfEviiT3_lPKT2_lT1_lS7_lS8_lS4_lPT4_lS8_li.num_agpr, 0
	.set _ZL32rocblas_gemvt_warp_reduce_kernelILb0ELi1024ElPKffKPfEviiT3_lPKT2_lT1_lS7_lS8_lS4_lPT4_lS8_li.numbered_sgpr, 40
	.set _ZL32rocblas_gemvt_warp_reduce_kernelILb0ELi1024ElPKffKPfEviiT3_lPKT2_lT1_lS7_lS8_lS4_lPT4_lS8_li.num_named_barrier, 0
	.set _ZL32rocblas_gemvt_warp_reduce_kernelILb0ELi1024ElPKffKPfEviiT3_lPKT2_lT1_lS7_lS8_lS4_lPT4_lS8_li.private_seg_size, 0
	.set _ZL32rocblas_gemvt_warp_reduce_kernelILb0ELi1024ElPKffKPfEviiT3_lPKT2_lT1_lS7_lS8_lS4_lPT4_lS8_li.uses_vcc, 1
	.set _ZL32rocblas_gemvt_warp_reduce_kernelILb0ELi1024ElPKffKPfEviiT3_lPKT2_lT1_lS7_lS8_lS4_lPT4_lS8_li.uses_flat_scratch, 0
	.set _ZL32rocblas_gemvt_warp_reduce_kernelILb0ELi1024ElPKffKPfEviiT3_lPKT2_lT1_lS7_lS8_lS4_lPT4_lS8_li.has_dyn_sized_stack, 0
	.set _ZL32rocblas_gemvt_warp_reduce_kernelILb0ELi1024ElPKffKPfEviiT3_lPKT2_lT1_lS7_lS8_lS4_lPT4_lS8_li.has_recursion, 0
	.set _ZL32rocblas_gemvt_warp_reduce_kernelILb0ELi1024ElPKffKPfEviiT3_lPKT2_lT1_lS7_lS8_lS4_lPT4_lS8_li.has_indirect_call, 0
	.section	.AMDGPU.csdata,"",@progbits
; Kernel info:
; codeLenInByte = 1704
; TotalNumSgprs: 42
; NumVgprs: 26
; ScratchSize: 0
; MemoryBound: 0
; FloatMode: 240
; IeeeMode: 1
; LDSByteSize: 128 bytes/workgroup (compile time only)
; SGPRBlocks: 0
; VGPRBlocks: 3
; NumSGPRsForWavesPerEU: 42
; NumVGPRsForWavesPerEU: 26
; Occupancy: 16
; WaveLimiterHint : 1
; COMPUTE_PGM_RSRC2:SCRATCH_EN: 0
; COMPUTE_PGM_RSRC2:USER_SGPR: 2
; COMPUTE_PGM_RSRC2:TRAP_HANDLER: 0
; COMPUTE_PGM_RSRC2:TGID_X_EN: 1
; COMPUTE_PGM_RSRC2:TGID_Y_EN: 0
; COMPUTE_PGM_RSRC2:TGID_Z_EN: 1
; COMPUTE_PGM_RSRC2:TIDIG_COMP_CNT: 0
	.section	.text._ZL22rocblas_gemvtsm_kernelILb1ELi256EPKfS1_KPfEviiT2_lPKT1_lilS7_lilS4_lPT3_lil,"axG",@progbits,_ZL22rocblas_gemvtsm_kernelILb1ELi256EPKfS1_KPfEviiT2_lPKT1_lilS7_lilS4_lPT3_lil,comdat
	.globl	_ZL22rocblas_gemvtsm_kernelILb1ELi256EPKfS1_KPfEviiT2_lPKT1_lilS7_lilS4_lPT3_lil ; -- Begin function _ZL22rocblas_gemvtsm_kernelILb1ELi256EPKfS1_KPfEviiT2_lPKT1_lilS7_lilS4_lPT3_lil
	.p2align	8
	.type	_ZL22rocblas_gemvtsm_kernelILb1ELi256EPKfS1_KPfEviiT2_lPKT1_lilS7_lilS4_lPT3_lil,@function
_ZL22rocblas_gemvtsm_kernelILb1ELi256EPKfS1_KPfEviiT2_lPKT1_lilS7_lilS4_lPT3_lil: ; @_ZL22rocblas_gemvtsm_kernelILb1ELi256EPKfS1_KPfEviiT2_lPKT1_lilS7_lilS4_lPT3_lil
; %bb.0:
	s_clause 0x1
	s_load_b256 s[12:19], s[0:1], 0x8
	s_load_b256 s[4:11], s[0:1], 0x58
	s_mov_b32 s2, ttmp9
	s_mov_b32 s3, 0
	s_wait_kmcnt 0x0
	s_mul_u64 s[14:15], s[14:15], s[2:3]
	s_mul_u64 s[6:7], s[6:7], s[2:3]
	s_lshl_b64 s[14:15], s[14:15], 2
	s_lshl_b64 s[6:7], s[6:7], 2
	s_add_nc_u64 s[12:13], s[12:13], s[14:15]
	s_add_nc_u64 s[4:5], s[4:5], s[6:7]
	s_load_b32 s21, s[12:13], 0x0
	s_load_b32 s20, s[4:5], 0x0
	s_wait_kmcnt 0x0
	s_cmp_eq_f32 s21, 0
	s_cselect_b32 s4, -1, 0
	s_cmp_eq_f32 s20, 1.0
	s_cselect_b32 s5, -1, 0
	s_delay_alu instid0(SALU_CYCLE_1) | instskip(NEXT) | instid1(SALU_CYCLE_1)
	s_and_b32 s4, s4, s5
	s_and_b32 vcc_lo, exec_lo, s4
	s_cbranch_vccnz .LBB226_38
; %bb.1:
	s_cmp_neq_f32 s21, 0
	s_mov_b64 s[12:13], 0
	s_mov_b64 s[6:7], 0
	s_cselect_b32 s4, -1, 0
	s_cmp_eq_f32 s21, 0
	s_cselect_b32 s5, -1, 0
	s_delay_alu instid0(SALU_CYCLE_1)
	s_and_b32 vcc_lo, exec_lo, s5
	s_cbranch_vccnz .LBB226_3
; %bb.2:
	s_lshl_b64 s[6:7], s[2:3], 3
	s_lshl_b64 s[14:15], s[18:19], 2
	s_add_nc_u64 s[6:7], s[16:17], s[6:7]
	s_load_b64 s[6:7], s[6:7], 0x0
	s_wait_kmcnt 0x0
	s_add_nc_u64 s[6:7], s[6:7], s[14:15]
.LBB226_3:
	s_and_not1_b32 vcc_lo, exec_lo, s4
	s_cbranch_vccnz .LBB226_5
; %bb.4:
	s_load_b128 s[12:15], s[0:1], 0x38
	s_lshl_b64 s[16:17], s[2:3], 3
	s_wait_kmcnt 0x0
	s_add_nc_u64 s[12:13], s[12:13], s[16:17]
	s_lshl_b64 s[14:15], s[14:15], 2
	s_load_b64 s[12:13], s[12:13], 0x0
	s_wait_kmcnt 0x0
	s_add_nc_u64 s[12:13], s[12:13], s[14:15]
.LBB226_5:
	s_lshl_b64 s[2:3], s[2:3], 3
	s_and_not1_b32 vcc_lo, exec_lo, s5
	s_add_nc_u64 s[8:9], s[8:9], s[2:3]
	s_clause 0x1
	s_load_b64 s[2:3], s[0:1], 0x0
	s_load_b32 s4, s[0:1], 0x78
	s_load_b64 s[8:9], s[8:9], 0x0
	s_mov_b32 s5, -1
	s_cbranch_vccnz .LBB226_20
; %bb.6:
	s_wait_kmcnt 0x0
	s_cmp_gt_i32 s3, 0
	s_cselect_b32 s16, -1, 0
	s_cmp_neq_f32 s20, 0
	v_cndmask_b32_e64 v1, 0, 1, s16
	s_delay_alu instid0(VALU_DEP_1)
	v_cmp_ne_u32_e32 vcc_lo, 1, v1
	s_cbranch_scc1 .LBB226_13
; %bb.7:
	s_and_b32 vcc_lo, exec_lo, vcc_lo
	s_cbranch_vccnz .LBB226_12
; %bb.8:
	v_mad_co_i64_i32 v[1:2], null, s4, v0, 0
	s_lshl_b64 s[14:15], s[10:11], 2
	v_mov_b32_e32 v3, 0
	s_add_nc_u64 s[14:15], s[8:9], s[14:15]
	s_ashr_i32 s5, s4, 31
	v_lshlrev_b64_e32 v[1:2], 2, v[1:2]
	s_delay_alu instid0(VALU_DEP_1) | instskip(NEXT) | instid1(VALU_DEP_1)
	v_add_co_u32 v1, vcc_lo, s14, v1
	v_add_co_ci_u32_e64 v2, null, s15, v2, vcc_lo
	s_wait_alu 0xfffe
	s_lshl_b64 s[14:15], s[4:5], 10
	s_mov_b32 s5, 0
	s_branch .LBB226_10
.LBB226_9:                              ;   in Loop: Header=BB226_10 Depth=1
	s_wait_alu 0xfffe
	s_or_b32 exec_lo, exec_lo, s17
	v_add_co_u32 v1, vcc_lo, v1, s14
	s_wait_alu 0xfffd
	v_add_co_ci_u32_e64 v2, null, s15, v2, vcc_lo
	s_addk_co_i32 s5, 0x100
	s_wait_alu 0xfffe
	s_cmp_ge_i32 s5, s3
	s_cbranch_scc1 .LBB226_12
.LBB226_10:                             ; =>This Inner Loop Header: Depth=1
	s_wait_alu 0xfffe
	v_add_nc_u32_e32 v4, s5, v0
	s_mov_b32 s17, exec_lo
	s_delay_alu instid0(VALU_DEP_1)
	v_cmpx_gt_i32_e64 s3, v4
	s_cbranch_execz .LBB226_9
; %bb.11:                               ;   in Loop: Header=BB226_10 Depth=1
	flat_store_b32 v[1:2], v3
	s_branch .LBB226_9
.LBB226_12:
	s_mov_b32 s5, 0
.LBB226_13:
	s_wait_alu 0xfffe
	s_and_not1_b32 vcc_lo, exec_lo, s5
	s_wait_alu 0xfffe
	s_cbranch_vccnz .LBB226_19
; %bb.14:
	s_and_not1_b32 vcc_lo, exec_lo, s16
	s_wait_alu 0xfffe
	s_cbranch_vccnz .LBB226_19
; %bb.15:
	v_mad_co_i64_i32 v[1:2], null, s4, v0, 0
	s_lshl_b64 s[14:15], s[10:11], 2
	s_ashr_i32 s5, s4, 31
	s_wait_alu 0xfffe
	s_add_nc_u64 s[14:15], s[8:9], s[14:15]
	v_lshlrev_b64_e32 v[1:2], 2, v[1:2]
	s_wait_alu 0xfffe
	s_delay_alu instid0(VALU_DEP_1) | instskip(SKIP_1) | instid1(VALU_DEP_2)
	v_add_co_u32 v1, vcc_lo, s14, v1
	s_wait_alu 0xfffd
	v_add_co_ci_u32_e64 v2, null, s15, v2, vcc_lo
	s_lshl_b64 s[14:15], s[4:5], 10
	s_mov_b32 s5, 0
	s_branch .LBB226_17
.LBB226_16:                             ;   in Loop: Header=BB226_17 Depth=1
	s_wait_alu 0xfffe
	s_or_b32 exec_lo, exec_lo, s16
	v_add_co_u32 v1, vcc_lo, v1, s14
	s_wait_alu 0xfffd
	v_add_co_ci_u32_e64 v2, null, s15, v2, vcc_lo
	s_addk_co_i32 s5, 0x100
	s_wait_alu 0xfffe
	s_cmp_ge_i32 s5, s3
	s_cbranch_scc1 .LBB226_19
.LBB226_17:                             ; =>This Inner Loop Header: Depth=1
	s_wait_alu 0xfffe
	v_add_nc_u32_e32 v3, s5, v0
	s_mov_b32 s16, exec_lo
	s_delay_alu instid0(VALU_DEP_1)
	v_cmpx_gt_i32_e64 s3, v3
	s_cbranch_execz .LBB226_16
; %bb.18:                               ;   in Loop: Header=BB226_17 Depth=1
	flat_load_b32 v3, v[1:2]
	s_wait_loadcnt_dscnt 0x0
	v_mul_f32_e32 v3, s20, v3
	flat_store_b32 v[1:2], v3
	s_branch .LBB226_16
.LBB226_19:
	s_mov_b32 s5, 0
.LBB226_20:
	s_wait_alu 0xfffe
	s_and_not1_b32 vcc_lo, exec_lo, s5
	s_wait_alu 0xfffe
	s_cbranch_vccnz .LBB226_38
; %bb.21:
	s_mov_b32 s5, exec_lo
	s_wait_kmcnt 0x0
	v_cmpx_gt_i32_e64 s2, v0
	s_cbranch_execz .LBB226_23
; %bb.22:
	s_load_b32 s14, s[0:1], 0x48
	s_wait_kmcnt 0x0
	v_mad_co_i64_i32 v[1:2], null, s14, v0, 0
	s_delay_alu instid0(VALU_DEP_1) | instskip(NEXT) | instid1(VALU_DEP_1)
	v_lshlrev_b64_e32 v[1:2], 2, v[1:2]
	v_add_co_u32 v1, vcc_lo, s12, v1
	s_wait_alu 0xfffd
	s_delay_alu instid0(VALU_DEP_2)
	v_add_co_ci_u32_e64 v2, null, s13, v2, vcc_lo
	flat_load_b32 v1, v[1:2]
	s_wait_loadcnt_dscnt 0x0
	v_dual_mul_f32 v1, s21, v1 :: v_dual_lshlrev_b32 v2, 2, v0
	ds_store_b32 v2, v1
.LBB226_23:
	s_wait_alu 0xfffe
	s_or_b32 exec_lo, exec_lo, s5
	s_cmp_lt_i32 s3, 1
	s_wait_storecnt_dscnt 0x0
	s_barrier_signal -1
	s_barrier_wait -1
	global_inv scope:SCOPE_SE
	s_cbranch_scc1 .LBB226_38
; %bb.24:
	s_load_b32 s16, s[0:1], 0x28
	s_lshl_b64 s[0:1], s[10:11], 2
	s_ashr_i32 s5, s4, 31
	s_add_nc_u64 s[0:1], s[8:9], s[0:1]
	s_mov_b32 s15, 0
	s_wait_kmcnt 0x0
	v_mad_co_i64_i32 v[1:2], null, s16, v0, 0
	s_ashr_i32 s17, s16, 31
	s_cmp_neq_f32 s20, 0
	s_cselect_b32 s10, -1, 0
	v_lshlrev_b64_e32 v[1:2], 2, v[1:2]
	s_cmp_gt_i32 s2, 0
	s_cselect_b32 s11, -1, 0
	s_and_b32 s12, s2, 7
	s_cmp_gt_u32 s2, 7
	s_delay_alu instid0(VALU_DEP_1)
	v_add_co_u32 v7, vcc_lo, s6, v1
	s_wait_alu 0xfffd
	v_add_co_ci_u32_e64 v8, null, s7, v2, vcc_lo
	s_cselect_b32 s13, -1, 0
	v_add_co_u32 v1, vcc_lo, v7, 28
	s_and_b32 s2, s2, 0x7ffffff8
	s_wait_alu 0xfffd
	v_add_co_ci_u32_e64 v2, null, 0, v8, vcc_lo
	s_wait_alu 0xfffe
	s_cmp_lg_u32 s12, 0
	s_mov_b32 s7, 0
	s_cselect_b32 s14, -1, 0
	s_lshl_b64 s[8:9], s[16:17], 10
	s_branch .LBB226_27
.LBB226_25:                             ;   in Loop: Header=BB226_27 Depth=1
	v_add_co_u32 v3, vcc_lo, s0, v3
	s_wait_alu 0xfffd
	v_add_co_ci_u32_e64 v4, null, s1, v4, vcc_lo
	flat_store_b32 v[3:4], v9
.LBB226_26:                             ;   in Loop: Header=BB226_27 Depth=1
	s_wait_alu 0xfffe
	s_or_b32 exec_lo, exec_lo, s16
	v_add_co_u32 v1, vcc_lo, v1, s8
	s_wait_alu 0xfffd
	v_add_co_ci_u32_e64 v2, null, s9, v2, vcc_lo
	v_add_co_u32 v7, vcc_lo, v7, s8
	s_wait_alu 0xfffd
	v_add_co_ci_u32_e64 v8, null, s9, v8, vcc_lo
	s_addk_co_i32 s15, 0x100
	s_wait_alu 0xfffe
	s_cmp_ge_i32 s15, s3
	s_cbranch_scc1 .LBB226_38
.LBB226_27:                             ; =>This Loop Header: Depth=1
                                        ;     Child Loop BB226_33 Depth 2
                                        ;     Child Loop BB226_37 Depth 2
	v_add_nc_u32_e32 v3, s15, v0
	s_mov_b32 s16, exec_lo
	s_delay_alu instid0(VALU_DEP_1)
	v_cmpx_gt_i32_e64 s3, v3
	s_cbranch_execz .LBB226_26
; %bb.28:                               ;   in Loop: Header=BB226_27 Depth=1
	v_mad_co_u64_u32 v[4:5], null, v3, s4, 0
	s_and_not1_b32 vcc_lo, exec_lo, s10
	v_mad_co_u64_u32 v[5:6], null, v3, s5, v[5:6]
	s_delay_alu instid0(VALU_DEP_1)
	v_lshlrev_b64_e32 v[3:4], 2, v[4:5]
	s_wait_alu 0xfffe
	s_cbranch_vccnz .LBB226_30
; %bb.29:                               ;   in Loop: Header=BB226_27 Depth=1
	s_delay_alu instid0(VALU_DEP_1) | instskip(SKIP_1) | instid1(VALU_DEP_2)
	v_add_co_u32 v5, vcc_lo, s0, v3
	s_wait_alu 0xfffd
	v_add_co_ci_u32_e64 v6, null, s1, v4, vcc_lo
	flat_load_b32 v5, v[5:6]
	s_wait_loadcnt_dscnt 0x0
	v_mul_f32_e32 v9, s20, v5
	s_and_not1_b32 vcc_lo, exec_lo, s11
	s_wait_alu 0xfffe
	s_cbranch_vccz .LBB226_31
	s_branch .LBB226_25
.LBB226_30:                             ;   in Loop: Header=BB226_27 Depth=1
	v_mov_b32_e32 v9, 0
	s_and_not1_b32 vcc_lo, exec_lo, s11
	s_wait_alu 0xfffe
	s_cbranch_vccnz .LBB226_25
.LBB226_31:                             ;   in Loop: Header=BB226_27 Depth=1
	s_and_not1_b32 vcc_lo, exec_lo, s13
	s_mov_b32 s6, 0
	s_wait_alu 0xfffe
	s_cbranch_vccnz .LBB226_35
; %bb.32:                               ;   in Loop: Header=BB226_27 Depth=1
	v_dual_mov_b32 v6, v2 :: v_dual_mov_b32 v5, v1
	s_mov_b32 s17, 0
.LBB226_33:                             ;   Parent Loop BB226_27 Depth=1
                                        ; =>  This Inner Loop Header: Depth=2
	s_clause 0x1
	flat_load_b128 v[10:13], v[5:6] offset:-28
	flat_load_b128 v[14:17], v[5:6] offset:-12
	v_mov_b32_e32 v22, s6
	v_add_co_u32 v5, vcc_lo, v5, 32
	s_wait_alu 0xfffd
	v_add_co_ci_u32_e64 v6, null, 0, v6, vcc_lo
	ds_load_b128 v[18:21], v22
	ds_load_b128 v[22:25], v22 offset:16
	s_wait_alu 0xfffe
	s_add_co_i32 s17, s17, 8
	s_add_co_i32 s6, s6, 32
	s_wait_alu 0xfffe
	s_cmp_eq_u32 s2, s17
	s_wait_loadcnt_dscnt 0x101
	v_fmac_f32_e32 v9, v18, v10
	s_delay_alu instid0(VALU_DEP_1) | instskip(NEXT) | instid1(VALU_DEP_1)
	v_fmac_f32_e32 v9, v19, v11
	v_fmac_f32_e32 v9, v20, v12
	s_delay_alu instid0(VALU_DEP_1) | instskip(SKIP_1) | instid1(VALU_DEP_1)
	v_fmac_f32_e32 v9, v21, v13
	s_wait_loadcnt_dscnt 0x0
	v_fmac_f32_e32 v9, v22, v14
	s_delay_alu instid0(VALU_DEP_1) | instskip(NEXT) | instid1(VALU_DEP_1)
	v_fmac_f32_e32 v9, v23, v15
	v_fmac_f32_e32 v9, v24, v16
	s_delay_alu instid0(VALU_DEP_1)
	v_fmac_f32_e32 v9, v25, v17
	s_cbranch_scc0 .LBB226_33
; %bb.34:                               ;   in Loop: Header=BB226_27 Depth=1
	s_mov_b32 s6, s2
.LBB226_35:                             ;   in Loop: Header=BB226_27 Depth=1
	s_and_not1_b32 vcc_lo, exec_lo, s14
	s_wait_alu 0xfffe
	s_cbranch_vccnz .LBB226_25
; %bb.36:                               ;   in Loop: Header=BB226_27 Depth=1
	s_lshl_b64 s[18:19], s[6:7], 2
	s_lshl_b32 s6, s6, 2
	s_wait_alu 0xfffe
	v_add_co_u32 v5, vcc_lo, v7, s18
	s_wait_alu 0xfffd
	v_add_co_ci_u32_e64 v6, null, s19, v8, vcc_lo
	s_mov_b32 s17, s12
.LBB226_37:                             ;   Parent Loop BB226_27 Depth=1
                                        ; =>  This Inner Loop Header: Depth=2
	flat_load_b32 v10, v[5:6]
	s_wait_alu 0xfffe
	v_mov_b32_e32 v11, s6
	v_add_co_u32 v5, vcc_lo, v5, 4
	s_wait_alu 0xfffd
	v_add_co_ci_u32_e64 v6, null, 0, v6, vcc_lo
	ds_load_b32 v11, v11
	s_add_co_i32 s17, s17, -1
	s_add_co_i32 s6, s6, 4
	s_wait_alu 0xfffe
	s_cmp_lg_u32 s17, 0
	s_wait_loadcnt_dscnt 0x0
	v_fmac_f32_e32 v9, v11, v10
	s_cbranch_scc1 .LBB226_37
	s_branch .LBB226_25
.LBB226_38:
	s_endpgm
	.section	.rodata,"a",@progbits
	.p2align	6, 0x0
	.amdhsa_kernel _ZL22rocblas_gemvtsm_kernelILb1ELi256EPKfS1_KPfEviiT2_lPKT1_lilS7_lilS4_lPT3_lil
		.amdhsa_group_segment_fixed_size 256
		.amdhsa_private_segment_fixed_size 0
		.amdhsa_kernarg_size 136
		.amdhsa_user_sgpr_count 2
		.amdhsa_user_sgpr_dispatch_ptr 0
		.amdhsa_user_sgpr_queue_ptr 0
		.amdhsa_user_sgpr_kernarg_segment_ptr 1
		.amdhsa_user_sgpr_dispatch_id 0
		.amdhsa_user_sgpr_private_segment_size 0
		.amdhsa_wavefront_size32 1
		.amdhsa_uses_dynamic_stack 0
		.amdhsa_enable_private_segment 0
		.amdhsa_system_sgpr_workgroup_id_x 1
		.amdhsa_system_sgpr_workgroup_id_y 0
		.amdhsa_system_sgpr_workgroup_id_z 0
		.amdhsa_system_sgpr_workgroup_info 0
		.amdhsa_system_vgpr_workitem_id 0
		.amdhsa_next_free_vgpr 26
		.amdhsa_next_free_sgpr 22
		.amdhsa_reserve_vcc 1
		.amdhsa_float_round_mode_32 0
		.amdhsa_float_round_mode_16_64 0
		.amdhsa_float_denorm_mode_32 3
		.amdhsa_float_denorm_mode_16_64 3
		.amdhsa_fp16_overflow 0
		.amdhsa_workgroup_processor_mode 1
		.amdhsa_memory_ordered 1
		.amdhsa_forward_progress 1
		.amdhsa_inst_pref_size 12
		.amdhsa_round_robin_scheduling 0
		.amdhsa_exception_fp_ieee_invalid_op 0
		.amdhsa_exception_fp_denorm_src 0
		.amdhsa_exception_fp_ieee_div_zero 0
		.amdhsa_exception_fp_ieee_overflow 0
		.amdhsa_exception_fp_ieee_underflow 0
		.amdhsa_exception_fp_ieee_inexact 0
		.amdhsa_exception_int_div_zero 0
	.end_amdhsa_kernel
	.section	.text._ZL22rocblas_gemvtsm_kernelILb1ELi256EPKfS1_KPfEviiT2_lPKT1_lilS7_lilS4_lPT3_lil,"axG",@progbits,_ZL22rocblas_gemvtsm_kernelILb1ELi256EPKfS1_KPfEviiT2_lPKT1_lilS7_lilS4_lPT3_lil,comdat
.Lfunc_end226:
	.size	_ZL22rocblas_gemvtsm_kernelILb1ELi256EPKfS1_KPfEviiT2_lPKT1_lilS7_lilS4_lPT3_lil, .Lfunc_end226-_ZL22rocblas_gemvtsm_kernelILb1ELi256EPKfS1_KPfEviiT2_lPKT1_lilS7_lilS4_lPT3_lil
                                        ; -- End function
	.set _ZL22rocblas_gemvtsm_kernelILb1ELi256EPKfS1_KPfEviiT2_lPKT1_lilS7_lilS4_lPT3_lil.num_vgpr, 26
	.set _ZL22rocblas_gemvtsm_kernelILb1ELi256EPKfS1_KPfEviiT2_lPKT1_lilS7_lilS4_lPT3_lil.num_agpr, 0
	.set _ZL22rocblas_gemvtsm_kernelILb1ELi256EPKfS1_KPfEviiT2_lPKT1_lilS7_lilS4_lPT3_lil.numbered_sgpr, 22
	.set _ZL22rocblas_gemvtsm_kernelILb1ELi256EPKfS1_KPfEviiT2_lPKT1_lilS7_lilS4_lPT3_lil.num_named_barrier, 0
	.set _ZL22rocblas_gemvtsm_kernelILb1ELi256EPKfS1_KPfEviiT2_lPKT1_lilS7_lilS4_lPT3_lil.private_seg_size, 0
	.set _ZL22rocblas_gemvtsm_kernelILb1ELi256EPKfS1_KPfEviiT2_lPKT1_lilS7_lilS4_lPT3_lil.uses_vcc, 1
	.set _ZL22rocblas_gemvtsm_kernelILb1ELi256EPKfS1_KPfEviiT2_lPKT1_lilS7_lilS4_lPT3_lil.uses_flat_scratch, 1
	.set _ZL22rocblas_gemvtsm_kernelILb1ELi256EPKfS1_KPfEviiT2_lPKT1_lilS7_lilS4_lPT3_lil.has_dyn_sized_stack, 0
	.set _ZL22rocblas_gemvtsm_kernelILb1ELi256EPKfS1_KPfEviiT2_lPKT1_lilS7_lilS4_lPT3_lil.has_recursion, 0
	.set _ZL22rocblas_gemvtsm_kernelILb1ELi256EPKfS1_KPfEviiT2_lPKT1_lilS7_lilS4_lPT3_lil.has_indirect_call, 0
	.section	.AMDGPU.csdata,"",@progbits
; Kernel info:
; codeLenInByte = 1528
; TotalNumSgprs: 24
; NumVgprs: 26
; ScratchSize: 0
; MemoryBound: 0
; FloatMode: 240
; IeeeMode: 1
; LDSByteSize: 256 bytes/workgroup (compile time only)
; SGPRBlocks: 0
; VGPRBlocks: 3
; NumSGPRsForWavesPerEU: 24
; NumVGPRsForWavesPerEU: 26
; Occupancy: 16
; WaveLimiterHint : 1
; COMPUTE_PGM_RSRC2:SCRATCH_EN: 0
; COMPUTE_PGM_RSRC2:USER_SGPR: 2
; COMPUTE_PGM_RSRC2:TRAP_HANDLER: 0
; COMPUTE_PGM_RSRC2:TGID_X_EN: 1
; COMPUTE_PGM_RSRC2:TGID_Y_EN: 0
; COMPUTE_PGM_RSRC2:TGID_Z_EN: 0
; COMPUTE_PGM_RSRC2:TIDIG_COMP_CNT: 0
	.section	.text._ZL22rocblas_gemvtsm_kernelILb1ELi256EPKffKPfEviiT2_lPKT1_lilS7_lilS4_lPT3_lil,"axG",@progbits,_ZL22rocblas_gemvtsm_kernelILb1ELi256EPKffKPfEviiT2_lPKT1_lilS7_lilS4_lPT3_lil,comdat
	.globl	_ZL22rocblas_gemvtsm_kernelILb1ELi256EPKffKPfEviiT2_lPKT1_lilS7_lilS4_lPT3_lil ; -- Begin function _ZL22rocblas_gemvtsm_kernelILb1ELi256EPKffKPfEviiT2_lPKT1_lilS7_lilS4_lPT3_lil
	.p2align	8
	.type	_ZL22rocblas_gemvtsm_kernelILb1ELi256EPKffKPfEviiT2_lPKT1_lilS7_lilS4_lPT3_lil,@function
_ZL22rocblas_gemvtsm_kernelILb1ELi256EPKffKPfEviiT2_lPKT1_lilS7_lilS4_lPT3_lil: ; @_ZL22rocblas_gemvtsm_kernelILb1ELi256EPKffKPfEviiT2_lPKT1_lilS7_lilS4_lPT3_lil
; %bb.0:
	s_clause 0x1
	s_load_b96 s[8:10], s[0:1], 0x0
	s_load_b32 s11, s[0:1], 0x58
	s_mov_b32 s5, 0
	s_wait_kmcnt 0x0
	s_cmp_eq_f32 s10, 0
	s_cselect_b32 s2, -1, 0
	s_cmp_eq_f32 s11, 1.0
	s_cselect_b32 s3, -1, 0
	s_delay_alu instid0(SALU_CYCLE_1) | instskip(NEXT) | instid1(SALU_CYCLE_1)
	s_and_b32 s2, s2, s3
	s_and_b32 vcc_lo, exec_lo, s2
	s_cbranch_vccnz .LBB227_40
; %bb.1:
	s_cmp_neq_f32 s10, 0
	s_mov_b32 s4, ttmp9
	s_cselect_b32 s6, -1, 0
	s_cmp_eq_f32 s10, 0
	s_cselect_b32 s16, -1, 0
	s_and_b32 vcc_lo, exec_lo, s6
	s_cbranch_vccnz .LBB227_3
; %bb.2:
	s_mov_b32 s3, 0
	s_mov_b32 s2, ttmp9
	s_mov_b32 s7, s3
	s_mov_b64 s[14:15], 0
	s_and_not1_b32 vcc_lo, exec_lo, s7
	s_mov_b64 s[12:13], 0
	s_cbranch_vccz .LBB227_4
	s_branch .LBB227_5
.LBB227_3:
	s_mov_b64 s[2:3], s[4:5]
	s_mov_b64 s[14:15], 0
	;; [unrolled: 1-line block ×3, first 2 shown]
.LBB227_4:
	s_load_b128 s[20:23], s[0:1], 0x18
	s_lshl_b64 s[4:5], s[4:5], 3
	s_wait_kmcnt 0x0
	s_add_nc_u64 s[4:5], s[20:21], s[4:5]
	s_lshl_b64 s[12:13], s[22:23], 2
	s_load_b64 s[4:5], s[4:5], 0x0
	s_wait_kmcnt 0x0
	s_add_nc_u64 s[12:13], s[4:5], s[12:13]
.LBB227_5:
	s_and_not1_b32 vcc_lo, exec_lo, s6
	s_cbranch_vccnz .LBB227_7
; %bb.6:
	s_load_b128 s[4:7], s[0:1], 0x38
	s_lshl_b64 s[14:15], s[2:3], 3
	s_wait_kmcnt 0x0
	s_add_nc_u64 s[4:5], s[4:5], s[14:15]
	s_lshl_b64 s[6:7], s[6:7], 2
	s_load_b64 s[4:5], s[4:5], 0x0
	s_wait_kmcnt 0x0
	s_add_nc_u64 s[14:15], s[4:5], s[6:7]
.LBB227_7:
	s_load_b128 s[4:7], s[0:1], 0x68
	s_lshl_b64 s[18:19], s[2:3], 3
	s_load_b32 s2, s[0:1], 0x78
	s_and_not1_b32 vcc_lo, exec_lo, s16
	s_mov_b32 s3, -1
	s_wait_kmcnt 0x0
	s_add_nc_u64 s[4:5], s[4:5], s[18:19]
	s_load_b64 s[4:5], s[4:5], 0x0
	s_cbranch_vccnz .LBB227_22
; %bb.8:
	s_cmp_gt_i32 s9, 0
	s_cselect_b32 s18, -1, 0
	s_cmp_neq_f32 s11, 0
	v_cndmask_b32_e64 v1, 0, 1, s18
	s_delay_alu instid0(VALU_DEP_1)
	v_cmp_ne_u32_e32 vcc_lo, 1, v1
	s_cbranch_scc1 .LBB227_15
; %bb.9:
	s_and_b32 vcc_lo, exec_lo, vcc_lo
	s_cbranch_vccnz .LBB227_14
; %bb.10:
	v_mad_co_i64_i32 v[1:2], null, s2, v0, 0
	s_lshl_b64 s[16:17], s[6:7], 2
	v_mov_b32_e32 v3, 0
	s_wait_kmcnt 0x0
	s_add_nc_u64 s[16:17], s[4:5], s[16:17]
	s_ashr_i32 s3, s2, 31
	v_lshlrev_b64_e32 v[1:2], 2, v[1:2]
	s_delay_alu instid0(VALU_DEP_1) | instskip(NEXT) | instid1(VALU_DEP_1)
	v_add_co_u32 v1, vcc_lo, s16, v1
	v_add_co_ci_u32_e64 v2, null, s17, v2, vcc_lo
	s_wait_alu 0xfffe
	s_lshl_b64 s[16:17], s[2:3], 10
	s_mov_b32 s3, 0
	s_branch .LBB227_12
.LBB227_11:                             ;   in Loop: Header=BB227_12 Depth=1
	s_wait_alu 0xfffe
	s_or_b32 exec_lo, exec_lo, s19
	v_add_co_u32 v1, vcc_lo, v1, s16
	s_wait_alu 0xfffd
	v_add_co_ci_u32_e64 v2, null, s17, v2, vcc_lo
	s_addk_co_i32 s3, 0x100
	s_wait_alu 0xfffe
	s_cmp_ge_i32 s3, s9
	s_cbranch_scc1 .LBB227_14
.LBB227_12:                             ; =>This Inner Loop Header: Depth=1
	s_wait_alu 0xfffe
	v_add_nc_u32_e32 v4, s3, v0
	s_mov_b32 s19, exec_lo
	s_delay_alu instid0(VALU_DEP_1)
	v_cmpx_gt_i32_e64 s9, v4
	s_cbranch_execz .LBB227_11
; %bb.13:                               ;   in Loop: Header=BB227_12 Depth=1
	flat_store_b32 v[1:2], v3
	s_branch .LBB227_11
.LBB227_14:
	s_mov_b32 s3, 0
.LBB227_15:
	s_wait_alu 0xfffe
	s_and_not1_b32 vcc_lo, exec_lo, s3
	s_wait_alu 0xfffe
	s_cbranch_vccnz .LBB227_21
; %bb.16:
	s_and_not1_b32 vcc_lo, exec_lo, s18
	s_wait_alu 0xfffe
	s_cbranch_vccnz .LBB227_21
; %bb.17:
	v_mad_co_i64_i32 v[1:2], null, s2, v0, 0
	s_lshl_b64 s[16:17], s[6:7], 2
	s_ashr_i32 s3, s2, 31
	s_wait_kmcnt 0x0
	s_wait_alu 0xfffe
	s_add_nc_u64 s[16:17], s[4:5], s[16:17]
	v_lshlrev_b64_e32 v[1:2], 2, v[1:2]
	s_wait_alu 0xfffe
	s_delay_alu instid0(VALU_DEP_1) | instskip(SKIP_1) | instid1(VALU_DEP_2)
	v_add_co_u32 v1, vcc_lo, s16, v1
	s_wait_alu 0xfffd
	v_add_co_ci_u32_e64 v2, null, s17, v2, vcc_lo
	s_lshl_b64 s[16:17], s[2:3], 10
	s_mov_b32 s3, 0
	s_branch .LBB227_19
.LBB227_18:                             ;   in Loop: Header=BB227_19 Depth=1
	s_wait_alu 0xfffe
	s_or_b32 exec_lo, exec_lo, s18
	v_add_co_u32 v1, vcc_lo, v1, s16
	s_wait_alu 0xfffd
	v_add_co_ci_u32_e64 v2, null, s17, v2, vcc_lo
	s_addk_co_i32 s3, 0x100
	s_wait_alu 0xfffe
	s_cmp_ge_i32 s3, s9
	s_cbranch_scc1 .LBB227_21
.LBB227_19:                             ; =>This Inner Loop Header: Depth=1
	s_wait_alu 0xfffe
	v_add_nc_u32_e32 v3, s3, v0
	s_mov_b32 s18, exec_lo
	s_delay_alu instid0(VALU_DEP_1)
	v_cmpx_gt_i32_e64 s9, v3
	s_cbranch_execz .LBB227_18
; %bb.20:                               ;   in Loop: Header=BB227_19 Depth=1
	flat_load_b32 v3, v[1:2]
	s_wait_loadcnt_dscnt 0x0
	v_mul_f32_e32 v3, s11, v3
	flat_store_b32 v[1:2], v3
	s_branch .LBB227_18
.LBB227_21:
	s_mov_b32 s3, 0
.LBB227_22:
	s_wait_alu 0xfffe
	s_and_not1_b32 vcc_lo, exec_lo, s3
	s_wait_alu 0xfffe
	s_cbranch_vccnz .LBB227_40
; %bb.23:
	s_mov_b32 s3, exec_lo
	v_cmpx_gt_i32_e64 s8, v0
	s_cbranch_execz .LBB227_25
; %bb.24:
	s_load_b32 s16, s[0:1], 0x48
	s_wait_kmcnt 0x0
	v_mad_co_i64_i32 v[1:2], null, s16, v0, 0
	s_delay_alu instid0(VALU_DEP_1) | instskip(NEXT) | instid1(VALU_DEP_1)
	v_lshlrev_b64_e32 v[1:2], 2, v[1:2]
	v_add_co_u32 v1, vcc_lo, s14, v1
	s_wait_alu 0xfffd
	s_delay_alu instid0(VALU_DEP_2)
	v_add_co_ci_u32_e64 v2, null, s15, v2, vcc_lo
	flat_load_b32 v1, v[1:2]
	s_wait_loadcnt_dscnt 0x0
	v_dual_mul_f32 v1, s10, v1 :: v_dual_lshlrev_b32 v2, 2, v0
	ds_store_b32 v2, v1
.LBB227_25:
	s_wait_alu 0xfffe
	s_or_b32 exec_lo, exec_lo, s3
	s_cmp_lt_i32 s9, 1
	s_wait_storecnt_dscnt 0x0
	s_barrier_signal -1
	s_barrier_wait -1
	global_inv scope:SCOPE_SE
	s_cbranch_scc1 .LBB227_40
; %bb.26:
	s_load_b32 s18, s[0:1], 0x28
	s_lshl_b64 s[0:1], s[6:7], 2
	s_ashr_i32 s3, s2, 31
	s_wait_kmcnt 0x0
	s_add_nc_u64 s[0:1], s[4:5], s[0:1]
	s_mov_b32 s5, 0
	v_mad_co_i64_i32 v[1:2], null, s18, v0, 0
	s_ashr_i32 s19, s18, 31
	s_cmp_neq_f32 s11, 0
	s_cselect_b32 s10, -1, 0
	v_lshlrev_b64_e32 v[1:2], 2, v[1:2]
	s_cmp_gt_i32 s8, 0
	s_cselect_b32 s14, -1, 0
	s_and_b32 s15, s8, 7
	s_cmp_gt_u32 s8, 7
	s_delay_alu instid0(VALU_DEP_1)
	v_add_co_u32 v7, vcc_lo, s12, v1
	s_wait_alu 0xfffd
	v_add_co_ci_u32_e64 v8, null, s13, v2, vcc_lo
	s_cselect_b32 s16, -1, 0
	v_add_co_u32 v1, vcc_lo, v7, 28
	s_and_b32 s8, s8, 0x7ffffff8
	s_wait_alu 0xfffd
	v_add_co_ci_u32_e64 v2, null, 0, v8, vcc_lo
	s_wait_alu 0xfffe
	s_cmp_lg_u32 s15, 0
	s_mov_b32 s13, 0
	s_cselect_b32 s12, -1, 0
	s_lshl_b64 s[6:7], s[18:19], 10
	s_branch .LBB227_29
.LBB227_27:                             ;   in Loop: Header=BB227_29 Depth=1
	v_add_co_u32 v3, vcc_lo, s0, v3
	s_wait_alu 0xfffd
	v_add_co_ci_u32_e64 v4, null, s1, v4, vcc_lo
	flat_store_b32 v[3:4], v9
.LBB227_28:                             ;   in Loop: Header=BB227_29 Depth=1
	s_wait_alu 0xfffe
	s_or_b32 exec_lo, exec_lo, s17
	v_add_co_u32 v1, vcc_lo, v1, s6
	s_wait_alu 0xfffd
	v_add_co_ci_u32_e64 v2, null, s7, v2, vcc_lo
	v_add_co_u32 v7, vcc_lo, v7, s6
	s_wait_alu 0xfffd
	v_add_co_ci_u32_e64 v8, null, s7, v8, vcc_lo
	s_addk_co_i32 s13, 0x100
	s_wait_alu 0xfffe
	s_cmp_ge_i32 s13, s9
	s_cbranch_scc1 .LBB227_40
.LBB227_29:                             ; =>This Loop Header: Depth=1
                                        ;     Child Loop BB227_35 Depth 2
                                        ;     Child Loop BB227_39 Depth 2
	s_wait_alu 0xfffe
	v_add_nc_u32_e32 v3, s13, v0
	s_mov_b32 s17, exec_lo
	s_delay_alu instid0(VALU_DEP_1)
	v_cmpx_gt_i32_e64 s9, v3
	s_cbranch_execz .LBB227_28
; %bb.30:                               ;   in Loop: Header=BB227_29 Depth=1
	v_mad_co_u64_u32 v[4:5], null, v3, s2, 0
	s_and_not1_b32 vcc_lo, exec_lo, s10
	v_mad_co_u64_u32 v[5:6], null, v3, s3, v[5:6]
	s_delay_alu instid0(VALU_DEP_1)
	v_lshlrev_b64_e32 v[3:4], 2, v[4:5]
	s_wait_alu 0xfffe
	s_cbranch_vccnz .LBB227_32
; %bb.31:                               ;   in Loop: Header=BB227_29 Depth=1
	s_delay_alu instid0(VALU_DEP_1) | instskip(SKIP_1) | instid1(VALU_DEP_2)
	v_add_co_u32 v5, vcc_lo, s0, v3
	s_wait_alu 0xfffd
	v_add_co_ci_u32_e64 v6, null, s1, v4, vcc_lo
	flat_load_b32 v5, v[5:6]
	s_wait_loadcnt_dscnt 0x0
	v_mul_f32_e32 v9, s11, v5
	s_and_not1_b32 vcc_lo, exec_lo, s14
	s_wait_alu 0xfffe
	s_cbranch_vccz .LBB227_33
	s_branch .LBB227_27
.LBB227_32:                             ;   in Loop: Header=BB227_29 Depth=1
	v_mov_b32_e32 v9, 0
	s_and_not1_b32 vcc_lo, exec_lo, s14
	s_wait_alu 0xfffe
	s_cbranch_vccnz .LBB227_27
.LBB227_33:                             ;   in Loop: Header=BB227_29 Depth=1
	s_and_not1_b32 vcc_lo, exec_lo, s16
	s_mov_b32 s4, 0
	s_wait_alu 0xfffe
	s_cbranch_vccnz .LBB227_37
; %bb.34:                               ;   in Loop: Header=BB227_29 Depth=1
	v_dual_mov_b32 v6, v2 :: v_dual_mov_b32 v5, v1
	s_mov_b32 s18, 0
.LBB227_35:                             ;   Parent Loop BB227_29 Depth=1
                                        ; =>  This Inner Loop Header: Depth=2
	s_clause 0x1
	flat_load_b128 v[10:13], v[5:6] offset:-28
	flat_load_b128 v[14:17], v[5:6] offset:-12
	v_mov_b32_e32 v22, s4
	v_add_co_u32 v5, vcc_lo, v5, 32
	s_wait_alu 0xfffd
	v_add_co_ci_u32_e64 v6, null, 0, v6, vcc_lo
	ds_load_b128 v[18:21], v22
	ds_load_b128 v[22:25], v22 offset:16
	s_wait_alu 0xfffe
	s_add_co_i32 s18, s18, 8
	s_add_co_i32 s4, s4, 32
	s_wait_alu 0xfffe
	s_cmp_eq_u32 s8, s18
	s_wait_loadcnt_dscnt 0x101
	v_fmac_f32_e32 v9, v18, v10
	s_delay_alu instid0(VALU_DEP_1) | instskip(NEXT) | instid1(VALU_DEP_1)
	v_fmac_f32_e32 v9, v19, v11
	v_fmac_f32_e32 v9, v20, v12
	s_delay_alu instid0(VALU_DEP_1) | instskip(SKIP_1) | instid1(VALU_DEP_1)
	v_fmac_f32_e32 v9, v21, v13
	s_wait_loadcnt_dscnt 0x0
	v_fmac_f32_e32 v9, v22, v14
	s_delay_alu instid0(VALU_DEP_1) | instskip(NEXT) | instid1(VALU_DEP_1)
	v_fmac_f32_e32 v9, v23, v15
	v_fmac_f32_e32 v9, v24, v16
	s_delay_alu instid0(VALU_DEP_1)
	v_fmac_f32_e32 v9, v25, v17
	s_cbranch_scc0 .LBB227_35
; %bb.36:                               ;   in Loop: Header=BB227_29 Depth=1
	s_mov_b32 s4, s8
.LBB227_37:                             ;   in Loop: Header=BB227_29 Depth=1
	s_and_not1_b32 vcc_lo, exec_lo, s12
	s_wait_alu 0xfffe
	s_cbranch_vccnz .LBB227_27
; %bb.38:                               ;   in Loop: Header=BB227_29 Depth=1
	s_lshl_b64 s[18:19], s[4:5], 2
	s_lshl_b32 s4, s4, 2
	s_wait_alu 0xfffe
	v_add_co_u32 v5, vcc_lo, v7, s18
	s_wait_alu 0xfffd
	v_add_co_ci_u32_e64 v6, null, s19, v8, vcc_lo
	s_mov_b32 s18, s15
.LBB227_39:                             ;   Parent Loop BB227_29 Depth=1
                                        ; =>  This Inner Loop Header: Depth=2
	flat_load_b32 v10, v[5:6]
	v_mov_b32_e32 v11, s4
	v_add_co_u32 v5, vcc_lo, v5, 4
	s_wait_alu 0xfffd
	v_add_co_ci_u32_e64 v6, null, 0, v6, vcc_lo
	ds_load_b32 v11, v11
	s_wait_alu 0xfffe
	s_add_co_i32 s18, s18, -1
	s_add_co_i32 s4, s4, 4
	s_wait_alu 0xfffe
	s_cmp_lg_u32 s18, 0
	s_wait_loadcnt_dscnt 0x0
	v_fmac_f32_e32 v9, v11, v10
	s_cbranch_scc1 .LBB227_39
	s_branch .LBB227_27
.LBB227_40:
	s_endpgm
	.section	.rodata,"a",@progbits
	.p2align	6, 0x0
	.amdhsa_kernel _ZL22rocblas_gemvtsm_kernelILb1ELi256EPKffKPfEviiT2_lPKT1_lilS7_lilS4_lPT3_lil
		.amdhsa_group_segment_fixed_size 256
		.amdhsa_private_segment_fixed_size 0
		.amdhsa_kernarg_size 136
		.amdhsa_user_sgpr_count 2
		.amdhsa_user_sgpr_dispatch_ptr 0
		.amdhsa_user_sgpr_queue_ptr 0
		.amdhsa_user_sgpr_kernarg_segment_ptr 1
		.amdhsa_user_sgpr_dispatch_id 0
		.amdhsa_user_sgpr_private_segment_size 0
		.amdhsa_wavefront_size32 1
		.amdhsa_uses_dynamic_stack 0
		.amdhsa_enable_private_segment 0
		.amdhsa_system_sgpr_workgroup_id_x 1
		.amdhsa_system_sgpr_workgroup_id_y 0
		.amdhsa_system_sgpr_workgroup_id_z 0
		.amdhsa_system_sgpr_workgroup_info 0
		.amdhsa_system_vgpr_workitem_id 0
		.amdhsa_next_free_vgpr 26
		.amdhsa_next_free_sgpr 24
		.amdhsa_reserve_vcc 1
		.amdhsa_float_round_mode_32 0
		.amdhsa_float_round_mode_16_64 0
		.amdhsa_float_denorm_mode_32 3
		.amdhsa_float_denorm_mode_16_64 3
		.amdhsa_fp16_overflow 0
		.amdhsa_workgroup_processor_mode 1
		.amdhsa_memory_ordered 1
		.amdhsa_forward_progress 1
		.amdhsa_inst_pref_size 12
		.amdhsa_round_robin_scheduling 0
		.amdhsa_exception_fp_ieee_invalid_op 0
		.amdhsa_exception_fp_denorm_src 0
		.amdhsa_exception_fp_ieee_div_zero 0
		.amdhsa_exception_fp_ieee_overflow 0
		.amdhsa_exception_fp_ieee_underflow 0
		.amdhsa_exception_fp_ieee_inexact 0
		.amdhsa_exception_int_div_zero 0
	.end_amdhsa_kernel
	.section	.text._ZL22rocblas_gemvtsm_kernelILb1ELi256EPKffKPfEviiT2_lPKT1_lilS7_lilS4_lPT3_lil,"axG",@progbits,_ZL22rocblas_gemvtsm_kernelILb1ELi256EPKffKPfEviiT2_lPKT1_lilS7_lilS4_lPT3_lil,comdat
.Lfunc_end227:
	.size	_ZL22rocblas_gemvtsm_kernelILb1ELi256EPKffKPfEviiT2_lPKT1_lilS7_lilS4_lPT3_lil, .Lfunc_end227-_ZL22rocblas_gemvtsm_kernelILb1ELi256EPKffKPfEviiT2_lPKT1_lilS7_lilS4_lPT3_lil
                                        ; -- End function
	.set _ZL22rocblas_gemvtsm_kernelILb1ELi256EPKffKPfEviiT2_lPKT1_lilS7_lilS4_lPT3_lil.num_vgpr, 26
	.set _ZL22rocblas_gemvtsm_kernelILb1ELi256EPKffKPfEviiT2_lPKT1_lilS7_lilS4_lPT3_lil.num_agpr, 0
	.set _ZL22rocblas_gemvtsm_kernelILb1ELi256EPKffKPfEviiT2_lPKT1_lilS7_lilS4_lPT3_lil.numbered_sgpr, 24
	.set _ZL22rocblas_gemvtsm_kernelILb1ELi256EPKffKPfEviiT2_lPKT1_lilS7_lilS4_lPT3_lil.num_named_barrier, 0
	.set _ZL22rocblas_gemvtsm_kernelILb1ELi256EPKffKPfEviiT2_lPKT1_lilS7_lilS4_lPT3_lil.private_seg_size, 0
	.set _ZL22rocblas_gemvtsm_kernelILb1ELi256EPKffKPfEviiT2_lPKT1_lilS7_lilS4_lPT3_lil.uses_vcc, 1
	.set _ZL22rocblas_gemvtsm_kernelILb1ELi256EPKffKPfEviiT2_lPKT1_lilS7_lilS4_lPT3_lil.uses_flat_scratch, 1
	.set _ZL22rocblas_gemvtsm_kernelILb1ELi256EPKffKPfEviiT2_lPKT1_lilS7_lilS4_lPT3_lil.has_dyn_sized_stack, 0
	.set _ZL22rocblas_gemvtsm_kernelILb1ELi256EPKffKPfEviiT2_lPKT1_lilS7_lilS4_lPT3_lil.has_recursion, 0
	.set _ZL22rocblas_gemvtsm_kernelILb1ELi256EPKffKPfEviiT2_lPKT1_lilS7_lilS4_lPT3_lil.has_indirect_call, 0
	.section	.AMDGPU.csdata,"",@progbits
; Kernel info:
; codeLenInByte = 1532
; TotalNumSgprs: 26
; NumVgprs: 26
; ScratchSize: 0
; MemoryBound: 0
; FloatMode: 240
; IeeeMode: 1
; LDSByteSize: 256 bytes/workgroup (compile time only)
; SGPRBlocks: 0
; VGPRBlocks: 3
; NumSGPRsForWavesPerEU: 26
; NumVGPRsForWavesPerEU: 26
; Occupancy: 16
; WaveLimiterHint : 1
; COMPUTE_PGM_RSRC2:SCRATCH_EN: 0
; COMPUTE_PGM_RSRC2:USER_SGPR: 2
; COMPUTE_PGM_RSRC2:TRAP_HANDLER: 0
; COMPUTE_PGM_RSRC2:TGID_X_EN: 1
; COMPUTE_PGM_RSRC2:TGID_Y_EN: 0
; COMPUTE_PGM_RSRC2:TGID_Z_EN: 0
; COMPUTE_PGM_RSRC2:TIDIG_COMP_CNT: 0
	.section	.text._ZL23rocblas_gemvt_sn_kernelILb1ELi256ELi4EiPKfS1_fEviiT4_lPKT3_lilS5_lilPT5_i,"axG",@progbits,_ZL23rocblas_gemvt_sn_kernelILb1ELi256ELi4EiPKfS1_fEviiT4_lPKT3_lilS5_lilPT5_i,comdat
	.globl	_ZL23rocblas_gemvt_sn_kernelILb1ELi256ELi4EiPKfS1_fEviiT4_lPKT3_lilS5_lilPT5_i ; -- Begin function _ZL23rocblas_gemvt_sn_kernelILb1ELi256ELi4EiPKfS1_fEviiT4_lPKT3_lilS5_lilPT5_i
	.p2align	8
	.type	_ZL23rocblas_gemvt_sn_kernelILb1ELi256ELi4EiPKfS1_fEviiT4_lPKT3_lilS5_lilPT5_i,@function
_ZL23rocblas_gemvt_sn_kernelILb1ELi256ELi4EiPKfS1_fEviiT4_lPKT3_lilS5_lilPT5_i: ; @_ZL23rocblas_gemvt_sn_kernelILb1ELi256ELi4EiPKfS1_fEviiT4_lPKT3_lilS5_lilPT5_i
; %bb.0:
	s_load_b32 s33, s[0:1], 0x60
	s_lshr_b32 s10, ttmp7, 16
	s_wait_kmcnt 0x0
	s_cmp_ge_u32 s10, s33
	s_cbranch_scc1 .LBB228_87
; %bb.1:
	s_clause 0x6
	s_load_b64 s[26:27], s[0:1], 0x0
	s_load_b256 s[12:19], s[0:1], 0x8
	s_load_b32 s28, s[0:1], 0x68
	s_load_b32 s30, s[0:1], 0x28
	s_load_b128 s[20:23], s[0:1], 0x38
	s_load_b32 s66, s[0:1], 0x48
	s_load_b64 s[34:35], s[0:1], 0x58
	v_cmp_eq_u32_e64 s0, 0, v0
	v_and_b32_e32 v1, 31, v0
	v_cmp_gt_u32_e64 s1, 32, v0
	v_cmp_gt_u32_e64 s2, 8, v0
	v_lshrrev_b32_e32 v2, 3, v0
	s_mov_b32 s37, 0
	v_cmp_eq_u32_e64 s3, 0, v1
	s_mov_b32 s29, s37
	v_lshlrev_b32_e32 v29, 2, v1
	v_and_b32_e32 v30, 28, v2
	v_mbcnt_lo_u32_b32 v31, -1, 0
	s_mov_b32 s24, ttmp9
	s_mov_b32 s25, s37
	s_wait_kmcnt 0x0
	s_ashr_i32 s5, s27, 31
	s_cmp_gt_i32 s27, 0
	s_mov_b32 s4, s27
	s_cselect_b32 s6, -1, 0
	s_lshl_b32 s7, ttmp9, 10
	s_mul_u64 s[38:39], s[4:5], s[28:29]
	v_lshl_or_b32 v0, v0, 2, s7
	s_lshr_b32 s4, s5, 30
	s_ashr_i32 s5, s26, 31
	s_add_co_i32 s4, s27, s4
	s_lshr_b32 s5, s5, 30
	v_mul_lo_u32 v5, s66, v0
	s_add_co_i32 s5, s26, s5
	v_add_nc_u32_e32 v3, 4, v0
	s_and_b32 s68, s4, -4
	s_and_b32 s4, s5, -4
	s_and_b32 s67, s0, s6
	s_sub_co_i32 s69, s26, s4
	v_ashrrev_i32_e32 v1, 31, v0
	v_add_nc_u32_e32 v2, s66, v5
	v_cmp_ge_i32_e64 s4, s26, v3
	v_ashrrev_i32_e32 v6, 31, v5
	s_cmp_gt_i32 s68, 0
	v_add_nc_u32_e32 v4, s69, v0
	v_add_nc_u32_e32 v13, s66, v2
	v_ashrrev_i32_e32 v3, 31, v2
	s_cselect_b32 s70, -1, 0
	s_cmp_gt_i32 s69, 0
	v_lshlrev_b64_e32 v[7:8], 2, v[0:1]
	v_add_nc_u32_e32 v15, s66, v13
	v_ashrrev_i32_e32 v14, 31, v13
	s_cselect_b32 s71, -1, 0
	s_lshl_b32 s36, s30, 1
	v_lshlrev_b64_e32 v[9:10], 2, v[5:6]
	v_ashrrev_i32_e32 v16, 31, v15
	v_lshlrev_b64_e32 v[11:12], 2, v[2:3]
	v_lshlrev_b64_e32 v[13:14], 2, v[13:14]
	v_cmp_ge_i32_e64 s5, s26, v4
	v_mov_b32_e32 v0, 0
	v_lshlrev_b64_e32 v[15:16], 2, v[15:16]
	v_lshl_or_b32 v6, v31, 2, 64
	s_lshl_b64 s[40:41], s[24:25], 2
	s_mov_b64 s[50:51], s[36:37]
	s_mul_i32 s36, s30, 3
	s_add_nc_u64 s[42:43], s[34:35], s[40:41]
	s_lshl_b64 s[44:45], s[38:39], 2
	s_lshl_b64 s[46:47], s[28:29], 2
	s_mov_b32 s31, s37
	s_lshl_b32 s48, s30, 2
	s_mov_b32 s49, s37
	s_mov_b64 s[52:53], s[36:37]
	s_lshl_b64 s[18:19], s[18:19], 2
	s_lshl_b64 s[22:23], s[22:23], 2
	s_branch .LBB228_3
.LBB228_2:                              ;   in Loop: Header=BB228_3 Depth=1
	s_add_co_i32 s10, s10, 0x10000
	s_delay_alu instid0(SALU_CYCLE_1)
	s_cmp_lt_u32 s10, s33
	s_cbranch_scc0 .LBB228_87
.LBB228_3:                              ; =>This Loop Header: Depth=1
                                        ;     Child Loop BB228_10 Depth 2
                                        ;     Child Loop BB228_16 Depth 2
                                        ;       Child Loop BB228_47 Depth 3
                                        ;       Child Loop BB228_50 Depth 3
                                        ;     Child Loop BB228_66 Depth 2
                                        ;       Child Loop BB228_79 Depth 3
                                        ;       Child Loop BB228_82 Depth 3
	s_mov_b32 s11, s37
	v_mov_b32_e32 v17, 0
	s_mul_u64 s[6:7], s[14:15], s[10:11]
	v_dual_mov_b32 v18, 0 :: v_dual_mov_b32 v1, 0
	s_wait_alu 0xfffe
	s_lshl_b64 s[6:7], s[6:7], 2
	v_mov_b32_e32 v2, 0
	s_wait_alu 0xfffe
	s_add_nc_u64 s[6:7], s[12:13], s[6:7]
	global_load_b32 v32, v0, s[6:7]
	s_wait_loadcnt 0x0
	v_cmp_eq_f32_e64 s6, 0, v32
	v_cmp_neq_f32_e64 s7, 0, v32
	s_wait_alu 0xfffe
	s_and_b32 vcc_lo, exec_lo, s6
	s_wait_alu 0xfffe
	s_cbranch_vccnz .LBB228_5
; %bb.4:                                ;   in Loop: Header=BB228_3 Depth=1
	s_lshl_b64 s[8:9], s[10:11], 3
	s_wait_alu 0xfffe
	s_add_nc_u64 s[8:9], s[16:17], s[8:9]
	global_load_b64 v[1:2], v0, s[8:9]
	s_wait_loadcnt 0x0
	v_add_co_u32 v1, vcc_lo, v1, s18
	s_wait_alu 0xfffd
	v_add_co_ci_u32_e64 v2, null, s19, v2, vcc_lo
.LBB228_5:                              ;   in Loop: Header=BB228_3 Depth=1
	s_and_not1_b32 vcc_lo, exec_lo, s7
	s_wait_alu 0xfffe
	s_cbranch_vccnz .LBB228_7
; %bb.6:                                ;   in Loop: Header=BB228_3 Depth=1
	s_lshl_b64 s[8:9], s[10:11], 3
	s_wait_alu 0xfffe
	s_add_nc_u64 s[8:9], s[20:21], s[8:9]
	global_load_b64 v[3:4], v0, s[8:9]
	s_wait_loadcnt 0x0
	v_add_co_u32 v17, vcc_lo, v3, s22
	s_wait_alu 0xfffd
	v_add_co_ci_u32_e64 v18, null, s23, v4, vcc_lo
.LBB228_7:                              ;   in Loop: Header=BB228_3 Depth=1
	s_and_not1_b32 vcc_lo, exec_lo, s6
	s_mov_b32 s6, -1
	s_wait_alu 0xfffe
	s_cbranch_vccnz .LBB228_12
; %bb.8:                                ;   in Loop: Header=BB228_3 Depth=1
	s_and_saveexec_b32 s8, s67
	s_cbranch_execz .LBB228_11
; %bb.9:                                ;   in Loop: Header=BB228_3 Depth=1
	s_mul_u64 s[6:7], s[44:45], s[10:11]
	s_mov_b32 s9, s27
	s_wait_alu 0xfffe
	s_add_nc_u64 s[6:7], s[42:43], s[6:7]
.LBB228_10:                             ;   Parent Loop BB228_3 Depth=1
                                        ; =>  This Inner Loop Header: Depth=2
	s_add_co_i32 s9, s9, -1
	global_store_b32 v0, v0, s[6:7]
	s_wait_alu 0xfffe
	s_cmp_eq_u32 s9, 0
	s_add_nc_u64 s[6:7], s[6:7], s[46:47]
	s_cbranch_scc0 .LBB228_10
.LBB228_11:                             ;   in Loop: Header=BB228_3 Depth=1
	s_wait_alu 0xfffe
	s_or_b32 exec_lo, exec_lo, s8
	s_mov_b32 s6, 0
.LBB228_12:                             ;   in Loop: Header=BB228_3 Depth=1
	s_wait_alu 0xfffe
	s_and_not1_b32 vcc_lo, exec_lo, s6
	s_wait_alu 0xfffe
	s_cbranch_vccnz .LBB228_2
; %bb.13:                               ;   in Loop: Header=BB228_3 Depth=1
	v_add_co_u32 v33, vcc_lo, v1, v7
	s_mul_u64 s[54:55], s[38:39], s[10:11]
	s_wait_alu 0xfffd
	v_add_co_ci_u32_e64 v34, null, v2, v8, vcc_lo
	v_cmp_gt_u32_e64 s9, 24, v31
	v_cmp_gt_u32_e64 s8, 28, v31
	v_cmp_gt_u32_e64 s7, 30, v31
	v_cmp_ne_u32_e64 s6, 31, v31
	s_lshl_b64 s[54:55], s[54:55], 2
	s_and_not1_b32 vcc_lo, exec_lo, s70
	s_add_nc_u64 s[54:55], s[34:35], s[54:55]
	s_wait_alu 0xfffe
	s_cbranch_vccnz .LBB228_62
; %bb.14:                               ;   in Loop: Header=BB228_3 Depth=1
	s_wait_alu 0xf1ff
	v_cndmask_b32_e64 v2, 0, 4, s8
	v_cndmask_b32_e64 v3, 0, 2, s7
	v_add_co_u32 v19, vcc_lo, v17, v9
	v_cndmask_b32_e64 v1, 0, 8, s9
	v_add_co_ci_u32_e64 v4, null, 0, v31, s6
	v_add_lshl_u32 v36, v2, v31, 2
	v_add_lshl_u32 v37, v3, v31, 2
	s_wait_alu 0xfffd
	v_add_co_ci_u32_e64 v20, null, v18, v10, vcc_lo
	v_add_co_u32 v21, vcc_lo, v17, v11
	v_dual_mov_b32 v2, v0 :: v_dual_mov_b32 v3, v0
	s_wait_alu 0xfffd
	v_add_co_ci_u32_e64 v22, null, v18, v12, vcc_lo
	v_add_co_u32 v23, vcc_lo, v17, v13
	v_add_lshl_u32 v35, v1, v31, 2
	v_dual_mov_b32 v1, v0 :: v_dual_lshlrev_b32 v38, 2, v4
	s_wait_alu 0xfffd
	v_add_co_ci_u32_e64 v24, null, v18, v14, vcc_lo
	v_add_co_u32 v25, vcc_lo, v17, v15
	v_mov_b32_e32 v4, v3
	s_wait_alu 0xfffd
	v_add_co_ci_u32_e64 v26, null, v18, v16, vcc_lo
	v_mov_b32_e32 v3, v2
	v_mov_b32_e32 v2, v1
	v_mov_b32_e32 v1, v0
	s_mov_b32 s56, 0
	s_mov_b64 s[58:59], s[52:53]
	s_mov_b64 s[60:61], s[50:51]
	;; [unrolled: 1-line block ×3, first 2 shown]
	s_mov_b32 s11, 0
	s_branch .LBB228_16
.LBB228_15:                             ;   in Loop: Header=BB228_16 Depth=2
	s_wait_alu 0xfffe
	s_or_b32 exec_lo, exec_lo, s6
	s_add_co_i32 s11, s11, 4
	s_add_co_i32 s56, s56, s48
	s_add_nc_u64 s[62:63], s[62:63], s[48:49]
	s_add_nc_u64 s[60:61], s[60:61], s[48:49]
	s_cmp_ge_i32 s11, s68
	s_add_nc_u64 s[58:59], s[58:59], s[48:49]
	s_cbranch_scc1 .LBB228_63
.LBB228_16:                             ;   Parent Loop BB228_3 Depth=1
                                        ; =>  This Loop Header: Depth=2
                                        ;       Child Loop BB228_47 Depth 3
                                        ;       Child Loop BB228_50 Depth 3
                                        ; implicit-def: $vgpr39
                                        ; implicit-def: $vgpr40
                                        ; implicit-def: $vgpr41
                                        ; implicit-def: $vgpr42
	s_and_saveexec_b32 s6, s4
	s_wait_alu 0xfffe
	s_xor_b32 s6, exec_lo, s6
	s_cbranch_execnz .LBB228_43
; %bb.17:                               ;   in Loop: Header=BB228_16 Depth=2
	s_wait_alu 0xfffe
	s_and_not1_saveexec_b32 s25, s6
	s_cbranch_execnz .LBB228_44
.LBB228_18:                             ;   in Loop: Header=BB228_16 Depth=2
	s_or_b32 exec_lo, exec_lo, s25
	s_and_saveexec_b32 s6, s1
.LBB228_19:                             ;   in Loop: Header=BB228_16 Depth=2
	ds_store_b32 v29, v0
.LBB228_20:                             ;   in Loop: Header=BB228_16 Depth=2
	s_wait_alu 0xfffe
	s_or_b32 exec_lo, exec_lo, s6
	s_wait_dscnt 0x0
	ds_bpermute_b32 v27, v6, v42
	s_wait_storecnt_dscnt 0x0
	s_barrier_signal -1
	s_barrier_wait -1
	global_inv scope:SCOPE_SE
	v_add_f32_e32 v27, v42, v27
	ds_bpermute_b32 v28, v35, v27
	s_wait_dscnt 0x0
	v_add_f32_e32 v27, v27, v28
	ds_bpermute_b32 v28, v36, v27
	s_wait_dscnt 0x0
	;; [unrolled: 3-line block ×3, first 2 shown]
	v_add_f32_e32 v27, v27, v28
	ds_bpermute_b32 v28, v38, v27
	s_and_saveexec_b32 s6, s3
	s_cbranch_execz .LBB228_22
; %bb.21:                               ;   in Loop: Header=BB228_16 Depth=2
	s_wait_dscnt 0x0
	v_add_f32_e32 v27, v27, v28
	ds_store_b32 v30, v27
.LBB228_22:                             ;   in Loop: Header=BB228_16 Depth=2
	s_wait_alu 0xfffe
	s_or_b32 exec_lo, exec_lo, s6
	v_mov_b32_e32 v27, 0
	s_wait_loadcnt_dscnt 0x0
	s_barrier_signal -1
	s_barrier_wait -1
	global_inv scope:SCOPE_SE
	s_and_saveexec_b32 s6, s2
	s_cbranch_execnz .LBB228_51
; %bb.23:                               ;   in Loop: Header=BB228_16 Depth=2
	s_wait_alu 0xfffe
	s_or_b32 exec_lo, exec_lo, s6
	s_and_saveexec_b32 s6, s1
	s_cbranch_execnz .LBB228_52
.LBB228_24:                             ;   in Loop: Header=BB228_16 Depth=2
	s_wait_alu 0xfffe
	s_or_b32 exec_lo, exec_lo, s6
	s_and_saveexec_b32 s6, s1
.LBB228_25:                             ;   in Loop: Header=BB228_16 Depth=2
	ds_store_b32 v29, v0
.LBB228_26:                             ;   in Loop: Header=BB228_16 Depth=2
	s_wait_alu 0xfffe
	s_or_b32 exec_lo, exec_lo, s6
	ds_bpermute_b32 v28, v6, v41
	s_wait_loadcnt_dscnt 0x0
	s_barrier_signal -1
	s_barrier_wait -1
	global_inv scope:SCOPE_SE
	v_add_f32_e32 v28, v41, v28
	ds_bpermute_b32 v41, v35, v28
	s_wait_dscnt 0x0
	v_add_f32_e32 v28, v28, v41
	ds_bpermute_b32 v41, v36, v28
	s_wait_dscnt 0x0
	;; [unrolled: 3-line block ×3, first 2 shown]
	v_add_f32_e32 v28, v28, v41
	ds_bpermute_b32 v41, v38, v28
	s_and_saveexec_b32 s6, s3
	s_cbranch_execz .LBB228_28
; %bb.27:                               ;   in Loop: Header=BB228_16 Depth=2
	s_wait_dscnt 0x0
	v_add_f32_e32 v28, v28, v41
	ds_store_b32 v30, v28
.LBB228_28:                             ;   in Loop: Header=BB228_16 Depth=2
	s_wait_alu 0xfffe
	s_or_b32 exec_lo, exec_lo, s6
	v_mov_b32_e32 v28, 0
	s_wait_loadcnt_dscnt 0x0
	s_barrier_signal -1
	s_barrier_wait -1
	global_inv scope:SCOPE_SE
	s_and_saveexec_b32 s6, s2
	s_cbranch_execnz .LBB228_53
; %bb.29:                               ;   in Loop: Header=BB228_16 Depth=2
	s_wait_alu 0xfffe
	s_or_b32 exec_lo, exec_lo, s6
	s_and_saveexec_b32 s6, s1
	s_cbranch_execnz .LBB228_54
.LBB228_30:                             ;   in Loop: Header=BB228_16 Depth=2
	s_wait_alu 0xfffe
	s_or_b32 exec_lo, exec_lo, s6
	s_and_saveexec_b32 s6, s1
.LBB228_31:                             ;   in Loop: Header=BB228_16 Depth=2
	ds_store_b32 v29, v0
.LBB228_32:                             ;   in Loop: Header=BB228_16 Depth=2
	s_wait_alu 0xfffe
	s_or_b32 exec_lo, exec_lo, s6
	ds_bpermute_b32 v41, v6, v40
	s_wait_loadcnt_dscnt 0x0
	s_barrier_signal -1
	s_barrier_wait -1
	global_inv scope:SCOPE_SE
	v_add_f32_e32 v40, v40, v41
	ds_bpermute_b32 v41, v35, v40
	s_wait_dscnt 0x0
	v_add_f32_e32 v40, v40, v41
	ds_bpermute_b32 v41, v36, v40
	s_wait_dscnt 0x0
	v_add_f32_e32 v40, v40, v41
	ds_bpermute_b32 v41, v37, v40
	s_wait_dscnt 0x0
	v_add_f32_e32 v40, v40, v41
	ds_bpermute_b32 v41, v38, v40
	s_and_saveexec_b32 s6, s3
	s_cbranch_execz .LBB228_34
; %bb.33:                               ;   in Loop: Header=BB228_16 Depth=2
	s_wait_dscnt 0x0
	v_add_f32_e32 v40, v40, v41
	ds_store_b32 v30, v40
.LBB228_34:                             ;   in Loop: Header=BB228_16 Depth=2
	s_wait_alu 0xfffe
	s_or_b32 exec_lo, exec_lo, s6
	v_mov_b32_e32 v40, 0
	s_wait_loadcnt_dscnt 0x0
	s_barrier_signal -1
	s_barrier_wait -1
	global_inv scope:SCOPE_SE
	s_and_saveexec_b32 s6, s2
	s_cbranch_execnz .LBB228_55
; %bb.35:                               ;   in Loop: Header=BB228_16 Depth=2
	s_wait_alu 0xfffe
	s_or_b32 exec_lo, exec_lo, s6
	s_and_saveexec_b32 s6, s1
	s_cbranch_execnz .LBB228_56
.LBB228_36:                             ;   in Loop: Header=BB228_16 Depth=2
	s_wait_alu 0xfffe
	s_or_b32 exec_lo, exec_lo, s6
	s_and_saveexec_b32 s6, s1
.LBB228_37:                             ;   in Loop: Header=BB228_16 Depth=2
	ds_store_b32 v29, v0
.LBB228_38:                             ;   in Loop: Header=BB228_16 Depth=2
	s_wait_alu 0xfffe
	s_or_b32 exec_lo, exec_lo, s6
	ds_bpermute_b32 v41, v6, v39
	s_wait_loadcnt_dscnt 0x0
	s_barrier_signal -1
	s_barrier_wait -1
	global_inv scope:SCOPE_SE
	v_add_f32_e32 v39, v39, v41
	ds_bpermute_b32 v41, v35, v39
	s_wait_dscnt 0x0
	v_add_f32_e32 v39, v39, v41
	ds_bpermute_b32 v41, v36, v39
	s_wait_dscnt 0x0
	;; [unrolled: 3-line block ×3, first 2 shown]
	v_add_f32_e32 v39, v39, v41
	ds_bpermute_b32 v41, v38, v39
	s_and_saveexec_b32 s6, s3
	s_cbranch_execz .LBB228_40
; %bb.39:                               ;   in Loop: Header=BB228_16 Depth=2
	s_wait_dscnt 0x0
	v_add_f32_e32 v39, v39, v41
	ds_store_b32 v30, v39
.LBB228_40:                             ;   in Loop: Header=BB228_16 Depth=2
	s_wait_alu 0xfffe
	s_or_b32 exec_lo, exec_lo, s6
	v_mov_b32_e32 v39, 0
	s_wait_loadcnt_dscnt 0x0
	s_barrier_signal -1
	s_barrier_wait -1
	global_inv scope:SCOPE_SE
	s_and_saveexec_b32 s6, s2
	s_cbranch_execnz .LBB228_57
; %bb.41:                               ;   in Loop: Header=BB228_16 Depth=2
	s_wait_alu 0xfffe
	s_or_b32 exec_lo, exec_lo, s6
	s_and_saveexec_b32 s6, s1
	s_cbranch_execnz .LBB228_58
.LBB228_42:                             ;   in Loop: Header=BB228_16 Depth=2
	s_wait_alu 0xfffe
	s_or_b32 exec_lo, exec_lo, s6
	s_and_saveexec_b32 s6, s0
	s_cbranch_execz .LBB228_15
	s_branch .LBB228_59
.LBB228_43:                             ;   in Loop: Header=BB228_16 Depth=2
	s_mul_i32 s8, s11, s30
	s_wait_alu 0xfffe
	s_ashr_i32 s9, s8, 31
	s_add_co_i32 s64, s8, s30
	s_wait_alu 0xfffe
	s_lshl_b64 s[8:9], s[8:9], 2
	s_ashr_i32 s65, s64, 31
	s_wait_alu 0xfffe
	v_add_co_u32 v2, vcc_lo, v33, s8
	s_wait_alu 0xfffd
	v_add_co_ci_u32_e64 v3, null, s9, v34, vcc_lo
	s_lshl_b64 s[8:9], s[64:65], 2
	s_add_co_i32 s64, s64, s30
	s_wait_dscnt 0x0
	s_wait_alu 0xfffe
	v_add_co_u32 v27, vcc_lo, v33, s8
	s_ashr_i32 s65, s64, 31
	s_add_co_i32 s8, s64, s30
	s_wait_alu 0xfffd
	v_add_co_ci_u32_e64 v28, null, s9, v34, vcc_lo
	s_wait_alu 0xfffe
	s_lshl_b64 s[64:65], s[64:65], 2
	s_ashr_i32 s9, s8, 31
	s_wait_alu 0xfffe
	v_add_co_u32 v39, vcc_lo, v33, s64
	s_lshl_b64 s[8:9], s[8:9], 2
	s_wait_alu 0xfffd
	v_add_co_ci_u32_e64 v40, null, s65, v34, vcc_lo
	s_wait_alu 0xfffe
	v_add_co_u32 v54, vcc_lo, v33, s8
	s_wait_alu 0xfffd
	v_add_co_ci_u32_e64 v55, null, s9, v34, vcc_lo
	flat_load_b32 v1, v[19:20]
	s_clause 0x3
	flat_load_b128 v[42:45], v[2:3]
	flat_load_b128 v[46:49], v[27:28]
	;; [unrolled: 1-line block ×4, first 2 shown]
	s_clause 0x2
	flat_load_b32 v2, v[21:22]
	flat_load_b32 v3, v[23:24]
	;; [unrolled: 1-line block ×3, first 2 shown]
	s_wait_loadcnt_dscnt 0x606
	v_fma_f32 v42, v1, v42, 0
	s_wait_loadcnt_dscnt 0x505
	v_fma_f32 v41, v1, v46, 0
	;; [unrolled: 2-line block ×4, first 2 shown]
	s_wait_loadcnt_dscnt 0x202
	v_fmac_f32_e32 v41, v2, v47
	v_fmac_f32_e32 v42, v2, v43
	s_delay_alu instid0(VALU_DEP_3) | instskip(SKIP_1) | instid1(VALU_DEP_3)
	v_fmac_f32_e32 v39, v2, v55
	s_wait_loadcnt_dscnt 0x101
	v_dual_fmac_f32 v40, v2, v51 :: v_dual_fmac_f32 v41, v3, v48
	s_delay_alu instid0(VALU_DEP_3) | instskip(NEXT) | instid1(VALU_DEP_3)
	v_fmac_f32_e32 v42, v3, v44
	v_fmac_f32_e32 v39, v3, v56
	s_wait_loadcnt_dscnt 0x0
	s_delay_alu instid0(VALU_DEP_3) | instskip(NEXT) | instid1(VALU_DEP_3)
	v_dual_fmac_f32 v40, v3, v52 :: v_dual_fmac_f32 v41, v4, v49
	v_fmac_f32_e32 v42, v4, v45
	s_delay_alu instid0(VALU_DEP_3) | instskip(NEXT) | instid1(VALU_DEP_3)
	v_fmac_f32_e32 v39, v4, v57
	v_fmac_f32_e32 v40, v4, v53
	s_and_not1_saveexec_b32 s25, s6
	s_cbranch_execz .LBB228_18
.LBB228_44:                             ;   in Loop: Header=BB228_16 Depth=2
	s_wait_dscnt 0x0
	v_dual_mov_b32 v39, 0 :: v_dual_mov_b32 v40, 0
	v_dual_mov_b32 v41, 0 :: v_dual_mov_b32 v42, 0
	s_and_saveexec_b32 s26, s5
	s_cbranch_execz .LBB228_61
; %bb.45:                               ;   in Loop: Header=BB228_16 Depth=2
	s_and_not1_b32 vcc_lo, exec_lo, s71
	s_wait_alu 0xfffe
	s_cbranch_vccnz .LBB228_48
; %bb.46:                               ;   in Loop: Header=BB228_16 Depth=2
	v_mov_b32_e32 v27, v5
	s_mov_b64 s[64:65], 0
.LBB228_47:                             ;   Parent Loop BB228_3 Depth=1
                                        ;     Parent Loop BB228_16 Depth=2
                                        ; =>    This Inner Loop Header: Depth=3
	s_delay_alu instid0(VALU_DEP_1) | instskip(SKIP_2) | instid1(VALU_DEP_1)
	v_ashrrev_i32_e32 v28, 31, v27
	s_wait_alu 0xfffe
	s_cmp_eq_u32 s64, 3
	v_lshlrev_b64_e32 v[39:40], 2, v[27:28]
	s_delay_alu instid0(VALU_DEP_1) | instskip(SKIP_1) | instid1(VALU_DEP_2)
	v_add_co_u32 v39, vcc_lo, v17, v39
	s_wait_alu 0xfffd
	v_add_co_ci_u32_e64 v40, null, v18, v40, vcc_lo
	s_cselect_b32 vcc_lo, -1, 0
	s_cmp_eq_u32 s64, 2
	s_cselect_b32 s6, -1, 0
	flat_load_b32 v28, v[39:40]
	s_cmp_eq_u32 s64, 1
	v_add_nc_u32_e32 v27, s66, v27
	s_cselect_b32 s7, -1, 0
	s_cmp_eq_u32 s64, 0
	s_add_nc_u64 s[64:65], s[64:65], 1
	s_cselect_b32 s8, -1, 0
	s_wait_alu 0xfffe
	s_cmp_eq_u32 s69, s64
	s_wait_loadcnt_dscnt 0x0
	v_cndmask_b32_e32 v4, v4, v28, vcc_lo
	v_cndmask_b32_e64 v3, v3, v28, s6
	v_cndmask_b32_e64 v2, v2, v28, s7
	;; [unrolled: 1-line block ×3, first 2 shown]
	s_cbranch_scc0 .LBB228_47
.LBB228_48:                             ;   in Loop: Header=BB228_16 Depth=2
	s_and_not1_b32 vcc_lo, exec_lo, s71
	s_wait_alu 0xfffe
	s_cbranch_vccnz .LBB228_60
; %bb.49:                               ;   in Loop: Header=BB228_16 Depth=2
	s_ashr_i32 s57, s56, 31
	v_dual_mov_b32 v42, 0 :: v_dual_mov_b32 v41, 0
	s_lshl_b64 s[6:7], s[56:57], 2
	v_dual_mov_b32 v40, 0 :: v_dual_mov_b32 v39, 0
	s_wait_alu 0xfffe
	v_add_co_u32 v27, vcc_lo, v33, s6
	s_wait_alu 0xfffd
	v_add_co_ci_u32_e64 v28, null, s7, v34, vcc_lo
	s_mov_b64 s[8:9], 0
.LBB228_50:                             ;   Parent Loop BB228_3 Depth=1
                                        ;     Parent Loop BB228_16 Depth=2
                                        ; =>    This Inner Loop Header: Depth=3
	s_wait_alu 0xfffe
	s_cmp_eq_u32 s8, 1
	s_cselect_b32 vcc_lo, -1, 0
	s_cmp_eq_u32 s8, 2
	s_wait_alu 0xfffe
	v_cndmask_b32_e32 v43, v1, v2, vcc_lo
	s_cselect_b32 vcc_lo, -1, 0
	s_cmp_eq_u32 s8, 3
	s_wait_alu 0xfffe
	s_delay_alu instid0(VALU_DEP_1)
	v_cndmask_b32_e32 v49, v43, v3, vcc_lo
	s_cselect_b32 vcc_lo, -1, 0
	s_add_co_i32 s6, s62, s8
	s_add_co_i32 s64, s60, s8
	s_wait_alu 0xfffe
	s_ashr_i32 s7, s6, 31
	s_add_co_i32 s72, s58, s8
	s_ashr_i32 s65, s64, 31
	s_wait_alu 0xfffe
	s_lshl_b64 s[6:7], s[6:7], 2
	s_ashr_i32 s73, s72, 31
	s_lshl_b64 s[64:65], s[64:65], 2
	s_wait_alu 0xfffe
	v_add_co_u32 v43, s6, v33, s6
	s_lshl_b64 s[72:73], s[72:73], 2
	v_add_co_ci_u32_e64 v44, null, s7, v34, s6
	v_add_co_u32 v45, s6, v33, s64
	s_wait_alu 0xf1ff
	v_add_co_ci_u32_e64 v46, null, s65, v34, s6
	s_wait_alu 0xfffe
	v_add_co_u32 v47, s6, v33, s72
	s_wait_alu 0xf1ff
	v_add_co_ci_u32_e64 v48, null, s73, v34, s6
	flat_load_b32 v50, v[27:28]
	s_clause 0x2
	flat_load_b32 v43, v[43:44]
	flat_load_b32 v44, v[45:46]
	;; [unrolled: 1-line block ×3, first 2 shown]
	v_cndmask_b32_e32 v46, v49, v4, vcc_lo
	v_add_co_u32 v27, s6, v27, 4
	s_wait_alu 0xf1ff
	v_add_co_ci_u32_e64 v28, null, 0, v28, s6
	s_add_nc_u64 s[8:9], s[8:9], 1
	s_wait_alu 0xfffe
	s_cmp_lg_u32 s69, s8
	s_wait_loadcnt_dscnt 0x303
	v_fmac_f32_e32 v42, v46, v50
	s_wait_loadcnt_dscnt 0x202
	v_fmac_f32_e32 v41, v46, v43
	;; [unrolled: 2-line block ×4, first 2 shown]
	s_cbranch_scc1 .LBB228_50
	s_branch .LBB228_61
.LBB228_51:                             ;   in Loop: Header=BB228_16 Depth=2
	ds_load_b32 v27, v29
	s_wait_alu 0xfffe
	s_or_b32 exec_lo, exec_lo, s6
	s_and_saveexec_b32 s6, s1
	s_cbranch_execz .LBB228_24
.LBB228_52:                             ;   in Loop: Header=BB228_16 Depth=2
	s_wait_dscnt 0x0
	ds_bpermute_b32 v28, v36, v27
	s_wait_dscnt 0x0
	v_add_f32_e32 v27, v27, v28
	ds_bpermute_b32 v28, v37, v27
	s_wait_dscnt 0x0
	v_add_f32_e32 v27, v27, v28
	;; [unrolled: 3-line block ×3, first 2 shown]
	s_wait_alu 0xfffe
	s_or_b32 exec_lo, exec_lo, s6
	s_and_saveexec_b32 s6, s1
	s_cbranch_execnz .LBB228_25
	s_branch .LBB228_26
.LBB228_53:                             ;   in Loop: Header=BB228_16 Depth=2
	ds_load_b32 v28, v29
	s_wait_alu 0xfffe
	s_or_b32 exec_lo, exec_lo, s6
	s_and_saveexec_b32 s6, s1
	s_cbranch_execz .LBB228_30
.LBB228_54:                             ;   in Loop: Header=BB228_16 Depth=2
	s_wait_dscnt 0x0
	ds_bpermute_b32 v41, v36, v28
	s_wait_dscnt 0x0
	v_add_f32_e32 v28, v28, v41
	ds_bpermute_b32 v41, v37, v28
	s_wait_dscnt 0x0
	v_add_f32_e32 v28, v28, v41
	;; [unrolled: 3-line block ×3, first 2 shown]
	s_wait_alu 0xfffe
	s_or_b32 exec_lo, exec_lo, s6
	s_and_saveexec_b32 s6, s1
	s_cbranch_execnz .LBB228_31
	s_branch .LBB228_32
.LBB228_55:                             ;   in Loop: Header=BB228_16 Depth=2
	ds_load_b32 v40, v29
	s_wait_alu 0xfffe
	s_or_b32 exec_lo, exec_lo, s6
	s_and_saveexec_b32 s6, s1
	s_cbranch_execz .LBB228_36
.LBB228_56:                             ;   in Loop: Header=BB228_16 Depth=2
	s_wait_dscnt 0x0
	ds_bpermute_b32 v41, v36, v40
	s_wait_dscnt 0x0
	v_add_f32_e32 v40, v40, v41
	ds_bpermute_b32 v41, v37, v40
	s_wait_dscnt 0x0
	v_add_f32_e32 v40, v40, v41
	;; [unrolled: 3-line block ×3, first 2 shown]
	s_wait_alu 0xfffe
	s_or_b32 exec_lo, exec_lo, s6
	s_and_saveexec_b32 s6, s1
	s_cbranch_execnz .LBB228_37
	s_branch .LBB228_38
.LBB228_57:                             ;   in Loop: Header=BB228_16 Depth=2
	ds_load_b32 v39, v29
	s_wait_alu 0xfffe
	s_or_b32 exec_lo, exec_lo, s6
	s_and_saveexec_b32 s6, s1
	s_cbranch_execz .LBB228_42
.LBB228_58:                             ;   in Loop: Header=BB228_16 Depth=2
	s_wait_dscnt 0x0
	ds_bpermute_b32 v41, v36, v39
	s_wait_dscnt 0x0
	v_add_f32_e32 v39, v39, v41
	ds_bpermute_b32 v41, v37, v39
	s_wait_dscnt 0x0
	v_add_f32_e32 v39, v39, v41
	;; [unrolled: 3-line block ×3, first 2 shown]
	s_wait_alu 0xfffe
	s_or_b32 exec_lo, exec_lo, s6
	s_and_saveexec_b32 s6, s0
	s_cbranch_execz .LBB228_15
.LBB228_59:                             ;   in Loop: Header=BB228_16 Depth=2
	s_mul_i32 s7, s11, s28
	v_mul_f32_e32 v27, v32, v27
	s_wait_alu 0xfffe
	s_add_co_i32 s36, s7, s24
	v_mul_f32_e32 v28, v32, v28
	s_wait_alu 0xfffe
	s_lshl_b64 s[8:9], s[36:37], 2
	s_add_co_i32 s36, s36, s28
	s_wait_alu 0xfffe
	s_add_nc_u64 s[8:9], s[54:55], s[8:9]
	s_lshl_b64 s[64:65], s[36:37], 2
	s_add_co_i32 s36, s36, s28
	s_wait_alu 0xfffe
	s_add_nc_u64 s[64:65], s[54:55], s[64:65]
	s_clause 0x1
	global_store_b32 v0, v27, s[8:9]
	global_store_b32 v0, v28, s[64:65]
	v_mul_f32_e32 v27, v32, v40
	s_lshl_b64 s[8:9], s[36:37], 2
	s_add_co_i32 s36, s36, s28
	s_wait_dscnt 0x0
	v_mul_f32_e32 v28, v32, v39
	s_wait_alu 0xfffe
	s_lshl_b64 s[64:65], s[36:37], 2
	s_add_nc_u64 s[8:9], s[54:55], s[8:9]
	s_wait_alu 0xfffe
	s_add_nc_u64 s[64:65], s[54:55], s[64:65]
	s_clause 0x1
	global_store_b32 v0, v27, s[8:9]
	global_store_b32 v0, v28, s[64:65]
	s_branch .LBB228_15
.LBB228_60:                             ;   in Loop: Header=BB228_16 Depth=2
	v_dual_mov_b32 v39, 0 :: v_dual_mov_b32 v40, 0
	v_dual_mov_b32 v41, 0 :: v_dual_mov_b32 v42, 0
.LBB228_61:                             ;   in Loop: Header=BB228_16 Depth=2
	s_wait_alu 0xfffe
	s_or_b32 exec_lo, exec_lo, s26
	s_delay_alu instid0(SALU_CYCLE_1)
	s_or_b32 exec_lo, exec_lo, s25
	s_and_saveexec_b32 s6, s1
	s_cbranch_execnz .LBB228_19
	s_branch .LBB228_20
.LBB228_62:                             ;   in Loop: Header=BB228_3 Depth=1
	v_mov_b32_e32 v3, v0
	v_dual_mov_b32 v1, v0 :: v_dual_mov_b32 v2, v0
	s_mov_b32 s11, 0
	s_delay_alu instid0(VALU_DEP_2) | instskip(NEXT) | instid1(VALU_DEP_2)
	v_mov_b32_e32 v4, v3
	v_mov_b32_e32 v3, v2
	s_delay_alu instid0(VALU_DEP_3)
	v_mov_b32_e32 v2, v1
	v_mov_b32_e32 v1, v0
.LBB228_63:                             ;   in Loop: Header=BB228_3 Depth=1
	s_cmp_ge_i32 s11, s27
	s_cbranch_scc1 .LBB228_2
; %bb.64:                               ;   in Loop: Header=BB228_3 Depth=1
	v_cmp_gt_u32_e32 vcc_lo, 24, v31
	s_add_nc_u64 s[54:55], s[54:55], s[40:41]
	s_mul_i32 s56, s30, s11
	s_mov_b32 s36, s11
	s_wait_alu 0xfffd
	v_cndmask_b32_e64 v19, 0, 8, vcc_lo
	v_cmp_gt_u32_e32 vcc_lo, 28, v31
	s_delay_alu instid0(VALU_DEP_2) | instskip(SKIP_3) | instid1(VALU_DEP_2)
	v_add_lshl_u32 v35, v19, v31, 2
	s_wait_alu 0xfffd
	v_cndmask_b32_e64 v20, 0, 4, vcc_lo
	v_cmp_gt_u32_e32 vcc_lo, 30, v31
	v_add_lshl_u32 v36, v20, v31, 2
	s_wait_alu 0xfffd
	v_cndmask_b32_e64 v21, 0, 2, vcc_lo
	v_cmp_ne_u32_e32 vcc_lo, 31, v31
	s_delay_alu instid0(VALU_DEP_2)
	v_add_lshl_u32 v37, v21, v31, 2
	s_wait_alu 0xfffd
	v_add_co_ci_u32_e64 v22, null, 0, v31, vcc_lo
	v_add_co_u32 v19, vcc_lo, v17, v9
	s_wait_alu 0xfffd
	v_add_co_ci_u32_e64 v20, null, v18, v10, vcc_lo
	v_add_co_u32 v21, vcc_lo, v17, v11
	v_lshlrev_b32_e32 v38, 2, v22
	s_wait_alu 0xfffd
	v_add_co_ci_u32_e64 v22, null, v18, v12, vcc_lo
	v_add_co_u32 v23, vcc_lo, v17, v13
	s_wait_alu 0xfffd
	v_add_co_ci_u32_e64 v24, null, v18, v14, vcc_lo
	v_add_co_u32 v25, vcc_lo, v17, v15
	s_wait_alu 0xfffd
	v_add_co_ci_u32_e64 v26, null, v18, v16, vcc_lo
	s_branch .LBB228_66
.LBB228_65:                             ;   in Loop: Header=BB228_66 Depth=2
	s_wait_alu 0xfffe
	s_or_b32 exec_lo, exec_lo, s6
	s_add_co_i32 s36, s36, 1
	s_add_co_i32 s56, s56, s30
	s_wait_alu 0xfffe
	s_cmp_ge_i32 s36, s27
	s_cbranch_scc1 .LBB228_2
.LBB228_66:                             ;   Parent Loop BB228_3 Depth=1
                                        ; =>  This Loop Header: Depth=2
                                        ;       Child Loop BB228_79 Depth 3
                                        ;       Child Loop BB228_82 Depth 3
	s_wait_dscnt 0x0
	v_mov_b32_e32 v39, s37
	s_and_saveexec_b32 s6, s4
	s_wait_alu 0xfffe
	s_xor_b32 s6, exec_lo, s6
	s_cbranch_execnz .LBB228_75
; %bb.67:                               ;   in Loop: Header=BB228_66 Depth=2
	s_wait_alu 0xfffe
	s_and_not1_saveexec_b32 s9, s6
	s_cbranch_execnz .LBB228_76
.LBB228_68:                             ;   in Loop: Header=BB228_66 Depth=2
	s_wait_alu 0xfffe
	s_or_b32 exec_lo, exec_lo, s9
	s_and_saveexec_b32 s6, s1
.LBB228_69:                             ;   in Loop: Header=BB228_66 Depth=2
	ds_store_b32 v29, v0
.LBB228_70:                             ;   in Loop: Header=BB228_66 Depth=2
	s_wait_alu 0xfffe
	s_or_b32 exec_lo, exec_lo, s6
	ds_bpermute_b32 v27, v6, v39
	s_wait_storecnt 0x0
	s_wait_loadcnt_dscnt 0x0
	s_barrier_signal -1
	s_barrier_wait -1
	global_inv scope:SCOPE_SE
	v_add_f32_e32 v27, v39, v27
	ds_bpermute_b32 v28, v35, v27
	s_wait_dscnt 0x0
	v_add_f32_e32 v27, v27, v28
	ds_bpermute_b32 v28, v36, v27
	s_wait_dscnt 0x0
	;; [unrolled: 3-line block ×3, first 2 shown]
	v_add_f32_e32 v27, v27, v28
	ds_bpermute_b32 v28, v38, v27
	s_and_saveexec_b32 s6, s3
	s_cbranch_execz .LBB228_72
; %bb.71:                               ;   in Loop: Header=BB228_66 Depth=2
	s_wait_dscnt 0x0
	v_add_f32_e32 v27, v27, v28
	ds_store_b32 v30, v27
.LBB228_72:                             ;   in Loop: Header=BB228_66 Depth=2
	s_wait_alu 0xfffe
	s_or_b32 exec_lo, exec_lo, s6
	v_mov_b32_e32 v27, 0
	s_wait_loadcnt_dscnt 0x0
	s_barrier_signal -1
	s_barrier_wait -1
	global_inv scope:SCOPE_SE
	s_and_saveexec_b32 s6, s2
	s_cbranch_execnz .LBB228_84
; %bb.73:                               ;   in Loop: Header=BB228_66 Depth=2
	s_wait_alu 0xfffe
	s_or_b32 exec_lo, exec_lo, s6
	s_and_saveexec_b32 s6, s1
	s_cbranch_execnz .LBB228_85
.LBB228_74:                             ;   in Loop: Header=BB228_66 Depth=2
	s_wait_alu 0xfffe
	s_or_b32 exec_lo, exec_lo, s6
	s_and_saveexec_b32 s6, s0
	s_cbranch_execz .LBB228_65
	s_branch .LBB228_86
.LBB228_75:                             ;   in Loop: Header=BB228_66 Depth=2
	s_mul_i32 s8, s36, s30
	s_wait_alu 0xfffe
	s_ashr_i32 s9, s8, 31
	s_wait_alu 0xfffe
	s_lshl_b64 s[8:9], s[8:9], 2
	s_wait_alu 0xfffe
	v_add_co_u32 v1, vcc_lo, v33, s8
	s_wait_alu 0xfffd
	v_add_co_ci_u32_e64 v2, null, s9, v34, vcc_lo
	flat_load_b128 v[39:42], v[1:2]
	s_clause 0x3
	flat_load_b32 v1, v[19:20]
	flat_load_b32 v2, v[21:22]
	;; [unrolled: 1-line block ×4, first 2 shown]
	s_wait_loadcnt_dscnt 0x303
	v_fma_f32 v39, v1, v39, 0
	s_wait_loadcnt_dscnt 0x202
	s_delay_alu instid0(VALU_DEP_1) | instskip(SKIP_1) | instid1(VALU_DEP_1)
	v_fmac_f32_e32 v39, v2, v40
	s_wait_loadcnt_dscnt 0x101
	v_fmac_f32_e32 v39, v3, v41
	s_wait_loadcnt_dscnt 0x0
	s_delay_alu instid0(VALU_DEP_1)
	v_fmac_f32_e32 v39, v4, v42
	s_and_not1_saveexec_b32 s9, s6
	s_cbranch_execz .LBB228_68
.LBB228_76:                             ;   in Loop: Header=BB228_66 Depth=2
	s_and_saveexec_b32 s11, s5
	s_cbranch_execz .LBB228_83
; %bb.77:                               ;   in Loop: Header=BB228_66 Depth=2
	s_and_not1_b32 vcc_lo, exec_lo, s71
	s_wait_alu 0xfffe
	s_cbranch_vccnz .LBB228_80
; %bb.78:                               ;   in Loop: Header=BB228_66 Depth=2
	v_mov_b32_e32 v27, v5
	s_mov_b64 s[58:59], 0
.LBB228_79:                             ;   Parent Loop BB228_3 Depth=1
                                        ;     Parent Loop BB228_66 Depth=2
                                        ; =>    This Inner Loop Header: Depth=3
	s_delay_alu instid0(VALU_DEP_1) | instskip(SKIP_1) | instid1(VALU_DEP_1)
	v_ashrrev_i32_e32 v28, 31, v27
	s_cmp_eq_u32 s58, 3
	v_lshlrev_b64_e32 v[40:41], 2, v[27:28]
	s_delay_alu instid0(VALU_DEP_1) | instskip(SKIP_1) | instid1(VALU_DEP_2)
	v_add_co_u32 v40, vcc_lo, v17, v40
	s_wait_alu 0xfffd
	v_add_co_ci_u32_e64 v41, null, v18, v41, vcc_lo
	s_cselect_b32 vcc_lo, -1, 0
	s_cmp_eq_u32 s58, 2
	s_cselect_b32 s6, -1, 0
	flat_load_b32 v28, v[40:41]
	s_cmp_eq_u32 s58, 1
	v_add_nc_u32_e32 v27, s66, v27
	s_cselect_b32 s7, -1, 0
	s_cmp_eq_u32 s58, 0
	s_add_nc_u64 s[58:59], s[58:59], 1
	s_cselect_b32 s8, -1, 0
	s_cmp_eq_u32 s69, s58
	s_wait_loadcnt_dscnt 0x0
	s_wait_alu 0xfffe
	v_cndmask_b32_e32 v4, v4, v28, vcc_lo
	v_cndmask_b32_e64 v3, v3, v28, s6
	v_cndmask_b32_e64 v2, v2, v28, s7
	;; [unrolled: 1-line block ×3, first 2 shown]
	s_cbranch_scc0 .LBB228_79
.LBB228_80:                             ;   in Loop: Header=BB228_66 Depth=2
	s_and_not1_b32 vcc_lo, exec_lo, s71
	s_wait_alu 0xfffe
	s_cbranch_vccnz .LBB228_83
; %bb.81:                               ;   in Loop: Header=BB228_66 Depth=2
	s_ashr_i32 s57, s56, 31
	s_delay_alu instid0(SALU_CYCLE_1)
	s_lshl_b64 s[6:7], s[56:57], 2
	s_wait_alu 0xfffe
	v_add_co_u32 v27, vcc_lo, v33, s6
	s_wait_alu 0xfffd
	v_add_co_ci_u32_e64 v28, null, s7, v34, vcc_lo
	s_mov_b64 s[6:7], 0
.LBB228_82:                             ;   Parent Loop BB228_3 Depth=1
                                        ;     Parent Loop BB228_66 Depth=2
                                        ; =>    This Inner Loop Header: Depth=3
	flat_load_b32 v40, v[27:28]
	s_wait_alu 0xfffe
	s_cmp_eq_u32 s6, 1
	s_cselect_b32 vcc_lo, -1, 0
	s_cmp_eq_u32 s6, 2
	s_wait_alu 0xfffe
	v_cndmask_b32_e32 v41, v1, v2, vcc_lo
	s_cselect_b32 vcc_lo, -1, 0
	s_cmp_eq_u32 s6, 3
	s_add_nc_u64 s[6:7], s[6:7], 1
	s_wait_alu 0xfffe
	v_cndmask_b32_e32 v41, v41, v3, vcc_lo
	s_cselect_b32 vcc_lo, -1, 0
	s_cmp_lg_u32 s69, s6
	s_wait_alu 0xfffe
	s_delay_alu instid0(VALU_DEP_1)
	v_cndmask_b32_e32 v41, v41, v4, vcc_lo
	v_add_co_u32 v27, vcc_lo, v27, 4
	s_wait_alu 0xfffd
	v_add_co_ci_u32_e64 v28, null, 0, v28, vcc_lo
	s_wait_loadcnt_dscnt 0x0
	v_fmac_f32_e32 v39, v41, v40
	s_cbranch_scc1 .LBB228_82
.LBB228_83:                             ;   in Loop: Header=BB228_66 Depth=2
	s_or_b32 exec_lo, exec_lo, s11
	s_wait_alu 0xfffe
	s_or_b32 exec_lo, exec_lo, s9
	s_and_saveexec_b32 s6, s1
	s_cbranch_execnz .LBB228_69
	s_branch .LBB228_70
.LBB228_84:                             ;   in Loop: Header=BB228_66 Depth=2
	ds_load_b32 v27, v29
	s_wait_alu 0xfffe
	s_or_b32 exec_lo, exec_lo, s6
	s_and_saveexec_b32 s6, s1
	s_cbranch_execz .LBB228_74
.LBB228_85:                             ;   in Loop: Header=BB228_66 Depth=2
	s_wait_dscnt 0x0
	ds_bpermute_b32 v28, v36, v27
	s_wait_dscnt 0x0
	v_add_f32_e32 v27, v27, v28
	ds_bpermute_b32 v28, v37, v27
	s_wait_dscnt 0x0
	v_add_f32_e32 v27, v27, v28
	;; [unrolled: 3-line block ×3, first 2 shown]
	s_wait_alu 0xfffe
	s_or_b32 exec_lo, exec_lo, s6
	s_and_saveexec_b32 s6, s0
	s_cbranch_execz .LBB228_65
.LBB228_86:                             ;   in Loop: Header=BB228_66 Depth=2
	s_mul_u64 s[8:9], s[36:37], s[28:29]
	s_wait_dscnt 0x0
	v_mul_f32_e32 v27, v32, v27
	s_wait_alu 0xfffe
	s_lshl_b64 s[8:9], s[8:9], 2
	s_wait_alu 0xfffe
	s_add_nc_u64 s[8:9], s[54:55], s[8:9]
	global_store_b32 v0, v27, s[8:9]
	s_branch .LBB228_65
.LBB228_87:
	s_endpgm
	.section	.rodata,"a",@progbits
	.p2align	6, 0x0
	.amdhsa_kernel _ZL23rocblas_gemvt_sn_kernelILb1ELi256ELi4EiPKfS1_fEviiT4_lPKT3_lilS5_lilPT5_i
		.amdhsa_group_segment_fixed_size 128
		.amdhsa_private_segment_fixed_size 0
		.amdhsa_kernarg_size 360
		.amdhsa_user_sgpr_count 2
		.amdhsa_user_sgpr_dispatch_ptr 0
		.amdhsa_user_sgpr_queue_ptr 0
		.amdhsa_user_sgpr_kernarg_segment_ptr 1
		.amdhsa_user_sgpr_dispatch_id 0
		.amdhsa_user_sgpr_private_segment_size 0
		.amdhsa_wavefront_size32 1
		.amdhsa_uses_dynamic_stack 0
		.amdhsa_enable_private_segment 0
		.amdhsa_system_sgpr_workgroup_id_x 1
		.amdhsa_system_sgpr_workgroup_id_y 0
		.amdhsa_system_sgpr_workgroup_id_z 1
		.amdhsa_system_sgpr_workgroup_info 0
		.amdhsa_system_vgpr_workitem_id 0
		.amdhsa_next_free_vgpr 58
		.amdhsa_next_free_sgpr 74
		.amdhsa_reserve_vcc 1
		.amdhsa_float_round_mode_32 0
		.amdhsa_float_round_mode_16_64 0
		.amdhsa_float_denorm_mode_32 3
		.amdhsa_float_denorm_mode_16_64 3
		.amdhsa_fp16_overflow 0
		.amdhsa_workgroup_processor_mode 1
		.amdhsa_memory_ordered 1
		.amdhsa_forward_progress 1
		.amdhsa_inst_pref_size 36
		.amdhsa_round_robin_scheduling 0
		.amdhsa_exception_fp_ieee_invalid_op 0
		.amdhsa_exception_fp_denorm_src 0
		.amdhsa_exception_fp_ieee_div_zero 0
		.amdhsa_exception_fp_ieee_overflow 0
		.amdhsa_exception_fp_ieee_underflow 0
		.amdhsa_exception_fp_ieee_inexact 0
		.amdhsa_exception_int_div_zero 0
	.end_amdhsa_kernel
	.section	.text._ZL23rocblas_gemvt_sn_kernelILb1ELi256ELi4EiPKfS1_fEviiT4_lPKT3_lilS5_lilPT5_i,"axG",@progbits,_ZL23rocblas_gemvt_sn_kernelILb1ELi256ELi4EiPKfS1_fEviiT4_lPKT3_lilS5_lilPT5_i,comdat
.Lfunc_end228:
	.size	_ZL23rocblas_gemvt_sn_kernelILb1ELi256ELi4EiPKfS1_fEviiT4_lPKT3_lilS5_lilPT5_i, .Lfunc_end228-_ZL23rocblas_gemvt_sn_kernelILb1ELi256ELi4EiPKfS1_fEviiT4_lPKT3_lilS5_lilPT5_i
                                        ; -- End function
	.set _ZL23rocblas_gemvt_sn_kernelILb1ELi256ELi4EiPKfS1_fEviiT4_lPKT3_lilS5_lilPT5_i.num_vgpr, 58
	.set _ZL23rocblas_gemvt_sn_kernelILb1ELi256ELi4EiPKfS1_fEviiT4_lPKT3_lilS5_lilPT5_i.num_agpr, 0
	.set _ZL23rocblas_gemvt_sn_kernelILb1ELi256ELi4EiPKfS1_fEviiT4_lPKT3_lilS5_lilPT5_i.numbered_sgpr, 74
	.set _ZL23rocblas_gemvt_sn_kernelILb1ELi256ELi4EiPKfS1_fEviiT4_lPKT3_lilS5_lilPT5_i.num_named_barrier, 0
	.set _ZL23rocblas_gemvt_sn_kernelILb1ELi256ELi4EiPKfS1_fEviiT4_lPKT3_lilS5_lilPT5_i.private_seg_size, 0
	.set _ZL23rocblas_gemvt_sn_kernelILb1ELi256ELi4EiPKfS1_fEviiT4_lPKT3_lilS5_lilPT5_i.uses_vcc, 1
	.set _ZL23rocblas_gemvt_sn_kernelILb1ELi256ELi4EiPKfS1_fEviiT4_lPKT3_lilS5_lilPT5_i.uses_flat_scratch, 1
	.set _ZL23rocblas_gemvt_sn_kernelILb1ELi256ELi4EiPKfS1_fEviiT4_lPKT3_lilS5_lilPT5_i.has_dyn_sized_stack, 0
	.set _ZL23rocblas_gemvt_sn_kernelILb1ELi256ELi4EiPKfS1_fEviiT4_lPKT3_lilS5_lilPT5_i.has_recursion, 0
	.set _ZL23rocblas_gemvt_sn_kernelILb1ELi256ELi4EiPKfS1_fEviiT4_lPKT3_lilS5_lilPT5_i.has_indirect_call, 0
	.section	.AMDGPU.csdata,"",@progbits
; Kernel info:
; codeLenInByte = 4572
; TotalNumSgprs: 76
; NumVgprs: 58
; ScratchSize: 0
; MemoryBound: 0
; FloatMode: 240
; IeeeMode: 1
; LDSByteSize: 128 bytes/workgroup (compile time only)
; SGPRBlocks: 0
; VGPRBlocks: 7
; NumSGPRsForWavesPerEU: 76
; NumVGPRsForWavesPerEU: 58
; Occupancy: 16
; WaveLimiterHint : 0
; COMPUTE_PGM_RSRC2:SCRATCH_EN: 0
; COMPUTE_PGM_RSRC2:USER_SGPR: 2
; COMPUTE_PGM_RSRC2:TRAP_HANDLER: 0
; COMPUTE_PGM_RSRC2:TGID_X_EN: 1
; COMPUTE_PGM_RSRC2:TGID_Y_EN: 0
; COMPUTE_PGM_RSRC2:TGID_Z_EN: 1
; COMPUTE_PGM_RSRC2:TIDIG_COMP_CNT: 0
	.section	.text._ZL23rocblas_gemvt_sn_kernelILb1ELi256ELi4ElPKfS1_fEviiT4_lPKT3_lilS5_lilPT5_i,"axG",@progbits,_ZL23rocblas_gemvt_sn_kernelILb1ELi256ELi4ElPKfS1_fEviiT4_lPKT3_lilS5_lilPT5_i,comdat
	.globl	_ZL23rocblas_gemvt_sn_kernelILb1ELi256ELi4ElPKfS1_fEviiT4_lPKT3_lilS5_lilPT5_i ; -- Begin function _ZL23rocblas_gemvt_sn_kernelILb1ELi256ELi4ElPKfS1_fEviiT4_lPKT3_lilS5_lilPT5_i
	.p2align	8
	.type	_ZL23rocblas_gemvt_sn_kernelILb1ELi256ELi4ElPKfS1_fEviiT4_lPKT3_lilS5_lilPT5_i,@function
_ZL23rocblas_gemvt_sn_kernelILb1ELi256ELi4ElPKfS1_fEviiT4_lPKT3_lilS5_lilPT5_i: ; @_ZL23rocblas_gemvt_sn_kernelILb1ELi256ELi4ElPKfS1_fEviiT4_lPKT3_lilS5_lilPT5_i
; %bb.0:
	s_load_b32 s33, s[0:1], 0x60
	s_lshr_b32 s10, ttmp7, 16
	s_wait_kmcnt 0x0
	s_cmp_ge_u32 s10, s33
	s_cbranch_scc1 .LBB229_87
; %bb.1:
	s_clause 0x6
	s_load_b32 s26, s[0:1], 0x28
	s_load_b32 s6, s[0:1], 0x48
	s_load_b64 s[28:29], s[0:1], 0x0
	s_load_b32 s30, s[0:1], 0x68
	s_load_b256 s[12:19], s[0:1], 0x8
	s_load_b128 s[20:23], s[0:1], 0x38
	s_load_b64 s[34:35], s[0:1], 0x58
	s_mov_b32 s25, 0
	v_cmp_eq_u32_e64 s0, 0, v0
	s_mov_b32 s31, s25
	v_and_b32_e32 v3, 31, v0
	v_cmp_gt_u32_e64 s5, 8, v0
	v_mbcnt_lo_u32_b32 v33, -1, 0
	s_mov_b32 s24, ttmp9
	s_delay_alu instid0(VALU_DEP_1)
	v_lshl_or_b32 v34, v33, 2, 64
	s_wait_kmcnt 0x0
	s_ashr_i32 s27, s26, 31
	s_ashr_i32 s7, s6, 31
	s_ashr_i32 s3, s29, 31
	s_mov_b32 s2, s29
	s_cmp_gt_i32 s29, 0
	s_mul_u64 s[36:37], s[2:3], s[30:31]
	s_cselect_b32 s1, -1, 0
	s_lshl_b32 s2, ttmp9, 10
	s_ashr_i32 s4, s28, 31
	v_lshl_or_b32 v1, v0, 2, s2
	s_and_b32 s60, s0, s1
	s_lshr_b32 s1, s4, 30
	s_lshr_b32 s3, s3, 30
	s_add_co_i32 s1, s28, s1
	v_add_nc_u32_e32 v4, 4, v1
	s_and_b32 s1, s1, -4
	s_wait_alu 0xfffe
	s_add_co_i32 s2, s29, s3
	s_sub_co_i32 s62, s28, s1
	v_cmp_gt_u32_e64 s3, 32, v0
	v_add_nc_u32_e32 v5, s62, v1
	v_cmp_ge_i32_e64 s1, s28, v4
	v_lshrrev_b32_e32 v4, 3, v0
	v_or_b32_e32 v0, 1, v1
	s_wait_alu 0xfffe
	s_and_b32 s61, s2, -4
	v_cmp_ge_i32_e64 s2, s28, v5
	v_or_b32_e32 v5, 2, v1
	v_and_b32_e32 v32, 28, v4
	v_mad_co_i64_i32 v[9:10], null, s6, v0, 0
	v_or_b32_e32 v0, 3, v1
	s_delay_alu instid0(VALU_DEP_4) | instskip(SKIP_2) | instid1(VALU_DEP_3)
	v_mad_co_i64_i32 v[11:12], null, s6, v5, 0
	v_ashrrev_i32_e32 v2, 31, v1
	s_cmp_gt_i32 s61, 0
	v_mad_co_i64_i32 v[13:14], null, s6, v0, 0
	v_mov_b32_e32 v0, 0
	v_cmp_eq_u32_e64 s4, 0, v3
	v_lshlrev_b32_e32 v31, 2, v3
	v_mad_co_i64_i32 v[3:4], null, s6, v1, 0
	s_cselect_b32 s63, -1, 0
	s_cmp_gt_i32 s62, 0
	v_lshlrev_b64_e32 v[7:8], 2, v[1:2]
	v_lshlrev_b64_e32 v[9:10], 2, v[9:10]
	v_lshlrev_b64_e32 v[11:12], 2, v[11:12]
	v_lshlrev_b64_e32 v[13:14], 2, v[13:14]
	v_lshlrev_b64_e32 v[5:6], 2, v[3:4]
	s_cselect_b32 s64, -1, 0
	s_lshl_b64 s[38:39], s[24:25], 2
	s_lshl_b64 s[42:43], s[36:37], 2
	s_add_nc_u64 s[40:41], s[34:35], s[38:39]
	s_lshl_b64 s[44:45], s[30:31], 2
	s_lshl_b64 s[46:47], s[6:7], 2
	s_mul_u64 s[48:49], s[26:27], 12
	s_lshl_b64 s[50:51], s[26:27], 4
	s_lshl_b64 s[52:53], s[26:27], 3
	;; [unrolled: 1-line block ×5, first 2 shown]
	s_branch .LBB229_3
.LBB229_2:                              ;   in Loop: Header=BB229_3 Depth=1
	s_add_co_i32 s10, s10, 0x10000
	s_delay_alu instid0(SALU_CYCLE_1)
	s_cmp_lt_u32 s10, s33
	s_cbranch_scc0 .LBB229_87
.LBB229_3:                              ; =>This Loop Header: Depth=1
                                        ;     Child Loop BB229_10 Depth 2
                                        ;     Child Loop BB229_16 Depth 2
                                        ;       Child Loop BB229_47 Depth 3
                                        ;       Child Loop BB229_50 Depth 3
                                        ;     Child Loop BB229_66 Depth 2
                                        ;       Child Loop BB229_79 Depth 3
                                        ;       Child Loop BB229_82 Depth 3
	s_mov_b32 s11, s25
	v_mov_b32_e32 v17, 0
	s_mul_u64 s[6:7], s[14:15], s[10:11]
	v_dual_mov_b32 v18, 0 :: v_dual_mov_b32 v1, 0
	s_wait_alu 0xfffe
	s_lshl_b64 s[6:7], s[6:7], 2
	v_mov_b32_e32 v2, 0
	s_wait_alu 0xfffe
	s_add_nc_u64 s[6:7], s[12:13], s[6:7]
	global_load_b32 v35, v0, s[6:7]
	s_wait_loadcnt 0x0
	v_cmp_eq_f32_e64 s6, 0, v35
	v_cmp_neq_f32_e64 s7, 0, v35
	s_wait_alu 0xfffe
	s_and_b32 vcc_lo, exec_lo, s6
	s_wait_alu 0xfffe
	s_cbranch_vccnz .LBB229_5
; %bb.4:                                ;   in Loop: Header=BB229_3 Depth=1
	s_lshl_b64 s[8:9], s[10:11], 3
	s_wait_alu 0xfffe
	s_add_nc_u64 s[8:9], s[16:17], s[8:9]
	global_load_b64 v[1:2], v0, s[8:9]
	s_wait_loadcnt 0x0
	v_add_co_u32 v1, vcc_lo, v1, s18
	s_wait_alu 0xfffd
	v_add_co_ci_u32_e64 v2, null, s19, v2, vcc_lo
.LBB229_5:                              ;   in Loop: Header=BB229_3 Depth=1
	s_and_not1_b32 vcc_lo, exec_lo, s7
	s_wait_alu 0xfffe
	s_cbranch_vccnz .LBB229_7
; %bb.6:                                ;   in Loop: Header=BB229_3 Depth=1
	s_lshl_b64 s[8:9], s[10:11], 3
	s_wait_alu 0xfffe
	s_add_nc_u64 s[8:9], s[20:21], s[8:9]
	global_load_b64 v[3:4], v0, s[8:9]
	s_wait_loadcnt 0x0
	v_add_co_u32 v17, vcc_lo, v3, s22
	s_wait_alu 0xfffd
	v_add_co_ci_u32_e64 v18, null, s23, v4, vcc_lo
.LBB229_7:                              ;   in Loop: Header=BB229_3 Depth=1
	s_and_not1_b32 vcc_lo, exec_lo, s6
	s_mov_b32 s6, -1
	s_wait_alu 0xfffe
	s_cbranch_vccnz .LBB229_12
; %bb.8:                                ;   in Loop: Header=BB229_3 Depth=1
	s_and_saveexec_b32 s8, s60
	s_cbranch_execz .LBB229_11
; %bb.9:                                ;   in Loop: Header=BB229_3 Depth=1
	s_mul_u64 s[6:7], s[42:43], s[10:11]
	s_mov_b32 s9, s29
	s_wait_alu 0xfffe
	s_add_nc_u64 s[6:7], s[40:41], s[6:7]
.LBB229_10:                             ;   Parent Loop BB229_3 Depth=1
                                        ; =>  This Inner Loop Header: Depth=2
	s_add_co_i32 s9, s9, -1
	global_store_b32 v0, v0, s[6:7]
	s_wait_alu 0xfffe
	s_cmp_eq_u32 s9, 0
	s_add_nc_u64 s[6:7], s[6:7], s[44:45]
	s_cbranch_scc0 .LBB229_10
.LBB229_11:                             ;   in Loop: Header=BB229_3 Depth=1
	s_wait_alu 0xfffe
	s_or_b32 exec_lo, exec_lo, s8
	s_mov_b32 s6, 0
.LBB229_12:                             ;   in Loop: Header=BB229_3 Depth=1
	s_wait_alu 0xfffe
	s_and_not1_b32 vcc_lo, exec_lo, s6
	s_wait_alu 0xfffe
	s_cbranch_vccnz .LBB229_2
; %bb.13:                               ;   in Loop: Header=BB229_3 Depth=1
	s_mul_u64 s[6:7], s[36:37], s[10:11]
	v_add_co_u32 v15, vcc_lo, v1, v7
	s_wait_alu 0xfffe
	s_lshl_b64 s[56:57], s[6:7], 2
	s_wait_alu 0xfffd
	v_add_co_ci_u32_e64 v16, null, v2, v8, vcc_lo
	v_cmp_gt_u32_e64 s9, 24, v33
	v_cmp_gt_u32_e64 s8, 28, v33
	;; [unrolled: 1-line block ×3, first 2 shown]
	v_cmp_ne_u32_e64 s6, 31, v33
	s_add_nc_u64 s[56:57], s[34:35], s[56:57]
	s_and_not1_b32 vcc_lo, exec_lo, s63
	s_add_nc_u64 s[56:57], s[56:57], s[38:39]
	s_wait_alu 0xfffe
	s_cbranch_vccnz .LBB229_62
; %bb.14:                               ;   in Loop: Header=BB229_3 Depth=1
	v_cndmask_b32_e64 v3, 0, 2, s7
	v_add_co_u32 v19, vcc_lo, v17, v5
	v_cndmask_b32_e64 v1, 0, 8, s9
	v_cndmask_b32_e64 v2, 0, 4, s8
	v_add_co_ci_u32_e64 v4, null, 0, v33, s6
	v_add_lshl_u32 v38, v3, v33, 2
	s_wait_alu 0xfffd
	v_add_co_ci_u32_e64 v20, null, v18, v6, vcc_lo
	v_add_co_u32 v21, vcc_lo, v17, v9
	v_mov_b32_e32 v3, v0
	s_wait_alu 0xfffd
	v_add_co_ci_u32_e64 v22, null, v18, v10, vcc_lo
	v_add_co_u32 v23, vcc_lo, v17, v11
	v_add_lshl_u32 v36, v1, v33, 2
	v_add_lshl_u32 v37, v2, v33, 2
	v_dual_mov_b32 v2, v0 :: v_dual_lshlrev_b32 v39, 2, v4
	s_wait_alu 0xfffd
	v_add_co_ci_u32_e64 v24, null, v18, v12, vcc_lo
	s_wait_dscnt 0x0
	v_dual_mov_b32 v1, v0 :: v_dual_mov_b32 v28, v16
	v_add_co_u32 v25, vcc_lo, v17, v13
	v_dual_mov_b32 v27, v15 :: v_dual_mov_b32 v4, v3
	s_wait_alu 0xfffd
	v_add_co_ci_u32_e64 v26, null, v18, v14, vcc_lo
	v_mov_b32_e32 v3, v2
	v_mov_b32_e32 v2, v1
	v_mov_b32_e32 v1, v0
	s_mov_b32 s24, 0
	s_branch .LBB229_16
.LBB229_15:                             ;   in Loop: Header=BB229_16 Depth=2
	s_wait_alu 0xfffe
	s_or_b32 exec_lo, exec_lo, s6
	v_add_co_u32 v27, vcc_lo, v27, s50
	s_wait_alu 0xfffd
	v_add_co_ci_u32_e64 v28, null, s51, v28, vcc_lo
	s_add_co_i32 s24, s24, 4
	s_wait_alu 0xfffe
	s_cmp_ge_i32 s24, s61
	s_cbranch_scc1 .LBB229_63
.LBB229_16:                             ;   Parent Loop BB229_3 Depth=1
                                        ; =>  This Loop Header: Depth=2
                                        ;       Child Loop BB229_47 Depth 3
                                        ;       Child Loop BB229_50 Depth 3
                                        ; implicit-def: $vgpr40
                                        ; implicit-def: $vgpr41
                                        ; implicit-def: $vgpr42
                                        ; implicit-def: $vgpr43
	s_and_saveexec_b32 s6, s1
	s_wait_alu 0xfffe
	s_xor_b32 s6, exec_lo, s6
	s_cbranch_execnz .LBB229_43
; %bb.17:                               ;   in Loop: Header=BB229_16 Depth=2
	s_wait_alu 0xfffe
	s_and_not1_saveexec_b32 s11, s6
	s_cbranch_execnz .LBB229_44
.LBB229_18:                             ;   in Loop: Header=BB229_16 Depth=2
	s_or_b32 exec_lo, exec_lo, s11
	s_and_saveexec_b32 s6, s3
.LBB229_19:                             ;   in Loop: Header=BB229_16 Depth=2
	ds_store_b32 v31, v0
.LBB229_20:                             ;   in Loop: Header=BB229_16 Depth=2
	s_wait_alu 0xfffe
	s_or_b32 exec_lo, exec_lo, s6
	ds_bpermute_b32 v29, v34, v43
	s_wait_storecnt_dscnt 0x0
	s_barrier_signal -1
	s_barrier_wait -1
	global_inv scope:SCOPE_SE
	v_add_f32_e32 v29, v43, v29
	ds_bpermute_b32 v30, v36, v29
	s_wait_dscnt 0x0
	v_add_f32_e32 v29, v29, v30
	ds_bpermute_b32 v30, v37, v29
	s_wait_dscnt 0x0
	v_add_f32_e32 v29, v29, v30
	ds_bpermute_b32 v30, v38, v29
	s_wait_dscnt 0x0
	v_add_f32_e32 v29, v29, v30
	ds_bpermute_b32 v30, v39, v29
	s_and_saveexec_b32 s6, s4
	s_cbranch_execz .LBB229_22
; %bb.21:                               ;   in Loop: Header=BB229_16 Depth=2
	s_wait_dscnt 0x0
	v_add_f32_e32 v29, v29, v30
	ds_store_b32 v32, v29
.LBB229_22:                             ;   in Loop: Header=BB229_16 Depth=2
	s_wait_alu 0xfffe
	s_or_b32 exec_lo, exec_lo, s6
	v_mov_b32_e32 v29, 0
	s_wait_loadcnt_dscnt 0x0
	s_barrier_signal -1
	s_barrier_wait -1
	global_inv scope:SCOPE_SE
	s_and_saveexec_b32 s6, s5
	s_cbranch_execnz .LBB229_51
; %bb.23:                               ;   in Loop: Header=BB229_16 Depth=2
	s_wait_alu 0xfffe
	s_or_b32 exec_lo, exec_lo, s6
	s_and_saveexec_b32 s6, s3
	s_cbranch_execnz .LBB229_52
.LBB229_24:                             ;   in Loop: Header=BB229_16 Depth=2
	s_wait_alu 0xfffe
	s_or_b32 exec_lo, exec_lo, s6
	s_and_saveexec_b32 s6, s3
.LBB229_25:                             ;   in Loop: Header=BB229_16 Depth=2
	ds_store_b32 v31, v0
.LBB229_26:                             ;   in Loop: Header=BB229_16 Depth=2
	s_wait_alu 0xfffe
	s_or_b32 exec_lo, exec_lo, s6
	ds_bpermute_b32 v30, v34, v42
	s_wait_loadcnt_dscnt 0x0
	s_barrier_signal -1
	s_barrier_wait -1
	global_inv scope:SCOPE_SE
	v_add_f32_e32 v30, v42, v30
	ds_bpermute_b32 v42, v36, v30
	s_wait_dscnt 0x0
	v_add_f32_e32 v30, v30, v42
	ds_bpermute_b32 v42, v37, v30
	s_wait_dscnt 0x0
	;; [unrolled: 3-line block ×3, first 2 shown]
	v_add_f32_e32 v30, v30, v42
	ds_bpermute_b32 v42, v39, v30
	s_and_saveexec_b32 s6, s4
	s_cbranch_execz .LBB229_28
; %bb.27:                               ;   in Loop: Header=BB229_16 Depth=2
	s_wait_dscnt 0x0
	v_add_f32_e32 v30, v30, v42
	ds_store_b32 v32, v30
.LBB229_28:                             ;   in Loop: Header=BB229_16 Depth=2
	s_wait_alu 0xfffe
	s_or_b32 exec_lo, exec_lo, s6
	v_mov_b32_e32 v30, 0
	s_wait_loadcnt_dscnt 0x0
	s_barrier_signal -1
	s_barrier_wait -1
	global_inv scope:SCOPE_SE
	s_and_saveexec_b32 s6, s5
	s_cbranch_execnz .LBB229_53
; %bb.29:                               ;   in Loop: Header=BB229_16 Depth=2
	s_wait_alu 0xfffe
	s_or_b32 exec_lo, exec_lo, s6
	s_and_saveexec_b32 s6, s3
	s_cbranch_execnz .LBB229_54
.LBB229_30:                             ;   in Loop: Header=BB229_16 Depth=2
	s_wait_alu 0xfffe
	s_or_b32 exec_lo, exec_lo, s6
	s_and_saveexec_b32 s6, s3
.LBB229_31:                             ;   in Loop: Header=BB229_16 Depth=2
	ds_store_b32 v31, v0
.LBB229_32:                             ;   in Loop: Header=BB229_16 Depth=2
	s_wait_alu 0xfffe
	s_or_b32 exec_lo, exec_lo, s6
	ds_bpermute_b32 v42, v34, v41
	s_wait_loadcnt_dscnt 0x0
	s_barrier_signal -1
	s_barrier_wait -1
	global_inv scope:SCOPE_SE
	v_add_f32_e32 v41, v41, v42
	ds_bpermute_b32 v42, v36, v41
	s_wait_dscnt 0x0
	v_add_f32_e32 v41, v41, v42
	ds_bpermute_b32 v42, v37, v41
	s_wait_dscnt 0x0
	;; [unrolled: 3-line block ×3, first 2 shown]
	v_add_f32_e32 v41, v41, v42
	ds_bpermute_b32 v42, v39, v41
	s_and_saveexec_b32 s6, s4
	s_cbranch_execz .LBB229_34
; %bb.33:                               ;   in Loop: Header=BB229_16 Depth=2
	s_wait_dscnt 0x0
	v_add_f32_e32 v41, v41, v42
	ds_store_b32 v32, v41
.LBB229_34:                             ;   in Loop: Header=BB229_16 Depth=2
	s_wait_alu 0xfffe
	s_or_b32 exec_lo, exec_lo, s6
	v_mov_b32_e32 v41, 0
	s_wait_loadcnt_dscnt 0x0
	s_barrier_signal -1
	s_barrier_wait -1
	global_inv scope:SCOPE_SE
	s_and_saveexec_b32 s6, s5
	s_cbranch_execnz .LBB229_55
; %bb.35:                               ;   in Loop: Header=BB229_16 Depth=2
	s_wait_alu 0xfffe
	s_or_b32 exec_lo, exec_lo, s6
	s_and_saveexec_b32 s6, s3
	s_cbranch_execnz .LBB229_56
.LBB229_36:                             ;   in Loop: Header=BB229_16 Depth=2
	s_wait_alu 0xfffe
	s_or_b32 exec_lo, exec_lo, s6
	s_and_saveexec_b32 s6, s3
.LBB229_37:                             ;   in Loop: Header=BB229_16 Depth=2
	ds_store_b32 v31, v0
.LBB229_38:                             ;   in Loop: Header=BB229_16 Depth=2
	s_wait_alu 0xfffe
	s_or_b32 exec_lo, exec_lo, s6
	ds_bpermute_b32 v42, v34, v40
	s_wait_loadcnt_dscnt 0x0
	s_barrier_signal -1
	s_barrier_wait -1
	global_inv scope:SCOPE_SE
	v_add_f32_e32 v40, v40, v42
	ds_bpermute_b32 v42, v36, v40
	s_wait_dscnt 0x0
	v_add_f32_e32 v40, v40, v42
	ds_bpermute_b32 v42, v37, v40
	s_wait_dscnt 0x0
	;; [unrolled: 3-line block ×3, first 2 shown]
	v_add_f32_e32 v40, v40, v42
	ds_bpermute_b32 v42, v39, v40
	s_and_saveexec_b32 s6, s4
	s_cbranch_execz .LBB229_40
; %bb.39:                               ;   in Loop: Header=BB229_16 Depth=2
	s_wait_dscnt 0x0
	v_add_f32_e32 v40, v40, v42
	ds_store_b32 v32, v40
.LBB229_40:                             ;   in Loop: Header=BB229_16 Depth=2
	s_wait_alu 0xfffe
	s_or_b32 exec_lo, exec_lo, s6
	v_mov_b32_e32 v40, 0
	s_wait_loadcnt_dscnt 0x0
	s_barrier_signal -1
	s_barrier_wait -1
	global_inv scope:SCOPE_SE
	s_and_saveexec_b32 s6, s5
	s_cbranch_execnz .LBB229_57
; %bb.41:                               ;   in Loop: Header=BB229_16 Depth=2
	s_wait_alu 0xfffe
	s_or_b32 exec_lo, exec_lo, s6
	s_and_saveexec_b32 s6, s3
	s_cbranch_execnz .LBB229_58
.LBB229_42:                             ;   in Loop: Header=BB229_16 Depth=2
	s_wait_alu 0xfffe
	s_or_b32 exec_lo, exec_lo, s6
	s_and_saveexec_b32 s6, s0
	s_cbranch_execz .LBB229_15
	s_branch .LBB229_59
.LBB229_43:                             ;   in Loop: Header=BB229_16 Depth=2
	s_mul_u64 s[8:9], s[24:25], s[26:27]
	s_or_b32 s58, s24, 1
	s_mov_b32 s59, s25
	s_wait_alu 0xfffe
	s_lshl_b64 s[8:9], s[8:9], 2
	s_mul_u64 s[58:59], s[58:59], s[26:27]
	s_wait_alu 0xfffe
	v_add_co_u32 v2, vcc_lo, v15, s8
	s_wait_alu 0xfffd
	v_add_co_ci_u32_e64 v3, null, s9, v16, vcc_lo
	s_lshl_b64 s[8:9], s[58:59], 2
	s_or_b32 s58, s24, 2
	s_mov_b32 s59, s25
	s_wait_alu 0xfffe
	v_add_co_u32 v29, vcc_lo, v15, s8
	s_wait_alu 0xfffd
	v_add_co_ci_u32_e64 v30, null, s9, v16, vcc_lo
	s_mul_u64 s[8:9], s[58:59], s[26:27]
	s_or_b32 s58, s24, 3
	s_wait_alu 0xfffe
	s_lshl_b64 s[8:9], s[8:9], 2
	s_mul_u64 s[58:59], s[58:59], s[26:27]
	s_wait_dscnt 0x0
	s_wait_alu 0xfffe
	v_add_co_u32 v40, vcc_lo, v15, s8
	s_wait_alu 0xfffd
	v_add_co_ci_u32_e64 v41, null, s9, v16, vcc_lo
	s_lshl_b64 s[8:9], s[58:59], 2
	s_wait_alu 0xfffe
	v_add_co_u32 v55, vcc_lo, v15, s8
	s_wait_alu 0xfffd
	v_add_co_ci_u32_e64 v56, null, s9, v16, vcc_lo
	flat_load_b32 v1, v[19:20]
	s_clause 0x3
	flat_load_b128 v[43:46], v[2:3]
	flat_load_b128 v[47:50], v[29:30]
	;; [unrolled: 1-line block ×4, first 2 shown]
	s_clause 0x2
	flat_load_b32 v2, v[21:22]
	flat_load_b32 v3, v[23:24]
	;; [unrolled: 1-line block ×3, first 2 shown]
	s_wait_loadcnt_dscnt 0x606
	v_fma_f32 v43, v1, v43, 0
	s_wait_loadcnt_dscnt 0x505
	v_fma_f32 v42, v1, v47, 0
	;; [unrolled: 2-line block ×4, first 2 shown]
	s_wait_loadcnt_dscnt 0x202
	v_fmac_f32_e32 v42, v2, v48
	v_fmac_f32_e32 v43, v2, v44
	s_delay_alu instid0(VALU_DEP_3) | instskip(SKIP_1) | instid1(VALU_DEP_3)
	v_fmac_f32_e32 v40, v2, v56
	s_wait_loadcnt_dscnt 0x101
	v_dual_fmac_f32 v41, v2, v52 :: v_dual_fmac_f32 v42, v3, v49
	s_delay_alu instid0(VALU_DEP_3) | instskip(NEXT) | instid1(VALU_DEP_3)
	v_fmac_f32_e32 v43, v3, v45
	v_fmac_f32_e32 v40, v3, v57
	s_wait_loadcnt_dscnt 0x0
	s_delay_alu instid0(VALU_DEP_3) | instskip(NEXT) | instid1(VALU_DEP_3)
	v_dual_fmac_f32 v41, v3, v53 :: v_dual_fmac_f32 v42, v4, v50
	v_fmac_f32_e32 v43, v4, v46
	s_delay_alu instid0(VALU_DEP_3) | instskip(NEXT) | instid1(VALU_DEP_3)
	v_fmac_f32_e32 v40, v4, v58
	v_fmac_f32_e32 v41, v4, v54
	s_and_not1_saveexec_b32 s11, s6
	s_cbranch_execz .LBB229_18
.LBB229_44:                             ;   in Loop: Header=BB229_16 Depth=2
	s_wait_dscnt 0x0
	v_dual_mov_b32 v40, 0 :: v_dual_mov_b32 v41, 0
	v_dual_mov_b32 v42, 0 :: v_dual_mov_b32 v43, 0
	s_and_saveexec_b32 s28, s2
	s_cbranch_execz .LBB229_61
; %bb.45:                               ;   in Loop: Header=BB229_16 Depth=2
	s_and_not1_b32 vcc_lo, exec_lo, s64
	s_wait_alu 0xfffe
	s_cbranch_vccnz .LBB229_48
; %bb.46:                               ;   in Loop: Header=BB229_16 Depth=2
	v_dual_mov_b32 v30, v20 :: v_dual_mov_b32 v29, v19
	s_mov_b64 s[58:59], 0
.LBB229_47:                             ;   Parent Loop BB229_3 Depth=1
                                        ;     Parent Loop BB229_16 Depth=2
                                        ; =>    This Inner Loop Header: Depth=3
	flat_load_b32 v40, v[29:30]
	s_cmp_eq_u32 s58, 3
	v_add_co_u32 v29, vcc_lo, v29, s46
	s_wait_alu 0xfffd
	v_add_co_ci_u32_e64 v30, null, s47, v30, vcc_lo
	s_cselect_b32 vcc_lo, -1, 0
	s_cmp_eq_u32 s58, 2
	s_cselect_b32 s6, -1, 0
	s_cmp_eq_u32 s58, 1
	s_cselect_b32 s7, -1, 0
	s_cmp_eq_u32 s58, 0
	s_add_nc_u64 s[58:59], s[58:59], 1
	s_cselect_b32 s8, -1, 0
	s_cmp_eq_u32 s62, s58
	s_wait_loadcnt_dscnt 0x0
	s_wait_alu 0xfffe
	v_cndmask_b32_e32 v4, v4, v40, vcc_lo
	v_cndmask_b32_e64 v3, v3, v40, s6
	v_cndmask_b32_e64 v2, v2, v40, s7
	;; [unrolled: 1-line block ×3, first 2 shown]
	s_cbranch_scc0 .LBB229_47
.LBB229_48:                             ;   in Loop: Header=BB229_16 Depth=2
	s_and_not1_b32 vcc_lo, exec_lo, s64
	s_wait_alu 0xfffe
	s_cbranch_vccnz .LBB229_60
; %bb.49:                               ;   in Loop: Header=BB229_16 Depth=2
	v_dual_mov_b32 v43, 0 :: v_dual_mov_b32 v30, v28
	v_dual_mov_b32 v29, v27 :: v_dual_mov_b32 v42, 0
	;; [unrolled: 1-line block ×3, first 2 shown]
	s_mov_b64 s[8:9], 0
.LBB229_50:                             ;   Parent Loop BB229_3 Depth=1
                                        ;     Parent Loop BB229_16 Depth=2
                                        ; =>    This Inner Loop Header: Depth=3
	s_delay_alu instid0(VALU_DEP_2)
	v_add_co_u32 v44, vcc_lo, v29, s54
	s_wait_alu 0xfffd
	v_add_co_ci_u32_e64 v45, null, s55, v30, vcc_lo
	v_add_co_u32 v46, vcc_lo, v29, s52
	s_wait_alu 0xfffd
	v_add_co_ci_u32_e64 v47, null, s53, v30, vcc_lo
	;; [unrolled: 3-line block ×3, first 2 shown]
	s_clause 0x3
	flat_load_b32 v50, v[29:30]
	flat_load_b32 v44, v[44:45]
	;; [unrolled: 1-line block ×4, first 2 shown]
	s_wait_alu 0xfffe
	s_cmp_eq_u32 s8, 1
	v_add_co_u32 v29, s6, v29, 4
	s_cselect_b32 vcc_lo, -1, 0
	s_cmp_eq_u32 s8, 2
	s_wait_alu 0xfffe
	v_cndmask_b32_e32 v47, v1, v2, vcc_lo
	s_cselect_b32 vcc_lo, -1, 0
	s_cmp_eq_u32 s8, 3
	v_add_co_ci_u32_e64 v30, null, 0, v30, s6
	s_wait_alu 0xfffe
	v_cndmask_b32_e32 v47, v47, v3, vcc_lo
	s_cselect_b32 vcc_lo, -1, 0
	s_add_nc_u64 s[8:9], s[8:9], 1
	s_wait_alu 0xfffe
	s_cmp_lg_u32 s62, s8
	v_cndmask_b32_e32 v47, v47, v4, vcc_lo
	s_wait_loadcnt_dscnt 0x303
	s_delay_alu instid0(VALU_DEP_1)
	v_fmac_f32_e32 v43, v47, v50
	s_wait_loadcnt_dscnt 0x202
	v_fmac_f32_e32 v42, v47, v44
	s_wait_loadcnt_dscnt 0x101
	;; [unrolled: 2-line block ×3, first 2 shown]
	v_fmac_f32_e32 v40, v47, v46
	s_cbranch_scc1 .LBB229_50
	s_branch .LBB229_61
.LBB229_51:                             ;   in Loop: Header=BB229_16 Depth=2
	ds_load_b32 v29, v31
	s_wait_alu 0xfffe
	s_or_b32 exec_lo, exec_lo, s6
	s_and_saveexec_b32 s6, s3
	s_cbranch_execz .LBB229_24
.LBB229_52:                             ;   in Loop: Header=BB229_16 Depth=2
	s_wait_dscnt 0x0
	ds_bpermute_b32 v30, v37, v29
	s_wait_dscnt 0x0
	v_add_f32_e32 v29, v29, v30
	ds_bpermute_b32 v30, v38, v29
	s_wait_dscnt 0x0
	v_add_f32_e32 v29, v29, v30
	ds_bpermute_b32 v30, v39, v29
	s_wait_dscnt 0x0
	v_add_f32_e32 v29, v29, v30
	s_wait_alu 0xfffe
	s_or_b32 exec_lo, exec_lo, s6
	s_and_saveexec_b32 s6, s3
	s_cbranch_execnz .LBB229_25
	s_branch .LBB229_26
.LBB229_53:                             ;   in Loop: Header=BB229_16 Depth=2
	ds_load_b32 v30, v31
	s_wait_alu 0xfffe
	s_or_b32 exec_lo, exec_lo, s6
	s_and_saveexec_b32 s6, s3
	s_cbranch_execz .LBB229_30
.LBB229_54:                             ;   in Loop: Header=BB229_16 Depth=2
	s_wait_dscnt 0x0
	ds_bpermute_b32 v42, v37, v30
	s_wait_dscnt 0x0
	v_add_f32_e32 v30, v30, v42
	ds_bpermute_b32 v42, v38, v30
	s_wait_dscnt 0x0
	v_add_f32_e32 v30, v30, v42
	;; [unrolled: 3-line block ×3, first 2 shown]
	s_wait_alu 0xfffe
	s_or_b32 exec_lo, exec_lo, s6
	s_and_saveexec_b32 s6, s3
	s_cbranch_execnz .LBB229_31
	s_branch .LBB229_32
.LBB229_55:                             ;   in Loop: Header=BB229_16 Depth=2
	ds_load_b32 v41, v31
	s_wait_alu 0xfffe
	s_or_b32 exec_lo, exec_lo, s6
	s_and_saveexec_b32 s6, s3
	s_cbranch_execz .LBB229_36
.LBB229_56:                             ;   in Loop: Header=BB229_16 Depth=2
	s_wait_dscnt 0x0
	ds_bpermute_b32 v42, v37, v41
	s_wait_dscnt 0x0
	v_add_f32_e32 v41, v41, v42
	ds_bpermute_b32 v42, v38, v41
	s_wait_dscnt 0x0
	v_add_f32_e32 v41, v41, v42
	;; [unrolled: 3-line block ×3, first 2 shown]
	s_wait_alu 0xfffe
	s_or_b32 exec_lo, exec_lo, s6
	s_and_saveexec_b32 s6, s3
	s_cbranch_execnz .LBB229_37
	s_branch .LBB229_38
.LBB229_57:                             ;   in Loop: Header=BB229_16 Depth=2
	ds_load_b32 v40, v31
	s_wait_alu 0xfffe
	s_or_b32 exec_lo, exec_lo, s6
	s_and_saveexec_b32 s6, s3
	s_cbranch_execz .LBB229_42
.LBB229_58:                             ;   in Loop: Header=BB229_16 Depth=2
	s_wait_dscnt 0x0
	ds_bpermute_b32 v42, v37, v40
	s_wait_dscnt 0x0
	v_add_f32_e32 v40, v40, v42
	ds_bpermute_b32 v42, v38, v40
	s_wait_dscnt 0x0
	v_add_f32_e32 v40, v40, v42
	;; [unrolled: 3-line block ×3, first 2 shown]
	s_wait_alu 0xfffe
	s_or_b32 exec_lo, exec_lo, s6
	s_and_saveexec_b32 s6, s0
	s_cbranch_execz .LBB229_15
.LBB229_59:                             ;   in Loop: Header=BB229_16 Depth=2
	s_mul_u64 s[8:9], s[24:25], s[30:31]
	v_mul_f32_e32 v29, v35, v29
	s_or_b32 s58, s24, 1
	s_mov_b32 s59, s25
	s_wait_alu 0xfffe
	s_lshl_b64 s[8:9], s[8:9], 2
	s_mul_u64 s[58:59], s[58:59], s[30:31]
	s_wait_alu 0xfffe
	s_add_nc_u64 s[8:9], s[56:57], s[8:9]
	v_mul_f32_e32 v30, v35, v30
	s_or_b32 s66, s24, 2
	s_mov_b32 s67, s25
	global_store_b32 v0, v29, s[8:9]
	s_lshl_b64 s[8:9], s[58:59], 2
	s_mul_u64 s[58:59], s[66:67], s[30:31]
	s_or_b32 s66, s24, 3
	s_wait_alu 0xfffe
	s_add_nc_u64 s[8:9], s[56:57], s[8:9]
	s_mul_u64 s[66:67], s[66:67], s[30:31]
	v_mul_f32_e32 v29, v35, v41
	global_store_b32 v0, v30, s[8:9]
	s_lshl_b64 s[8:9], s[58:59], 2
	s_wait_dscnt 0x0
	v_mul_f32_e32 v30, v35, v40
	s_lshl_b64 s[58:59], s[66:67], 2
	s_wait_alu 0xfffe
	s_add_nc_u64 s[8:9], s[56:57], s[8:9]
	s_add_nc_u64 s[58:59], s[56:57], s[58:59]
	s_clause 0x1
	global_store_b32 v0, v29, s[8:9]
	global_store_b32 v0, v30, s[58:59]
	s_branch .LBB229_15
.LBB229_60:                             ;   in Loop: Header=BB229_16 Depth=2
	v_dual_mov_b32 v40, 0 :: v_dual_mov_b32 v41, 0
	v_dual_mov_b32 v42, 0 :: v_dual_mov_b32 v43, 0
.LBB229_61:                             ;   in Loop: Header=BB229_16 Depth=2
	s_wait_alu 0xfffe
	s_or_b32 exec_lo, exec_lo, s28
	s_delay_alu instid0(SALU_CYCLE_1)
	s_or_b32 exec_lo, exec_lo, s11
	s_and_saveexec_b32 s6, s3
	s_cbranch_execnz .LBB229_19
	s_branch .LBB229_20
.LBB229_62:                             ;   in Loop: Header=BB229_3 Depth=1
	v_mov_b32_e32 v3, v0
	v_dual_mov_b32 v1, v0 :: v_dual_mov_b32 v2, v0
	s_mov_b32 s24, 0
	s_delay_alu instid0(VALU_DEP_2) | instskip(NEXT) | instid1(VALU_DEP_2)
	v_mov_b32_e32 v4, v3
	v_mov_b32_e32 v3, v2
	s_delay_alu instid0(VALU_DEP_3)
	v_mov_b32_e32 v2, v1
	v_mov_b32_e32 v1, v0
.LBB229_63:                             ;   in Loop: Header=BB229_3 Depth=1
	s_wait_alu 0xfffe
	s_cmp_ge_i32 s24, s29
	s_cbranch_scc1 .LBB229_2
; %bb.64:                               ;   in Loop: Header=BB229_3 Depth=1
	v_cmp_gt_u32_e32 vcc_lo, 24, v33
	s_wait_alu 0xfffd
	v_cndmask_b32_e64 v19, 0, 8, vcc_lo
	v_cmp_gt_u32_e32 vcc_lo, 28, v33
	s_delay_alu instid0(VALU_DEP_2) | instskip(SKIP_4) | instid1(VALU_DEP_3)
	v_add_lshl_u32 v29, v19, v33, 2
	s_wait_alu 0xfffd
	v_cndmask_b32_e64 v21, 0, 4, vcc_lo
	v_cmp_gt_u32_e32 vcc_lo, 30, v33
	v_mad_co_u64_u32 v[19:20], null, s54, s24, v[15:16]
	v_add_lshl_u32 v30, v21, v33, 2
	s_wait_alu 0xfffd
	v_cndmask_b32_e64 v22, 0, 2, vcc_lo
	v_cmp_ne_u32_e32 vcc_lo, 31, v33
	s_delay_alu instid0(VALU_DEP_2)
	v_add_lshl_u32 v36, v22, v33, 2
	s_wait_alu 0xfffd
	v_add_co_ci_u32_e64 v23, null, 0, v33, vcc_lo
	v_add_co_u32 v21, vcc_lo, v17, v5
	s_wait_alu 0xfffd
	v_add_co_ci_u32_e64 v22, null, v18, v6, vcc_lo
	s_wait_dscnt 0x0
	s_delay_alu instid0(VALU_DEP_2)
	v_mad_co_u64_u32 v[27:28], null, s55, s24, v[20:21]
	v_lshlrev_b32_e32 v37, 2, v23
	v_add_co_u32 v23, vcc_lo, v17, v9
	s_wait_alu 0xfffd
	v_add_co_ci_u32_e64 v24, null, v18, v10, vcc_lo
	v_add_co_u32 v25, vcc_lo, v17, v11
	s_wait_alu 0xfffd
	v_add_co_ci_u32_e64 v26, null, v18, v12, vcc_lo
	;; [unrolled: 3-line block ×3, first 2 shown]
	v_mov_b32_e32 v20, v27
	s_branch .LBB229_66
.LBB229_65:                             ;   in Loop: Header=BB229_66 Depth=2
	s_wait_alu 0xfffe
	s_or_b32 exec_lo, exec_lo, s6
	v_add_co_u32 v19, vcc_lo, v19, s54
	s_wait_alu 0xfffd
	v_add_co_ci_u32_e64 v20, null, s55, v20, vcc_lo
	s_add_co_i32 s24, s24, 1
	s_wait_alu 0xfffe
	s_cmp_ge_i32 s24, s29
	s_cbranch_scc1 .LBB229_2
.LBB229_66:                             ;   Parent Loop BB229_3 Depth=1
                                        ; =>  This Loop Header: Depth=2
                                        ;       Child Loop BB229_79 Depth 3
                                        ;       Child Loop BB229_82 Depth 3
	v_mov_b32_e32 v38, s25
	s_and_saveexec_b32 s6, s1
	s_wait_alu 0xfffe
	s_xor_b32 s6, exec_lo, s6
	s_cbranch_execnz .LBB229_75
; %bb.67:                               ;   in Loop: Header=BB229_66 Depth=2
	s_wait_alu 0xfffe
	s_and_not1_saveexec_b32 s9, s6
	s_cbranch_execnz .LBB229_76
.LBB229_68:                             ;   in Loop: Header=BB229_66 Depth=2
	s_wait_alu 0xfffe
	s_or_b32 exec_lo, exec_lo, s9
	s_and_saveexec_b32 s6, s3
.LBB229_69:                             ;   in Loop: Header=BB229_66 Depth=2
	ds_store_b32 v31, v0
.LBB229_70:                             ;   in Loop: Header=BB229_66 Depth=2
	s_wait_alu 0xfffe
	s_or_b32 exec_lo, exec_lo, s6
	s_wait_dscnt 0x0
	ds_bpermute_b32 v27, v34, v38
	s_wait_storecnt 0x0
	s_wait_loadcnt_dscnt 0x0
	s_barrier_signal -1
	s_barrier_wait -1
	global_inv scope:SCOPE_SE
	v_add_f32_e32 v27, v38, v27
	ds_bpermute_b32 v28, v29, v27
	s_wait_dscnt 0x0
	v_add_f32_e32 v27, v27, v28
	ds_bpermute_b32 v28, v30, v27
	s_wait_dscnt 0x0
	;; [unrolled: 3-line block ×3, first 2 shown]
	v_add_f32_e32 v27, v27, v28
	ds_bpermute_b32 v28, v37, v27
	s_and_saveexec_b32 s6, s4
	s_cbranch_execz .LBB229_72
; %bb.71:                               ;   in Loop: Header=BB229_66 Depth=2
	s_wait_dscnt 0x0
	v_add_f32_e32 v27, v27, v28
	ds_store_b32 v32, v27
.LBB229_72:                             ;   in Loop: Header=BB229_66 Depth=2
	s_wait_alu 0xfffe
	s_or_b32 exec_lo, exec_lo, s6
	v_mov_b32_e32 v27, 0
	s_wait_loadcnt_dscnt 0x0
	s_barrier_signal -1
	s_barrier_wait -1
	global_inv scope:SCOPE_SE
	s_and_saveexec_b32 s6, s5
	s_cbranch_execnz .LBB229_84
; %bb.73:                               ;   in Loop: Header=BB229_66 Depth=2
	s_wait_alu 0xfffe
	s_or_b32 exec_lo, exec_lo, s6
	s_and_saveexec_b32 s6, s3
	s_cbranch_execnz .LBB229_85
.LBB229_74:                             ;   in Loop: Header=BB229_66 Depth=2
	s_wait_alu 0xfffe
	s_or_b32 exec_lo, exec_lo, s6
	s_and_saveexec_b32 s6, s0
	s_cbranch_execz .LBB229_65
	s_branch .LBB229_86
.LBB229_75:                             ;   in Loop: Header=BB229_66 Depth=2
	s_mul_u64 s[8:9], s[24:25], s[26:27]
	s_wait_alu 0xfffe
	s_lshl_b64 s[8:9], s[8:9], 2
	s_wait_alu 0xfffe
	v_add_co_u32 v1, vcc_lo, v15, s8
	s_wait_alu 0xfffd
	v_add_co_ci_u32_e64 v2, null, s9, v16, vcc_lo
	s_wait_dscnt 0x0
	flat_load_b128 v[38:41], v[1:2]
	s_clause 0x3
	flat_load_b32 v1, v[21:22]
	flat_load_b32 v2, v[23:24]
	;; [unrolled: 1-line block ×4, first 2 shown]
	s_wait_loadcnt_dscnt 0x303
	v_fma_f32 v38, v1, v38, 0
	s_wait_loadcnt_dscnt 0x202
	s_delay_alu instid0(VALU_DEP_1) | instskip(SKIP_1) | instid1(VALU_DEP_1)
	v_fmac_f32_e32 v38, v2, v39
	s_wait_loadcnt_dscnt 0x101
	v_fmac_f32_e32 v38, v3, v40
	s_wait_loadcnt_dscnt 0x0
	s_delay_alu instid0(VALU_DEP_1)
	v_fmac_f32_e32 v38, v4, v41
	s_and_not1_saveexec_b32 s9, s6
	s_cbranch_execz .LBB229_68
.LBB229_76:                             ;   in Loop: Header=BB229_66 Depth=2
	s_and_saveexec_b32 s11, s2
	s_cbranch_execz .LBB229_83
; %bb.77:                               ;   in Loop: Header=BB229_66 Depth=2
	s_and_not1_b32 vcc_lo, exec_lo, s64
	s_wait_alu 0xfffe
	s_cbranch_vccnz .LBB229_80
; %bb.78:                               ;   in Loop: Header=BB229_66 Depth=2
	s_wait_dscnt 0x0
	v_dual_mov_b32 v28, v22 :: v_dual_mov_b32 v27, v21
	s_mov_b64 s[58:59], 0
.LBB229_79:                             ;   Parent Loop BB229_3 Depth=1
                                        ;     Parent Loop BB229_66 Depth=2
                                        ; =>    This Inner Loop Header: Depth=3
	flat_load_b32 v39, v[27:28]
	s_cmp_eq_u32 s58, 3
	v_add_co_u32 v27, vcc_lo, v27, s46
	s_wait_alu 0xfffd
	v_add_co_ci_u32_e64 v28, null, s47, v28, vcc_lo
	s_cselect_b32 vcc_lo, -1, 0
	s_cmp_eq_u32 s58, 2
	s_cselect_b32 s6, -1, 0
	s_cmp_eq_u32 s58, 1
	s_cselect_b32 s7, -1, 0
	s_cmp_eq_u32 s58, 0
	s_add_nc_u64 s[58:59], s[58:59], 1
	s_cselect_b32 s8, -1, 0
	s_cmp_eq_u32 s62, s58
	s_wait_loadcnt_dscnt 0x0
	s_wait_alu 0xfffe
	v_cndmask_b32_e32 v4, v4, v39, vcc_lo
	v_cndmask_b32_e64 v3, v3, v39, s6
	v_cndmask_b32_e64 v2, v2, v39, s7
	;; [unrolled: 1-line block ×3, first 2 shown]
	s_cbranch_scc0 .LBB229_79
.LBB229_80:                             ;   in Loop: Header=BB229_66 Depth=2
	s_and_not1_b32 vcc_lo, exec_lo, s64
	s_wait_alu 0xfffe
	s_cbranch_vccnz .LBB229_83
; %bb.81:                               ;   in Loop: Header=BB229_66 Depth=2
	s_wait_dscnt 0x0
	v_dual_mov_b32 v28, v20 :: v_dual_mov_b32 v27, v19
	s_mov_b64 s[6:7], 0
.LBB229_82:                             ;   Parent Loop BB229_3 Depth=1
                                        ;     Parent Loop BB229_66 Depth=2
                                        ; =>    This Inner Loop Header: Depth=3
	flat_load_b32 v39, v[27:28]
	s_wait_alu 0xfffe
	s_cmp_eq_u32 s6, 1
	s_cselect_b32 vcc_lo, -1, 0
	s_cmp_eq_u32 s6, 2
	s_wait_dscnt 0x1
	s_wait_alu 0xfffe
	v_cndmask_b32_e32 v40, v1, v2, vcc_lo
	s_cselect_b32 vcc_lo, -1, 0
	s_cmp_eq_u32 s6, 3
	s_add_nc_u64 s[6:7], s[6:7], 1
	s_wait_alu 0xfffe
	v_cndmask_b32_e32 v40, v40, v3, vcc_lo
	s_cselect_b32 vcc_lo, -1, 0
	s_cmp_lg_u32 s62, s6
	s_wait_alu 0xfffe
	s_delay_alu instid0(VALU_DEP_1)
	v_cndmask_b32_e32 v40, v40, v4, vcc_lo
	v_add_co_u32 v27, vcc_lo, v27, 4
	s_wait_alu 0xfffd
	v_add_co_ci_u32_e64 v28, null, 0, v28, vcc_lo
	s_wait_loadcnt_dscnt 0x0
	v_fmac_f32_e32 v38, v40, v39
	s_cbranch_scc1 .LBB229_82
.LBB229_83:                             ;   in Loop: Header=BB229_66 Depth=2
	s_or_b32 exec_lo, exec_lo, s11
	s_wait_alu 0xfffe
	s_or_b32 exec_lo, exec_lo, s9
	s_and_saveexec_b32 s6, s3
	s_cbranch_execnz .LBB229_69
	s_branch .LBB229_70
.LBB229_84:                             ;   in Loop: Header=BB229_66 Depth=2
	ds_load_b32 v27, v31
	s_wait_alu 0xfffe
	s_or_b32 exec_lo, exec_lo, s6
	s_and_saveexec_b32 s6, s3
	s_cbranch_execz .LBB229_74
.LBB229_85:                             ;   in Loop: Header=BB229_66 Depth=2
	s_wait_dscnt 0x0
	ds_bpermute_b32 v28, v30, v27
	s_wait_dscnt 0x0
	v_add_f32_e32 v27, v27, v28
	ds_bpermute_b32 v28, v36, v27
	s_wait_dscnt 0x0
	v_add_f32_e32 v27, v27, v28
	;; [unrolled: 3-line block ×3, first 2 shown]
	s_wait_alu 0xfffe
	s_or_b32 exec_lo, exec_lo, s6
	s_and_saveexec_b32 s6, s0
	s_cbranch_execz .LBB229_65
.LBB229_86:                             ;   in Loop: Header=BB229_66 Depth=2
	s_mul_u64 s[8:9], s[24:25], s[30:31]
	s_wait_dscnt 0x0
	v_mul_f32_e32 v27, v35, v27
	s_wait_alu 0xfffe
	s_lshl_b64 s[8:9], s[8:9], 2
	s_wait_alu 0xfffe
	s_add_nc_u64 s[8:9], s[56:57], s[8:9]
	global_store_b32 v0, v27, s[8:9]
	s_branch .LBB229_65
.LBB229_87:
	s_endpgm
	.section	.rodata,"a",@progbits
	.p2align	6, 0x0
	.amdhsa_kernel _ZL23rocblas_gemvt_sn_kernelILb1ELi256ELi4ElPKfS1_fEviiT4_lPKT3_lilS5_lilPT5_i
		.amdhsa_group_segment_fixed_size 128
		.amdhsa_private_segment_fixed_size 0
		.amdhsa_kernarg_size 360
		.amdhsa_user_sgpr_count 2
		.amdhsa_user_sgpr_dispatch_ptr 0
		.amdhsa_user_sgpr_queue_ptr 0
		.amdhsa_user_sgpr_kernarg_segment_ptr 1
		.amdhsa_user_sgpr_dispatch_id 0
		.amdhsa_user_sgpr_private_segment_size 0
		.amdhsa_wavefront_size32 1
		.amdhsa_uses_dynamic_stack 0
		.amdhsa_enable_private_segment 0
		.amdhsa_system_sgpr_workgroup_id_x 1
		.amdhsa_system_sgpr_workgroup_id_y 0
		.amdhsa_system_sgpr_workgroup_id_z 1
		.amdhsa_system_sgpr_workgroup_info 0
		.amdhsa_system_vgpr_workitem_id 0
		.amdhsa_next_free_vgpr 59
		.amdhsa_next_free_sgpr 68
		.amdhsa_reserve_vcc 1
		.amdhsa_float_round_mode_32 0
		.amdhsa_float_round_mode_16_64 0
		.amdhsa_float_denorm_mode_32 3
		.amdhsa_float_denorm_mode_16_64 3
		.amdhsa_fp16_overflow 0
		.amdhsa_workgroup_processor_mode 1
		.amdhsa_memory_ordered 1
		.amdhsa_forward_progress 1
		.amdhsa_inst_pref_size 36
		.amdhsa_round_robin_scheduling 0
		.amdhsa_exception_fp_ieee_invalid_op 0
		.amdhsa_exception_fp_denorm_src 0
		.amdhsa_exception_fp_ieee_div_zero 0
		.amdhsa_exception_fp_ieee_overflow 0
		.amdhsa_exception_fp_ieee_underflow 0
		.amdhsa_exception_fp_ieee_inexact 0
		.amdhsa_exception_int_div_zero 0
	.end_amdhsa_kernel
	.section	.text._ZL23rocblas_gemvt_sn_kernelILb1ELi256ELi4ElPKfS1_fEviiT4_lPKT3_lilS5_lilPT5_i,"axG",@progbits,_ZL23rocblas_gemvt_sn_kernelILb1ELi256ELi4ElPKfS1_fEviiT4_lPKT3_lilS5_lilPT5_i,comdat
.Lfunc_end229:
	.size	_ZL23rocblas_gemvt_sn_kernelILb1ELi256ELi4ElPKfS1_fEviiT4_lPKT3_lilS5_lilPT5_i, .Lfunc_end229-_ZL23rocblas_gemvt_sn_kernelILb1ELi256ELi4ElPKfS1_fEviiT4_lPKT3_lilS5_lilPT5_i
                                        ; -- End function
	.set _ZL23rocblas_gemvt_sn_kernelILb1ELi256ELi4ElPKfS1_fEviiT4_lPKT3_lilS5_lilPT5_i.num_vgpr, 59
	.set _ZL23rocblas_gemvt_sn_kernelILb1ELi256ELi4ElPKfS1_fEviiT4_lPKT3_lilS5_lilPT5_i.num_agpr, 0
	.set _ZL23rocblas_gemvt_sn_kernelILb1ELi256ELi4ElPKfS1_fEviiT4_lPKT3_lilS5_lilPT5_i.numbered_sgpr, 68
	.set _ZL23rocblas_gemvt_sn_kernelILb1ELi256ELi4ElPKfS1_fEviiT4_lPKT3_lilS5_lilPT5_i.num_named_barrier, 0
	.set _ZL23rocblas_gemvt_sn_kernelILb1ELi256ELi4ElPKfS1_fEviiT4_lPKT3_lilS5_lilPT5_i.private_seg_size, 0
	.set _ZL23rocblas_gemvt_sn_kernelILb1ELi256ELi4ElPKfS1_fEviiT4_lPKT3_lilS5_lilPT5_i.uses_vcc, 1
	.set _ZL23rocblas_gemvt_sn_kernelILb1ELi256ELi4ElPKfS1_fEviiT4_lPKT3_lilS5_lilPT5_i.uses_flat_scratch, 1
	.set _ZL23rocblas_gemvt_sn_kernelILb1ELi256ELi4ElPKfS1_fEviiT4_lPKT3_lilS5_lilPT5_i.has_dyn_sized_stack, 0
	.set _ZL23rocblas_gemvt_sn_kernelILb1ELi256ELi4ElPKfS1_fEviiT4_lPKT3_lilS5_lilPT5_i.has_recursion, 0
	.set _ZL23rocblas_gemvt_sn_kernelILb1ELi256ELi4ElPKfS1_fEviiT4_lPKT3_lilS5_lilPT5_i.has_indirect_call, 0
	.section	.AMDGPU.csdata,"",@progbits
; Kernel info:
; codeLenInByte = 4508
; TotalNumSgprs: 70
; NumVgprs: 59
; ScratchSize: 0
; MemoryBound: 0
; FloatMode: 240
; IeeeMode: 1
; LDSByteSize: 128 bytes/workgroup (compile time only)
; SGPRBlocks: 0
; VGPRBlocks: 7
; NumSGPRsForWavesPerEU: 70
; NumVGPRsForWavesPerEU: 59
; Occupancy: 16
; WaveLimiterHint : 0
; COMPUTE_PGM_RSRC2:SCRATCH_EN: 0
; COMPUTE_PGM_RSRC2:USER_SGPR: 2
; COMPUTE_PGM_RSRC2:TRAP_HANDLER: 0
; COMPUTE_PGM_RSRC2:TGID_X_EN: 1
; COMPUTE_PGM_RSRC2:TGID_Y_EN: 0
; COMPUTE_PGM_RSRC2:TGID_Z_EN: 1
; COMPUTE_PGM_RSRC2:TIDIG_COMP_CNT: 0
	.section	.text._ZL23rocblas_gemvt_sn_kernelILb1ELi256ELi4EiPKfffEviiT4_lPKT3_lilS5_lilPT5_i,"axG",@progbits,_ZL23rocblas_gemvt_sn_kernelILb1ELi256ELi4EiPKfffEviiT4_lPKT3_lilS5_lilPT5_i,comdat
	.globl	_ZL23rocblas_gemvt_sn_kernelILb1ELi256ELi4EiPKfffEviiT4_lPKT3_lilS5_lilPT5_i ; -- Begin function _ZL23rocblas_gemvt_sn_kernelILb1ELi256ELi4EiPKfffEviiT4_lPKT3_lilS5_lilPT5_i
	.p2align	8
	.type	_ZL23rocblas_gemvt_sn_kernelILb1ELi256ELi4EiPKfffEviiT4_lPKT3_lilS5_lilPT5_i,@function
_ZL23rocblas_gemvt_sn_kernelILb1ELi256ELi4EiPKfffEviiT4_lPKT3_lilS5_lilPT5_i: ; @_ZL23rocblas_gemvt_sn_kernelILb1ELi256ELi4EiPKfffEviiT4_lPKT3_lilS5_lilPT5_i
; %bb.0:
	s_load_b32 s23, s[0:1], 0x60
	s_lshr_b32 s10, ttmp7, 16
	s_wait_kmcnt 0x0
	s_cmp_ge_u32 s10, s23
	s_cbranch_scc1 .LBB230_89
; %bb.1:
	s_clause 0x6
	s_load_b96 s[20:22], s[0:1], 0x0
	s_load_b128 s[12:15], s[0:1], 0x18
	s_load_b32 s26, s[0:1], 0x28
	s_load_b128 s[16:19], s[0:1], 0x38
	s_load_b32 s33, s[0:1], 0x48
	s_load_b64 s[28:29], s[0:1], 0x58
	s_load_b32 s30, s[0:1], 0x68
	s_mov_b32 s35, 0
	v_cmp_eq_u32_e64 s0, 0, v0
	s_mov_b32 s31, s35
	v_and_b32_e32 v1, 31, v0
	v_cmp_gt_u32_e64 s1, 32, v0
	v_cmp_gt_u32_e64 s2, 8, v0
	v_lshrrev_b32_e32 v2, 3, v0
	v_mbcnt_lo_u32_b32 v31, -1, 0
	v_cmp_eq_u32_e64 s3, 0, v1
	v_lshlrev_b32_e32 v29, 2, v1
	s_mov_b32 s24, ttmp9
	v_and_b32_e32 v30, 28, v2
	s_mov_b32 s25, s35
	s_wait_kmcnt 0x0
	s_cmp_neq_f32 s22, 0
	s_mov_b32 s4, s21
	s_mov_b32 s27, s35
	;; [unrolled: 1-line block ×3, first 2 shown]
	s_cselect_b32 s60, -1, 0
	s_cmp_eq_f32 s22, 0
	s_cselect_b32 s61, -1, 0
	s_ashr_i32 s5, s21, 31
	s_cmp_gt_i32 s21, 0
	s_mul_u64 s[36:37], s[4:5], s[30:31]
	s_cselect_b32 s4, -1, 0
	s_lshl_b32 s6, ttmp9, 10
	s_lshr_b32 s5, s5, 30
	v_lshl_or_b32 v0, v0, 2, s6
	s_ashr_i32 s7, s20, 31
	s_and_b32 s62, s0, s4
	s_add_co_i32 s4, s21, s5
	s_wait_alu 0xfffe
	s_lshr_b32 s5, s7, 30
	v_mul_lo_u32 v5, s33, v0
	s_and_b32 s63, s4, -4
	s_add_co_i32 s4, s20, s5
	v_add_nc_u32_e32 v3, 4, v0
	s_and_b32 s4, s4, -4
	v_ashrrev_i32_e32 v1, 31, v0
	s_sub_co_i32 s64, s20, s4
	s_cmp_gt_i32 s63, 0
	v_add_nc_u32_e32 v2, s33, v5
	v_cmp_ge_i32_e64 s4, s20, v3
	v_ashrrev_i32_e32 v6, 31, v5
	v_add_nc_u32_e32 v4, s64, v0
	s_cselect_b32 s65, -1, 0
	v_add_nc_u32_e32 v13, s33, v2
	v_ashrrev_i32_e32 v3, 31, v2
	s_cmp_gt_i32 s64, 0
	v_lshlrev_b64_e32 v[7:8], 2, v[0:1]
	s_cselect_b32 s66, -1, 0
	v_add_nc_u32_e32 v15, s33, v13
	v_ashrrev_i32_e32 v14, 31, v13
	s_lshl_b32 s34, s26, 1
	v_lshlrev_b64_e32 v[9:10], 2, v[5:6]
	v_lshlrev_b64_e32 v[11:12], 2, v[2:3]
	v_ashrrev_i32_e32 v16, 31, v15
	v_lshlrev_b64_e32 v[13:14], 2, v[13:14]
	v_cmp_ge_i32_e64 s5, s20, v4
	v_mov_b32_e32 v0, 0
	v_lshl_or_b32 v6, v31, 2, 64
	v_lshlrev_b64_e32 v[15:16], 2, v[15:16]
	s_mov_b64 s[42:43], s[34:35]
	s_mul_i32 s34, s26, 3
	s_lshl_b64 s[38:39], s[30:31], 2
	s_lshl_b32 s40, s26, 2
	s_mov_b64 s[44:45], s[34:35]
	s_lshl_b64 s[14:15], s[14:15], 2
	s_lshl_b64 s[18:19], s[18:19], 2
	;; [unrolled: 1-line block ×3, first 2 shown]
	s_branch .LBB230_3
.LBB230_2:                              ;   in Loop: Header=BB230_3 Depth=1
	s_add_co_i32 s10, s10, 0x10000
	s_delay_alu instid0(SALU_CYCLE_1)
	s_cmp_lt_u32 s10, s23
	s_cbranch_scc0 .LBB230_89
.LBB230_3:                              ; =>This Loop Header: Depth=1
                                        ;     Child Loop BB230_12 Depth 2
                                        ;     Child Loop BB230_18 Depth 2
                                        ;       Child Loop BB230_49 Depth 3
                                        ;       Child Loop BB230_52 Depth 3
                                        ;     Child Loop BB230_68 Depth 2
                                        ;       Child Loop BB230_81 Depth 3
                                        ;       Child Loop BB230_84 Depth 3
	s_mov_b32 s11, s35
	s_and_not1_b32 vcc_lo, exec_lo, s61
	s_mov_b32 s6, -1
	s_wait_alu 0xfffe
	s_cbranch_vccnz .LBB230_5
; %bb.4:                                ;   in Loop: Header=BB230_3 Depth=1
	s_mov_b32 s6, 0
.LBB230_5:                              ;   in Loop: Header=BB230_3 Depth=1
	v_mov_b32_e32 v17, 0
	v_dual_mov_b32 v18, 0 :: v_dual_mov_b32 v1, 0
	v_mov_b32_e32 v2, 0
	s_wait_alu 0xfffe
	s_and_not1_b32 vcc_lo, exec_lo, s6
	s_wait_alu 0xfffe
	s_cbranch_vccnz .LBB230_7
; %bb.6:                                ;   in Loop: Header=BB230_3 Depth=1
	s_lshl_b64 s[6:7], s[10:11], 3
	s_wait_alu 0xfffe
	s_add_nc_u64 s[6:7], s[12:13], s[6:7]
	global_load_b64 v[1:2], v0, s[6:7]
	s_wait_loadcnt 0x0
	v_add_co_u32 v1, vcc_lo, v1, s14
	s_wait_alu 0xfffd
	v_add_co_ci_u32_e64 v2, null, s15, v2, vcc_lo
.LBB230_7:                              ;   in Loop: Header=BB230_3 Depth=1
	s_and_not1_b32 vcc_lo, exec_lo, s60
	s_wait_alu 0xfffe
	s_cbranch_vccnz .LBB230_9
; %bb.8:                                ;   in Loop: Header=BB230_3 Depth=1
	s_lshl_b64 s[6:7], s[10:11], 3
	s_wait_alu 0xfffe
	s_add_nc_u64 s[6:7], s[16:17], s[6:7]
	global_load_b64 v[3:4], v0, s[6:7]
	s_wait_loadcnt 0x0
	v_add_co_u32 v17, vcc_lo, v3, s18
	s_wait_alu 0xfffd
	v_add_co_ci_u32_e64 v18, null, s19, v4, vcc_lo
.LBB230_9:                              ;   in Loop: Header=BB230_3 Depth=1
	s_mul_u64 s[6:7], s[36:37], s[10:11]
	s_and_not1_b32 vcc_lo, exec_lo, s61
	s_wait_alu 0xfffe
	s_lshl_b64 s[6:7], s[6:7], 2
	s_wait_alu 0xfffe
	s_add_nc_u64 s[48:49], s[28:29], s[6:7]
	s_mov_b32 s6, -1
	s_cbranch_vccnz .LBB230_14
; %bb.10:                               ;   in Loop: Header=BB230_3 Depth=1
	s_and_saveexec_b32 s8, s62
	s_cbranch_execz .LBB230_13
; %bb.11:                               ;   in Loop: Header=BB230_3 Depth=1
	s_add_nc_u64 s[6:7], s[48:49], s[46:47]
	s_mov_b32 s9, s21
.LBB230_12:                             ;   Parent Loop BB230_3 Depth=1
                                        ; =>  This Inner Loop Header: Depth=2
	s_wait_alu 0xfffe
	s_add_co_i32 s9, s9, -1
	global_store_b32 v0, v0, s[6:7]
	s_wait_alu 0xfffe
	s_cmp_eq_u32 s9, 0
	s_add_nc_u64 s[6:7], s[6:7], s[38:39]
	s_cbranch_scc0 .LBB230_12
.LBB230_13:                             ;   in Loop: Header=BB230_3 Depth=1
	s_wait_alu 0xfffe
	s_or_b32 exec_lo, exec_lo, s8
	s_mov_b32 s6, 0
.LBB230_14:                             ;   in Loop: Header=BB230_3 Depth=1
	s_wait_alu 0xfffe
	s_and_not1_b32 vcc_lo, exec_lo, s6
	s_wait_alu 0xfffe
	s_cbranch_vccnz .LBB230_2
; %bb.15:                               ;   in Loop: Header=BB230_3 Depth=1
	v_add_co_u32 v32, vcc_lo, v1, v7
	s_wait_alu 0xfffd
	v_add_co_ci_u32_e64 v33, null, v2, v8, vcc_lo
	v_cmp_gt_u32_e64 s9, 24, v31
	v_cmp_gt_u32_e64 s8, 28, v31
	;; [unrolled: 1-line block ×3, first 2 shown]
	v_cmp_ne_u32_e64 s6, 31, v31
	s_and_not1_b32 vcc_lo, exec_lo, s65
	s_wait_alu 0xfffe
	s_cbranch_vccnz .LBB230_64
; %bb.16:                               ;   in Loop: Header=BB230_3 Depth=1
	v_cndmask_b32_e64 v3, 0, 2, s7
	v_add_co_u32 v19, vcc_lo, v17, v9
	v_cndmask_b32_e64 v1, 0, 8, s9
	v_cndmask_b32_e64 v2, 0, 4, s8
	v_add_co_ci_u32_e64 v4, null, 0, v31, s6
	v_add_lshl_u32 v36, v3, v31, 2
	s_wait_alu 0xfffd
	v_add_co_ci_u32_e64 v20, null, v18, v10, vcc_lo
	v_add_co_u32 v21, vcc_lo, v17, v11
	v_mov_b32_e32 v3, v0
	s_wait_alu 0xfffd
	v_add_co_ci_u32_e64 v22, null, v18, v12, vcc_lo
	v_add_co_u32 v23, vcc_lo, v17, v13
	v_add_lshl_u32 v34, v1, v31, 2
	v_add_lshl_u32 v35, v2, v31, 2
	v_dual_mov_b32 v2, v0 :: v_dual_lshlrev_b32 v37, 2, v4
	s_wait_alu 0xfffd
	v_add_co_ci_u32_e64 v24, null, v18, v14, vcc_lo
	v_mov_b32_e32 v1, v0
	v_add_co_u32 v25, vcc_lo, v17, v15
	v_mov_b32_e32 v4, v3
	s_wait_alu 0xfffd
	v_add_co_ci_u32_e64 v26, null, v18, v16, vcc_lo
	v_mov_b32_e32 v3, v2
	v_mov_b32_e32 v2, v1
	;; [unrolled: 1-line block ×3, first 2 shown]
	s_mov_b32 s50, 0
	s_mov_b64 s[52:53], s[44:45]
	s_mov_b64 s[54:55], s[42:43]
	;; [unrolled: 1-line block ×3, first 2 shown]
	s_mov_b32 s11, 0
	s_branch .LBB230_18
.LBB230_17:                             ;   in Loop: Header=BB230_18 Depth=2
	s_wait_alu 0xfffe
	s_or_b32 exec_lo, exec_lo, s6
	s_add_co_i32 s11, s11, 4
	s_add_co_i32 s50, s50, s40
	s_add_nc_u64 s[56:57], s[56:57], s[40:41]
	s_add_nc_u64 s[54:55], s[54:55], s[40:41]
	s_cmp_ge_i32 s11, s63
	s_add_nc_u64 s[52:53], s[52:53], s[40:41]
	s_cbranch_scc1 .LBB230_65
.LBB230_18:                             ;   Parent Loop BB230_3 Depth=1
                                        ; =>  This Loop Header: Depth=2
                                        ;       Child Loop BB230_49 Depth 3
                                        ;       Child Loop BB230_52 Depth 3
                                        ; implicit-def: $vgpr38
                                        ; implicit-def: $vgpr39
                                        ; implicit-def: $vgpr40
                                        ; implicit-def: $vgpr41
	s_and_saveexec_b32 s6, s4
	s_wait_alu 0xfffe
	s_xor_b32 s6, exec_lo, s6
	s_cbranch_execnz .LBB230_45
; %bb.19:                               ;   in Loop: Header=BB230_18 Depth=2
	s_wait_alu 0xfffe
	s_and_not1_saveexec_b32 s20, s6
	s_cbranch_execnz .LBB230_46
.LBB230_20:                             ;   in Loop: Header=BB230_18 Depth=2
	s_wait_alu 0xfffe
	s_or_b32 exec_lo, exec_lo, s20
	s_and_saveexec_b32 s6, s1
.LBB230_21:                             ;   in Loop: Header=BB230_18 Depth=2
	ds_store_b32 v29, v0
.LBB230_22:                             ;   in Loop: Header=BB230_18 Depth=2
	s_wait_alu 0xfffe
	s_or_b32 exec_lo, exec_lo, s6
	s_wait_dscnt 0x0
	ds_bpermute_b32 v27, v6, v41
	s_wait_storecnt_dscnt 0x0
	s_barrier_signal -1
	s_barrier_wait -1
	global_inv scope:SCOPE_SE
	v_add_f32_e32 v27, v41, v27
	ds_bpermute_b32 v28, v34, v27
	s_wait_dscnt 0x0
	v_add_f32_e32 v27, v27, v28
	ds_bpermute_b32 v28, v35, v27
	s_wait_dscnt 0x0
	v_add_f32_e32 v27, v27, v28
	ds_bpermute_b32 v28, v36, v27
	s_wait_dscnt 0x0
	v_add_f32_e32 v27, v27, v28
	ds_bpermute_b32 v28, v37, v27
	s_and_saveexec_b32 s6, s3
	s_cbranch_execz .LBB230_24
; %bb.23:                               ;   in Loop: Header=BB230_18 Depth=2
	s_wait_dscnt 0x0
	v_add_f32_e32 v27, v27, v28
	ds_store_b32 v30, v27
.LBB230_24:                             ;   in Loop: Header=BB230_18 Depth=2
	s_wait_alu 0xfffe
	s_or_b32 exec_lo, exec_lo, s6
	v_mov_b32_e32 v27, 0
	s_wait_loadcnt_dscnt 0x0
	s_barrier_signal -1
	s_barrier_wait -1
	global_inv scope:SCOPE_SE
	s_and_saveexec_b32 s6, s2
	s_cbranch_execnz .LBB230_53
; %bb.25:                               ;   in Loop: Header=BB230_18 Depth=2
	s_wait_alu 0xfffe
	s_or_b32 exec_lo, exec_lo, s6
	s_and_saveexec_b32 s6, s1
	s_cbranch_execnz .LBB230_54
.LBB230_26:                             ;   in Loop: Header=BB230_18 Depth=2
	s_wait_alu 0xfffe
	s_or_b32 exec_lo, exec_lo, s6
	s_and_saveexec_b32 s6, s1
.LBB230_27:                             ;   in Loop: Header=BB230_18 Depth=2
	ds_store_b32 v29, v0
.LBB230_28:                             ;   in Loop: Header=BB230_18 Depth=2
	s_wait_alu 0xfffe
	s_or_b32 exec_lo, exec_lo, s6
	ds_bpermute_b32 v28, v6, v40
	s_wait_loadcnt_dscnt 0x0
	s_barrier_signal -1
	s_barrier_wait -1
	global_inv scope:SCOPE_SE
	v_add_f32_e32 v28, v40, v28
	ds_bpermute_b32 v40, v34, v28
	s_wait_dscnt 0x0
	v_add_f32_e32 v28, v28, v40
	ds_bpermute_b32 v40, v35, v28
	s_wait_dscnt 0x0
	;; [unrolled: 3-line block ×3, first 2 shown]
	v_add_f32_e32 v28, v28, v40
	ds_bpermute_b32 v40, v37, v28
	s_and_saveexec_b32 s6, s3
	s_cbranch_execz .LBB230_30
; %bb.29:                               ;   in Loop: Header=BB230_18 Depth=2
	s_wait_dscnt 0x0
	v_add_f32_e32 v28, v28, v40
	ds_store_b32 v30, v28
.LBB230_30:                             ;   in Loop: Header=BB230_18 Depth=2
	s_wait_alu 0xfffe
	s_or_b32 exec_lo, exec_lo, s6
	v_mov_b32_e32 v28, 0
	s_wait_loadcnt_dscnt 0x0
	s_barrier_signal -1
	s_barrier_wait -1
	global_inv scope:SCOPE_SE
	s_and_saveexec_b32 s6, s2
	s_cbranch_execnz .LBB230_55
; %bb.31:                               ;   in Loop: Header=BB230_18 Depth=2
	s_wait_alu 0xfffe
	s_or_b32 exec_lo, exec_lo, s6
	s_and_saveexec_b32 s6, s1
	s_cbranch_execnz .LBB230_56
.LBB230_32:                             ;   in Loop: Header=BB230_18 Depth=2
	s_wait_alu 0xfffe
	s_or_b32 exec_lo, exec_lo, s6
	s_and_saveexec_b32 s6, s1
.LBB230_33:                             ;   in Loop: Header=BB230_18 Depth=2
	ds_store_b32 v29, v0
.LBB230_34:                             ;   in Loop: Header=BB230_18 Depth=2
	s_wait_alu 0xfffe
	s_or_b32 exec_lo, exec_lo, s6
	ds_bpermute_b32 v40, v6, v39
	s_wait_loadcnt_dscnt 0x0
	s_barrier_signal -1
	s_barrier_wait -1
	global_inv scope:SCOPE_SE
	v_add_f32_e32 v39, v39, v40
	ds_bpermute_b32 v40, v34, v39
	s_wait_dscnt 0x0
	v_add_f32_e32 v39, v39, v40
	ds_bpermute_b32 v40, v35, v39
	s_wait_dscnt 0x0
	;; [unrolled: 3-line block ×3, first 2 shown]
	v_add_f32_e32 v39, v39, v40
	ds_bpermute_b32 v40, v37, v39
	s_and_saveexec_b32 s6, s3
	s_cbranch_execz .LBB230_36
; %bb.35:                               ;   in Loop: Header=BB230_18 Depth=2
	s_wait_dscnt 0x0
	v_add_f32_e32 v39, v39, v40
	ds_store_b32 v30, v39
.LBB230_36:                             ;   in Loop: Header=BB230_18 Depth=2
	s_wait_alu 0xfffe
	s_or_b32 exec_lo, exec_lo, s6
	v_mov_b32_e32 v39, 0
	s_wait_loadcnt_dscnt 0x0
	s_barrier_signal -1
	s_barrier_wait -1
	global_inv scope:SCOPE_SE
	s_and_saveexec_b32 s6, s2
	s_cbranch_execnz .LBB230_57
; %bb.37:                               ;   in Loop: Header=BB230_18 Depth=2
	s_wait_alu 0xfffe
	s_or_b32 exec_lo, exec_lo, s6
	s_and_saveexec_b32 s6, s1
	s_cbranch_execnz .LBB230_58
.LBB230_38:                             ;   in Loop: Header=BB230_18 Depth=2
	s_wait_alu 0xfffe
	s_or_b32 exec_lo, exec_lo, s6
	s_and_saveexec_b32 s6, s1
.LBB230_39:                             ;   in Loop: Header=BB230_18 Depth=2
	ds_store_b32 v29, v0
.LBB230_40:                             ;   in Loop: Header=BB230_18 Depth=2
	s_wait_alu 0xfffe
	s_or_b32 exec_lo, exec_lo, s6
	ds_bpermute_b32 v40, v6, v38
	s_wait_loadcnt_dscnt 0x0
	s_barrier_signal -1
	s_barrier_wait -1
	global_inv scope:SCOPE_SE
	v_add_f32_e32 v38, v38, v40
	ds_bpermute_b32 v40, v34, v38
	s_wait_dscnt 0x0
	v_add_f32_e32 v38, v38, v40
	ds_bpermute_b32 v40, v35, v38
	s_wait_dscnt 0x0
	;; [unrolled: 3-line block ×3, first 2 shown]
	v_add_f32_e32 v38, v38, v40
	ds_bpermute_b32 v40, v37, v38
	s_and_saveexec_b32 s6, s3
	s_cbranch_execz .LBB230_42
; %bb.41:                               ;   in Loop: Header=BB230_18 Depth=2
	s_wait_dscnt 0x0
	v_add_f32_e32 v38, v38, v40
	ds_store_b32 v30, v38
.LBB230_42:                             ;   in Loop: Header=BB230_18 Depth=2
	s_wait_alu 0xfffe
	s_or_b32 exec_lo, exec_lo, s6
	v_mov_b32_e32 v38, 0
	s_wait_loadcnt_dscnt 0x0
	s_barrier_signal -1
	s_barrier_wait -1
	global_inv scope:SCOPE_SE
	s_and_saveexec_b32 s6, s2
	s_cbranch_execnz .LBB230_59
; %bb.43:                               ;   in Loop: Header=BB230_18 Depth=2
	s_wait_alu 0xfffe
	s_or_b32 exec_lo, exec_lo, s6
	s_and_saveexec_b32 s6, s1
	s_cbranch_execnz .LBB230_60
.LBB230_44:                             ;   in Loop: Header=BB230_18 Depth=2
	s_wait_alu 0xfffe
	s_or_b32 exec_lo, exec_lo, s6
	s_and_saveexec_b32 s6, s0
	s_cbranch_execz .LBB230_17
	s_branch .LBB230_61
.LBB230_45:                             ;   in Loop: Header=BB230_18 Depth=2
	s_mul_i32 s8, s11, s26
	s_wait_alu 0xfffe
	s_ashr_i32 s9, s8, 31
	s_add_co_i32 s58, s8, s26
	s_wait_alu 0xfffe
	s_lshl_b64 s[8:9], s[8:9], 2
	s_ashr_i32 s59, s58, 31
	s_wait_alu 0xfffe
	v_add_co_u32 v2, vcc_lo, v32, s8
	s_wait_alu 0xfffd
	v_add_co_ci_u32_e64 v3, null, s9, v33, vcc_lo
	s_lshl_b64 s[8:9], s[58:59], 2
	s_add_co_i32 s58, s58, s26
	s_wait_dscnt 0x0
	s_wait_alu 0xfffe
	v_add_co_u32 v27, vcc_lo, v32, s8
	s_ashr_i32 s59, s58, 31
	s_add_co_i32 s8, s58, s26
	s_wait_alu 0xfffd
	v_add_co_ci_u32_e64 v28, null, s9, v33, vcc_lo
	s_wait_alu 0xfffe
	s_lshl_b64 s[58:59], s[58:59], 2
	s_ashr_i32 s9, s8, 31
	s_wait_alu 0xfffe
	v_add_co_u32 v38, vcc_lo, v32, s58
	s_lshl_b64 s[8:9], s[8:9], 2
	s_wait_alu 0xfffd
	v_add_co_ci_u32_e64 v39, null, s59, v33, vcc_lo
	s_wait_alu 0xfffe
	v_add_co_u32 v53, vcc_lo, v32, s8
	s_wait_alu 0xfffd
	v_add_co_ci_u32_e64 v54, null, s9, v33, vcc_lo
	flat_load_b32 v1, v[19:20]
	s_clause 0x3
	flat_load_b128 v[41:44], v[2:3]
	flat_load_b128 v[45:48], v[27:28]
	;; [unrolled: 1-line block ×4, first 2 shown]
	s_clause 0x2
	flat_load_b32 v2, v[21:22]
	flat_load_b32 v3, v[23:24]
	flat_load_b32 v4, v[25:26]
	s_wait_loadcnt_dscnt 0x606
	v_fma_f32 v41, v1, v41, 0
	s_wait_loadcnt_dscnt 0x505
	v_fma_f32 v40, v1, v45, 0
	;; [unrolled: 2-line block ×4, first 2 shown]
	s_wait_loadcnt_dscnt 0x202
	v_fmac_f32_e32 v40, v2, v46
	v_fmac_f32_e32 v41, v2, v42
	s_delay_alu instid0(VALU_DEP_3) | instskip(SKIP_1) | instid1(VALU_DEP_3)
	v_fmac_f32_e32 v38, v2, v54
	s_wait_loadcnt_dscnt 0x101
	v_dual_fmac_f32 v39, v2, v50 :: v_dual_fmac_f32 v40, v3, v47
	s_delay_alu instid0(VALU_DEP_3) | instskip(NEXT) | instid1(VALU_DEP_3)
	v_fmac_f32_e32 v41, v3, v43
	v_fmac_f32_e32 v38, v3, v55
	s_wait_loadcnt_dscnt 0x0
	s_delay_alu instid0(VALU_DEP_3) | instskip(NEXT) | instid1(VALU_DEP_3)
	v_dual_fmac_f32 v39, v3, v51 :: v_dual_fmac_f32 v40, v4, v48
	v_fmac_f32_e32 v41, v4, v44
	s_delay_alu instid0(VALU_DEP_3) | instskip(NEXT) | instid1(VALU_DEP_3)
	v_fmac_f32_e32 v38, v4, v56
	v_fmac_f32_e32 v39, v4, v52
	s_and_not1_saveexec_b32 s20, s6
	s_cbranch_execz .LBB230_20
.LBB230_46:                             ;   in Loop: Header=BB230_18 Depth=2
	s_wait_dscnt 0x0
	v_dual_mov_b32 v38, 0 :: v_dual_mov_b32 v39, 0
	v_dual_mov_b32 v40, 0 :: v_dual_mov_b32 v41, 0
	s_and_saveexec_b32 s25, s5
	s_cbranch_execz .LBB230_63
; %bb.47:                               ;   in Loop: Header=BB230_18 Depth=2
	s_and_not1_b32 vcc_lo, exec_lo, s66
	s_wait_alu 0xfffe
	s_cbranch_vccnz .LBB230_50
; %bb.48:                               ;   in Loop: Header=BB230_18 Depth=2
	v_mov_b32_e32 v27, v5
	s_mov_b64 s[58:59], 0
.LBB230_49:                             ;   Parent Loop BB230_3 Depth=1
                                        ;     Parent Loop BB230_18 Depth=2
                                        ; =>    This Inner Loop Header: Depth=3
	s_delay_alu instid0(VALU_DEP_1) | instskip(SKIP_2) | instid1(VALU_DEP_1)
	v_ashrrev_i32_e32 v28, 31, v27
	s_wait_alu 0xfffe
	s_cmp_eq_u32 s58, 3
	v_lshlrev_b64_e32 v[38:39], 2, v[27:28]
	s_delay_alu instid0(VALU_DEP_1) | instskip(SKIP_1) | instid1(VALU_DEP_2)
	v_add_co_u32 v38, vcc_lo, v17, v38
	s_wait_alu 0xfffd
	v_add_co_ci_u32_e64 v39, null, v18, v39, vcc_lo
	s_cselect_b32 vcc_lo, -1, 0
	s_cmp_eq_u32 s58, 2
	s_cselect_b32 s6, -1, 0
	flat_load_b32 v28, v[38:39]
	s_cmp_eq_u32 s58, 1
	v_add_nc_u32_e32 v27, s33, v27
	s_cselect_b32 s7, -1, 0
	s_cmp_eq_u32 s58, 0
	s_add_nc_u64 s[58:59], s[58:59], 1
	s_cselect_b32 s8, -1, 0
	s_wait_alu 0xfffe
	s_cmp_eq_u32 s64, s58
	s_wait_loadcnt_dscnt 0x0
	v_cndmask_b32_e32 v4, v4, v28, vcc_lo
	v_cndmask_b32_e64 v3, v3, v28, s6
	v_cndmask_b32_e64 v2, v2, v28, s7
	;; [unrolled: 1-line block ×3, first 2 shown]
	s_cbranch_scc0 .LBB230_49
.LBB230_50:                             ;   in Loop: Header=BB230_18 Depth=2
	s_and_not1_b32 vcc_lo, exec_lo, s66
	s_wait_alu 0xfffe
	s_cbranch_vccnz .LBB230_62
; %bb.51:                               ;   in Loop: Header=BB230_18 Depth=2
	s_ashr_i32 s51, s50, 31
	v_dual_mov_b32 v41, 0 :: v_dual_mov_b32 v40, 0
	s_lshl_b64 s[6:7], s[50:51], 2
	v_dual_mov_b32 v39, 0 :: v_dual_mov_b32 v38, 0
	s_wait_alu 0xfffe
	v_add_co_u32 v27, vcc_lo, v32, s6
	s_wait_alu 0xfffd
	v_add_co_ci_u32_e64 v28, null, s7, v33, vcc_lo
	s_mov_b64 s[8:9], 0
.LBB230_52:                             ;   Parent Loop BB230_3 Depth=1
                                        ;     Parent Loop BB230_18 Depth=2
                                        ; =>    This Inner Loop Header: Depth=3
	s_wait_alu 0xfffe
	s_cmp_eq_u32 s8, 1
	s_cselect_b32 vcc_lo, -1, 0
	s_cmp_eq_u32 s8, 2
	s_wait_alu 0xfffe
	v_cndmask_b32_e32 v42, v1, v2, vcc_lo
	s_cselect_b32 vcc_lo, -1, 0
	s_cmp_eq_u32 s8, 3
	s_wait_alu 0xfffe
	s_delay_alu instid0(VALU_DEP_1)
	v_cndmask_b32_e32 v48, v42, v3, vcc_lo
	s_cselect_b32 vcc_lo, -1, 0
	s_add_co_i32 s6, s56, s8
	s_add_co_i32 s58, s54, s8
	s_wait_alu 0xfffe
	s_ashr_i32 s7, s6, 31
	s_add_co_i32 s68, s52, s8
	s_ashr_i32 s59, s58, 31
	s_wait_alu 0xfffe
	s_lshl_b64 s[6:7], s[6:7], 2
	s_ashr_i32 s69, s68, 31
	s_lshl_b64 s[58:59], s[58:59], 2
	s_wait_alu 0xfffe
	v_add_co_u32 v42, s6, v32, s6
	s_lshl_b64 s[68:69], s[68:69], 2
	v_add_co_ci_u32_e64 v43, null, s7, v33, s6
	v_add_co_u32 v44, s6, v32, s58
	s_wait_alu 0xf1ff
	v_add_co_ci_u32_e64 v45, null, s59, v33, s6
	s_wait_alu 0xfffe
	v_add_co_u32 v46, s6, v32, s68
	s_wait_alu 0xf1ff
	v_add_co_ci_u32_e64 v47, null, s69, v33, s6
	flat_load_b32 v49, v[27:28]
	s_clause 0x2
	flat_load_b32 v42, v[42:43]
	flat_load_b32 v43, v[44:45]
	;; [unrolled: 1-line block ×3, first 2 shown]
	v_cndmask_b32_e32 v45, v48, v4, vcc_lo
	v_add_co_u32 v27, s6, v27, 4
	s_wait_alu 0xf1ff
	v_add_co_ci_u32_e64 v28, null, 0, v28, s6
	s_add_nc_u64 s[8:9], s[8:9], 1
	s_wait_alu 0xfffe
	s_cmp_lg_u32 s64, s8
	s_wait_loadcnt_dscnt 0x303
	v_fmac_f32_e32 v41, v45, v49
	s_wait_loadcnt_dscnt 0x202
	v_fmac_f32_e32 v40, v45, v42
	;; [unrolled: 2-line block ×4, first 2 shown]
	s_cbranch_scc1 .LBB230_52
	s_branch .LBB230_63
.LBB230_53:                             ;   in Loop: Header=BB230_18 Depth=2
	ds_load_b32 v27, v29
	s_wait_alu 0xfffe
	s_or_b32 exec_lo, exec_lo, s6
	s_and_saveexec_b32 s6, s1
	s_cbranch_execz .LBB230_26
.LBB230_54:                             ;   in Loop: Header=BB230_18 Depth=2
	s_wait_dscnt 0x0
	ds_bpermute_b32 v28, v35, v27
	s_wait_dscnt 0x0
	v_add_f32_e32 v27, v27, v28
	ds_bpermute_b32 v28, v36, v27
	s_wait_dscnt 0x0
	v_add_f32_e32 v27, v27, v28
	;; [unrolled: 3-line block ×3, first 2 shown]
	s_wait_alu 0xfffe
	s_or_b32 exec_lo, exec_lo, s6
	s_and_saveexec_b32 s6, s1
	s_cbranch_execnz .LBB230_27
	s_branch .LBB230_28
.LBB230_55:                             ;   in Loop: Header=BB230_18 Depth=2
	ds_load_b32 v28, v29
	s_wait_alu 0xfffe
	s_or_b32 exec_lo, exec_lo, s6
	s_and_saveexec_b32 s6, s1
	s_cbranch_execz .LBB230_32
.LBB230_56:                             ;   in Loop: Header=BB230_18 Depth=2
	s_wait_dscnt 0x0
	ds_bpermute_b32 v40, v35, v28
	s_wait_dscnt 0x0
	v_add_f32_e32 v28, v28, v40
	ds_bpermute_b32 v40, v36, v28
	s_wait_dscnt 0x0
	v_add_f32_e32 v28, v28, v40
	ds_bpermute_b32 v40, v37, v28
	s_wait_dscnt 0x0
	v_add_f32_e32 v28, v28, v40
	s_wait_alu 0xfffe
	s_or_b32 exec_lo, exec_lo, s6
	s_and_saveexec_b32 s6, s1
	s_cbranch_execnz .LBB230_33
	s_branch .LBB230_34
.LBB230_57:                             ;   in Loop: Header=BB230_18 Depth=2
	ds_load_b32 v39, v29
	s_wait_alu 0xfffe
	s_or_b32 exec_lo, exec_lo, s6
	s_and_saveexec_b32 s6, s1
	s_cbranch_execz .LBB230_38
.LBB230_58:                             ;   in Loop: Header=BB230_18 Depth=2
	s_wait_dscnt 0x0
	ds_bpermute_b32 v40, v35, v39
	s_wait_dscnt 0x0
	v_add_f32_e32 v39, v39, v40
	ds_bpermute_b32 v40, v36, v39
	s_wait_dscnt 0x0
	v_add_f32_e32 v39, v39, v40
	;; [unrolled: 3-line block ×3, first 2 shown]
	s_wait_alu 0xfffe
	s_or_b32 exec_lo, exec_lo, s6
	s_and_saveexec_b32 s6, s1
	s_cbranch_execnz .LBB230_39
	s_branch .LBB230_40
.LBB230_59:                             ;   in Loop: Header=BB230_18 Depth=2
	ds_load_b32 v38, v29
	s_wait_alu 0xfffe
	s_or_b32 exec_lo, exec_lo, s6
	s_and_saveexec_b32 s6, s1
	s_cbranch_execz .LBB230_44
.LBB230_60:                             ;   in Loop: Header=BB230_18 Depth=2
	s_wait_dscnt 0x0
	ds_bpermute_b32 v40, v35, v38
	s_wait_dscnt 0x0
	v_add_f32_e32 v38, v38, v40
	ds_bpermute_b32 v40, v36, v38
	s_wait_dscnt 0x0
	v_add_f32_e32 v38, v38, v40
	ds_bpermute_b32 v40, v37, v38
	s_wait_dscnt 0x0
	v_add_f32_e32 v38, v38, v40
	s_wait_alu 0xfffe
	s_or_b32 exec_lo, exec_lo, s6
	s_and_saveexec_b32 s6, s0
	s_cbranch_execz .LBB230_17
.LBB230_61:                             ;   in Loop: Header=BB230_18 Depth=2
	s_mul_i32 s7, s11, s30
	v_dual_mul_f32 v27, s22, v27 :: v_dual_mul_f32 v28, s22, v28
	s_wait_alu 0xfffe
	s_add_co_i32 s34, s7, s24
	s_wait_alu 0xfffe
	s_lshl_b64 s[8:9], s[34:35], 2
	s_add_co_i32 s34, s34, s30
	s_wait_alu 0xfffe
	s_add_nc_u64 s[8:9], s[48:49], s[8:9]
	s_lshl_b64 s[58:59], s[34:35], 2
	s_add_co_i32 s34, s34, s30
	s_wait_alu 0xfffe
	s_add_nc_u64 s[58:59], s[48:49], s[58:59]
	s_clause 0x1
	global_store_b32 v0, v27, s[8:9]
	global_store_b32 v0, v28, s[58:59]
	s_wait_dscnt 0x0
	v_dual_mul_f32 v27, s22, v39 :: v_dual_mul_f32 v28, s22, v38
	s_lshl_b64 s[8:9], s[34:35], 2
	s_add_co_i32 s34, s34, s30
	s_wait_alu 0xfffe
	s_add_nc_u64 s[8:9], s[48:49], s[8:9]
	s_lshl_b64 s[58:59], s[34:35], 2
	s_wait_alu 0xfffe
	s_add_nc_u64 s[58:59], s[48:49], s[58:59]
	s_clause 0x1
	global_store_b32 v0, v27, s[8:9]
	global_store_b32 v0, v28, s[58:59]
	s_branch .LBB230_17
.LBB230_62:                             ;   in Loop: Header=BB230_18 Depth=2
	v_dual_mov_b32 v38, 0 :: v_dual_mov_b32 v39, 0
	v_dual_mov_b32 v40, 0 :: v_dual_mov_b32 v41, 0
.LBB230_63:                             ;   in Loop: Header=BB230_18 Depth=2
	s_or_b32 exec_lo, exec_lo, s25
	s_wait_alu 0xfffe
	s_or_b32 exec_lo, exec_lo, s20
	s_and_saveexec_b32 s6, s1
	s_cbranch_execnz .LBB230_21
	s_branch .LBB230_22
.LBB230_64:                             ;   in Loop: Header=BB230_3 Depth=1
	v_mov_b32_e32 v3, v0
	v_dual_mov_b32 v1, v0 :: v_dual_mov_b32 v2, v0
	s_mov_b32 s11, 0
	s_delay_alu instid0(VALU_DEP_2) | instskip(NEXT) | instid1(VALU_DEP_2)
	v_mov_b32_e32 v4, v3
	v_mov_b32_e32 v3, v2
	s_delay_alu instid0(VALU_DEP_3)
	v_mov_b32_e32 v2, v1
	v_mov_b32_e32 v1, v0
.LBB230_65:                             ;   in Loop: Header=BB230_3 Depth=1
	s_cmp_ge_i32 s11, s21
	s_cbranch_scc1 .LBB230_2
; %bb.66:                               ;   in Loop: Header=BB230_3 Depth=1
	v_cmp_gt_u32_e32 vcc_lo, 24, v31
	s_add_nc_u64 s[48:49], s[48:49], s[46:47]
	s_mul_i32 s50, s26, s11
	s_mov_b32 s34, s11
	s_wait_alu 0xfffd
	v_cndmask_b32_e64 v19, 0, 8, vcc_lo
	v_cmp_gt_u32_e32 vcc_lo, 28, v31
	s_delay_alu instid0(VALU_DEP_2) | instskip(SKIP_3) | instid1(VALU_DEP_2)
	v_add_lshl_u32 v34, v19, v31, 2
	s_wait_alu 0xfffd
	v_cndmask_b32_e64 v20, 0, 4, vcc_lo
	v_cmp_gt_u32_e32 vcc_lo, 30, v31
	v_add_lshl_u32 v35, v20, v31, 2
	s_wait_alu 0xfffd
	v_cndmask_b32_e64 v21, 0, 2, vcc_lo
	v_cmp_ne_u32_e32 vcc_lo, 31, v31
	s_delay_alu instid0(VALU_DEP_2)
	v_add_lshl_u32 v36, v21, v31, 2
	s_wait_alu 0xfffd
	v_add_co_ci_u32_e64 v22, null, 0, v31, vcc_lo
	v_add_co_u32 v19, vcc_lo, v17, v9
	s_wait_alu 0xfffd
	v_add_co_ci_u32_e64 v20, null, v18, v10, vcc_lo
	v_add_co_u32 v21, vcc_lo, v17, v11
	v_lshlrev_b32_e32 v37, 2, v22
	s_wait_alu 0xfffd
	v_add_co_ci_u32_e64 v22, null, v18, v12, vcc_lo
	v_add_co_u32 v23, vcc_lo, v17, v13
	s_wait_alu 0xfffd
	v_add_co_ci_u32_e64 v24, null, v18, v14, vcc_lo
	v_add_co_u32 v25, vcc_lo, v17, v15
	s_wait_alu 0xfffd
	v_add_co_ci_u32_e64 v26, null, v18, v16, vcc_lo
	s_branch .LBB230_68
.LBB230_67:                             ;   in Loop: Header=BB230_68 Depth=2
	s_wait_alu 0xfffe
	s_or_b32 exec_lo, exec_lo, s6
	s_add_co_i32 s34, s34, 1
	s_add_co_i32 s50, s50, s26
	s_wait_alu 0xfffe
	s_cmp_ge_i32 s34, s21
	s_cbranch_scc1 .LBB230_2
.LBB230_68:                             ;   Parent Loop BB230_3 Depth=1
                                        ; =>  This Loop Header: Depth=2
                                        ;       Child Loop BB230_81 Depth 3
                                        ;       Child Loop BB230_84 Depth 3
	s_wait_dscnt 0x0
	v_mov_b32_e32 v38, s35
	s_and_saveexec_b32 s6, s4
	s_wait_alu 0xfffe
	s_xor_b32 s6, exec_lo, s6
	s_cbranch_execnz .LBB230_77
; %bb.69:                               ;   in Loop: Header=BB230_68 Depth=2
	s_wait_alu 0xfffe
	s_and_not1_saveexec_b32 s9, s6
	s_cbranch_execnz .LBB230_78
.LBB230_70:                             ;   in Loop: Header=BB230_68 Depth=2
	s_wait_alu 0xfffe
	s_or_b32 exec_lo, exec_lo, s9
	s_and_saveexec_b32 s6, s1
.LBB230_71:                             ;   in Loop: Header=BB230_68 Depth=2
	ds_store_b32 v29, v0
.LBB230_72:                             ;   in Loop: Header=BB230_68 Depth=2
	s_wait_alu 0xfffe
	s_or_b32 exec_lo, exec_lo, s6
	ds_bpermute_b32 v27, v6, v38
	s_wait_storecnt 0x0
	s_wait_loadcnt_dscnt 0x0
	s_barrier_signal -1
	s_barrier_wait -1
	global_inv scope:SCOPE_SE
	v_add_f32_e32 v27, v38, v27
	ds_bpermute_b32 v28, v34, v27
	s_wait_dscnt 0x0
	v_add_f32_e32 v27, v27, v28
	ds_bpermute_b32 v28, v35, v27
	s_wait_dscnt 0x0
	;; [unrolled: 3-line block ×3, first 2 shown]
	v_add_f32_e32 v27, v27, v28
	ds_bpermute_b32 v28, v37, v27
	s_and_saveexec_b32 s6, s3
	s_cbranch_execz .LBB230_74
; %bb.73:                               ;   in Loop: Header=BB230_68 Depth=2
	s_wait_dscnt 0x0
	v_add_f32_e32 v27, v27, v28
	ds_store_b32 v30, v27
.LBB230_74:                             ;   in Loop: Header=BB230_68 Depth=2
	s_wait_alu 0xfffe
	s_or_b32 exec_lo, exec_lo, s6
	v_mov_b32_e32 v27, 0
	s_wait_loadcnt_dscnt 0x0
	s_barrier_signal -1
	s_barrier_wait -1
	global_inv scope:SCOPE_SE
	s_and_saveexec_b32 s6, s2
	s_cbranch_execnz .LBB230_86
; %bb.75:                               ;   in Loop: Header=BB230_68 Depth=2
	s_wait_alu 0xfffe
	s_or_b32 exec_lo, exec_lo, s6
	s_and_saveexec_b32 s6, s1
	s_cbranch_execnz .LBB230_87
.LBB230_76:                             ;   in Loop: Header=BB230_68 Depth=2
	s_wait_alu 0xfffe
	s_or_b32 exec_lo, exec_lo, s6
	s_and_saveexec_b32 s6, s0
	s_cbranch_execz .LBB230_67
	s_branch .LBB230_88
.LBB230_77:                             ;   in Loop: Header=BB230_68 Depth=2
	s_mul_i32 s8, s34, s26
	s_wait_alu 0xfffe
	s_ashr_i32 s9, s8, 31
	s_wait_alu 0xfffe
	s_lshl_b64 s[8:9], s[8:9], 2
	s_wait_alu 0xfffe
	v_add_co_u32 v1, vcc_lo, v32, s8
	s_wait_alu 0xfffd
	v_add_co_ci_u32_e64 v2, null, s9, v33, vcc_lo
	flat_load_b128 v[38:41], v[1:2]
	s_clause 0x3
	flat_load_b32 v1, v[19:20]
	flat_load_b32 v2, v[21:22]
	;; [unrolled: 1-line block ×4, first 2 shown]
	s_wait_loadcnt_dscnt 0x303
	v_fma_f32 v38, v1, v38, 0
	s_wait_loadcnt_dscnt 0x202
	s_delay_alu instid0(VALU_DEP_1) | instskip(SKIP_1) | instid1(VALU_DEP_1)
	v_fmac_f32_e32 v38, v2, v39
	s_wait_loadcnt_dscnt 0x101
	v_fmac_f32_e32 v38, v3, v40
	s_wait_loadcnt_dscnt 0x0
	s_delay_alu instid0(VALU_DEP_1)
	v_fmac_f32_e32 v38, v4, v41
	s_and_not1_saveexec_b32 s9, s6
	s_cbranch_execz .LBB230_70
.LBB230_78:                             ;   in Loop: Header=BB230_68 Depth=2
	s_and_saveexec_b32 s11, s5
	s_cbranch_execz .LBB230_85
; %bb.79:                               ;   in Loop: Header=BB230_68 Depth=2
	s_and_not1_b32 vcc_lo, exec_lo, s66
	s_wait_alu 0xfffe
	s_cbranch_vccnz .LBB230_82
; %bb.80:                               ;   in Loop: Header=BB230_68 Depth=2
	v_mov_b32_e32 v27, v5
	s_mov_b64 s[52:53], 0
.LBB230_81:                             ;   Parent Loop BB230_3 Depth=1
                                        ;     Parent Loop BB230_68 Depth=2
                                        ; =>    This Inner Loop Header: Depth=3
	s_delay_alu instid0(VALU_DEP_1) | instskip(SKIP_1) | instid1(VALU_DEP_1)
	v_ashrrev_i32_e32 v28, 31, v27
	s_cmp_eq_u32 s52, 3
	v_lshlrev_b64_e32 v[39:40], 2, v[27:28]
	s_delay_alu instid0(VALU_DEP_1) | instskip(SKIP_1) | instid1(VALU_DEP_2)
	v_add_co_u32 v39, vcc_lo, v17, v39
	s_wait_alu 0xfffd
	v_add_co_ci_u32_e64 v40, null, v18, v40, vcc_lo
	s_cselect_b32 vcc_lo, -1, 0
	s_cmp_eq_u32 s52, 2
	s_cselect_b32 s6, -1, 0
	flat_load_b32 v28, v[39:40]
	s_cmp_eq_u32 s52, 1
	v_add_nc_u32_e32 v27, s33, v27
	s_cselect_b32 s7, -1, 0
	s_cmp_eq_u32 s52, 0
	s_add_nc_u64 s[52:53], s[52:53], 1
	s_cselect_b32 s8, -1, 0
	s_cmp_eq_u32 s64, s52
	s_wait_loadcnt_dscnt 0x0
	s_wait_alu 0xfffe
	v_cndmask_b32_e32 v4, v4, v28, vcc_lo
	v_cndmask_b32_e64 v3, v3, v28, s6
	v_cndmask_b32_e64 v2, v2, v28, s7
	;; [unrolled: 1-line block ×3, first 2 shown]
	s_cbranch_scc0 .LBB230_81
.LBB230_82:                             ;   in Loop: Header=BB230_68 Depth=2
	s_and_not1_b32 vcc_lo, exec_lo, s66
	s_wait_alu 0xfffe
	s_cbranch_vccnz .LBB230_85
; %bb.83:                               ;   in Loop: Header=BB230_68 Depth=2
	s_ashr_i32 s51, s50, 31
	s_delay_alu instid0(SALU_CYCLE_1)
	s_lshl_b64 s[6:7], s[50:51], 2
	s_wait_alu 0xfffe
	v_add_co_u32 v27, vcc_lo, v32, s6
	s_wait_alu 0xfffd
	v_add_co_ci_u32_e64 v28, null, s7, v33, vcc_lo
	s_mov_b64 s[6:7], 0
.LBB230_84:                             ;   Parent Loop BB230_3 Depth=1
                                        ;     Parent Loop BB230_68 Depth=2
                                        ; =>    This Inner Loop Header: Depth=3
	flat_load_b32 v39, v[27:28]
	s_wait_alu 0xfffe
	s_cmp_eq_u32 s6, 1
	s_cselect_b32 vcc_lo, -1, 0
	s_cmp_eq_u32 s6, 2
	s_wait_alu 0xfffe
	v_cndmask_b32_e32 v40, v1, v2, vcc_lo
	s_cselect_b32 vcc_lo, -1, 0
	s_cmp_eq_u32 s6, 3
	s_add_nc_u64 s[6:7], s[6:7], 1
	s_wait_alu 0xfffe
	v_cndmask_b32_e32 v40, v40, v3, vcc_lo
	s_cselect_b32 vcc_lo, -1, 0
	s_cmp_lg_u32 s64, s6
	s_wait_alu 0xfffe
	s_delay_alu instid0(VALU_DEP_1)
	v_cndmask_b32_e32 v40, v40, v4, vcc_lo
	v_add_co_u32 v27, vcc_lo, v27, 4
	s_wait_alu 0xfffd
	v_add_co_ci_u32_e64 v28, null, 0, v28, vcc_lo
	s_wait_loadcnt_dscnt 0x0
	v_fmac_f32_e32 v38, v40, v39
	s_cbranch_scc1 .LBB230_84
.LBB230_85:                             ;   in Loop: Header=BB230_68 Depth=2
	s_or_b32 exec_lo, exec_lo, s11
	s_wait_alu 0xfffe
	s_or_b32 exec_lo, exec_lo, s9
	s_and_saveexec_b32 s6, s1
	s_cbranch_execnz .LBB230_71
	s_branch .LBB230_72
.LBB230_86:                             ;   in Loop: Header=BB230_68 Depth=2
	ds_load_b32 v27, v29
	s_wait_alu 0xfffe
	s_or_b32 exec_lo, exec_lo, s6
	s_and_saveexec_b32 s6, s1
	s_cbranch_execz .LBB230_76
.LBB230_87:                             ;   in Loop: Header=BB230_68 Depth=2
	s_wait_dscnt 0x0
	ds_bpermute_b32 v28, v35, v27
	s_wait_dscnt 0x0
	v_add_f32_e32 v27, v27, v28
	ds_bpermute_b32 v28, v36, v27
	s_wait_dscnt 0x0
	v_add_f32_e32 v27, v27, v28
	;; [unrolled: 3-line block ×3, first 2 shown]
	s_wait_alu 0xfffe
	s_or_b32 exec_lo, exec_lo, s6
	s_and_saveexec_b32 s6, s0
	s_cbranch_execz .LBB230_67
.LBB230_88:                             ;   in Loop: Header=BB230_68 Depth=2
	s_mul_u64 s[8:9], s[34:35], s[30:31]
	s_wait_dscnt 0x0
	v_mul_f32_e32 v27, s22, v27
	s_wait_alu 0xfffe
	s_lshl_b64 s[8:9], s[8:9], 2
	s_wait_alu 0xfffe
	s_add_nc_u64 s[8:9], s[48:49], s[8:9]
	global_store_b32 v0, v27, s[8:9]
	s_branch .LBB230_67
.LBB230_89:
	s_endpgm
	.section	.rodata,"a",@progbits
	.p2align	6, 0x0
	.amdhsa_kernel _ZL23rocblas_gemvt_sn_kernelILb1ELi256ELi4EiPKfffEviiT4_lPKT3_lilS5_lilPT5_i
		.amdhsa_group_segment_fixed_size 128
		.amdhsa_private_segment_fixed_size 0
		.amdhsa_kernarg_size 360
		.amdhsa_user_sgpr_count 2
		.amdhsa_user_sgpr_dispatch_ptr 0
		.amdhsa_user_sgpr_queue_ptr 0
		.amdhsa_user_sgpr_kernarg_segment_ptr 1
		.amdhsa_user_sgpr_dispatch_id 0
		.amdhsa_user_sgpr_private_segment_size 0
		.amdhsa_wavefront_size32 1
		.amdhsa_uses_dynamic_stack 0
		.amdhsa_enable_private_segment 0
		.amdhsa_system_sgpr_workgroup_id_x 1
		.amdhsa_system_sgpr_workgroup_id_y 0
		.amdhsa_system_sgpr_workgroup_id_z 1
		.amdhsa_system_sgpr_workgroup_info 0
		.amdhsa_system_vgpr_workitem_id 0
		.amdhsa_next_free_vgpr 57
		.amdhsa_next_free_sgpr 70
		.amdhsa_reserve_vcc 1
		.amdhsa_float_round_mode_32 0
		.amdhsa_float_round_mode_16_64 0
		.amdhsa_float_denorm_mode_32 3
		.amdhsa_float_denorm_mode_16_64 3
		.amdhsa_fp16_overflow 0
		.amdhsa_workgroup_processor_mode 1
		.amdhsa_memory_ordered 1
		.amdhsa_forward_progress 1
		.amdhsa_inst_pref_size 36
		.amdhsa_round_robin_scheduling 0
		.amdhsa_exception_fp_ieee_invalid_op 0
		.amdhsa_exception_fp_denorm_src 0
		.amdhsa_exception_fp_ieee_div_zero 0
		.amdhsa_exception_fp_ieee_overflow 0
		.amdhsa_exception_fp_ieee_underflow 0
		.amdhsa_exception_fp_ieee_inexact 0
		.amdhsa_exception_int_div_zero 0
	.end_amdhsa_kernel
	.section	.text._ZL23rocblas_gemvt_sn_kernelILb1ELi256ELi4EiPKfffEviiT4_lPKT3_lilS5_lilPT5_i,"axG",@progbits,_ZL23rocblas_gemvt_sn_kernelILb1ELi256ELi4EiPKfffEviiT4_lPKT3_lilS5_lilPT5_i,comdat
.Lfunc_end230:
	.size	_ZL23rocblas_gemvt_sn_kernelILb1ELi256ELi4EiPKfffEviiT4_lPKT3_lilS5_lilPT5_i, .Lfunc_end230-_ZL23rocblas_gemvt_sn_kernelILb1ELi256ELi4EiPKfffEviiT4_lPKT3_lilS5_lilPT5_i
                                        ; -- End function
	.set _ZL23rocblas_gemvt_sn_kernelILb1ELi256ELi4EiPKfffEviiT4_lPKT3_lilS5_lilPT5_i.num_vgpr, 57
	.set _ZL23rocblas_gemvt_sn_kernelILb1ELi256ELi4EiPKfffEviiT4_lPKT3_lilS5_lilPT5_i.num_agpr, 0
	.set _ZL23rocblas_gemvt_sn_kernelILb1ELi256ELi4EiPKfffEviiT4_lPKT3_lilS5_lilPT5_i.numbered_sgpr, 70
	.set _ZL23rocblas_gemvt_sn_kernelILb1ELi256ELi4EiPKfffEviiT4_lPKT3_lilS5_lilPT5_i.num_named_barrier, 0
	.set _ZL23rocblas_gemvt_sn_kernelILb1ELi256ELi4EiPKfffEviiT4_lPKT3_lilS5_lilPT5_i.private_seg_size, 0
	.set _ZL23rocblas_gemvt_sn_kernelILb1ELi256ELi4EiPKfffEviiT4_lPKT3_lilS5_lilPT5_i.uses_vcc, 1
	.set _ZL23rocblas_gemvt_sn_kernelILb1ELi256ELi4EiPKfffEviiT4_lPKT3_lilS5_lilPT5_i.uses_flat_scratch, 1
	.set _ZL23rocblas_gemvt_sn_kernelILb1ELi256ELi4EiPKfffEviiT4_lPKT3_lilS5_lilPT5_i.has_dyn_sized_stack, 0
	.set _ZL23rocblas_gemvt_sn_kernelILb1ELi256ELi4EiPKfffEviiT4_lPKT3_lilS5_lilPT5_i.has_recursion, 0
	.set _ZL23rocblas_gemvt_sn_kernelILb1ELi256ELi4EiPKfffEviiT4_lPKT3_lilS5_lilPT5_i.has_indirect_call, 0
	.section	.AMDGPU.csdata,"",@progbits
; Kernel info:
; codeLenInByte = 4548
; TotalNumSgprs: 72
; NumVgprs: 57
; ScratchSize: 0
; MemoryBound: 0
; FloatMode: 240
; IeeeMode: 1
; LDSByteSize: 128 bytes/workgroup (compile time only)
; SGPRBlocks: 0
; VGPRBlocks: 7
; NumSGPRsForWavesPerEU: 72
; NumVGPRsForWavesPerEU: 57
; Occupancy: 16
; WaveLimiterHint : 0
; COMPUTE_PGM_RSRC2:SCRATCH_EN: 0
; COMPUTE_PGM_RSRC2:USER_SGPR: 2
; COMPUTE_PGM_RSRC2:TRAP_HANDLER: 0
; COMPUTE_PGM_RSRC2:TGID_X_EN: 1
; COMPUTE_PGM_RSRC2:TGID_Y_EN: 0
; COMPUTE_PGM_RSRC2:TGID_Z_EN: 1
; COMPUTE_PGM_RSRC2:TIDIG_COMP_CNT: 0
	.section	.text._ZL23rocblas_gemvt_sn_kernelILb1ELi256ELi4ElPKfffEviiT4_lPKT3_lilS5_lilPT5_i,"axG",@progbits,_ZL23rocblas_gemvt_sn_kernelILb1ELi256ELi4ElPKfffEviiT4_lPKT3_lilS5_lilPT5_i,comdat
	.globl	_ZL23rocblas_gemvt_sn_kernelILb1ELi256ELi4ElPKfffEviiT4_lPKT3_lilS5_lilPT5_i ; -- Begin function _ZL23rocblas_gemvt_sn_kernelILb1ELi256ELi4ElPKfffEviiT4_lPKT3_lilS5_lilPT5_i
	.p2align	8
	.type	_ZL23rocblas_gemvt_sn_kernelILb1ELi256ELi4ElPKfffEviiT4_lPKT3_lilS5_lilPT5_i,@function
_ZL23rocblas_gemvt_sn_kernelILb1ELi256ELi4ElPKfffEviiT4_lPKT3_lilS5_lilPT5_i: ; @_ZL23rocblas_gemvt_sn_kernelILb1ELi256ELi4ElPKfffEviiT4_lPKT3_lilS5_lilPT5_i
; %bb.0:
	s_load_b32 s23, s[0:1], 0x60
	s_lshr_b32 s10, ttmp7, 16
	s_wait_kmcnt 0x0
	s_cmp_ge_u32 s10, s23
	s_cbranch_scc1 .LBB231_89
; %bb.1:
	s_clause 0x6
	s_load_b32 s26, s[0:1], 0x28
	s_load_b32 s6, s[0:1], 0x48
	s_load_b96 s[20:22], s[0:1], 0x0
	s_load_b128 s[12:15], s[0:1], 0x18
	s_load_b32 s28, s[0:1], 0x68
	s_load_b128 s[16:19], s[0:1], 0x38
	s_load_b64 s[30:31], s[0:1], 0x58
	s_mov_b32 s25, 0
	v_cmp_eq_u32_e64 s0, 0, v0
	s_mov_b32 s29, s25
	v_and_b32_e32 v1, 31, v0
	v_cmp_gt_u32_e64 s1, 32, v0
	v_cmp_gt_u32_e64 s2, 8, v0
	v_lshrrev_b32_e32 v2, 3, v0
	v_mbcnt_lo_u32_b32 v33, -1, 0
	v_cmp_eq_u32_e64 s3, 0, v1
	v_lshlrev_b32_e32 v31, 2, v1
	s_mov_b32 s24, ttmp9
	v_and_b32_e32 v32, 28, v2
	v_lshl_or_b32 v34, v33, 2, 64
	s_wait_kmcnt 0x0
	s_ashr_i32 s27, s26, 31
	s_ashr_i32 s7, s6, 31
	s_cmp_neq_f32 s22, 0
	s_mov_b32 s4, s21
	s_mul_u64 s[40:41], s[26:27], 12
	s_cselect_b32 s33, -1, 0
	s_cmp_eq_f32 s22, 0
	s_cselect_b32 s54, -1, 0
	s_ashr_i32 s5, s21, 31
	s_cmp_gt_i32 s21, 0
	s_mul_u64 s[34:35], s[4:5], s[28:29]
	s_cselect_b32 s4, -1, 0
	s_ashr_i32 s9, s20, 31
	s_and_b32 s55, s0, s4
	s_lshr_b32 s4, s9, 30
	s_lshl_b32 s8, ttmp9, 10
	s_add_co_i32 s4, s20, s4
	v_lshl_or_b32 v0, v0, 2, s8
	s_and_b32 s4, s4, -4
	s_lshr_b32 s5, s5, 30
	s_sub_co_i32 s57, s20, s4
	s_add_co_i32 s5, s21, s5
	v_add_nc_u32_e32 v4, s57, v0
	s_and_b32 s56, s5, -4
	v_add_nc_u32_e32 v3, 4, v0
	v_or_b32_e32 v5, 2, v0
	v_or_b32_e32 v6, 3, v0
	v_cmp_ge_i32_e64 s5, s20, v4
	v_or_b32_e32 v4, 1, v0
	v_cmp_ge_i32_e64 s4, s20, v3
	v_mad_co_i64_i32 v[2:3], null, s6, v0, 0
	v_mad_co_i64_i32 v[11:12], null, s6, v5, 0
	s_delay_alu instid0(VALU_DEP_4)
	v_mad_co_i64_i32 v[9:10], null, s6, v4, 0
	v_mad_co_i64_i32 v[13:14], null, s6, v6, 0
	v_ashrrev_i32_e32 v1, 31, v0
	s_wait_alu 0xfffe
	s_cmp_gt_i32 s56, 0
	v_lshlrev_b64_e32 v[5:6], 2, v[2:3]
	v_lshlrev_b64_e32 v[11:12], 2, v[11:12]
	;; [unrolled: 1-line block ×5, first 2 shown]
	v_mov_b32_e32 v0, 0
	s_cselect_b32 s58, -1, 0
	s_cmp_gt_i32 s57, 0
	s_cselect_b32 s59, -1, 0
	s_lshl_b64 s[36:37], s[28:29], 2
	s_lshl_b64 s[38:39], s[6:7], 2
	;; [unrolled: 1-line block ×8, first 2 shown]
	s_branch .LBB231_3
.LBB231_2:                              ;   in Loop: Header=BB231_3 Depth=1
	s_add_co_i32 s10, s10, 0x10000
	s_delay_alu instid0(SALU_CYCLE_1)
	s_cmp_lt_u32 s10, s23
	s_cbranch_scc0 .LBB231_89
.LBB231_3:                              ; =>This Loop Header: Depth=1
                                        ;     Child Loop BB231_12 Depth 2
                                        ;     Child Loop BB231_18 Depth 2
                                        ;       Child Loop BB231_49 Depth 3
                                        ;       Child Loop BB231_52 Depth 3
                                        ;     Child Loop BB231_68 Depth 2
                                        ;       Child Loop BB231_81 Depth 3
                                        ;       Child Loop BB231_84 Depth 3
	s_mov_b32 s11, s25
	s_and_not1_b32 vcc_lo, exec_lo, s54
	s_mov_b32 s6, -1
	s_wait_alu 0xfffe
	s_cbranch_vccnz .LBB231_5
; %bb.4:                                ;   in Loop: Header=BB231_3 Depth=1
	s_mov_b32 s6, 0
.LBB231_5:                              ;   in Loop: Header=BB231_3 Depth=1
	v_mov_b32_e32 v17, 0
	v_dual_mov_b32 v18, 0 :: v_dual_mov_b32 v1, 0
	v_mov_b32_e32 v2, 0
	s_wait_alu 0xfffe
	s_and_not1_b32 vcc_lo, exec_lo, s6
	s_wait_alu 0xfffe
	s_cbranch_vccnz .LBB231_7
; %bb.6:                                ;   in Loop: Header=BB231_3 Depth=1
	s_lshl_b64 s[6:7], s[10:11], 3
	s_wait_alu 0xfffe
	s_add_nc_u64 s[6:7], s[12:13], s[6:7]
	global_load_b64 v[1:2], v0, s[6:7]
	s_wait_loadcnt 0x0
	v_add_co_u32 v1, vcc_lo, v1, s14
	s_wait_alu 0xfffd
	v_add_co_ci_u32_e64 v2, null, s15, v2, vcc_lo
.LBB231_7:                              ;   in Loop: Header=BB231_3 Depth=1
	s_and_not1_b32 vcc_lo, exec_lo, s33
	s_wait_alu 0xfffe
	s_cbranch_vccnz .LBB231_9
; %bb.8:                                ;   in Loop: Header=BB231_3 Depth=1
	s_lshl_b64 s[6:7], s[10:11], 3
	s_wait_alu 0xfffe
	s_add_nc_u64 s[6:7], s[16:17], s[6:7]
	global_load_b64 v[3:4], v0, s[6:7]
	s_wait_loadcnt 0x0
	v_add_co_u32 v17, vcc_lo, v3, s18
	s_wait_alu 0xfffd
	v_add_co_ci_u32_e64 v18, null, s19, v4, vcc_lo
.LBB231_9:                              ;   in Loop: Header=BB231_3 Depth=1
	s_mul_u64 s[6:7], s[34:35], s[10:11]
	s_and_not1_b32 vcc_lo, exec_lo, s54
	s_wait_alu 0xfffe
	s_lshl_b64 s[6:7], s[6:7], 2
	s_wait_alu 0xfffe
	s_add_nc_u64 s[50:51], s[30:31], s[6:7]
	s_mov_b32 s6, -1
	s_cbranch_vccnz .LBB231_14
; %bb.10:                               ;   in Loop: Header=BB231_3 Depth=1
	s_and_saveexec_b32 s8, s55
	s_cbranch_execz .LBB231_13
; %bb.11:                               ;   in Loop: Header=BB231_3 Depth=1
	s_add_nc_u64 s[6:7], s[50:51], s[48:49]
	s_mov_b32 s9, s21
.LBB231_12:                             ;   Parent Loop BB231_3 Depth=1
                                        ; =>  This Inner Loop Header: Depth=2
	s_wait_alu 0xfffe
	s_add_co_i32 s9, s9, -1
	global_store_b32 v0, v0, s[6:7]
	s_wait_alu 0xfffe
	s_cmp_eq_u32 s9, 0
	s_add_nc_u64 s[6:7], s[6:7], s[36:37]
	s_cbranch_scc0 .LBB231_12
.LBB231_13:                             ;   in Loop: Header=BB231_3 Depth=1
	s_wait_alu 0xfffe
	s_or_b32 exec_lo, exec_lo, s8
	s_mov_b32 s6, 0
.LBB231_14:                             ;   in Loop: Header=BB231_3 Depth=1
	s_wait_alu 0xfffe
	s_and_not1_b32 vcc_lo, exec_lo, s6
	s_wait_alu 0xfffe
	s_cbranch_vccnz .LBB231_2
; %bb.15:                               ;   in Loop: Header=BB231_3 Depth=1
	v_add_co_u32 v15, vcc_lo, v1, v7
	s_wait_alu 0xfffd
	v_add_co_ci_u32_e64 v16, null, v2, v8, vcc_lo
	v_cmp_gt_u32_e64 s9, 24, v33
	v_cmp_gt_u32_e64 s8, 28, v33
	;; [unrolled: 1-line block ×3, first 2 shown]
	v_cmp_ne_u32_e64 s6, 31, v33
	s_and_not1_b32 vcc_lo, exec_lo, s58
	s_add_nc_u64 s[50:51], s[50:51], s[48:49]
	s_wait_alu 0xfffe
	s_cbranch_vccnz .LBB231_64
; %bb.16:                               ;   in Loop: Header=BB231_3 Depth=1
	s_wait_alu 0xf1ff
	v_cndmask_b32_e64 v2, 0, 4, s8
	v_cndmask_b32_e64 v3, 0, 2, s7
	v_add_co_u32 v19, vcc_lo, v17, v5
	v_cndmask_b32_e64 v1, 0, 8, s9
	v_add_co_ci_u32_e64 v4, null, 0, v33, s6
	v_add_lshl_u32 v36, v2, v33, 2
	v_add_lshl_u32 v37, v3, v33, 2
	s_wait_alu 0xfffd
	v_add_co_ci_u32_e64 v20, null, v18, v6, vcc_lo
	v_add_co_u32 v21, vcc_lo, v17, v9
	v_dual_mov_b32 v2, v0 :: v_dual_mov_b32 v3, v0
	s_wait_alu 0xfffd
	v_add_co_ci_u32_e64 v22, null, v18, v10, vcc_lo
	v_add_co_u32 v23, vcc_lo, v17, v11
	v_add_lshl_u32 v35, v1, v33, 2
	v_dual_mov_b32 v1, v0 :: v_dual_lshlrev_b32 v38, 2, v4
	s_wait_alu 0xfffd
	v_add_co_ci_u32_e64 v24, null, v18, v12, vcc_lo
	v_add_co_u32 v25, vcc_lo, v17, v13
	v_mov_b32_e32 v4, v3
	s_wait_alu 0xfffd
	v_add_co_ci_u32_e64 v26, null, v18, v14, vcc_lo
	s_wait_dscnt 0x0
	v_dual_mov_b32 v28, v16 :: v_dual_mov_b32 v27, v15
	v_mov_b32_e32 v3, v2
	v_mov_b32_e32 v2, v1
	;; [unrolled: 1-line block ×3, first 2 shown]
	s_mov_b32 s24, 0
	s_branch .LBB231_18
.LBB231_17:                             ;   in Loop: Header=BB231_18 Depth=2
	s_wait_alu 0xfffe
	s_or_b32 exec_lo, exec_lo, s6
	v_add_co_u32 v27, vcc_lo, v27, s42
	s_wait_alu 0xfffd
	v_add_co_ci_u32_e64 v28, null, s43, v28, vcc_lo
	s_add_co_i32 s24, s24, 4
	s_wait_alu 0xfffe
	s_cmp_ge_i32 s24, s56
	s_cbranch_scc1 .LBB231_65
.LBB231_18:                             ;   Parent Loop BB231_3 Depth=1
                                        ; =>  This Loop Header: Depth=2
                                        ;       Child Loop BB231_49 Depth 3
                                        ;       Child Loop BB231_52 Depth 3
                                        ; implicit-def: $vgpr39
                                        ; implicit-def: $vgpr40
                                        ; implicit-def: $vgpr41
                                        ; implicit-def: $vgpr42
	s_and_saveexec_b32 s6, s4
	s_wait_alu 0xfffe
	s_xor_b32 s6, exec_lo, s6
	s_cbranch_execnz .LBB231_45
; %bb.19:                               ;   in Loop: Header=BB231_18 Depth=2
	s_wait_alu 0xfffe
	s_and_not1_saveexec_b32 s11, s6
	s_cbranch_execnz .LBB231_46
.LBB231_20:                             ;   in Loop: Header=BB231_18 Depth=2
	s_or_b32 exec_lo, exec_lo, s11
	s_and_saveexec_b32 s6, s1
.LBB231_21:                             ;   in Loop: Header=BB231_18 Depth=2
	ds_store_b32 v31, v0
.LBB231_22:                             ;   in Loop: Header=BB231_18 Depth=2
	s_wait_alu 0xfffe
	s_or_b32 exec_lo, exec_lo, s6
	ds_bpermute_b32 v29, v34, v42
	s_wait_storecnt_dscnt 0x0
	s_barrier_signal -1
	s_barrier_wait -1
	global_inv scope:SCOPE_SE
	v_add_f32_e32 v29, v42, v29
	ds_bpermute_b32 v30, v35, v29
	s_wait_dscnt 0x0
	v_add_f32_e32 v29, v29, v30
	ds_bpermute_b32 v30, v36, v29
	s_wait_dscnt 0x0
	;; [unrolled: 3-line block ×3, first 2 shown]
	v_add_f32_e32 v29, v29, v30
	ds_bpermute_b32 v30, v38, v29
	s_and_saveexec_b32 s6, s3
	s_cbranch_execz .LBB231_24
; %bb.23:                               ;   in Loop: Header=BB231_18 Depth=2
	s_wait_dscnt 0x0
	v_add_f32_e32 v29, v29, v30
	ds_store_b32 v32, v29
.LBB231_24:                             ;   in Loop: Header=BB231_18 Depth=2
	s_wait_alu 0xfffe
	s_or_b32 exec_lo, exec_lo, s6
	v_mov_b32_e32 v29, 0
	s_wait_loadcnt_dscnt 0x0
	s_barrier_signal -1
	s_barrier_wait -1
	global_inv scope:SCOPE_SE
	s_and_saveexec_b32 s6, s2
	s_cbranch_execnz .LBB231_53
; %bb.25:                               ;   in Loop: Header=BB231_18 Depth=2
	s_wait_alu 0xfffe
	s_or_b32 exec_lo, exec_lo, s6
	s_and_saveexec_b32 s6, s1
	s_cbranch_execnz .LBB231_54
.LBB231_26:                             ;   in Loop: Header=BB231_18 Depth=2
	s_wait_alu 0xfffe
	s_or_b32 exec_lo, exec_lo, s6
	s_and_saveexec_b32 s6, s1
.LBB231_27:                             ;   in Loop: Header=BB231_18 Depth=2
	ds_store_b32 v31, v0
.LBB231_28:                             ;   in Loop: Header=BB231_18 Depth=2
	s_wait_alu 0xfffe
	s_or_b32 exec_lo, exec_lo, s6
	ds_bpermute_b32 v30, v34, v41
	s_wait_loadcnt_dscnt 0x0
	s_barrier_signal -1
	s_barrier_wait -1
	global_inv scope:SCOPE_SE
	v_add_f32_e32 v30, v41, v30
	ds_bpermute_b32 v41, v35, v30
	s_wait_dscnt 0x0
	v_add_f32_e32 v30, v30, v41
	ds_bpermute_b32 v41, v36, v30
	s_wait_dscnt 0x0
	;; [unrolled: 3-line block ×3, first 2 shown]
	v_add_f32_e32 v30, v30, v41
	ds_bpermute_b32 v41, v38, v30
	s_and_saveexec_b32 s6, s3
	s_cbranch_execz .LBB231_30
; %bb.29:                               ;   in Loop: Header=BB231_18 Depth=2
	s_wait_dscnt 0x0
	v_add_f32_e32 v30, v30, v41
	ds_store_b32 v32, v30
.LBB231_30:                             ;   in Loop: Header=BB231_18 Depth=2
	s_wait_alu 0xfffe
	s_or_b32 exec_lo, exec_lo, s6
	v_mov_b32_e32 v30, 0
	s_wait_loadcnt_dscnt 0x0
	s_barrier_signal -1
	s_barrier_wait -1
	global_inv scope:SCOPE_SE
	s_and_saveexec_b32 s6, s2
	s_cbranch_execnz .LBB231_55
; %bb.31:                               ;   in Loop: Header=BB231_18 Depth=2
	s_wait_alu 0xfffe
	s_or_b32 exec_lo, exec_lo, s6
	s_and_saveexec_b32 s6, s1
	s_cbranch_execnz .LBB231_56
.LBB231_32:                             ;   in Loop: Header=BB231_18 Depth=2
	s_wait_alu 0xfffe
	s_or_b32 exec_lo, exec_lo, s6
	s_and_saveexec_b32 s6, s1
.LBB231_33:                             ;   in Loop: Header=BB231_18 Depth=2
	ds_store_b32 v31, v0
.LBB231_34:                             ;   in Loop: Header=BB231_18 Depth=2
	s_wait_alu 0xfffe
	s_or_b32 exec_lo, exec_lo, s6
	ds_bpermute_b32 v41, v34, v40
	s_wait_loadcnt_dscnt 0x0
	s_barrier_signal -1
	s_barrier_wait -1
	global_inv scope:SCOPE_SE
	v_add_f32_e32 v40, v40, v41
	ds_bpermute_b32 v41, v35, v40
	s_wait_dscnt 0x0
	v_add_f32_e32 v40, v40, v41
	ds_bpermute_b32 v41, v36, v40
	s_wait_dscnt 0x0
	;; [unrolled: 3-line block ×3, first 2 shown]
	v_add_f32_e32 v40, v40, v41
	ds_bpermute_b32 v41, v38, v40
	s_and_saveexec_b32 s6, s3
	s_cbranch_execz .LBB231_36
; %bb.35:                               ;   in Loop: Header=BB231_18 Depth=2
	s_wait_dscnt 0x0
	v_add_f32_e32 v40, v40, v41
	ds_store_b32 v32, v40
.LBB231_36:                             ;   in Loop: Header=BB231_18 Depth=2
	s_wait_alu 0xfffe
	s_or_b32 exec_lo, exec_lo, s6
	v_mov_b32_e32 v40, 0
	s_wait_loadcnt_dscnt 0x0
	s_barrier_signal -1
	s_barrier_wait -1
	global_inv scope:SCOPE_SE
	s_and_saveexec_b32 s6, s2
	s_cbranch_execnz .LBB231_57
; %bb.37:                               ;   in Loop: Header=BB231_18 Depth=2
	s_wait_alu 0xfffe
	s_or_b32 exec_lo, exec_lo, s6
	s_and_saveexec_b32 s6, s1
	s_cbranch_execnz .LBB231_58
.LBB231_38:                             ;   in Loop: Header=BB231_18 Depth=2
	s_wait_alu 0xfffe
	s_or_b32 exec_lo, exec_lo, s6
	s_and_saveexec_b32 s6, s1
.LBB231_39:                             ;   in Loop: Header=BB231_18 Depth=2
	ds_store_b32 v31, v0
.LBB231_40:                             ;   in Loop: Header=BB231_18 Depth=2
	s_wait_alu 0xfffe
	s_or_b32 exec_lo, exec_lo, s6
	ds_bpermute_b32 v41, v34, v39
	s_wait_loadcnt_dscnt 0x0
	s_barrier_signal -1
	s_barrier_wait -1
	global_inv scope:SCOPE_SE
	v_add_f32_e32 v39, v39, v41
	ds_bpermute_b32 v41, v35, v39
	s_wait_dscnt 0x0
	v_add_f32_e32 v39, v39, v41
	ds_bpermute_b32 v41, v36, v39
	s_wait_dscnt 0x0
	v_add_f32_e32 v39, v39, v41
	ds_bpermute_b32 v41, v37, v39
	s_wait_dscnt 0x0
	v_add_f32_e32 v39, v39, v41
	ds_bpermute_b32 v41, v38, v39
	s_and_saveexec_b32 s6, s3
	s_cbranch_execz .LBB231_42
; %bb.41:                               ;   in Loop: Header=BB231_18 Depth=2
	s_wait_dscnt 0x0
	v_add_f32_e32 v39, v39, v41
	ds_store_b32 v32, v39
.LBB231_42:                             ;   in Loop: Header=BB231_18 Depth=2
	s_wait_alu 0xfffe
	s_or_b32 exec_lo, exec_lo, s6
	v_mov_b32_e32 v39, 0
	s_wait_loadcnt_dscnt 0x0
	s_barrier_signal -1
	s_barrier_wait -1
	global_inv scope:SCOPE_SE
	s_and_saveexec_b32 s6, s2
	s_cbranch_execnz .LBB231_59
; %bb.43:                               ;   in Loop: Header=BB231_18 Depth=2
	s_wait_alu 0xfffe
	s_or_b32 exec_lo, exec_lo, s6
	s_and_saveexec_b32 s6, s1
	s_cbranch_execnz .LBB231_60
.LBB231_44:                             ;   in Loop: Header=BB231_18 Depth=2
	s_wait_alu 0xfffe
	s_or_b32 exec_lo, exec_lo, s6
	s_and_saveexec_b32 s6, s0
	s_cbranch_execz .LBB231_17
	s_branch .LBB231_61
.LBB231_45:                             ;   in Loop: Header=BB231_18 Depth=2
	s_mul_u64 s[8:9], s[24:25], s[26:27]
	s_or_b32 s52, s24, 1
	s_mov_b32 s53, s25
	s_wait_alu 0xfffe
	s_lshl_b64 s[8:9], s[8:9], 2
	s_mul_u64 s[52:53], s[52:53], s[26:27]
	s_wait_alu 0xfffe
	v_add_co_u32 v2, vcc_lo, v15, s8
	s_wait_alu 0xfffd
	v_add_co_ci_u32_e64 v3, null, s9, v16, vcc_lo
	s_lshl_b64 s[8:9], s[52:53], 2
	s_or_b32 s52, s24, 2
	s_mov_b32 s53, s25
	s_wait_alu 0xfffe
	v_add_co_u32 v29, vcc_lo, v15, s8
	s_wait_alu 0xfffd
	v_add_co_ci_u32_e64 v30, null, s9, v16, vcc_lo
	s_mul_u64 s[8:9], s[52:53], s[26:27]
	s_or_b32 s52, s24, 3
	s_wait_alu 0xfffe
	s_lshl_b64 s[8:9], s[8:9], 2
	s_mul_u64 s[52:53], s[52:53], s[26:27]
	s_wait_dscnt 0x0
	s_wait_alu 0xfffe
	v_add_co_u32 v39, vcc_lo, v15, s8
	s_wait_alu 0xfffd
	v_add_co_ci_u32_e64 v40, null, s9, v16, vcc_lo
	s_lshl_b64 s[8:9], s[52:53], 2
	s_wait_alu 0xfffe
	v_add_co_u32 v54, vcc_lo, v15, s8
	s_wait_alu 0xfffd
	v_add_co_ci_u32_e64 v55, null, s9, v16, vcc_lo
	flat_load_b32 v1, v[19:20]
	s_clause 0x3
	flat_load_b128 v[42:45], v[2:3]
	flat_load_b128 v[46:49], v[29:30]
	;; [unrolled: 1-line block ×4, first 2 shown]
	s_clause 0x2
	flat_load_b32 v2, v[21:22]
	flat_load_b32 v3, v[23:24]
	;; [unrolled: 1-line block ×3, first 2 shown]
	s_wait_loadcnt_dscnt 0x606
	v_fma_f32 v42, v1, v42, 0
	s_wait_loadcnt_dscnt 0x505
	v_fma_f32 v41, v1, v46, 0
	;; [unrolled: 2-line block ×4, first 2 shown]
	s_wait_loadcnt_dscnt 0x202
	v_fmac_f32_e32 v41, v2, v47
	v_fmac_f32_e32 v42, v2, v43
	s_delay_alu instid0(VALU_DEP_3) | instskip(SKIP_1) | instid1(VALU_DEP_3)
	v_fmac_f32_e32 v39, v2, v55
	s_wait_loadcnt_dscnt 0x101
	v_dual_fmac_f32 v40, v2, v51 :: v_dual_fmac_f32 v41, v3, v48
	s_delay_alu instid0(VALU_DEP_3) | instskip(NEXT) | instid1(VALU_DEP_3)
	v_fmac_f32_e32 v42, v3, v44
	v_fmac_f32_e32 v39, v3, v56
	s_wait_loadcnt_dscnt 0x0
	s_delay_alu instid0(VALU_DEP_3) | instskip(NEXT) | instid1(VALU_DEP_3)
	v_dual_fmac_f32 v40, v3, v52 :: v_dual_fmac_f32 v41, v4, v49
	v_fmac_f32_e32 v42, v4, v45
	s_delay_alu instid0(VALU_DEP_3) | instskip(NEXT) | instid1(VALU_DEP_3)
	v_fmac_f32_e32 v39, v4, v57
	v_fmac_f32_e32 v40, v4, v53
	s_and_not1_saveexec_b32 s11, s6
	s_cbranch_execz .LBB231_20
.LBB231_46:                             ;   in Loop: Header=BB231_18 Depth=2
	s_wait_dscnt 0x0
	v_dual_mov_b32 v39, 0 :: v_dual_mov_b32 v40, 0
	v_dual_mov_b32 v41, 0 :: v_dual_mov_b32 v42, 0
	s_and_saveexec_b32 s20, s5
	s_cbranch_execz .LBB231_63
; %bb.47:                               ;   in Loop: Header=BB231_18 Depth=2
	s_and_not1_b32 vcc_lo, exec_lo, s59
	s_wait_alu 0xfffe
	s_cbranch_vccnz .LBB231_50
; %bb.48:                               ;   in Loop: Header=BB231_18 Depth=2
	v_dual_mov_b32 v30, v20 :: v_dual_mov_b32 v29, v19
	s_mov_b64 s[52:53], 0
.LBB231_49:                             ;   Parent Loop BB231_3 Depth=1
                                        ;     Parent Loop BB231_18 Depth=2
                                        ; =>    This Inner Loop Header: Depth=3
	flat_load_b32 v39, v[29:30]
	s_cmp_eq_u32 s52, 3
	v_add_co_u32 v29, vcc_lo, v29, s38
	s_wait_alu 0xfffd
	v_add_co_ci_u32_e64 v30, null, s39, v30, vcc_lo
	s_cselect_b32 vcc_lo, -1, 0
	s_cmp_eq_u32 s52, 2
	s_cselect_b32 s6, -1, 0
	s_cmp_eq_u32 s52, 1
	s_cselect_b32 s7, -1, 0
	s_cmp_eq_u32 s52, 0
	s_add_nc_u64 s[52:53], s[52:53], 1
	s_cselect_b32 s8, -1, 0
	s_cmp_eq_u32 s57, s52
	s_wait_loadcnt_dscnt 0x0
	s_wait_alu 0xfffe
	v_cndmask_b32_e32 v4, v4, v39, vcc_lo
	v_cndmask_b32_e64 v3, v3, v39, s6
	v_cndmask_b32_e64 v2, v2, v39, s7
	v_cndmask_b32_e64 v1, v1, v39, s8
	s_cbranch_scc0 .LBB231_49
.LBB231_50:                             ;   in Loop: Header=BB231_18 Depth=2
	s_and_not1_b32 vcc_lo, exec_lo, s59
	s_wait_alu 0xfffe
	s_cbranch_vccnz .LBB231_62
; %bb.51:                               ;   in Loop: Header=BB231_18 Depth=2
	v_dual_mov_b32 v30, v28 :: v_dual_mov_b32 v41, 0
	v_dual_mov_b32 v42, 0 :: v_dual_mov_b32 v29, v27
	;; [unrolled: 1-line block ×3, first 2 shown]
	s_mov_b64 s[8:9], 0
.LBB231_52:                             ;   Parent Loop BB231_3 Depth=1
                                        ;     Parent Loop BB231_18 Depth=2
                                        ; =>    This Inner Loop Header: Depth=3
	s_delay_alu instid0(VALU_DEP_2)
	v_add_co_u32 v43, vcc_lo, v29, s46
	s_wait_alu 0xfffd
	v_add_co_ci_u32_e64 v44, null, s47, v30, vcc_lo
	v_add_co_u32 v45, vcc_lo, v29, s44
	s_wait_alu 0xfffd
	v_add_co_ci_u32_e64 v46, null, s45, v30, vcc_lo
	;; [unrolled: 3-line block ×3, first 2 shown]
	s_clause 0x3
	flat_load_b32 v49, v[29:30]
	flat_load_b32 v43, v[43:44]
	;; [unrolled: 1-line block ×4, first 2 shown]
	s_wait_alu 0xfffe
	s_cmp_eq_u32 s8, 1
	v_add_co_u32 v29, s6, v29, 4
	s_cselect_b32 vcc_lo, -1, 0
	s_cmp_eq_u32 s8, 2
	s_wait_alu 0xfffe
	v_cndmask_b32_e32 v46, v1, v2, vcc_lo
	s_cselect_b32 vcc_lo, -1, 0
	s_cmp_eq_u32 s8, 3
	v_add_co_ci_u32_e64 v30, null, 0, v30, s6
	s_wait_alu 0xfffe
	v_cndmask_b32_e32 v46, v46, v3, vcc_lo
	s_cselect_b32 vcc_lo, -1, 0
	s_add_nc_u64 s[8:9], s[8:9], 1
	s_wait_alu 0xfffe
	s_cmp_lg_u32 s57, s8
	v_cndmask_b32_e32 v46, v46, v4, vcc_lo
	s_wait_loadcnt_dscnt 0x303
	s_delay_alu instid0(VALU_DEP_1)
	v_fmac_f32_e32 v42, v46, v49
	s_wait_loadcnt_dscnt 0x202
	v_fmac_f32_e32 v41, v46, v43
	s_wait_loadcnt_dscnt 0x101
	v_fmac_f32_e32 v40, v46, v44
	s_wait_loadcnt_dscnt 0x0
	v_fmac_f32_e32 v39, v46, v45
	s_cbranch_scc1 .LBB231_52
	s_branch .LBB231_63
.LBB231_53:                             ;   in Loop: Header=BB231_18 Depth=2
	ds_load_b32 v29, v31
	s_wait_alu 0xfffe
	s_or_b32 exec_lo, exec_lo, s6
	s_and_saveexec_b32 s6, s1
	s_cbranch_execz .LBB231_26
.LBB231_54:                             ;   in Loop: Header=BB231_18 Depth=2
	s_wait_dscnt 0x0
	ds_bpermute_b32 v30, v36, v29
	s_wait_dscnt 0x0
	v_add_f32_e32 v29, v29, v30
	ds_bpermute_b32 v30, v37, v29
	s_wait_dscnt 0x0
	v_add_f32_e32 v29, v29, v30
	;; [unrolled: 3-line block ×3, first 2 shown]
	s_wait_alu 0xfffe
	s_or_b32 exec_lo, exec_lo, s6
	s_and_saveexec_b32 s6, s1
	s_cbranch_execnz .LBB231_27
	s_branch .LBB231_28
.LBB231_55:                             ;   in Loop: Header=BB231_18 Depth=2
	ds_load_b32 v30, v31
	s_wait_alu 0xfffe
	s_or_b32 exec_lo, exec_lo, s6
	s_and_saveexec_b32 s6, s1
	s_cbranch_execz .LBB231_32
.LBB231_56:                             ;   in Loop: Header=BB231_18 Depth=2
	s_wait_dscnt 0x0
	ds_bpermute_b32 v41, v36, v30
	s_wait_dscnt 0x0
	v_add_f32_e32 v30, v30, v41
	ds_bpermute_b32 v41, v37, v30
	s_wait_dscnt 0x0
	v_add_f32_e32 v30, v30, v41
	;; [unrolled: 3-line block ×3, first 2 shown]
	s_wait_alu 0xfffe
	s_or_b32 exec_lo, exec_lo, s6
	s_and_saveexec_b32 s6, s1
	s_cbranch_execnz .LBB231_33
	s_branch .LBB231_34
.LBB231_57:                             ;   in Loop: Header=BB231_18 Depth=2
	ds_load_b32 v40, v31
	s_wait_alu 0xfffe
	s_or_b32 exec_lo, exec_lo, s6
	s_and_saveexec_b32 s6, s1
	s_cbranch_execz .LBB231_38
.LBB231_58:                             ;   in Loop: Header=BB231_18 Depth=2
	s_wait_dscnt 0x0
	ds_bpermute_b32 v41, v36, v40
	s_wait_dscnt 0x0
	v_add_f32_e32 v40, v40, v41
	ds_bpermute_b32 v41, v37, v40
	s_wait_dscnt 0x0
	v_add_f32_e32 v40, v40, v41
	;; [unrolled: 3-line block ×3, first 2 shown]
	s_wait_alu 0xfffe
	s_or_b32 exec_lo, exec_lo, s6
	s_and_saveexec_b32 s6, s1
	s_cbranch_execnz .LBB231_39
	s_branch .LBB231_40
.LBB231_59:                             ;   in Loop: Header=BB231_18 Depth=2
	ds_load_b32 v39, v31
	s_wait_alu 0xfffe
	s_or_b32 exec_lo, exec_lo, s6
	s_and_saveexec_b32 s6, s1
	s_cbranch_execz .LBB231_44
.LBB231_60:                             ;   in Loop: Header=BB231_18 Depth=2
	s_wait_dscnt 0x0
	ds_bpermute_b32 v41, v36, v39
	s_wait_dscnt 0x0
	v_add_f32_e32 v39, v39, v41
	ds_bpermute_b32 v41, v37, v39
	s_wait_dscnt 0x0
	v_add_f32_e32 v39, v39, v41
	ds_bpermute_b32 v41, v38, v39
	s_wait_dscnt 0x0
	v_add_f32_e32 v39, v39, v41
	s_wait_alu 0xfffe
	s_or_b32 exec_lo, exec_lo, s6
	s_and_saveexec_b32 s6, s0
	s_cbranch_execz .LBB231_17
.LBB231_61:                             ;   in Loop: Header=BB231_18 Depth=2
	s_mul_u64 s[8:9], s[24:25], s[28:29]
	v_dual_mul_f32 v29, s22, v29 :: v_dual_mul_f32 v30, s22, v30
	s_or_b32 s52, s24, 1
	s_mov_b32 s53, s25
	s_wait_alu 0xfffe
	s_lshl_b64 s[8:9], s[8:9], 2
	s_mul_u64 s[52:53], s[52:53], s[28:29]
	s_wait_alu 0xfffe
	s_add_nc_u64 s[8:9], s[50:51], s[8:9]
	s_or_b32 s60, s24, 2
	s_mov_b32 s61, s25
	global_store_b32 v0, v29, s[8:9]
	s_lshl_b64 s[8:9], s[52:53], 2
	s_mul_u64 s[52:53], s[60:61], s[28:29]
	s_or_b32 s60, s24, 3
	s_wait_alu 0xfffe
	s_add_nc_u64 s[8:9], s[50:51], s[8:9]
	s_mul_u64 s[60:61], s[60:61], s[28:29]
	v_mul_f32_e32 v29, s22, v40
	global_store_b32 v0, v30, s[8:9]
	s_lshl_b64 s[8:9], s[52:53], 2
	s_wait_dscnt 0x0
	v_mul_f32_e32 v30, s22, v39
	s_lshl_b64 s[52:53], s[60:61], 2
	s_wait_alu 0xfffe
	s_add_nc_u64 s[8:9], s[50:51], s[8:9]
	s_add_nc_u64 s[52:53], s[50:51], s[52:53]
	s_clause 0x1
	global_store_b32 v0, v29, s[8:9]
	global_store_b32 v0, v30, s[52:53]
	s_branch .LBB231_17
.LBB231_62:                             ;   in Loop: Header=BB231_18 Depth=2
	v_dual_mov_b32 v39, 0 :: v_dual_mov_b32 v40, 0
	v_dual_mov_b32 v41, 0 :: v_dual_mov_b32 v42, 0
.LBB231_63:                             ;   in Loop: Header=BB231_18 Depth=2
	s_wait_alu 0xfffe
	s_or_b32 exec_lo, exec_lo, s20
	s_delay_alu instid0(SALU_CYCLE_1)
	s_or_b32 exec_lo, exec_lo, s11
	s_and_saveexec_b32 s6, s1
	s_cbranch_execnz .LBB231_21
	s_branch .LBB231_22
.LBB231_64:                             ;   in Loop: Header=BB231_3 Depth=1
	v_mov_b32_e32 v3, v0
	v_dual_mov_b32 v1, v0 :: v_dual_mov_b32 v2, v0
	s_mov_b32 s24, 0
	s_delay_alu instid0(VALU_DEP_2) | instskip(NEXT) | instid1(VALU_DEP_2)
	v_mov_b32_e32 v4, v3
	v_mov_b32_e32 v3, v2
	s_delay_alu instid0(VALU_DEP_3)
	v_mov_b32_e32 v2, v1
	v_mov_b32_e32 v1, v0
.LBB231_65:                             ;   in Loop: Header=BB231_3 Depth=1
	s_wait_alu 0xfffe
	s_cmp_ge_i32 s24, s21
	s_cbranch_scc1 .LBB231_2
; %bb.66:                               ;   in Loop: Header=BB231_3 Depth=1
	v_cmp_gt_u32_e32 vcc_lo, 24, v33
	s_wait_alu 0xfffd
	v_cndmask_b32_e64 v19, 0, 8, vcc_lo
	v_cmp_gt_u32_e32 vcc_lo, 28, v33
	s_delay_alu instid0(VALU_DEP_2) | instskip(SKIP_4) | instid1(VALU_DEP_3)
	v_add_lshl_u32 v29, v19, v33, 2
	s_wait_alu 0xfffd
	v_cndmask_b32_e64 v21, 0, 4, vcc_lo
	v_cmp_gt_u32_e32 vcc_lo, 30, v33
	v_mad_co_u64_u32 v[19:20], null, s46, s24, v[15:16]
	v_add_lshl_u32 v30, v21, v33, 2
	s_wait_alu 0xfffd
	v_cndmask_b32_e64 v22, 0, 2, vcc_lo
	v_cmp_ne_u32_e32 vcc_lo, 31, v33
	s_delay_alu instid0(VALU_DEP_2)
	v_add_lshl_u32 v35, v22, v33, 2
	s_wait_alu 0xfffd
	v_add_co_ci_u32_e64 v23, null, 0, v33, vcc_lo
	v_add_co_u32 v21, vcc_lo, v17, v5
	s_wait_alu 0xfffd
	v_add_co_ci_u32_e64 v22, null, v18, v6, vcc_lo
	s_delay_alu instid0(VALU_DEP_3)
	v_lshlrev_b32_e32 v36, 2, v23
	s_wait_dscnt 0x0
	v_mad_co_u64_u32 v[27:28], null, s47, s24, v[20:21]
	v_add_co_u32 v23, vcc_lo, v17, v9
	s_wait_alu 0xfffd
	v_add_co_ci_u32_e64 v24, null, v18, v10, vcc_lo
	v_add_co_u32 v25, vcc_lo, v17, v11
	s_wait_alu 0xfffd
	v_add_co_ci_u32_e64 v26, null, v18, v12, vcc_lo
	;; [unrolled: 3-line block ×3, first 2 shown]
	v_mov_b32_e32 v20, v27
	s_branch .LBB231_68
.LBB231_67:                             ;   in Loop: Header=BB231_68 Depth=2
	s_wait_alu 0xfffe
	s_or_b32 exec_lo, exec_lo, s6
	v_add_co_u32 v19, vcc_lo, v19, s46
	s_wait_alu 0xfffd
	v_add_co_ci_u32_e64 v20, null, s47, v20, vcc_lo
	s_add_co_i32 s24, s24, 1
	s_wait_alu 0xfffe
	s_cmp_ge_i32 s24, s21
	s_cbranch_scc1 .LBB231_2
.LBB231_68:                             ;   Parent Loop BB231_3 Depth=1
                                        ; =>  This Loop Header: Depth=2
                                        ;       Child Loop BB231_81 Depth 3
                                        ;       Child Loop BB231_84 Depth 3
	v_mov_b32_e32 v37, s25
	s_and_saveexec_b32 s6, s4
	s_wait_alu 0xfffe
	s_xor_b32 s6, exec_lo, s6
	s_cbranch_execnz .LBB231_77
; %bb.69:                               ;   in Loop: Header=BB231_68 Depth=2
	s_wait_alu 0xfffe
	s_and_not1_saveexec_b32 s9, s6
	s_cbranch_execnz .LBB231_78
.LBB231_70:                             ;   in Loop: Header=BB231_68 Depth=2
	s_wait_alu 0xfffe
	s_or_b32 exec_lo, exec_lo, s9
	s_and_saveexec_b32 s6, s1
.LBB231_71:                             ;   in Loop: Header=BB231_68 Depth=2
	ds_store_b32 v31, v0
.LBB231_72:                             ;   in Loop: Header=BB231_68 Depth=2
	s_wait_alu 0xfffe
	s_or_b32 exec_lo, exec_lo, s6
	s_wait_dscnt 0x0
	ds_bpermute_b32 v27, v34, v37
	s_wait_storecnt 0x0
	s_wait_loadcnt_dscnt 0x0
	s_barrier_signal -1
	s_barrier_wait -1
	global_inv scope:SCOPE_SE
	v_add_f32_e32 v27, v37, v27
	ds_bpermute_b32 v28, v29, v27
	s_wait_dscnt 0x0
	v_add_f32_e32 v27, v27, v28
	ds_bpermute_b32 v28, v30, v27
	s_wait_dscnt 0x0
	;; [unrolled: 3-line block ×3, first 2 shown]
	v_add_f32_e32 v27, v27, v28
	ds_bpermute_b32 v28, v36, v27
	s_and_saveexec_b32 s6, s3
	s_cbranch_execz .LBB231_74
; %bb.73:                               ;   in Loop: Header=BB231_68 Depth=2
	s_wait_dscnt 0x0
	v_add_f32_e32 v27, v27, v28
	ds_store_b32 v32, v27
.LBB231_74:                             ;   in Loop: Header=BB231_68 Depth=2
	s_wait_alu 0xfffe
	s_or_b32 exec_lo, exec_lo, s6
	v_mov_b32_e32 v27, 0
	s_wait_loadcnt_dscnt 0x0
	s_barrier_signal -1
	s_barrier_wait -1
	global_inv scope:SCOPE_SE
	s_and_saveexec_b32 s6, s2
	s_cbranch_execnz .LBB231_86
; %bb.75:                               ;   in Loop: Header=BB231_68 Depth=2
	s_wait_alu 0xfffe
	s_or_b32 exec_lo, exec_lo, s6
	s_and_saveexec_b32 s6, s1
	s_cbranch_execnz .LBB231_87
.LBB231_76:                             ;   in Loop: Header=BB231_68 Depth=2
	s_wait_alu 0xfffe
	s_or_b32 exec_lo, exec_lo, s6
	s_and_saveexec_b32 s6, s0
	s_cbranch_execz .LBB231_67
	s_branch .LBB231_88
.LBB231_77:                             ;   in Loop: Header=BB231_68 Depth=2
	s_mul_u64 s[8:9], s[24:25], s[26:27]
	s_wait_alu 0xfffe
	s_lshl_b64 s[8:9], s[8:9], 2
	s_wait_alu 0xfffe
	v_add_co_u32 v1, vcc_lo, v15, s8
	s_wait_alu 0xfffd
	v_add_co_ci_u32_e64 v2, null, s9, v16, vcc_lo
	s_wait_dscnt 0x0
	flat_load_b128 v[37:40], v[1:2]
	s_clause 0x3
	flat_load_b32 v1, v[21:22]
	flat_load_b32 v2, v[23:24]
	;; [unrolled: 1-line block ×4, first 2 shown]
	s_wait_loadcnt_dscnt 0x303
	v_fma_f32 v37, v1, v37, 0
	s_wait_loadcnt_dscnt 0x202
	s_delay_alu instid0(VALU_DEP_1) | instskip(SKIP_1) | instid1(VALU_DEP_1)
	v_fmac_f32_e32 v37, v2, v38
	s_wait_loadcnt_dscnt 0x101
	v_fmac_f32_e32 v37, v3, v39
	s_wait_loadcnt_dscnt 0x0
	s_delay_alu instid0(VALU_DEP_1)
	v_fmac_f32_e32 v37, v4, v40
	s_and_not1_saveexec_b32 s9, s6
	s_cbranch_execz .LBB231_70
.LBB231_78:                             ;   in Loop: Header=BB231_68 Depth=2
	s_and_saveexec_b32 s11, s5
	s_cbranch_execz .LBB231_85
; %bb.79:                               ;   in Loop: Header=BB231_68 Depth=2
	s_and_not1_b32 vcc_lo, exec_lo, s59
	s_wait_alu 0xfffe
	s_cbranch_vccnz .LBB231_82
; %bb.80:                               ;   in Loop: Header=BB231_68 Depth=2
	s_wait_dscnt 0x0
	v_dual_mov_b32 v28, v22 :: v_dual_mov_b32 v27, v21
	s_mov_b64 s[52:53], 0
.LBB231_81:                             ;   Parent Loop BB231_3 Depth=1
                                        ;     Parent Loop BB231_68 Depth=2
                                        ; =>    This Inner Loop Header: Depth=3
	flat_load_b32 v38, v[27:28]
	s_cmp_eq_u32 s52, 3
	v_add_co_u32 v27, vcc_lo, v27, s38
	s_wait_alu 0xfffd
	v_add_co_ci_u32_e64 v28, null, s39, v28, vcc_lo
	s_cselect_b32 vcc_lo, -1, 0
	s_cmp_eq_u32 s52, 2
	s_cselect_b32 s6, -1, 0
	s_cmp_eq_u32 s52, 1
	s_cselect_b32 s7, -1, 0
	s_cmp_eq_u32 s52, 0
	s_add_nc_u64 s[52:53], s[52:53], 1
	s_cselect_b32 s8, -1, 0
	s_cmp_eq_u32 s57, s52
	s_wait_loadcnt_dscnt 0x0
	s_wait_alu 0xfffe
	v_cndmask_b32_e32 v4, v4, v38, vcc_lo
	v_cndmask_b32_e64 v3, v3, v38, s6
	v_cndmask_b32_e64 v2, v2, v38, s7
	;; [unrolled: 1-line block ×3, first 2 shown]
	s_cbranch_scc0 .LBB231_81
.LBB231_82:                             ;   in Loop: Header=BB231_68 Depth=2
	s_and_not1_b32 vcc_lo, exec_lo, s59
	s_wait_alu 0xfffe
	s_cbranch_vccnz .LBB231_85
; %bb.83:                               ;   in Loop: Header=BB231_68 Depth=2
	s_wait_dscnt 0x0
	v_dual_mov_b32 v28, v20 :: v_dual_mov_b32 v27, v19
	s_mov_b64 s[6:7], 0
.LBB231_84:                             ;   Parent Loop BB231_3 Depth=1
                                        ;     Parent Loop BB231_68 Depth=2
                                        ; =>    This Inner Loop Header: Depth=3
	flat_load_b32 v38, v[27:28]
	s_wait_alu 0xfffe
	s_cmp_eq_u32 s6, 1
	s_cselect_b32 vcc_lo, -1, 0
	s_cmp_eq_u32 s6, 2
	s_wait_dscnt 0x1
	s_wait_alu 0xfffe
	v_cndmask_b32_e32 v39, v1, v2, vcc_lo
	s_cselect_b32 vcc_lo, -1, 0
	s_cmp_eq_u32 s6, 3
	s_add_nc_u64 s[6:7], s[6:7], 1
	s_wait_alu 0xfffe
	v_cndmask_b32_e32 v39, v39, v3, vcc_lo
	s_cselect_b32 vcc_lo, -1, 0
	s_cmp_lg_u32 s57, s6
	s_wait_alu 0xfffe
	s_delay_alu instid0(VALU_DEP_1)
	v_cndmask_b32_e32 v39, v39, v4, vcc_lo
	v_add_co_u32 v27, vcc_lo, v27, 4
	s_wait_alu 0xfffd
	v_add_co_ci_u32_e64 v28, null, 0, v28, vcc_lo
	s_wait_loadcnt_dscnt 0x0
	v_fmac_f32_e32 v37, v39, v38
	s_cbranch_scc1 .LBB231_84
.LBB231_85:                             ;   in Loop: Header=BB231_68 Depth=2
	s_or_b32 exec_lo, exec_lo, s11
	s_wait_alu 0xfffe
	s_or_b32 exec_lo, exec_lo, s9
	s_and_saveexec_b32 s6, s1
	s_cbranch_execnz .LBB231_71
	s_branch .LBB231_72
.LBB231_86:                             ;   in Loop: Header=BB231_68 Depth=2
	ds_load_b32 v27, v31
	s_wait_alu 0xfffe
	s_or_b32 exec_lo, exec_lo, s6
	s_and_saveexec_b32 s6, s1
	s_cbranch_execz .LBB231_76
.LBB231_87:                             ;   in Loop: Header=BB231_68 Depth=2
	s_wait_dscnt 0x0
	ds_bpermute_b32 v28, v30, v27
	s_wait_dscnt 0x0
	v_add_f32_e32 v27, v27, v28
	ds_bpermute_b32 v28, v35, v27
	s_wait_dscnt 0x0
	v_add_f32_e32 v27, v27, v28
	;; [unrolled: 3-line block ×3, first 2 shown]
	s_wait_alu 0xfffe
	s_or_b32 exec_lo, exec_lo, s6
	s_and_saveexec_b32 s6, s0
	s_cbranch_execz .LBB231_67
.LBB231_88:                             ;   in Loop: Header=BB231_68 Depth=2
	s_mul_u64 s[8:9], s[24:25], s[28:29]
	s_wait_dscnt 0x0
	v_mul_f32_e32 v27, s22, v27
	s_wait_alu 0xfffe
	s_lshl_b64 s[8:9], s[8:9], 2
	s_wait_alu 0xfffe
	s_add_nc_u64 s[8:9], s[50:51], s[8:9]
	global_store_b32 v0, v27, s[8:9]
	s_branch .LBB231_67
.LBB231_89:
	s_endpgm
	.section	.rodata,"a",@progbits
	.p2align	6, 0x0
	.amdhsa_kernel _ZL23rocblas_gemvt_sn_kernelILb1ELi256ELi4ElPKfffEviiT4_lPKT3_lilS5_lilPT5_i
		.amdhsa_group_segment_fixed_size 128
		.amdhsa_private_segment_fixed_size 0
		.amdhsa_kernarg_size 360
		.amdhsa_user_sgpr_count 2
		.amdhsa_user_sgpr_dispatch_ptr 0
		.amdhsa_user_sgpr_queue_ptr 0
		.amdhsa_user_sgpr_kernarg_segment_ptr 1
		.amdhsa_user_sgpr_dispatch_id 0
		.amdhsa_user_sgpr_private_segment_size 0
		.amdhsa_wavefront_size32 1
		.amdhsa_uses_dynamic_stack 0
		.amdhsa_enable_private_segment 0
		.amdhsa_system_sgpr_workgroup_id_x 1
		.amdhsa_system_sgpr_workgroup_id_y 0
		.amdhsa_system_sgpr_workgroup_id_z 1
		.amdhsa_system_sgpr_workgroup_info 0
		.amdhsa_system_vgpr_workitem_id 0
		.amdhsa_next_free_vgpr 58
		.amdhsa_next_free_sgpr 62
		.amdhsa_reserve_vcc 1
		.amdhsa_float_round_mode_32 0
		.amdhsa_float_round_mode_16_64 0
		.amdhsa_float_denorm_mode_32 3
		.amdhsa_float_denorm_mode_16_64 3
		.amdhsa_fp16_overflow 0
		.amdhsa_workgroup_processor_mode 1
		.amdhsa_memory_ordered 1
		.amdhsa_forward_progress 1
		.amdhsa_inst_pref_size 35
		.amdhsa_round_robin_scheduling 0
		.amdhsa_exception_fp_ieee_invalid_op 0
		.amdhsa_exception_fp_denorm_src 0
		.amdhsa_exception_fp_ieee_div_zero 0
		.amdhsa_exception_fp_ieee_overflow 0
		.amdhsa_exception_fp_ieee_underflow 0
		.amdhsa_exception_fp_ieee_inexact 0
		.amdhsa_exception_int_div_zero 0
	.end_amdhsa_kernel
	.section	.text._ZL23rocblas_gemvt_sn_kernelILb1ELi256ELi4ElPKfffEviiT4_lPKT3_lilS5_lilPT5_i,"axG",@progbits,_ZL23rocblas_gemvt_sn_kernelILb1ELi256ELi4ElPKfffEviiT4_lPKT3_lilS5_lilPT5_i,comdat
.Lfunc_end231:
	.size	_ZL23rocblas_gemvt_sn_kernelILb1ELi256ELi4ElPKfffEviiT4_lPKT3_lilS5_lilPT5_i, .Lfunc_end231-_ZL23rocblas_gemvt_sn_kernelILb1ELi256ELi4ElPKfffEviiT4_lPKT3_lilS5_lilPT5_i
                                        ; -- End function
	.set _ZL23rocblas_gemvt_sn_kernelILb1ELi256ELi4ElPKfffEviiT4_lPKT3_lilS5_lilPT5_i.num_vgpr, 58
	.set _ZL23rocblas_gemvt_sn_kernelILb1ELi256ELi4ElPKfffEviiT4_lPKT3_lilS5_lilPT5_i.num_agpr, 0
	.set _ZL23rocblas_gemvt_sn_kernelILb1ELi256ELi4ElPKfffEviiT4_lPKT3_lilS5_lilPT5_i.numbered_sgpr, 62
	.set _ZL23rocblas_gemvt_sn_kernelILb1ELi256ELi4ElPKfffEviiT4_lPKT3_lilS5_lilPT5_i.num_named_barrier, 0
	.set _ZL23rocblas_gemvt_sn_kernelILb1ELi256ELi4ElPKfffEviiT4_lPKT3_lilS5_lilPT5_i.private_seg_size, 0
	.set _ZL23rocblas_gemvt_sn_kernelILb1ELi256ELi4ElPKfffEviiT4_lPKT3_lilS5_lilPT5_i.uses_vcc, 1
	.set _ZL23rocblas_gemvt_sn_kernelILb1ELi256ELi4ElPKfffEviiT4_lPKT3_lilS5_lilPT5_i.uses_flat_scratch, 1
	.set _ZL23rocblas_gemvt_sn_kernelILb1ELi256ELi4ElPKfffEviiT4_lPKT3_lilS5_lilPT5_i.has_dyn_sized_stack, 0
	.set _ZL23rocblas_gemvt_sn_kernelILb1ELi256ELi4ElPKfffEviiT4_lPKT3_lilS5_lilPT5_i.has_recursion, 0
	.set _ZL23rocblas_gemvt_sn_kernelILb1ELi256ELi4ElPKfffEviiT4_lPKT3_lilS5_lilPT5_i.has_indirect_call, 0
	.section	.AMDGPU.csdata,"",@progbits
; Kernel info:
; codeLenInByte = 4476
; TotalNumSgprs: 64
; NumVgprs: 58
; ScratchSize: 0
; MemoryBound: 0
; FloatMode: 240
; IeeeMode: 1
; LDSByteSize: 128 bytes/workgroup (compile time only)
; SGPRBlocks: 0
; VGPRBlocks: 7
; NumSGPRsForWavesPerEU: 64
; NumVGPRsForWavesPerEU: 58
; Occupancy: 16
; WaveLimiterHint : 0
; COMPUTE_PGM_RSRC2:SCRATCH_EN: 0
; COMPUTE_PGM_RSRC2:USER_SGPR: 2
; COMPUTE_PGM_RSRC2:TRAP_HANDLER: 0
; COMPUTE_PGM_RSRC2:TGID_X_EN: 1
; COMPUTE_PGM_RSRC2:TGID_Y_EN: 0
; COMPUTE_PGM_RSRC2:TGID_Z_EN: 1
; COMPUTE_PGM_RSRC2:TIDIG_COMP_CNT: 0
	.section	.text._ZL36rocblas_gemvt_double_buffered_kernelILb1ELi128ELi8ELi8EPKfS1_KPfEviiT4_lPKT3_lilS7_lilPT5_lili,"axG",@progbits,_ZL36rocblas_gemvt_double_buffered_kernelILb1ELi128ELi8ELi8EPKfS1_KPfEviiT4_lPKT3_lilS7_lilPT5_lili,comdat
	.globl	_ZL36rocblas_gemvt_double_buffered_kernelILb1ELi128ELi8ELi8EPKfS1_KPfEviiT4_lPKT3_lilS7_lilPT5_lili ; -- Begin function _ZL36rocblas_gemvt_double_buffered_kernelILb1ELi128ELi8ELi8EPKfS1_KPfEviiT4_lPKT3_lilS7_lilPT5_lili
	.p2align	8
	.type	_ZL36rocblas_gemvt_double_buffered_kernelILb1ELi128ELi8ELi8EPKfS1_KPfEviiT4_lPKT3_lilS7_lilPT5_lili,@function
_ZL36rocblas_gemvt_double_buffered_kernelILb1ELi128ELi8ELi8EPKfS1_KPfEviiT4_lPKT3_lilS7_lilPT5_lili: ; @_ZL36rocblas_gemvt_double_buffered_kernelILb1ELi128ELi8ELi8EPKfS1_KPfEviiT4_lPKT3_lilS7_lilPT5_lili
; %bb.0:
	s_load_b32 s33, s[0:1], 0x78
	s_lshr_b32 s2, ttmp7, 16
	s_wait_kmcnt 0x0
	s_cmp_ge_u32 s2, s33
	s_cbranch_scc1 .LBB232_15
; %bb.1:
	s_clause 0x3
	s_load_b32 s3, s[0:1], 0x0
	s_load_b32 s28, s[0:1], 0x28
	;; [unrolled: 1-line block ×4, first 2 shown]
	v_dual_mov_b32 v1, 0 :: v_dual_and_b32 v8, 0x3ff, v0
	v_bfe_u32 v2, v0, 10, 10
	s_clause 0x2
	s_load_b128 s[12:15], s[0:1], 0x38
	s_load_b128 s[16:19], s[0:1], 0x58
	s_load_b256 s[4:11], s[0:1], 0x8
	v_add_nc_u32_e32 v12, 1, v8
	v_add_nc_u32_e32 v13, 2, v8
	;; [unrolled: 1-line block ×3, first 2 shown]
	s_add_nc_u64 s[22:23], s[0:1], 0x80
	v_lshl_add_u32 v3, v2, 7, v8
	v_lshlrev_b32_e32 v11, 8, v8
	v_and_b32_e32 v12, 63, v12
	v_add_nc_u32_e32 v15, 4, v8
	v_and_b32_e32 v13, 63, v13
	v_lshrrev_b32_e32 v10, 3, v3
	v_and_b32_e32 v0, 63, v0
	s_wait_kmcnt 0x0
	s_ashr_i32 s0, s3, 31
	v_lshl_or_b32 v19, v12, 2, v11
	s_lshr_b32 s0, s0, 25
	v_and_b32_e32 v12, 63, v15
	s_add_co_i32 s3, s3, s0
	v_cmp_eq_u32_e64 s0, 0, v2
	v_and_b32_e32 v2, 63, v14
	v_lshl_or_b32 v20, v13, 2, v11
	v_add_nc_u32_e32 v13, 5, v8
	v_add_nc_u32_e32 v14, 6, v8
	v_lshl_or_b32 v22, v12, 2, v11
	v_lshl_or_b32 v21, v2, 2, v11
	v_add_nc_u32_e32 v2, 7, v8
	v_and_b32_e32 v12, 63, v13
	v_and_b32_e32 v13, 63, v14
	v_add_nc_u32_e32 v14, 8, v8
	v_add_nc_u32_e32 v15, 9, v8
	v_and_b32_e32 v2, 63, v2
	v_lshl_or_b32 v23, v12, 2, v11
	v_lshl_or_b32 v24, v13, 2, v11
	v_and_b32_e32 v12, 63, v14
	v_and_b32_e32 v13, 63, v15
	v_lshl_or_b32 v25, v2, 2, v11
	v_add_nc_u32_e32 v2, 10, v8
	v_add_nc_u32_e32 v14, 11, v8
	v_lshl_or_b32 v26, v12, 2, v11
	v_lshl_or_b32 v27, v13, 2, v11
	v_add_nc_u32_e32 v12, 12, v8
	v_and_b32_e32 v2, 63, v2
	v_and_b32_e32 v13, 63, v14
	v_add_nc_u32_e32 v14, 13, v8
	v_add_nc_u32_e32 v15, 14, v8
	v_and_b32_e32 v12, 63, v12
	v_lshl_or_b32 v28, v2, 2, v11
	v_lshl_or_b32 v29, v13, 2, v11
	v_and_b32_e32 v2, 63, v14
	v_and_b32_e32 v13, 63, v15
	v_lshl_or_b32 v30, v12, 2, v11
	v_add_nc_u32_e32 v12, 15, v8
	v_add_nc_u32_e32 v14, 16, v8
	v_lshl_or_b32 v31, v2, 2, v11
	v_add_nc_u32_e32 v2, 17, v8
	v_lshl_or_b32 v32, v13, 2, v11
	v_and_b32_e32 v12, 63, v12
	v_and_b32_e32 v13, 63, v14
	v_add_nc_u32_e32 v14, 18, v8
	v_add_nc_u32_e32 v15, 19, v8
	v_and_b32_e32 v2, 63, v2
	v_lshl_or_b32 v33, v12, 2, v11
	v_lshl_or_b32 v34, v13, 2, v11
	v_and_b32_e32 v12, 63, v14
	v_and_b32_e32 v13, 63, v15
	v_lshl_or_b32 v35, v2, 2, v11
	v_add_nc_u32_e32 v2, 20, v8
	v_add_nc_u32_e32 v14, 21, v8
	v_lshl_or_b32 v36, v12, 2, v11
	v_lshl_or_b32 v37, v13, 2, v11
	v_add_nc_u32_e32 v12, 22, v8
	v_and_b32_e32 v2, 63, v2
	v_and_b32_e32 v13, 63, v14
	v_add_nc_u32_e32 v14, 23, v8
	v_add_nc_u32_e32 v15, 24, v8
	v_and_b32_e32 v12, 63, v12
	v_lshl_or_b32 v38, v2, 2, v11
	v_lshl_or_b32 v39, v13, 2, v11
	v_and_b32_e32 v2, 63, v14
	v_and_b32_e32 v13, 63, v15
	v_lshl_or_b32 v40, v12, 2, v11
	v_add_nc_u32_e32 v12, 25, v8
	v_add_nc_u32_e32 v14, 26, v8
	v_lshl_or_b32 v41, v2, 2, v11
	v_add_nc_u32_e32 v2, 27, v8
	v_lshl_or_b32 v42, v13, 2, v11
	v_and_b32_e32 v12, 63, v12
	v_and_b32_e32 v13, 63, v14
	v_add_nc_u32_e32 v14, 28, v8
	v_and_b32_e32 v2, 63, v2
	v_add_nc_u32_e32 v15, 29, v8
	v_and_b32_e32 v9, 0x7ff8, v10
	v_lshl_or_b32 v43, v12, 2, v11
	v_lshl_or_b32 v44, v13, 2, v11
	;; [unrolled: 1-line block ×3, first 2 shown]
	v_add_nc_u32_e32 v2, 30, v8
	v_and_b32_e32 v12, 63, v14
	v_and_b32_e32 v13, 63, v15
	v_add_nc_u32_e32 v14, 31, v8
	v_add_nc_u32_e32 v15, 34, v8
	v_and_b32_e32 v2, 63, v2
	v_mad_co_i64_i32 v[6:7], null, s28, v9, v[0:1]
	v_lshlrev_b32_e32 v18, 2, v0
	v_lshl_or_b32 v46, v12, 2, v11
	v_lshl_or_b32 v47, v13, 2, v11
	v_add_nc_u32_e32 v12, 33, v8
	v_and_b32_e32 v13, 63, v14
	v_xor_b32_e32 v14, 32, v0
	v_lshl_or_b32 v0, v2, 2, v11
	v_and_b32_e32 v2, 63, v15
	v_and_b32_e32 v12, 63, v12
	v_add_nc_u32_e32 v15, 39, v8
	v_lshl_or_b32 v49, v14, 2, v11
	v_add_nc_u32_e32 v14, 37, v8
	v_lshl_or_b32 v51, v2, 2, v11
	v_add_nc_u32_e32 v2, 38, v8
	v_lshl_or_b32 v50, v12, 2, v11
	v_add_nc_u32_e32 v12, 35, v8
	v_lshl_or_b32 v48, v13, 2, v11
	v_add_nc_u32_e32 v13, 36, v8
	v_and_b32_e32 v2, 63, v2
	v_and_b32_e32 v14, 63, v14
	;; [unrolled: 1-line block ×3, first 2 shown]
	s_and_b32 s40, ttmp7, 0xffff
	v_and_b32_e32 v13, 63, v13
	v_lshl_or_b32 v55, v2, 2, v11
	v_add_nc_u32_e32 v2, 40, v8
	v_lshl_or_b32 v52, v12, 2, v11
	v_and_b32_e32 v12, 63, v15
	v_add_nc_u32_e32 v15, 44, v8
	v_lshl_or_b32 v54, v14, 2, v11
	v_and_b32_e32 v2, 63, v2
	v_add_nc_u32_e32 v14, 42, v8
	v_lshl_or_b32 v56, v12, 2, v11
	v_add_nc_u32_e32 v12, 43, v8
	v_lshl_or_b32 v53, v13, 2, v11
	v_lshl_or_b32 v57, v2, 2, v11
	v_and_b32_e32 v2, 63, v15
	v_add_nc_u32_e32 v13, 41, v8
	v_and_b32_e32 v12, 63, v12
	v_and_b32_e32 v14, 63, v14
	v_add_nc_u32_e32 v15, 49, v8
	v_lshl_or_b32 v61, v2, 2, v11
	v_add_nc_u32_e32 v2, 48, v8
	v_lshl_or_b32 v60, v12, 2, v11
	v_add_nc_u32_e32 v12, 45, v8
	v_and_b32_e32 v13, 63, v13
	v_cvt_f64_i32_e32 v[4:5], s40
	v_and_b32_e32 v2, 63, v2
	v_lshl_or_b32 v59, v14, 2, v11
	v_and_b32_e32 v12, 63, v12
	v_add_nc_u32_e32 v14, 47, v8
	v_lshl_or_b32 v58, v13, 2, v11
	v_lshl_or_b32 v65, v2, 2, v11
	v_add_nc_u32_e32 v2, 50, v8
	v_add_nc_u32_e32 v13, 46, v8
	v_lshl_or_b32 v62, v12, 2, v11
	v_and_b32_e32 v12, 63, v15
	v_add_nc_u32_e32 v15, 54, v8
	v_and_b32_e32 v2, 63, v2
	v_and_b32_e32 v14, 63, v14
	;; [unrolled: 1-line block ×3, first 2 shown]
	v_lshl_or_b32 v66, v12, 2, v11
	v_add_nc_u32_e32 v12, 53, v8
	v_lshl_or_b32 v67, v2, 2, v11
	v_and_b32_e32 v2, 63, v15
	v_lshl_or_b32 v64, v14, 2, v11
	v_add_nc_u32_e32 v14, 52, v8
	v_lshrrev_b32_e32 v3, 1, v3
	v_lshl_or_b32 v63, v13, 2, v11
	v_add_nc_u32_e32 v13, 51, v8
	v_and_b32_e32 v12, 63, v12
	v_lshl_or_b32 v71, v2, 2, v11
	v_add_nc_u32_e32 v2, 58, v8
	s_lshl_b32 s38, ttmp9, 7
	v_and_b32_e32 v14, 63, v14
	v_and_b32_e32 v3, 0x1ffe0, v3
	s_ashr_i32 s39, s38, 31
	s_ashr_i32 s29, s28, 31
	;; [unrolled: 1-line block ×3, first 2 shown]
	v_and_b32_e32 v13, 63, v13
	v_lshl_or_b32 v70, v12, 2, v11
	v_add_nc_u32_e32 v12, 55, v8
	v_and_b32_e32 v2, 63, v2
	s_wait_alu 0xfffe
	s_mul_u64 s[34:35], s[28:29], s[38:39]
	s_mul_u64 s[36:37], s[30:31], s[38:39]
	s_lshl_b64 s[38:39], s[38:39], 2
	v_lshl_or_b32 v69, v14, 2, v11
	v_add_nc_u32_e32 v14, 57, v8
	v_add_co_u32 v17, s1, v3, s38
	v_lshl_or_b32 v68, v13, 2, v11
	v_add_nc_u32_e32 v13, 56, v8
	v_and_b32_e32 v12, 63, v12
	v_lshl_or_b32 v75, v2, 2, v11
	v_add_co_ci_u32_e64 v2, null, 0, s39, s1
	v_and_b32_e32 v14, 63, v14
	v_add_nc_u32_e32 v15, 60, v8
	s_lshl_b64 s[10:11], s[10:11], 2
	v_and_b32_e32 v13, 63, v13
	v_lshl_or_b32 v72, v12, 2, v11
	v_or_b32_e32 v12, 4, v17
	v_mul_lo_u32 v16, v17, s29
	v_mul_lo_u32 v82, v2, s28
	v_mad_co_u64_u32 v[2:3], null, v17, s28, s[10:11]
	v_lshl_or_b32 v74, v14, 2, v11
	v_add_nc_u32_e32 v14, 59, v8
	v_and_b32_e32 v78, 63, v15
	v_or_b32_e32 v15, 12, v17
	v_lshl_or_b32 v73, v13, 2, v11
	v_mul_lo_u32 v76, v12, s29
	v_mad_co_u64_u32 v[12:13], null, v12, s28, s[10:11]
	v_and_b32_e32 v77, 63, v14
	v_or_b32_e32 v14, 8, v17
	v_add3_u32 v3, v82, v3, v16
	v_mul_lo_u32 v85, v15, s29
	v_mad_co_u64_u32 v[15:16], null, v15, s28, s[10:11]
	v_max_num_f64_e32 v[4:5], v[4:5], v[4:5]
	v_or_b32_e32 v84, 16, v17
	v_add3_u32 v83, v82, v13, v76
	v_mul_lo_u32 v76, v14, s29
	v_mad_co_u64_u32 v[13:14], null, v14, s28, s[10:11]
	s_delay_alu instid0(VALU_DEP_4)
	v_mul_lo_u32 v86, v84, s29
	v_or_b32_e32 v87, 20, v17
	v_mad_co_u64_u32 v[88:89], null, v84, s28, s[10:11]
	v_or_b32_e32 v84, 24, v17
	v_add3_u32 v94, v82, v16, v85
	v_or_b32_e32 v16, 28, v17
	v_add_nc_u32_e32 v79, 61, v8
	v_add_nc_u32_e32 v80, 62, v8
	v_add_nc_u32_e32 v81, -1, v8
	v_add3_u32 v14, v82, v14, v76
	v_mul_lo_u32 v76, v87, s29
	v_mad_co_u64_u32 v[90:91], null, v87, s28, s[10:11]
	v_mul_lo_u32 v87, v84, s29
	v_mad_co_u64_u32 v[92:93], null, v84, s28, s[10:11]
	;; [unrolled: 2-line block ×3, first 2 shown]
	v_and_b32_e32 v79, 63, v79
	v_and_b32_e32 v80, 63, v80
	;; [unrolled: 1-line block ×3, first 2 shown]
	v_add3_u32 v89, v82, v89, v86
	v_add3_u32 v91, v82, v91, v76
	;; [unrolled: 1-line block ×3, first 2 shown]
	v_lshl_or_b32 v76, v77, 2, v11
	v_lshl_or_b32 v77, v78, 2, v11
	;; [unrolled: 1-line block ×5, first 2 shown]
	v_or_b32_e32 v81, v11, v18
	v_add3_u32 v11, v82, v17, v84
	v_add_co_u32 v82, vcc_lo, 0x200, v12
	s_delay_alu instid0(VALU_DEP_1)
	v_add_co_ci_u32_e64 v83, null, 0, v83, vcc_lo
	v_add_co_u32 v84, vcc_lo, 0x200, v13
	s_wait_alu 0xfffd
	v_add_co_ci_u32_e64 v85, null, 0, v14, vcc_lo
	v_add_co_u32 v86, vcc_lo, 0x200, v15
	v_mad_co_i64_i32 v[98:99], null, s30, v8, 0
	s_wait_alu 0xfffd
	v_add_co_ci_u32_e64 v87, null, 0, v94, vcc_lo
	v_add_co_u32 v88, vcc_lo, 0x200, v88
	v_lshlrev_b32_e32 v9, 8, v9
	s_wait_alu 0xfffd
	v_add_co_ci_u32_e64 v89, null, 0, v89, vcc_lo
	v_add_co_u32 v90, vcc_lo, 0x200, v90
	v_lshl_or_b32 v10, v10, 8, 0x700
	s_wait_alu 0xfffd
	v_add_co_ci_u32_e64 v91, null, 0, v91, vcc_lo
	v_add_co_u32 v92, vcc_lo, 0x200, v92
	s_wait_alu 0xfffd
	v_add_co_ci_u32_e64 v93, null, 0, v93, vcc_lo
	v_add_co_u32 v94, vcc_lo, 0x200, v16
	v_lshlrev_b64_e32 v[6:7], 2, v[6:7]
	v_add_nc_u32_e32 v97, v18, v9
	v_lshlrev_b64_e32 v[8:9], 2, v[98:99]
	s_wait_alu 0xfffd
	v_add_co_ci_u32_e64 v95, null, 0, v11, vcc_lo
	v_or_b32_e32 v96, 0x100, v18
	v_add_nc_u32_e32 v98, v18, v10
	s_ashr_i32 s21, s20, 31
	s_ashr_i32 s24, s3, 7
	s_mov_b32 s3, 0
	s_lshl_b64 s[26:27], s[20:21], 9
	s_mov_b32 s25, s3
	s_lshl_b64 s[28:29], s[28:29], 2
	s_lshl_b64 s[14:15], s[14:15], 2
	;; [unrolled: 1-line block ×5, first 2 shown]
	s_branch .LBB232_4
.LBB232_2:                              ;   in Loop: Header=BB232_4 Depth=1
	s_wait_alu 0xfffe
	s_or_b32 exec_lo, exec_lo, s1
.LBB232_3:                              ;   in Loop: Header=BB232_4 Depth=1
	s_add_co_i32 s2, s2, 0x10000
	s_delay_alu instid0(SALU_CYCLE_1)
	s_cmp_lt_u32 s2, s33
	s_cbranch_scc0 .LBB232_15
.LBB232_4:                              ; =>This Loop Header: Depth=1
                                        ;     Child Loop BB232_8 Depth 2
	s_mul_u64 s[36:37], s[6:7], s[2:3]
	s_wait_alu 0xfffe
	s_lshl_b64 s[36:37], s[36:37], 2
	s_wait_alu 0xfffe
	s_add_nc_u64 s[36:37], s[4:5], s[36:37]
	global_load_b32 v99, v1, s[36:37]
	s_wait_loadcnt 0x0
	v_cmp_eq_f32_e32 vcc_lo, 0, v99
	s_cbranch_vccnz .LBB232_3
; %bb.5:                                ;   in Loop: Header=BB232_4 Depth=1
	s_load_b32 s38, s[22:23], 0x4
	s_mov_b32 s37, s3
	s_wait_kmcnt 0x0
	s_cvt_f32_u32 s1, s38
	s_sub_co_i32 s36, 0, s38
	s_wait_alu 0xfffe
	s_delay_alu instid0(SALU_CYCLE_1) | instskip(NEXT) | instid1(TRANS32_DEP_1)
	v_rcp_iflag_f32_e32 v10, s1
	v_readfirstlane_b32 s1, v10
	s_mul_f32 s1, s1, 0x4f7ffffe
	s_wait_alu 0xfffe
	s_delay_alu instid0(SALU_CYCLE_2) | instskip(SKIP_1) | instid1(SALU_CYCLE_2)
	s_cvt_u32_f32 s1, s1
	s_wait_alu 0xfffe
	s_mul_i32 s36, s36, s1
	s_wait_alu 0xfffe
	s_mul_hi_u32 s36, s1, s36
	s_wait_alu 0xfffe
	s_add_co_i32 s36, s1, s36
	s_wait_alu 0xfffe
	s_mul_u64 s[36:37], s[24:25], s[36:37]
	s_wait_alu 0xfffe
	s_mul_i32 s1, s37, s38
	s_add_co_i32 s36, s37, 1
	s_wait_alu 0xfffe
	s_sub_co_i32 s1, s24, s1
	s_wait_alu 0xfffe
	s_sub_co_i32 s39, s1, s38
	s_cmp_ge_u32 s1, s38
	s_cselect_b32 s36, s36, s37
	s_wait_alu 0xfffe
	s_cselect_b32 s1, s39, s1
	s_add_co_i32 s37, s36, 1
	s_wait_alu 0xfffe
	s_cmp_ge_u32 s1, s38
	s_cselect_b32 s1, s37, s36
	s_wait_alu 0xfffe
	s_mul_i32 s36, s1, s38
	s_wait_alu 0xfffe
	s_sub_co_i32 s39, s24, s36
	s_wait_alu 0xfffe
	s_cmp_lt_u32 s40, s39
	s_cselect_b32 s36, -1, 0
	s_wait_alu 0xfffe
	s_cmp_lg_u32 s36, 0
	s_add_co_ci_u32 s38, s1, 0
	s_wait_alu 0xfffe
	s_cmp_eq_u32 s38, 0
	s_cbranch_scc1 .LBB232_3
; %bb.6:                                ;   in Loop: Header=BB232_4 Depth=1
	s_lshl_b64 s[36:37], s[2:3], 3
	s_cmp_lt_i32 s38, 1
	s_wait_alu 0xfffe
	s_add_nc_u64 s[42:43], s[16:17], s[36:37]
	global_load_b64 v[10:11], v1, s[42:43]
	s_cbranch_scc1 .LBB232_12
; %bb.7:                                ;   in Loop: Header=BB232_4 Depth=1
	s_add_nc_u64 s[42:43], s[8:9], s[36:37]
	v_cvt_f64_u32_e32 v[12:13], s39
	global_load_b64 v[16:17], v1, s[42:43]
	s_mul_i32 s1, s1, s40
	s_add_nc_u64 s[36:37], s[12:13], s[36:37]
	s_wait_alu 0xfffe
	v_cvt_f64_u32_e32 v[14:15], s1
	v_dual_mov_b32 v121, 0 :: v_dual_mov_b32 v122, 0
	v_dual_mov_b32 v119, 0 :: v_dual_mov_b32 v120, 0
	v_mov_b32_e32 v123, 0
	v_min_num_f64_e32 v[12:13], v[4:5], v[12:13]
	s_delay_alu instid0(VALU_DEP_1) | instskip(NEXT) | instid1(VALU_DEP_1)
	v_add_f64_e32 v[12:13], v[12:13], v[14:15]
	v_cvt_i32_f64_e32 v14, v[12:13]
	global_load_b64 v[12:13], v1, s[36:37]
	v_readfirstlane_b32 s1, v14
	s_lshl_b32 s36, s1, 7
	s_wait_alu 0xfffe
	s_ashr_i32 s37, s36, 31
	s_wait_alu 0xfffe
	s_lshl_b64 s[36:37], s[36:37], 2
	s_wait_alu 0xfffe
	s_mul_i32 s1, s20, s37
	s_wait_loadcnt 0x1
	v_add_co_u32 v14, vcc_lo, v16, s10
	s_wait_alu 0xfffd
	v_add_co_ci_u32_e64 v15, null, s11, v17, vcc_lo
	s_delay_alu instid0(VALU_DEP_2) | instskip(SKIP_1) | instid1(VALU_DEP_2)
	v_add_co_u32 v14, vcc_lo, v14, s30
	s_wait_alu 0xfffd
	v_add_co_ci_u32_e64 v15, null, s31, v15, vcc_lo
	s_delay_alu instid0(VALU_DEP_2) | instskip(SKIP_1) | instid1(VALU_DEP_2)
	;; [unrolled: 4-line block ×10, first 2 shown]
	v_add_co_u32 v112, vcc_lo, v110, s28
	s_wait_alu 0xfffd
	v_add_co_ci_u32_e64 v113, null, s29, v111, vcc_lo
	s_clause 0x6
	flat_load_b32 v126, v[14:15]
	flat_load_b32 v127, v[100:101]
	;; [unrolled: 1-line block ×8, first 2 shown]
	v_mov_b32_e32 v117, 0
	s_wait_loadcnt 0x8
	v_add_co_u32 v100, vcc_lo, v12, s14
	s_wait_alu 0xfffd
	v_add_co_ci_u32_e64 v101, null, s15, v13, vcc_lo
	v_add_co_u32 v12, vcc_lo, v16, v2
	s_wait_alu 0xfffd
	v_add_co_ci_u32_e64 v13, null, v17, v3, vcc_lo
	;; [unrolled: 3-line block ×14, first 2 shown]
	v_or_b32_e32 v14, s36, v96
	v_or_b32_e32 v15, s36, v18
	v_add_co_u32 v116, vcc_lo, v12, s36
	s_wait_alu 0xfffd
	v_add_co_ci_u32_e64 v118, null, s37, v13, vcc_lo
	v_mul_lo_u32 v114, s21, v14
	v_mad_co_u64_u32 v[12:13], null, s20, v14, 0
	v_mul_lo_u32 v115, s21, v15
	v_mad_co_u64_u32 v[14:15], null, s20, v15, 0
	v_add_co_u32 v16, vcc_lo, v16, v94
	s_wait_alu 0xfffd
	v_add_co_ci_u32_e64 v17, null, v17, v95, vcc_lo
	s_wait_alu 0xfffe
	v_add3_u32 v13, v13, s1, v114
	v_add_co_u32 v124, vcc_lo, v16, s36
	s_wait_alu 0xfffd
	v_add_co_ci_u32_e64 v125, null, s37, v17, vcc_lo
	v_add3_u32 v15, v15, s1, v115
	v_dual_mov_b32 v114, 0 :: v_dual_mov_b32 v115, 0
	s_add_co_i32 s36, s38, -1
	s_mov_b32 s37, 0
	s_wait_loadcnt_dscnt 0x606
	v_dual_mov_b32 v134, v126 :: v_dual_mov_b32 v135, v127
	s_wait_loadcnt_dscnt 0x404
	v_dual_mov_b32 v136, v128 :: v_dual_mov_b32 v137, v129
	;; [unrolled: 2-line block ×4, first 2 shown]
.LBB232_8:                              ;   Parent Loop BB232_4 Depth=1
                                        ; =>  This Inner Loop Header: Depth=2
	v_add_co_u32 v16, vcc_lo, v102, v18
	s_wait_alu 0xfffd
	v_add_co_ci_u32_e64 v17, null, 0, v103, vcc_lo
	s_wait_alu 0xfffe
	s_cmp_lg_u32 s36, s37
	v_add_co_u32 v142, vcc_lo, 0x100, v16
	s_wait_alu 0xfffd
	v_add_co_ci_u32_e64 v144, null, 0, v17, vcc_lo
	s_delay_alu instid0(VALU_DEP_2) | instskip(SKIP_1) | instid1(VALU_DEP_2)
	v_add_co_u32 v143, vcc_lo, v142, s28
	s_wait_alu 0xfffd
	v_add_co_ci_u32_e64 v144, null, s29, v144, vcc_lo
	flat_load_b32 v142, v[16:17] offset:256
	v_add_co_u32 v145, vcc_lo, v143, s28
	s_wait_alu 0xfffd
	v_add_co_ci_u32_e64 v146, null, s29, v144, vcc_lo
	v_add_co_u32 v150, vcc_lo, v100, v14
	s_delay_alu instid0(VALU_DEP_3) | instskip(SKIP_1) | instid1(VALU_DEP_3)
	v_add_co_u32 v147, s1, v145, s28
	s_wait_alu 0xf1ff
	v_add_co_ci_u32_e64 v148, null, s29, v146, s1
	s_wait_alu 0xfffd
	v_add_co_ci_u32_e64 v151, null, v101, v15, vcc_lo
	v_add_co_u32 v152, vcc_lo, v147, s28
	s_wait_alu 0xfffd
	v_add_co_ci_u32_e64 v153, null, s29, v148, vcc_lo
	flat_load_b32 v143, v[143:144]
	v_add_co_u32 v154, vcc_lo, v152, s28
	s_wait_alu 0xfffd
	v_add_co_ci_u32_e64 v155, null, s29, v153, vcc_lo
	flat_load_b32 v144, v[145:146]
	v_add_co_u32 v156, vcc_lo, v154, s28
	s_wait_alu 0xfffd
	v_add_co_ci_u32_e64 v157, null, s29, v155, vcc_lo
	s_delay_alu instid0(VALU_DEP_2) | instskip(SKIP_1) | instid1(VALU_DEP_2)
	v_add_co_u32 v158, vcc_lo, v156, s28
	s_wait_alu 0xfffd
	v_add_co_ci_u32_e64 v159, null, s29, v157, vcc_lo
	s_clause 0x4
	flat_load_b32 v145, v[147:148]
	flat_load_b32 v146, v[152:153]
	;; [unrolled: 1-line block ×6, first 2 shown]
	s_cbranch_scc0 .LBB232_10
; %bb.9:                                ;   in Loop: Header=BB232_8 Depth=2
	v_add_co_u32 v135, vcc_lo, v104, v18
	s_wait_alu 0xfffd
	v_add_co_ci_u32_e64 v136, null, 0, v105, vcc_lo
	v_add_co_u32 v137, vcc_lo, v106, v18
	s_wait_alu 0xfffd
	v_add_co_ci_u32_e64 v138, null, 0, v107, vcc_lo
	flat_load_b32 v134, v[16:17] offset:512
	flat_load_b32 v135, v[135:136]
	flat_load_b32 v136, v[137:138]
	v_add_co_u32 v16, vcc_lo, v108, v18
	s_wait_alu 0xfffd
	v_add_co_ci_u32_e64 v17, null, 0, v109, vcc_lo
	v_add_co_u32 v138, vcc_lo, v110, v18
	s_wait_alu 0xfffd
	v_add_co_ci_u32_e64 v139, null, 0, v111, vcc_lo
	;; [unrolled: 3-line block ×5, first 2 shown]
	flat_load_b32 v137, v[16:17]
	flat_load_b32 v138, v[138:139]
	;; [unrolled: 1-line block ×5, first 2 shown]
.LBB232_10:                             ;   in Loop: Header=BB232_8 Depth=2
	v_add_co_u32 v16, vcc_lo, v100, v12
	s_wait_alu 0xfffd
	v_add_co_ci_u32_e64 v17, null, v101, v13, vcc_lo
	v_add_co_u32 v102, vcc_lo, 0x200, v102
	s_wait_alu 0xfffd
	v_add_co_ci_u32_e64 v103, null, 0, v103, vcc_lo
	flat_load_b32 v16, v[16:17]
	v_add_co_u32 v104, vcc_lo, 0x200, v104
	s_wait_alu 0xfffd
	v_add_co_ci_u32_e64 v105, null, 0, v105, vcc_lo
	v_add_co_u32 v106, vcc_lo, 0x200, v106
	s_wait_alu 0xfffd
	v_add_co_ci_u32_e64 v107, null, 0, v107, vcc_lo
	;; [unrolled: 3-line block ×5, first 2 shown]
	v_add_co_u32 v116, vcc_lo, 0x200, v116
	s_wait_loadcnt_dscnt 0x101
	v_fmac_f32_e32 v123, v127, v150
	v_fmac_f32_e32 v114, v126, v150
	;; [unrolled: 1-line block ×8, first 2 shown]
	s_wait_alu 0xfffd
	v_add_co_ci_u32_e64 v118, null, 0, v118, vcc_lo
	v_add_co_u32 v124, vcc_lo, 0x200, v124
	s_wait_alu 0xfffd
	v_add_co_ci_u32_e64 v125, null, 0, v125, vcc_lo
	v_add_co_u32 v100, vcc_lo, v100, s26
	s_wait_alu 0xfffd
	v_add_co_ci_u32_e64 v101, null, s27, v101, vcc_lo
	s_add_co_i32 s37, s37, 1
	s_wait_alu 0xfffe
	s_cmp_ge_i32 s37, s38
	s_wait_loadcnt_dscnt 0x0
	v_fmac_f32_e32 v123, v143, v16
	v_fmac_f32_e32 v114, v142, v16
	;; [unrolled: 1-line block ×8, first 2 shown]
	s_cbranch_scc1 .LBB232_13
; %bb.11:                               ;   in Loop: Header=BB232_8 Depth=2
	v_dual_mov_b32 v126, v134 :: v_dual_mov_b32 v127, v135
	v_dual_mov_b32 v128, v136 :: v_dual_mov_b32 v129, v137
	;; [unrolled: 1-line block ×4, first 2 shown]
	s_branch .LBB232_8
.LBB232_12:                             ;   in Loop: Header=BB232_4 Depth=1
	v_dual_mov_b32 v115, 0 :: v_dual_mov_b32 v120, 0
	v_dual_mov_b32 v117, 0 :: v_dual_mov_b32 v122, 0
	;; [unrolled: 1-line block ×3, first 2 shown]
	v_mov_b32_e32 v121, 0
	v_mov_b32_e32 v123, 0
.LBB232_13:                             ;   in Loop: Header=BB232_4 Depth=1
	ds_store_2addr_stride64_b32 v97, v114, v123 offset1:1
	ds_store_2addr_stride64_b32 v97, v121, v122 offset0:2 offset1:3
	ds_store_2addr_stride64_b32 v97, v119, v120 offset0:4 offset1:5
	ds_store_b32 v97, v117 offset:1536
	ds_store_b32 v98, v115
	s_wait_loadcnt_dscnt 0x0
	s_barrier_signal -1
	s_barrier_wait -1
	global_inv scope:SCOPE_SE
	s_and_saveexec_b32 s1, s0
	s_cbranch_execz .LBB232_2
; %bb.14:                               ;   in Loop: Header=BB232_4 Depth=1
	ds_load_b32 v12, v81
	ds_load_b32 v13, v19
	;; [unrolled: 1-line block ×8, first 2 shown]
	v_add_co_u32 v10, vcc_lo, v10, s18
	s_wait_alu 0xfffd
	v_add_co_ci_u32_e64 v11, null, s19, v11, vcc_lo
	s_delay_alu instid0(VALU_DEP_2) | instskip(SKIP_1) | instid1(VALU_DEP_2)
	v_add_co_u32 v10, vcc_lo, v10, s34
	s_wait_alu 0xfffd
	v_add_co_ci_u32_e64 v11, null, s35, v11, vcc_lo
	s_delay_alu instid0(VALU_DEP_2)
	v_add_co_u32 v10, vcc_lo, v10, v8
	s_wait_dscnt 0x7
	v_add_f32_e32 v12, 0, v12
	s_wait_alu 0xfffd
	v_add_co_ci_u32_e64 v11, null, v11, v9, vcc_lo
	s_wait_dscnt 0x6
	s_delay_alu instid0(VALU_DEP_2)
	v_add_f32_e32 v12, v12, v13
	ds_load_b32 v13, v26
	s_wait_dscnt 0x6
	v_add_f32_e32 v12, v12, v14
	ds_load_b32 v14, v27
	s_wait_dscnt 0x6
	;; [unrolled: 3-line block ×3, first 2 shown]
	v_add_f32_e32 v12, v12, v16
	s_wait_dscnt 0x5
	s_delay_alu instid0(VALU_DEP_1) | instskip(SKIP_1) | instid1(VALU_DEP_1)
	v_add_f32_e32 v12, v12, v17
	s_wait_dscnt 0x4
	v_add_f32_e32 v12, v12, v100
	s_wait_dscnt 0x3
	s_delay_alu instid0(VALU_DEP_1)
	v_add_f32_e32 v12, v12, v101
	ds_load_b32 v16, v29
	ds_load_b32 v17, v30
	ds_load_b32 v100, v31
	ds_load_b32 v101, v32
	ds_load_b32 v102, v33
	s_wait_dscnt 0x7
	v_add_f32_e32 v12, v12, v13
	ds_load_b32 v13, v34
	s_wait_dscnt 0x7
	v_add_f32_e32 v12, v12, v14
	ds_load_b32 v14, v35
	s_wait_dscnt 0x7
	v_add_f32_e32 v12, v12, v15
	ds_load_b32 v15, v36
	s_wait_dscnt 0x7
	v_add_f32_e32 v12, v12, v16
	s_wait_dscnt 0x6
	s_delay_alu instid0(VALU_DEP_1) | instskip(SKIP_1) | instid1(VALU_DEP_1)
	v_add_f32_e32 v12, v12, v17
	s_wait_dscnt 0x5
	v_add_f32_e32 v12, v12, v100
	s_wait_dscnt 0x4
	s_delay_alu instid0(VALU_DEP_1) | instskip(SKIP_1) | instid1(VALU_DEP_1)
	v_add_f32_e32 v12, v12, v101
	s_wait_dscnt 0x3
	v_add_f32_e32 v12, v12, v102
	ds_load_b32 v16, v37
	ds_load_b32 v17, v38
	ds_load_b32 v100, v39
	ds_load_b32 v101, v40
	ds_load_b32 v102, v41
	s_wait_dscnt 0x7
	v_add_f32_e32 v12, v12, v13
	ds_load_b32 v13, v42
	s_wait_dscnt 0x7
	v_add_f32_e32 v12, v12, v14
	ds_load_b32 v14, v43
	s_wait_dscnt 0x7
	v_add_f32_e32 v12, v12, v15
	ds_load_b32 v15, v44
	s_wait_dscnt 0x7
	v_add_f32_e32 v12, v12, v16
	s_wait_dscnt 0x6
	s_delay_alu instid0(VALU_DEP_1) | instskip(SKIP_1) | instid1(VALU_DEP_1)
	v_add_f32_e32 v12, v12, v17
	s_wait_dscnt 0x5
	v_add_f32_e32 v12, v12, v100
	s_wait_dscnt 0x4
	s_delay_alu instid0(VALU_DEP_1) | instskip(SKIP_1) | instid1(VALU_DEP_1)
	v_add_f32_e32 v12, v12, v101
	s_wait_dscnt 0x3
	;; [unrolled: 26-line block ×6, first 2 shown]
	v_add_f32_e32 v12, v12, v102
	ds_load_b32 v16, v76
	ds_load_b32 v17, v77
	;; [unrolled: 1-line block ×5, first 2 shown]
	s_wait_dscnt 0x7
	v_add_f32_e32 v12, v12, v13
	s_wait_dscnt 0x6
	s_delay_alu instid0(VALU_DEP_1) | instskip(SKIP_1) | instid1(VALU_DEP_1)
	v_add_f32_e32 v12, v12, v14
	s_wait_dscnt 0x5
	v_add_f32_e32 v12, v12, v15
	s_wait_dscnt 0x4
	s_delay_alu instid0(VALU_DEP_1) | instskip(SKIP_1) | instid1(VALU_DEP_1)
	v_add_f32_e32 v12, v12, v16
	;; [unrolled: 5-line block ×3, first 2 shown]
	s_wait_dscnt 0x1
	v_add_f32_e32 v12, v12, v101
	s_wait_dscnt 0x0
	s_delay_alu instid0(VALU_DEP_1) | instskip(NEXT) | instid1(VALU_DEP_1)
	v_add_f32_e32 v12, v12, v102
	v_mul_f32_e32 v12, v99, v12
	flat_atomic_add_f32 v[10:11], v12 scope:SCOPE_DEV
	s_branch .LBB232_2
.LBB232_15:
	s_nop 0
	s_sendmsg sendmsg(MSG_DEALLOC_VGPRS)
	s_endpgm
	.section	.rodata,"a",@progbits
	.p2align	6, 0x0
	.amdhsa_kernel _ZL36rocblas_gemvt_double_buffered_kernelILb1ELi128ELi8ELi8EPKfS1_KPfEviiT4_lPKT3_lilS7_lilPT5_lili
		.amdhsa_group_segment_fixed_size 32768
		.amdhsa_private_segment_fixed_size 0
		.amdhsa_kernarg_size 384
		.amdhsa_user_sgpr_count 2
		.amdhsa_user_sgpr_dispatch_ptr 0
		.amdhsa_user_sgpr_queue_ptr 0
		.amdhsa_user_sgpr_kernarg_segment_ptr 1
		.amdhsa_user_sgpr_dispatch_id 0
		.amdhsa_user_sgpr_private_segment_size 0
		.amdhsa_wavefront_size32 1
		.amdhsa_uses_dynamic_stack 0
		.amdhsa_enable_private_segment 0
		.amdhsa_system_sgpr_workgroup_id_x 1
		.amdhsa_system_sgpr_workgroup_id_y 1
		.amdhsa_system_sgpr_workgroup_id_z 1
		.amdhsa_system_sgpr_workgroup_info 0
		.amdhsa_system_vgpr_workitem_id 1
		.amdhsa_next_free_vgpr 160
		.amdhsa_next_free_sgpr 44
		.amdhsa_reserve_vcc 1
		.amdhsa_float_round_mode_32 0
		.amdhsa_float_round_mode_16_64 0
		.amdhsa_float_denorm_mode_32 3
		.amdhsa_float_denorm_mode_16_64 3
		.amdhsa_fp16_overflow 0
		.amdhsa_workgroup_processor_mode 1
		.amdhsa_memory_ordered 1
		.amdhsa_forward_progress 1
		.amdhsa_inst_pref_size 42
		.amdhsa_round_robin_scheduling 0
		.amdhsa_exception_fp_ieee_invalid_op 0
		.amdhsa_exception_fp_denorm_src 0
		.amdhsa_exception_fp_ieee_div_zero 0
		.amdhsa_exception_fp_ieee_overflow 0
		.amdhsa_exception_fp_ieee_underflow 0
		.amdhsa_exception_fp_ieee_inexact 0
		.amdhsa_exception_int_div_zero 0
	.end_amdhsa_kernel
	.section	.text._ZL36rocblas_gemvt_double_buffered_kernelILb1ELi128ELi8ELi8EPKfS1_KPfEviiT4_lPKT3_lilS7_lilPT5_lili,"axG",@progbits,_ZL36rocblas_gemvt_double_buffered_kernelILb1ELi128ELi8ELi8EPKfS1_KPfEviiT4_lPKT3_lilS7_lilPT5_lili,comdat
.Lfunc_end232:
	.size	_ZL36rocblas_gemvt_double_buffered_kernelILb1ELi128ELi8ELi8EPKfS1_KPfEviiT4_lPKT3_lilS7_lilPT5_lili, .Lfunc_end232-_ZL36rocblas_gemvt_double_buffered_kernelILb1ELi128ELi8ELi8EPKfS1_KPfEviiT4_lPKT3_lilS7_lilPT5_lili
                                        ; -- End function
	.set _ZL36rocblas_gemvt_double_buffered_kernelILb1ELi128ELi8ELi8EPKfS1_KPfEviiT4_lPKT3_lilS7_lilPT5_lili.num_vgpr, 160
	.set _ZL36rocblas_gemvt_double_buffered_kernelILb1ELi128ELi8ELi8EPKfS1_KPfEviiT4_lPKT3_lilS7_lilPT5_lili.num_agpr, 0
	.set _ZL36rocblas_gemvt_double_buffered_kernelILb1ELi128ELi8ELi8EPKfS1_KPfEviiT4_lPKT3_lilS7_lilPT5_lili.numbered_sgpr, 44
	.set _ZL36rocblas_gemvt_double_buffered_kernelILb1ELi128ELi8ELi8EPKfS1_KPfEviiT4_lPKT3_lilS7_lilPT5_lili.num_named_barrier, 0
	.set _ZL36rocblas_gemvt_double_buffered_kernelILb1ELi128ELi8ELi8EPKfS1_KPfEviiT4_lPKT3_lilS7_lilPT5_lili.private_seg_size, 0
	.set _ZL36rocblas_gemvt_double_buffered_kernelILb1ELi128ELi8ELi8EPKfS1_KPfEviiT4_lPKT3_lilS7_lilPT5_lili.uses_vcc, 1
	.set _ZL36rocblas_gemvt_double_buffered_kernelILb1ELi128ELi8ELi8EPKfS1_KPfEviiT4_lPKT3_lilS7_lilPT5_lili.uses_flat_scratch, 1
	.set _ZL36rocblas_gemvt_double_buffered_kernelILb1ELi128ELi8ELi8EPKfS1_KPfEviiT4_lPKT3_lilS7_lilPT5_lili.has_dyn_sized_stack, 0
	.set _ZL36rocblas_gemvt_double_buffered_kernelILb1ELi128ELi8ELi8EPKfS1_KPfEviiT4_lPKT3_lilS7_lilPT5_lili.has_recursion, 0
	.set _ZL36rocblas_gemvt_double_buffered_kernelILb1ELi128ELi8ELi8EPKfS1_KPfEviiT4_lPKT3_lilS7_lilPT5_lili.has_indirect_call, 0
	.section	.AMDGPU.csdata,"",@progbits
; Kernel info:
; codeLenInByte = 5268
; TotalNumSgprs: 46
; NumVgprs: 160
; ScratchSize: 0
; MemoryBound: 0
; FloatMode: 240
; IeeeMode: 1
; LDSByteSize: 32768 bytes/workgroup (compile time only)
; SGPRBlocks: 0
; VGPRBlocks: 19
; NumSGPRsForWavesPerEU: 46
; NumVGPRsForWavesPerEU: 160
; Occupancy: 9
; WaveLimiterHint : 1
; COMPUTE_PGM_RSRC2:SCRATCH_EN: 0
; COMPUTE_PGM_RSRC2:USER_SGPR: 2
; COMPUTE_PGM_RSRC2:TRAP_HANDLER: 0
; COMPUTE_PGM_RSRC2:TGID_X_EN: 1
; COMPUTE_PGM_RSRC2:TGID_Y_EN: 1
; COMPUTE_PGM_RSRC2:TGID_Z_EN: 1
; COMPUTE_PGM_RSRC2:TIDIG_COMP_CNT: 1
	.section	.text._ZL36rocblas_gemvt_double_buffered_kernelILb1ELi128ELi8ELi8EPKffKPfEviiT4_lPKT3_lilS7_lilPT5_lili,"axG",@progbits,_ZL36rocblas_gemvt_double_buffered_kernelILb1ELi128ELi8ELi8EPKffKPfEviiT4_lPKT3_lilS7_lilPT5_lili,comdat
	.globl	_ZL36rocblas_gemvt_double_buffered_kernelILb1ELi128ELi8ELi8EPKffKPfEviiT4_lPKT3_lilS7_lilPT5_lili ; -- Begin function _ZL36rocblas_gemvt_double_buffered_kernelILb1ELi128ELi8ELi8EPKffKPfEviiT4_lPKT3_lilS7_lilPT5_lili
	.p2align	8
	.type	_ZL36rocblas_gemvt_double_buffered_kernelILb1ELi128ELi8ELi8EPKffKPfEviiT4_lPKT3_lilS7_lilPT5_lili,@function
_ZL36rocblas_gemvt_double_buffered_kernelILb1ELi128ELi8ELi8EPKffKPfEviiT4_lPKT3_lilS7_lilPT5_lili: ; @_ZL36rocblas_gemvt_double_buffered_kernelILb1ELi128ELi8ELi8EPKffKPfEviiT4_lPKT3_lilS7_lilPT5_lili
; %bb.0:
	s_load_b32 s33, s[0:1], 0x78
	s_lshr_b32 s2, ttmp7, 16
	s_wait_kmcnt 0x0
	s_cmp_ge_u32 s2, s33
	s_cbranch_scc1 .LBB233_15
; %bb.1:
	s_clause 0x5
	s_load_b32 s26, s[0:1], 0x28
	s_load_b32 s16, s[0:1], 0x48
	;; [unrolled: 1-line block ×4, first 2 shown]
	s_load_b128 s[4:7], s[0:1], 0x18
	s_load_b32 s3, s[0:1], 0x0
	v_dual_mov_b32 v1, 0 :: v_dual_and_b32 v8, 0x3ff, v0
	v_bfe_u32 v2, v0, 10, 10
	s_clause 0x1
	s_load_b128 s[8:11], s[0:1], 0x38
	s_load_b128 s[12:15], s[0:1], 0x58
	s_add_nc_u64 s[20:21], s[0:1], 0x80
	v_add_nc_u32_e32 v12, 1, v8
	v_lshlrev_b32_e32 v11, 8, v8
	v_lshl_add_u32 v3, v2, 7, v8
	v_add_nc_u32_e32 v13, 2, v8
	v_add_nc_u32_e32 v14, 5, v8
	v_and_b32_e32 v12, 63, v12
	v_add_nc_u32_e32 v15, 6, v8
	v_lshrrev_b32_e32 v10, 3, v3
	v_and_b32_e32 v13, 63, v13
	v_lshrrev_b32_e32 v3, 1, v3
	s_wait_kmcnt 0x0
	s_ashr_i32 s27, s26, 31
	s_ashr_i32 s17, s16, 31
	s_ashr_i32 s29, s28, 31
	s_cmp_neq_f32 s38, 0
	v_lshl_or_b32 v19, v12, 2, v11
	v_add_nc_u32_e32 v12, 4, v8
	v_lshl_or_b32 v20, v13, 2, v11
	s_cselect_b32 s39, -1, 0
	s_ashr_i32 s0, s3, 31
	v_and_b32_e32 v13, 63, v14
	s_lshr_b32 s0, s0, 25
	v_and_b32_e32 v12, 63, v12
	s_add_co_i32 s3, s3, s0
	v_cmp_eq_u32_e64 s0, 0, v2
	v_add_nc_u32_e32 v2, 3, v8
	v_lshl_or_b32 v23, v13, 2, v11
	v_lshl_or_b32 v22, v12, 2, v11
	v_add_nc_u32_e32 v12, 7, v8
	v_add_nc_u32_e32 v13, 8, v8
	v_and_b32_e32 v2, 63, v2
	v_add_nc_u32_e32 v14, 10, v8
	s_and_b32 s40, ttmp7, 0xffff
	v_and_b32_e32 v12, 63, v12
	v_and_b32_e32 v13, 63, v13
	v_lshl_or_b32 v21, v2, 2, v11
	v_and_b32_e32 v2, 63, v15
	v_add_nc_u32_e32 v15, 11, v8
	v_lshl_or_b32 v25, v12, 2, v11
	v_and_b32_e32 v12, 63, v14
	v_lshl_or_b32 v26, v13, 2, v11
	v_lshl_or_b32 v24, v2, 2, v11
	v_add_nc_u32_e32 v2, 9, v8
	v_and_b32_e32 v13, 63, v15
	v_lshl_or_b32 v28, v12, 2, v11
	v_add_nc_u32_e32 v12, 13, v8
	v_add_nc_u32_e32 v14, 15, v8
	v_and_b32_e32 v2, 63, v2
	v_lshl_or_b32 v29, v13, 2, v11
	v_add_nc_u32_e32 v13, 14, v8
	v_and_b32_e32 v12, 63, v12
	v_add_nc_u32_e32 v15, 16, v8
	v_lshl_or_b32 v27, v2, 2, v11
	v_add_nc_u32_e32 v2, 12, v8
	v_and_b32_e32 v13, 63, v13
	v_lshl_or_b32 v31, v12, 2, v11
	v_and_b32_e32 v12, 63, v15
	v_add_nc_u32_e32 v15, 21, v8
	v_and_b32_e32 v2, 63, v2
	v_lshl_or_b32 v32, v13, 2, v11
	v_add_nc_u32_e32 v13, 17, v8
	v_lshl_or_b32 v34, v12, 2, v11
	v_add_nc_u32_e32 v12, 19, v8
	v_lshl_or_b32 v30, v2, 2, v11
	v_and_b32_e32 v2, 63, v14
	v_and_b32_e32 v13, 63, v13
	v_add_nc_u32_e32 v14, 20, v8
	v_and_b32_e32 v12, 63, v12
	v_cvt_f64_i32_e32 v[4:5], s40
	v_lshl_or_b32 v33, v2, 2, v11
	v_add_nc_u32_e32 v2, 18, v8
	v_lshl_or_b32 v35, v13, 2, v11
	v_and_b32_e32 v13, 63, v14
	v_lshl_or_b32 v37, v12, 2, v11
	v_add_nc_u32_e32 v12, 22, v8
	v_and_b32_e32 v2, 63, v2
	v_add_nc_u32_e32 v14, 25, v8
	v_lshl_or_b32 v38, v13, 2, v11
	v_add_nc_u32_e32 v13, 23, v8
	v_and_b32_e32 v12, 63, v12
	v_lshl_or_b32 v36, v2, 2, v11
	v_and_b32_e32 v2, 63, v15
	v_add_nc_u32_e32 v15, 26, v8
	v_and_b32_e32 v13, 63, v13
	v_lshl_or_b32 v40, v12, 2, v11
	v_and_b32_e32 v12, 63, v14
	v_lshl_or_b32 v39, v2, 2, v11
	v_add_nc_u32_e32 v2, 24, v8
	v_lshl_or_b32 v41, v13, 2, v11
	v_and_b32_e32 v13, 63, v15
	v_lshl_or_b32 v43, v12, 2, v11
	v_add_nc_u32_e32 v12, 28, v8
	v_and_b32_e32 v2, 63, v2
	v_add_nc_u32_e32 v14, 30, v8
	v_lshl_or_b32 v44, v13, 2, v11
	v_add_nc_u32_e32 v13, 29, v8
	v_and_b32_e32 v12, 63, v12
	v_lshl_or_b32 v42, v2, 2, v11
	v_add_nc_u32_e32 v2, 27, v8
	v_add_nc_u32_e32 v15, 31, v8
	v_and_b32_e32 v13, 63, v13
	v_lshl_or_b32 v46, v12, 2, v11
	s_lshl_b32 s36, ttmp9, 7
	v_and_b32_e32 v2, 63, v2
	v_and_b32_e32 v12, 63, v15
	v_lshl_or_b32 v47, v13, 2, v11
	v_add_nc_u32_e32 v13, 33, v8
	v_add_nc_u32_e32 v15, 41, v8
	v_lshl_or_b32 v45, v2, 2, v11
	v_and_b32_e32 v2, 63, v14
	v_lshl_or_b32 v49, v12, 2, v11
	v_and_b32_e32 v12, 63, v13
	v_add_nc_u32_e32 v13, 35, v8
	v_add_nc_u32_e32 v14, 36, v8
	v_lshl_or_b32 v48, v2, 2, v11
	v_add_nc_u32_e32 v2, 34, v8
	v_lshl_or_b32 v50, v12, 2, v11
	v_and_b32_e32 v12, 63, v13
	v_add_nc_u32_e32 v13, 37, v8
	s_ashr_i32 s37, s36, 31
	v_and_b32_e32 v2, 63, v2
	s_mul_u64 s[34:35], s[26:27], s[36:37]
	v_lshl_or_b32 v52, v12, 2, v11
	v_add_nc_u32_e32 v12, 39, v8
	s_mul_u64 s[30:31], s[28:29], s[36:37]
	v_lshl_or_b32 v51, v2, 2, v11
	v_and_b32_e32 v2, 63, v14
	v_add_nc_u32_e32 v14, 38, v8
	v_and_b32_e32 v12, 63, v12
	s_lshl_b64 s[36:37], s[36:37], 2
	s_lshl_b64 s[6:7], s[6:7], 2
	v_lshl_or_b32 v53, v2, 2, v11
	v_and_b32_e32 v2, 63, v13
	v_and_b32_e32 v13, 63, v14
	v_add_nc_u32_e32 v14, 40, v8
	v_lshl_or_b32 v56, v12, 2, v11
	v_and_b32_e32 v12, 63, v15
	v_lshl_or_b32 v54, v2, 2, v11
	v_lshl_or_b32 v55, v13, 2, v11
	v_and_b32_e32 v2, 63, v14
	v_add_nc_u32_e32 v13, 42, v8
	v_add_nc_u32_e32 v14, 43, v8
	v_lshl_or_b32 v58, v12, 2, v11
	v_add_nc_u32_e32 v15, 46, v8
	v_lshl_or_b32 v57, v2, 2, v11
	v_add_nc_u32_e32 v2, 44, v8
	v_and_b32_e32 v12, 63, v13
	v_and_b32_e32 v13, 63, v14
	v_add_nc_u32_e32 v14, 45, v8
	v_max_num_f64_e32 v[4:5], v[4:5], v[4:5]
	v_and_b32_e32 v2, 63, v2
	v_lshl_or_b32 v59, v12, 2, v11
	v_lshl_or_b32 v60, v13, 2, v11
	v_and_b32_e32 v12, 63, v14
	v_add_nc_u32_e32 v13, 47, v8
	v_lshl_or_b32 v61, v2, 2, v11
	v_and_b32_e32 v2, 63, v15
	v_add_nc_u32_e32 v14, 48, v8
	v_lshl_or_b32 v62, v12, 2, v11
	v_add_nc_u32_e32 v12, 49, v8
	v_add_nc_u32_e32 v15, 51, v8
	v_lshl_or_b32 v63, v2, 2, v11
	v_and_b32_e32 v2, 63, v13
	v_and_b32_e32 v13, 63, v14
	v_add_nc_u32_e32 v14, 50, v8
	v_and_b32_e32 v12, 63, v12
	v_add_nc_u32_e32 v16, 62, v8
	v_lshl_or_b32 v64, v2, 2, v11
	v_lshl_or_b32 v65, v13, 2, v11
	v_and_b32_e32 v2, 63, v14
	v_lshl_or_b32 v66, v12, 2, v11
	v_and_b32_e32 v12, 63, v15
	v_add_nc_u32_e32 v13, 52, v8
	v_add_nc_u32_e32 v14, 53, v8
	v_lshl_or_b32 v67, v2, 2, v11
	v_add_nc_u32_e32 v2, 54, v8
	v_lshl_or_b32 v68, v12, 2, v11
	v_and_b32_e32 v12, 63, v13
	v_and_b32_e32 v13, 63, v14
	v_add_nc_u32_e32 v15, 56, v8
	v_and_b32_e32 v2, 63, v2
	v_add_nc_u32_e32 v14, 55, v8
	v_lshl_or_b32 v69, v12, 2, v11
	v_lshl_or_b32 v70, v13, 2, v11
	v_add_nc_u32_e32 v13, 57, v8
	v_lshl_or_b32 v71, v2, 2, v11
	v_and_b32_e32 v2, 63, v15
	v_and_b32_e32 v12, 63, v14
	v_add_nc_u32_e32 v14, 58, v8
	v_and_b32_e32 v81, 63, v16
	v_and_b32_e32 v0, 63, v0
	v_lshl_or_b32 v73, v2, 2, v11
	v_and_b32_e32 v2, 63, v13
	v_lshl_or_b32 v72, v12, 2, v11
	v_add_nc_u32_e32 v12, 59, v8
	v_and_b32_e32 v13, 63, v14
	v_add_nc_u32_e32 v14, 60, v8
	v_lshl_or_b32 v74, v2, 2, v11
	v_and_b32_e32 v2, 0x1ffe0, v3
	v_and_b32_e32 v12, 63, v12
	v_lshl_or_b32 v75, v13, 2, v11
	v_and_b32_e32 v77, 63, v14
	v_add_nc_u32_e32 v14, 61, v8
	v_add_co_u32 v78, s1, v2, s36
	s_delay_alu instid0(VALU_DEP_1) | instskip(SKIP_1) | instid1(VALU_DEP_3)
	v_add_co_ci_u32_e64 v2, null, 0, s37, s1
	v_lshl_or_b32 v76, v12, 2, v11
	v_mul_lo_u32 v15, v78, s27
	v_or_b32_e32 v12, 4, v78
	s_delay_alu instid0(VALU_DEP_4) | instskip(SKIP_2) | instid1(VALU_DEP_4)
	v_mul_lo_u32 v82, v2, s26
	v_mad_co_u64_u32 v[2:3], null, v78, s26, s[6:7]
	v_or_b32_e32 v17, 8, v78
	v_mul_lo_u32 v79, v12, s27
	v_mad_co_u64_u32 v[12:13], null, v12, s26, s[6:7]
	v_or_b32_e32 v84, 16, v78
	v_or_b32_e32 v86, 20, v78
	v_and_b32_e32 v80, 63, v14
	v_add3_u32 v3, v82, v3, v15
	v_mul_lo_u32 v83, v17, s27
	v_mad_co_u64_u32 v[14:15], null, v17, s26, s[6:7]
	v_or_b32_e32 v16, 12, v78
	v_mul_lo_u32 v87, v84, s27
	v_or_b32_e32 v92, 24, v78
	v_mad_co_u64_u32 v[88:89], null, v84, s26, s[6:7]
	v_mul_lo_u32 v84, v86, s27
	v_mad_co_u64_u32 v[90:91], null, v86, s26, s[6:7]
	v_or_b32_e32 v78, 28, v78
	v_and_b32_e32 v9, 0x7ff8, v10
	v_add3_u32 v13, v82, v13, v79
	v_add_nc_u32_e32 v79, -1, v8
	v_mul_lo_u32 v85, v16, s27
	v_mad_co_u64_u32 v[16:17], null, v16, s26, s[6:7]
	v_mul_lo_u32 v86, v92, s27
	v_mad_co_u64_u32 v[92:93], null, v92, s26, s[6:7]
	v_add3_u32 v15, v82, v15, v83
	v_mul_lo_u32 v83, v78, s27
	v_mad_co_u64_u32 v[94:95], null, v78, s26, s[6:7]
	v_mad_co_i64_i32 v[6:7], null, s26, v9, v[0:1]
	v_lshlrev_b32_e32 v18, 2, v0
	v_xor_b32_e32 v0, 32, v0
	v_add3_u32 v91, v82, v91, v84
	v_and_b32_e32 v84, 63, v79
	v_add3_u32 v17, v82, v17, v85
	v_add3_u32 v89, v82, v89, v87
	v_lshl_or_b32 v0, v0, 2, v11
	v_add3_u32 v93, v82, v93, v86
	v_lshl_or_b32 v77, v77, 2, v11
	v_lshl_or_b32 v78, v80, 2, v11
	;; [unrolled: 1-line block ×4, first 2 shown]
	v_or_b32_e32 v81, v11, v18
	v_add3_u32 v11, v82, v95, v83
	v_add_co_u32 v82, vcc_lo, 0x200, v12
	s_delay_alu instid0(VALU_DEP_1)
	v_add_co_ci_u32_e64 v83, null, 0, v13, vcc_lo
	v_add_co_u32 v84, vcc_lo, 0x200, v14
	s_wait_alu 0xfffd
	v_add_co_ci_u32_e64 v85, null, 0, v15, vcc_lo
	v_add_co_u32 v86, vcc_lo, 0x200, v16
	v_mad_co_i64_i32 v[99:100], null, s28, v8, 0
	s_wait_alu 0xfffd
	v_add_co_ci_u32_e64 v87, null, 0, v17, vcc_lo
	v_add_co_u32 v88, vcc_lo, 0x200, v88
	v_lshlrev_b32_e32 v9, 8, v9
	s_wait_alu 0xfffd
	v_add_co_ci_u32_e64 v89, null, 0, v89, vcc_lo
	v_add_co_u32 v90, vcc_lo, 0x200, v90
	v_lshl_or_b32 v10, v10, 8, 0x700
	s_wait_alu 0xfffd
	v_add_co_ci_u32_e64 v91, null, 0, v91, vcc_lo
	v_add_co_u32 v92, vcc_lo, 0x200, v92
	s_wait_alu 0xfffd
	v_add_co_ci_u32_e64 v93, null, 0, v93, vcc_lo
	v_add_co_u32 v94, vcc_lo, 0x200, v94
	v_lshlrev_b64_e32 v[6:7], 2, v[6:7]
	v_add_nc_u32_e32 v97, v18, v9
	v_lshlrev_b64_e32 v[8:9], 2, v[99:100]
	s_wait_alu 0xfffd
	v_add_co_ci_u32_e64 v95, null, 0, v11, vcc_lo
	v_or_b32_e32 v96, 0x100, v18
	v_add_nc_u32_e32 v98, v18, v10
	s_mov_b32 s19, 0
	s_ashr_i32 s22, s3, 7
	s_lshl_b64 s[24:25], s[16:17], 9
	s_mov_b32 s23, s19
	s_lshl_b64 s[26:27], s[26:27], 2
	s_lshl_b64 s[10:11], s[10:11], 2
	;; [unrolled: 1-line block ×5, first 2 shown]
	s_branch .LBB233_4
.LBB233_2:                              ;   in Loop: Header=BB233_4 Depth=1
	s_wait_alu 0xfffe
	s_or_b32 exec_lo, exec_lo, s1
.LBB233_3:                              ;   in Loop: Header=BB233_4 Depth=1
	s_add_co_i32 s2, s2, 0x10000
	s_delay_alu instid0(SALU_CYCLE_1)
	s_cmp_lt_u32 s2, s33
	s_cbranch_scc0 .LBB233_15
.LBB233_4:                              ; =>This Loop Header: Depth=1
                                        ;     Child Loop BB233_8 Depth 2
	s_and_not1_b32 vcc_lo, exec_lo, s39
	s_wait_alu 0xfffe
	s_cbranch_vccnz .LBB233_3
; %bb.5:                                ;   in Loop: Header=BB233_4 Depth=1
	s_load_b32 s3, s[20:21], 0x4
	s_wait_kmcnt 0x0
	s_cvt_f32_u32 s1, s3
	s_sub_co_i32 s18, 0, s3
	s_wait_alu 0xfffe
	s_delay_alu instid0(SALU_CYCLE_1) | instskip(NEXT) | instid1(TRANS32_DEP_1)
	v_rcp_iflag_f32_e32 v10, s1
	v_readfirstlane_b32 s1, v10
	s_mul_f32 s1, s1, 0x4f7ffffe
	s_wait_alu 0xfffe
	s_delay_alu instid0(SALU_CYCLE_2) | instskip(SKIP_1) | instid1(SALU_CYCLE_2)
	s_cvt_u32_f32 s1, s1
	s_wait_alu 0xfffe
	s_mul_i32 s18, s18, s1
	s_delay_alu instid0(SALU_CYCLE_1) | instskip(NEXT) | instid1(SALU_CYCLE_1)
	s_mul_hi_u32 s18, s1, s18
	s_add_co_i32 s18, s1, s18
	s_delay_alu instid0(SALU_CYCLE_1)
	s_mul_u64 s[34:35], s[22:23], s[18:19]
	s_wait_alu 0xfffe
	s_mul_i32 s1, s35, s3
	s_add_co_i32 s18, s35, 1
	s_wait_alu 0xfffe
	s_sub_co_i32 s1, s22, s1
	s_wait_alu 0xfffe
	s_sub_co_i32 s34, s1, s3
	s_cmp_ge_u32 s1, s3
	s_cselect_b32 s18, s18, s35
	s_wait_alu 0xfffe
	s_cselect_b32 s1, s34, s1
	s_add_co_i32 s34, s18, 1
	s_wait_alu 0xfffe
	s_cmp_ge_u32 s1, s3
	s_cselect_b32 s1, s34, s18
	s_wait_alu 0xfffe
	s_mul_i32 s3, s1, s3
	s_delay_alu instid0(SALU_CYCLE_1) | instskip(SKIP_3) | instid1(SALU_CYCLE_1)
	s_sub_co_i32 s36, s22, s3
	s_wait_alu 0xfffe
	s_cmp_lt_u32 s40, s36
	s_cselect_b32 s3, -1, 0
	s_cmp_lg_u32 s3, 0
	s_add_co_ci_u32 s18, s1, 0
	s_delay_alu instid0(SALU_CYCLE_1)
	s_cmp_eq_u32 s18, 0
	s_cbranch_scc1 .LBB233_3
; %bb.6:                                ;   in Loop: Header=BB233_4 Depth=1
	s_mov_b32 s3, s19
	s_delay_alu instid0(SALU_CYCLE_1)
	s_lshl_b64 s[34:35], s[2:3], 3
	s_cmp_lt_i32 s18, 1
	s_wait_alu 0xfffe
	s_add_nc_u64 s[42:43], s[12:13], s[34:35]
	global_load_b64 v[10:11], v1, s[42:43]
	s_cbranch_scc1 .LBB233_12
; %bb.7:                                ;   in Loop: Header=BB233_4 Depth=1
	s_add_nc_u64 s[42:43], s[4:5], s[34:35]
	v_cvt_f64_u32_e32 v[12:13], s36
	global_load_b64 v[16:17], v1, s[42:43]
	s_mul_i32 s1, s1, s40
	s_add_nc_u64 s[34:35], s[8:9], s[34:35]
	s_wait_alu 0xfffe
	v_cvt_f64_u32_e32 v[14:15], s1
	v_dual_mov_b32 v120, 0 :: v_dual_mov_b32 v121, 0
	v_dual_mov_b32 v118, 0 :: v_dual_mov_b32 v119, 0
	s_add_co_i32 s3, s18, -1
	v_mov_b32_e32 v122, 0
	v_min_num_f64_e32 v[12:13], v[4:5], v[12:13]
	s_delay_alu instid0(VALU_DEP_1) | instskip(NEXT) | instid1(VALU_DEP_1)
	v_add_f64_e32 v[12:13], v[12:13], v[14:15]
	v_cvt_i32_f64_e32 v14, v[12:13]
	global_load_b64 v[12:13], v1, s[34:35]
	v_readfirstlane_b32 s1, v14
	s_lshl_b32 s34, s1, 7
	s_wait_alu 0xfffe
	s_ashr_i32 s35, s34, 31
	s_wait_alu 0xfffe
	s_lshl_b64 s[34:35], s[34:35], 2
	s_wait_alu 0xfffe
	s_mul_i32 s1, s16, s35
	s_wait_loadcnt 0x1
	v_add_co_u32 v14, vcc_lo, v16, s6
	s_wait_alu 0xfffd
	v_add_co_ci_u32_e64 v15, null, s7, v17, vcc_lo
	s_delay_alu instid0(VALU_DEP_2) | instskip(SKIP_1) | instid1(VALU_DEP_2)
	v_add_co_u32 v14, vcc_lo, v14, s28
	s_wait_alu 0xfffd
	v_add_co_ci_u32_e64 v15, null, s29, v15, vcc_lo
	s_delay_alu instid0(VALU_DEP_2) | instskip(SKIP_1) | instid1(VALU_DEP_2)
	;; [unrolled: 4-line block ×10, first 2 shown]
	v_add_co_u32 v111, vcc_lo, v109, s26
	s_wait_alu 0xfffd
	v_add_co_ci_u32_e64 v112, null, s27, v110, vcc_lo
	s_clause 0x6
	flat_load_b32 v125, v[14:15]
	flat_load_b32 v126, v[99:100]
	;; [unrolled: 1-line block ×8, first 2 shown]
	v_mov_b32_e32 v116, 0
	s_wait_loadcnt 0x8
	v_add_co_u32 v99, vcc_lo, v12, s10
	s_wait_alu 0xfffd
	v_add_co_ci_u32_e64 v100, null, s11, v13, vcc_lo
	v_add_co_u32 v12, vcc_lo, v16, v2
	s_wait_alu 0xfffd
	v_add_co_ci_u32_e64 v13, null, v17, v3, vcc_lo
	;; [unrolled: 3-line block ×14, first 2 shown]
	v_or_b32_e32 v14, s34, v96
	v_or_b32_e32 v15, s34, v18
	v_add_co_u32 v115, vcc_lo, v12, s34
	s_wait_alu 0xfffd
	v_add_co_ci_u32_e64 v117, null, s35, v13, vcc_lo
	v_mul_lo_u32 v113, s17, v14
	v_mad_co_u64_u32 v[12:13], null, s16, v14, 0
	v_mul_lo_u32 v114, s17, v15
	v_mad_co_u64_u32 v[14:15], null, s16, v15, 0
	v_add_co_u32 v16, vcc_lo, v16, v94
	s_wait_alu 0xfffd
	v_add_co_ci_u32_e64 v17, null, v17, v95, vcc_lo
	s_wait_alu 0xfffe
	v_add3_u32 v13, v13, s1, v113
	v_add_co_u32 v123, vcc_lo, v16, s34
	s_wait_alu 0xfffd
	v_add_co_ci_u32_e64 v124, null, s35, v17, vcc_lo
	v_add3_u32 v15, v15, s1, v114
	v_dual_mov_b32 v113, 0 :: v_dual_mov_b32 v114, 0
	s_mov_b32 s34, 0
	s_wait_loadcnt_dscnt 0x606
	v_dual_mov_b32 v133, v125 :: v_dual_mov_b32 v134, v126
	s_wait_loadcnt_dscnt 0x404
	v_dual_mov_b32 v135, v127 :: v_dual_mov_b32 v136, v128
	;; [unrolled: 2-line block ×4, first 2 shown]
.LBB233_8:                              ;   Parent Loop BB233_4 Depth=1
                                        ; =>  This Inner Loop Header: Depth=2
	v_add_co_u32 v16, vcc_lo, v101, v18
	s_wait_alu 0xfffd
	v_add_co_ci_u32_e64 v17, null, 0, v102, vcc_lo
	s_wait_alu 0xfffe
	s_cmp_lg_u32 s3, s34
	v_add_co_u32 v141, vcc_lo, 0x100, v16
	s_wait_alu 0xfffd
	v_add_co_ci_u32_e64 v143, null, 0, v17, vcc_lo
	s_delay_alu instid0(VALU_DEP_2) | instskip(SKIP_1) | instid1(VALU_DEP_2)
	v_add_co_u32 v142, vcc_lo, v141, s26
	s_wait_alu 0xfffd
	v_add_co_ci_u32_e64 v143, null, s27, v143, vcc_lo
	flat_load_b32 v141, v[16:17] offset:256
	v_add_co_u32 v144, vcc_lo, v142, s26
	s_wait_alu 0xfffd
	v_add_co_ci_u32_e64 v145, null, s27, v143, vcc_lo
	v_add_co_u32 v149, vcc_lo, v99, v14
	s_delay_alu instid0(VALU_DEP_3) | instskip(SKIP_1) | instid1(VALU_DEP_3)
	v_add_co_u32 v146, s1, v144, s26
	s_wait_alu 0xf1ff
	v_add_co_ci_u32_e64 v147, null, s27, v145, s1
	s_wait_alu 0xfffd
	v_add_co_ci_u32_e64 v150, null, v100, v15, vcc_lo
	v_add_co_u32 v151, vcc_lo, v146, s26
	s_wait_alu 0xfffd
	v_add_co_ci_u32_e64 v152, null, s27, v147, vcc_lo
	flat_load_b32 v142, v[142:143]
	v_add_co_u32 v153, vcc_lo, v151, s26
	s_wait_alu 0xfffd
	v_add_co_ci_u32_e64 v154, null, s27, v152, vcc_lo
	flat_load_b32 v143, v[144:145]
	v_add_co_u32 v155, vcc_lo, v153, s26
	s_wait_alu 0xfffd
	v_add_co_ci_u32_e64 v156, null, s27, v154, vcc_lo
	s_delay_alu instid0(VALU_DEP_2) | instskip(SKIP_1) | instid1(VALU_DEP_2)
	v_add_co_u32 v157, vcc_lo, v155, s26
	s_wait_alu 0xfffd
	v_add_co_ci_u32_e64 v158, null, s27, v156, vcc_lo
	s_clause 0x4
	flat_load_b32 v144, v[146:147]
	flat_load_b32 v145, v[151:152]
	;; [unrolled: 1-line block ×6, first 2 shown]
	s_cbranch_scc0 .LBB233_10
; %bb.9:                                ;   in Loop: Header=BB233_8 Depth=2
	v_add_co_u32 v134, vcc_lo, v103, v18
	s_wait_alu 0xfffd
	v_add_co_ci_u32_e64 v135, null, 0, v104, vcc_lo
	v_add_co_u32 v136, vcc_lo, v105, v18
	s_wait_alu 0xfffd
	v_add_co_ci_u32_e64 v137, null, 0, v106, vcc_lo
	flat_load_b32 v133, v[16:17] offset:512
	flat_load_b32 v134, v[134:135]
	flat_load_b32 v135, v[136:137]
	v_add_co_u32 v16, vcc_lo, v107, v18
	s_wait_alu 0xfffd
	v_add_co_ci_u32_e64 v17, null, 0, v108, vcc_lo
	v_add_co_u32 v137, vcc_lo, v109, v18
	s_wait_alu 0xfffd
	v_add_co_ci_u32_e64 v138, null, 0, v110, vcc_lo
	;; [unrolled: 3-line block ×5, first 2 shown]
	flat_load_b32 v136, v[16:17]
	flat_load_b32 v137, v[137:138]
	;; [unrolled: 1-line block ×5, first 2 shown]
.LBB233_10:                             ;   in Loop: Header=BB233_8 Depth=2
	v_add_co_u32 v16, vcc_lo, v99, v12
	s_wait_alu 0xfffd
	v_add_co_ci_u32_e64 v17, null, v100, v13, vcc_lo
	v_add_co_u32 v101, vcc_lo, 0x200, v101
	s_wait_alu 0xfffd
	v_add_co_ci_u32_e64 v102, null, 0, v102, vcc_lo
	flat_load_b32 v16, v[16:17]
	v_add_co_u32 v103, vcc_lo, 0x200, v103
	s_wait_alu 0xfffd
	v_add_co_ci_u32_e64 v104, null, 0, v104, vcc_lo
	v_add_co_u32 v105, vcc_lo, 0x200, v105
	s_wait_alu 0xfffd
	v_add_co_ci_u32_e64 v106, null, 0, v106, vcc_lo
	;; [unrolled: 3-line block ×5, first 2 shown]
	v_add_co_u32 v115, vcc_lo, 0x200, v115
	s_wait_loadcnt_dscnt 0x101
	v_fmac_f32_e32 v122, v126, v149
	v_fmac_f32_e32 v113, v125, v149
	v_fmac_f32_e32 v121, v128, v149
	v_fmac_f32_e32 v120, v127, v149
	v_fmac_f32_e32 v119, v130, v149
	v_fmac_f32_e32 v118, v129, v149
	v_fmac_f32_e32 v116, v131, v149
	v_fmac_f32_e32 v114, v132, v149
	s_wait_alu 0xfffd
	v_add_co_ci_u32_e64 v117, null, 0, v117, vcc_lo
	v_add_co_u32 v123, vcc_lo, 0x200, v123
	s_wait_alu 0xfffd
	v_add_co_ci_u32_e64 v124, null, 0, v124, vcc_lo
	v_add_co_u32 v99, vcc_lo, v99, s24
	s_wait_alu 0xfffd
	v_add_co_ci_u32_e64 v100, null, s25, v100, vcc_lo
	s_add_co_i32 s34, s34, 1
	s_wait_alu 0xfffe
	s_cmp_ge_i32 s34, s18
	s_wait_loadcnt_dscnt 0x0
	v_fmac_f32_e32 v122, v142, v16
	v_fmac_f32_e32 v113, v141, v16
	;; [unrolled: 1-line block ×8, first 2 shown]
	s_cbranch_scc1 .LBB233_13
; %bb.11:                               ;   in Loop: Header=BB233_8 Depth=2
	v_dual_mov_b32 v125, v133 :: v_dual_mov_b32 v126, v134
	v_dual_mov_b32 v127, v135 :: v_dual_mov_b32 v128, v136
	;; [unrolled: 1-line block ×4, first 2 shown]
	s_branch .LBB233_8
.LBB233_12:                             ;   in Loop: Header=BB233_4 Depth=1
	v_dual_mov_b32 v114, 0 :: v_dual_mov_b32 v119, 0
	v_dual_mov_b32 v116, 0 :: v_dual_mov_b32 v121, 0
	v_dual_mov_b32 v118, 0 :: v_dual_mov_b32 v113, 0
	v_mov_b32_e32 v120, 0
	v_mov_b32_e32 v122, 0
.LBB233_13:                             ;   in Loop: Header=BB233_4 Depth=1
	ds_store_2addr_stride64_b32 v97, v113, v122 offset1:1
	ds_store_2addr_stride64_b32 v97, v120, v121 offset0:2 offset1:3
	ds_store_2addr_stride64_b32 v97, v118, v119 offset0:4 offset1:5
	ds_store_b32 v97, v116 offset:1536
	ds_store_b32 v98, v114
	s_wait_loadcnt_dscnt 0x0
	s_barrier_signal -1
	s_barrier_wait -1
	global_inv scope:SCOPE_SE
	s_and_saveexec_b32 s1, s0
	s_cbranch_execz .LBB233_2
; %bb.14:                               ;   in Loop: Header=BB233_4 Depth=1
	ds_load_b32 v12, v81
	ds_load_b32 v13, v19
	;; [unrolled: 1-line block ×8, first 2 shown]
	v_add_co_u32 v10, vcc_lo, v10, s14
	s_wait_alu 0xfffd
	v_add_co_ci_u32_e64 v11, null, s15, v11, vcc_lo
	s_delay_alu instid0(VALU_DEP_2) | instskip(SKIP_1) | instid1(VALU_DEP_2)
	v_add_co_u32 v10, vcc_lo, v10, s30
	s_wait_alu 0xfffd
	v_add_co_ci_u32_e64 v11, null, s31, v11, vcc_lo
	s_delay_alu instid0(VALU_DEP_2)
	v_add_co_u32 v10, vcc_lo, v10, v8
	s_wait_dscnt 0x7
	v_add_f32_e32 v12, 0, v12
	s_wait_alu 0xfffd
	v_add_co_ci_u32_e64 v11, null, v11, v9, vcc_lo
	s_wait_dscnt 0x6
	s_delay_alu instid0(VALU_DEP_2)
	v_add_f32_e32 v12, v12, v13
	ds_load_b32 v13, v26
	s_wait_dscnt 0x6
	v_add_f32_e32 v12, v12, v14
	ds_load_b32 v14, v27
	s_wait_dscnt 0x6
	;; [unrolled: 3-line block ×3, first 2 shown]
	v_add_f32_e32 v12, v12, v16
	s_wait_dscnt 0x5
	s_delay_alu instid0(VALU_DEP_1) | instskip(SKIP_1) | instid1(VALU_DEP_1)
	v_add_f32_e32 v12, v12, v17
	s_wait_dscnt 0x4
	v_add_f32_e32 v12, v12, v99
	s_wait_dscnt 0x3
	s_delay_alu instid0(VALU_DEP_1)
	v_add_f32_e32 v12, v12, v100
	ds_load_b32 v16, v29
	ds_load_b32 v17, v30
	ds_load_b32 v99, v31
	ds_load_b32 v100, v32
	ds_load_b32 v101, v33
	s_wait_dscnt 0x7
	v_add_f32_e32 v12, v12, v13
	ds_load_b32 v13, v34
	s_wait_dscnt 0x7
	v_add_f32_e32 v12, v12, v14
	ds_load_b32 v14, v35
	s_wait_dscnt 0x7
	v_add_f32_e32 v12, v12, v15
	ds_load_b32 v15, v36
	s_wait_dscnt 0x7
	v_add_f32_e32 v12, v12, v16
	s_wait_dscnt 0x6
	s_delay_alu instid0(VALU_DEP_1) | instskip(SKIP_1) | instid1(VALU_DEP_1)
	v_add_f32_e32 v12, v12, v17
	s_wait_dscnt 0x5
	v_add_f32_e32 v12, v12, v99
	s_wait_dscnt 0x4
	s_delay_alu instid0(VALU_DEP_1) | instskip(SKIP_1) | instid1(VALU_DEP_1)
	v_add_f32_e32 v12, v12, v100
	s_wait_dscnt 0x3
	v_add_f32_e32 v12, v12, v101
	ds_load_b32 v16, v37
	ds_load_b32 v17, v38
	ds_load_b32 v99, v39
	ds_load_b32 v100, v40
	ds_load_b32 v101, v41
	s_wait_dscnt 0x7
	v_add_f32_e32 v12, v12, v13
	ds_load_b32 v13, v42
	s_wait_dscnt 0x7
	v_add_f32_e32 v12, v12, v14
	ds_load_b32 v14, v43
	s_wait_dscnt 0x7
	v_add_f32_e32 v12, v12, v15
	ds_load_b32 v15, v44
	s_wait_dscnt 0x7
	v_add_f32_e32 v12, v12, v16
	s_wait_dscnt 0x6
	s_delay_alu instid0(VALU_DEP_1) | instskip(SKIP_1) | instid1(VALU_DEP_1)
	v_add_f32_e32 v12, v12, v17
	s_wait_dscnt 0x5
	v_add_f32_e32 v12, v12, v99
	s_wait_dscnt 0x4
	s_delay_alu instid0(VALU_DEP_1) | instskip(SKIP_1) | instid1(VALU_DEP_1)
	v_add_f32_e32 v12, v12, v100
	s_wait_dscnt 0x3
	;; [unrolled: 26-line block ×6, first 2 shown]
	v_add_f32_e32 v12, v12, v101
	ds_load_b32 v16, v76
	ds_load_b32 v17, v77
	;; [unrolled: 1-line block ×5, first 2 shown]
	s_wait_dscnt 0x7
	v_add_f32_e32 v12, v12, v13
	s_wait_dscnt 0x6
	s_delay_alu instid0(VALU_DEP_1) | instskip(SKIP_1) | instid1(VALU_DEP_1)
	v_add_f32_e32 v12, v12, v14
	s_wait_dscnt 0x5
	v_add_f32_e32 v12, v12, v15
	s_wait_dscnt 0x4
	s_delay_alu instid0(VALU_DEP_1) | instskip(SKIP_1) | instid1(VALU_DEP_1)
	v_add_f32_e32 v12, v12, v16
	;; [unrolled: 5-line block ×3, first 2 shown]
	s_wait_dscnt 0x1
	v_add_f32_e32 v12, v12, v100
	s_wait_dscnt 0x0
	s_delay_alu instid0(VALU_DEP_1) | instskip(NEXT) | instid1(VALU_DEP_1)
	v_add_f32_e32 v12, v12, v101
	v_mul_f32_e32 v12, s38, v12
	flat_atomic_add_f32 v[10:11], v12 scope:SCOPE_DEV
	s_branch .LBB233_2
.LBB233_15:
	s_nop 0
	s_sendmsg sendmsg(MSG_DEALLOC_VGPRS)
	s_endpgm
	.section	.rodata,"a",@progbits
	.p2align	6, 0x0
	.amdhsa_kernel _ZL36rocblas_gemvt_double_buffered_kernelILb1ELi128ELi8ELi8EPKffKPfEviiT4_lPKT3_lilS7_lilPT5_lili
		.amdhsa_group_segment_fixed_size 32768
		.amdhsa_private_segment_fixed_size 0
		.amdhsa_kernarg_size 384
		.amdhsa_user_sgpr_count 2
		.amdhsa_user_sgpr_dispatch_ptr 0
		.amdhsa_user_sgpr_queue_ptr 0
		.amdhsa_user_sgpr_kernarg_segment_ptr 1
		.amdhsa_user_sgpr_dispatch_id 0
		.amdhsa_user_sgpr_private_segment_size 0
		.amdhsa_wavefront_size32 1
		.amdhsa_uses_dynamic_stack 0
		.amdhsa_enable_private_segment 0
		.amdhsa_system_sgpr_workgroup_id_x 1
		.amdhsa_system_sgpr_workgroup_id_y 1
		.amdhsa_system_sgpr_workgroup_id_z 1
		.amdhsa_system_sgpr_workgroup_info 0
		.amdhsa_system_vgpr_workitem_id 1
		.amdhsa_next_free_vgpr 159
		.amdhsa_next_free_sgpr 44
		.amdhsa_reserve_vcc 1
		.amdhsa_float_round_mode_32 0
		.amdhsa_float_round_mode_16_64 0
		.amdhsa_float_denorm_mode_32 3
		.amdhsa_float_denorm_mode_16_64 3
		.amdhsa_fp16_overflow 0
		.amdhsa_workgroup_processor_mode 1
		.amdhsa_memory_ordered 1
		.amdhsa_forward_progress 1
		.amdhsa_inst_pref_size 41
		.amdhsa_round_robin_scheduling 0
		.amdhsa_exception_fp_ieee_invalid_op 0
		.amdhsa_exception_fp_denorm_src 0
		.amdhsa_exception_fp_ieee_div_zero 0
		.amdhsa_exception_fp_ieee_overflow 0
		.amdhsa_exception_fp_ieee_underflow 0
		.amdhsa_exception_fp_ieee_inexact 0
		.amdhsa_exception_int_div_zero 0
	.end_amdhsa_kernel
	.section	.text._ZL36rocblas_gemvt_double_buffered_kernelILb1ELi128ELi8ELi8EPKffKPfEviiT4_lPKT3_lilS7_lilPT5_lili,"axG",@progbits,_ZL36rocblas_gemvt_double_buffered_kernelILb1ELi128ELi8ELi8EPKffKPfEviiT4_lPKT3_lilS7_lilPT5_lili,comdat
.Lfunc_end233:
	.size	_ZL36rocblas_gemvt_double_buffered_kernelILb1ELi128ELi8ELi8EPKffKPfEviiT4_lPKT3_lilS7_lilPT5_lili, .Lfunc_end233-_ZL36rocblas_gemvt_double_buffered_kernelILb1ELi128ELi8ELi8EPKffKPfEviiT4_lPKT3_lilS7_lilPT5_lili
                                        ; -- End function
	.set _ZL36rocblas_gemvt_double_buffered_kernelILb1ELi128ELi8ELi8EPKffKPfEviiT4_lPKT3_lilS7_lilPT5_lili.num_vgpr, 159
	.set _ZL36rocblas_gemvt_double_buffered_kernelILb1ELi128ELi8ELi8EPKffKPfEviiT4_lPKT3_lilS7_lilPT5_lili.num_agpr, 0
	.set _ZL36rocblas_gemvt_double_buffered_kernelILb1ELi128ELi8ELi8EPKffKPfEviiT4_lPKT3_lilS7_lilPT5_lili.numbered_sgpr, 44
	.set _ZL36rocblas_gemvt_double_buffered_kernelILb1ELi128ELi8ELi8EPKffKPfEviiT4_lPKT3_lilS7_lilPT5_lili.num_named_barrier, 0
	.set _ZL36rocblas_gemvt_double_buffered_kernelILb1ELi128ELi8ELi8EPKffKPfEviiT4_lPKT3_lilS7_lilPT5_lili.private_seg_size, 0
	.set _ZL36rocblas_gemvt_double_buffered_kernelILb1ELi128ELi8ELi8EPKffKPfEviiT4_lPKT3_lilS7_lilPT5_lili.uses_vcc, 1
	.set _ZL36rocblas_gemvt_double_buffered_kernelILb1ELi128ELi8ELi8EPKffKPfEviiT4_lPKT3_lilS7_lilPT5_lili.uses_flat_scratch, 1
	.set _ZL36rocblas_gemvt_double_buffered_kernelILb1ELi128ELi8ELi8EPKffKPfEviiT4_lPKT3_lilS7_lilPT5_lili.has_dyn_sized_stack, 0
	.set _ZL36rocblas_gemvt_double_buffered_kernelILb1ELi128ELi8ELi8EPKffKPfEviiT4_lPKT3_lilS7_lilPT5_lili.has_recursion, 0
	.set _ZL36rocblas_gemvt_double_buffered_kernelILb1ELi128ELi8ELi8EPKffKPfEviiT4_lPKT3_lilS7_lilPT5_lili.has_indirect_call, 0
	.section	.AMDGPU.csdata,"",@progbits
; Kernel info:
; codeLenInByte = 5248
; TotalNumSgprs: 46
; NumVgprs: 159
; ScratchSize: 0
; MemoryBound: 0
; FloatMode: 240
; IeeeMode: 1
; LDSByteSize: 32768 bytes/workgroup (compile time only)
; SGPRBlocks: 0
; VGPRBlocks: 19
; NumSGPRsForWavesPerEU: 46
; NumVGPRsForWavesPerEU: 159
; Occupancy: 9
; WaveLimiterHint : 1
; COMPUTE_PGM_RSRC2:SCRATCH_EN: 0
; COMPUTE_PGM_RSRC2:USER_SGPR: 2
; COMPUTE_PGM_RSRC2:TRAP_HANDLER: 0
; COMPUTE_PGM_RSRC2:TGID_X_EN: 1
; COMPUTE_PGM_RSRC2:TGID_Y_EN: 1
; COMPUTE_PGM_RSRC2:TGID_Z_EN: 1
; COMPUTE_PGM_RSRC2:TIDIG_COMP_CNT: 1
	.section	.text._ZL20rocblas_gemvt_kernelILb1ELi256EPKfS1_KPfEviiT2_lPKT1_lilS7_lilS4_lPT3_lili,"axG",@progbits,_ZL20rocblas_gemvt_kernelILb1ELi256EPKfS1_KPfEviiT2_lPKT1_lilS7_lilS4_lPT3_lili,comdat
	.globl	_ZL20rocblas_gemvt_kernelILb1ELi256EPKfS1_KPfEviiT2_lPKT1_lilS7_lilS4_lPT3_lili ; -- Begin function _ZL20rocblas_gemvt_kernelILb1ELi256EPKfS1_KPfEviiT2_lPKT1_lilS7_lilS4_lPT3_lili
	.p2align	8
	.type	_ZL20rocblas_gemvt_kernelILb1ELi256EPKfS1_KPfEviiT2_lPKT1_lilS7_lilS4_lPT3_lili,@function
_ZL20rocblas_gemvt_kernelILb1ELi256EPKfS1_KPfEviiT2_lPKT1_lilS7_lilS4_lPT3_lili: ; @_ZL20rocblas_gemvt_kernelILb1ELi256EPKfS1_KPfEviiT2_lPKT1_lilS7_lilS4_lPT3_lili
; %bb.0:
	s_load_b32 s11, s[0:1], 0x88
	s_lshr_b32 s34, ttmp7, 16
	s_wait_kmcnt 0x0
	s_cmp_ge_u32 s34, s11
	s_cbranch_scc1 .LBB234_45
; %bb.1:
	s_clause 0x6
	s_load_b32 s4, s[0:1], 0x28
	s_load_b32 s38, s[0:1], 0x48
	;; [unrolled: 1-line block ×4, first 2 shown]
	s_load_b128 s[28:31], s[0:1], 0x38
	s_load_b256 s[12:19], s[0:1], 0x8
	s_load_b256 s[20:27], s[0:1], 0x58
	s_mov_b32 s2, ttmp9
	s_ashr_i32 s3, ttmp9, 31
	v_cmp_eq_u32_e64 s0, 0, v0
	v_dual_mov_b32 v12, 0 :: v_dual_lshlrev_b32 v13, 2, v0
	v_cmp_gt_u32_e64 s1, 0x80, v0
	s_mov_b32 s35, 0
	s_wait_kmcnt 0x0
	s_ashr_i32 s5, s4, 31
	v_mad_co_i64_i32 v[1:2], null, s38, v0, 0
	s_ashr_i32 s9, s8, 31
	s_ashr_i32 s7, s6, 31
	s_lshr_b32 s9, s9, 24
	v_cmp_gt_i32_e32 vcc_lo, s8, v0
	s_add_co_i32 s9, s8, s9
	s_mul_u64 s[40:41], s[6:7], s[2:3]
	s_wait_alu 0xfffe
	s_and_b32 s36, s9, 0xffffff00
	s_mul_u64 s[42:43], s[4:5], s[2:3]
	v_or_b32_e32 v3, s36, v0
	v_cndmask_b32_e32 v5, 0, v0, vcc_lo
	s_ashr_i32 s39, s38, 31
	s_cmp_gt_i32 s8, 0xff
	v_cmp_gt_u32_e64 s3, 64, v0
	v_cmp_gt_i32_e64 s2, s8, v3
	v_mad_co_i64_i32 v[3:4], null, s38, v3, 0
	v_cmp_gt_u32_e64 s4, 32, v0
	v_cmp_gt_u32_e64 s5, 16, v0
	;; [unrolled: 1-line block ×5, first 2 shown]
	v_lshlrev_b64_e32 v[0:1], 2, v[1:2]
	v_lshlrev_b64_e32 v[2:3], 2, v[3:4]
	v_lshlrev_b32_e32 v14, 2, v5
	s_cselect_b32 s33, -1, 0
	s_ashr_i32 s37, s36, 31
	s_wait_alu 0xfffe
	s_lshl_b64 s[38:39], s[38:39], 10
	s_lshl_b64 s[18:19], s[18:19], 2
	;; [unrolled: 1-line block ×7, first 2 shown]
	s_branch .LBB234_4
.LBB234_2:                              ;   in Loop: Header=BB234_4 Depth=1
	s_or_b32 exec_lo, exec_lo, s10
.LBB234_3:                              ;   in Loop: Header=BB234_4 Depth=1
	s_add_co_i32 s34, s34, 0x10000
	s_delay_alu instid0(SALU_CYCLE_1)
	s_cmp_lt_u32 s34, s11
	s_cbranch_scc0 .LBB234_45
.LBB234_4:                              ; =>This Loop Header: Depth=1
                                        ;     Child Loop BB234_19 Depth 2
	s_mul_u64 s[46:47], s[14:15], s[34:35]
	s_mul_u64 s[48:49], s[22:23], s[34:35]
	s_lshl_b64 s[46:47], s[46:47], 2
	s_lshl_b64 s[48:49], s[48:49], 2
	s_add_nc_u64 s[46:47], s[12:13], s[46:47]
	s_add_nc_u64 s[48:49], s[20:21], s[48:49]
	s_clause 0x1
	global_load_b32 v15, v12, s[46:47]
	global_load_b32 v4, v12, s[48:49]
	s_wait_loadcnt 0x1
	v_cmp_eq_f32_e64 s9, 0, v15
	s_wait_loadcnt 0x0
	v_cmp_eq_f32_e32 vcc_lo, 1.0, v4
	v_readfirstlane_b32 s37, v4
	s_and_b32 s10, s9, vcc_lo
	s_delay_alu instid0(SALU_CYCLE_1)
	s_and_b32 vcc_lo, exec_lo, s10
	s_wait_alu 0xfffe
	s_cbranch_vccnz .LBB234_3
; %bb.5:                                ;   in Loop: Header=BB234_4 Depth=1
	v_mov_b32_e32 v4, 0
	v_dual_mov_b32 v5, 0 :: v_dual_mov_b32 v6, 0
	v_cmp_neq_f32_e64 s10, 0, v15
	v_mov_b32_e32 v7, 0
	s_and_b32 vcc_lo, exec_lo, s9
	s_wait_alu 0xfffe
	s_cbranch_vccnz .LBB234_7
; %bb.6:                                ;   in Loop: Header=BB234_4 Depth=1
	s_lshl_b64 s[46:47], s[34:35], 3
	s_delay_alu instid0(SALU_CYCLE_1)
	s_add_nc_u64 s[46:47], s[16:17], s[46:47]
	global_load_b64 v[6:7], v12, s[46:47]
	s_wait_loadcnt 0x0
	v_add_co_u32 v6, vcc_lo, v6, s18
	s_wait_alu 0xfffd
	v_add_co_ci_u32_e64 v7, null, s19, v7, vcc_lo
.LBB234_7:                              ;   in Loop: Header=BB234_4 Depth=1
	s_and_not1_b32 vcc_lo, exec_lo, s10
	s_wait_alu 0xfffe
	s_cbranch_vccnz .LBB234_9
; %bb.8:                                ;   in Loop: Header=BB234_4 Depth=1
	s_lshl_b64 s[46:47], s[34:35], 3
	s_delay_alu instid0(SALU_CYCLE_1)
	s_add_nc_u64 s[46:47], s[28:29], s[46:47]
	global_load_b64 v[4:5], v12, s[46:47]
	s_wait_loadcnt 0x0
	v_add_co_u32 v4, vcc_lo, v4, s30
	s_wait_alu 0xfffd
	v_add_co_ci_u32_e64 v5, null, s31, v5, vcc_lo
.LBB234_9:                              ;   in Loop: Header=BB234_4 Depth=1
	s_lshl_b64 s[46:47], s[34:35], 3
	s_delay_alu instid0(SALU_CYCLE_1)
	s_add_nc_u64 s[46:47], s[24:25], s[46:47]
	global_load_b64 v[8:9], v12, s[46:47]
	s_wait_loadcnt 0x0
	v_add_co_u32 v16, vcc_lo, v8, s26
	s_wait_alu 0xfffd
	v_add_co_ci_u32_e64 v17, null, s27, v9, vcc_lo
	s_and_not1_b32 vcc_lo, exec_lo, s9
	s_wait_alu 0xfffe
	s_cbranch_vccnz .LBB234_13
; %bb.10:                               ;   in Loop: Header=BB234_4 Depth=1
	s_mov_b32 s10, 0
	s_mov_b32 s9, 0
                                        ; implicit-def: $vgpr8
	s_and_saveexec_b32 s46, s0
	s_cbranch_execz .LBB234_14
; %bb.11:                               ;   in Loop: Header=BB234_4 Depth=1
	s_cmp_eq_f32 s37, 0
	s_cbranch_scc1 .LBB234_15
; %bb.12:                               ;   in Loop: Header=BB234_4 Depth=1
	v_add_co_u32 v8, vcc_lo, v16, s40
	s_wait_alu 0xfffd
	v_add_co_ci_u32_e64 v9, null, s41, v17, vcc_lo
	flat_load_b32 v8, v[8:9]
	s_wait_loadcnt_dscnt 0x0
	v_mul_f32_e32 v8, s37, v8
	s_branch .LBB234_16
.LBB234_13:                             ;   in Loop: Header=BB234_4 Depth=1
	s_mov_b32 s9, 0
                                        ; implicit-def: $vgpr8
	s_cbranch_execnz .LBB234_17
	s_branch .LBB234_43
.LBB234_14:                             ;   in Loop: Header=BB234_4 Depth=1
	s_or_b32 exec_lo, exec_lo, s46
	s_delay_alu instid0(SALU_CYCLE_1)
	s_and_b32 vcc_lo, exec_lo, s10
	s_wait_alu 0xfffe
	s_cbranch_vccnz .LBB234_17
	s_branch .LBB234_43
.LBB234_15:                             ;   in Loop: Header=BB234_4 Depth=1
	v_mov_b32_e32 v8, 0
.LBB234_16:                             ;   in Loop: Header=BB234_4 Depth=1
	s_mov_b32 s9, exec_lo
	s_or_b32 exec_lo, exec_lo, s46
	s_delay_alu instid0(SALU_CYCLE_1)
	s_and_b32 vcc_lo, exec_lo, s10
	s_wait_alu 0xfffe
	s_cbranch_vccz .LBB234_43
.LBB234_17:                             ;   in Loop: Header=BB234_4 Depth=1
	v_add_co_u32 v6, vcc_lo, v6, v14
	s_wait_alu 0xfffd
	v_add_co_ci_u32_e64 v7, null, 0, v7, vcc_lo
	v_mov_b32_e32 v18, 0
	s_delay_alu instid0(VALU_DEP_3) | instskip(SKIP_1) | instid1(VALU_DEP_3)
	v_add_co_u32 v6, vcc_lo, v6, s42
	s_wait_alu 0xfffd
	v_add_co_ci_u32_e64 v7, null, s43, v7, vcc_lo
	s_and_not1_b32 vcc_lo, exec_lo, s33
	s_wait_alu 0xfffe
	s_cbranch_vccnz .LBB234_20
; %bb.18:                               ;   in Loop: Header=BB234_4 Depth=1
	v_add_co_u32 v8, vcc_lo, v4, v0
	v_dual_mov_b32 v18, 0 :: v_dual_mov_b32 v11, v7
	s_wait_alu 0xfffd
	v_add_co_ci_u32_e64 v9, null, v5, v1, vcc_lo
	v_mov_b32_e32 v10, v6
	s_mov_b32 s10, 0
.LBB234_19:                             ;   Parent Loop BB234_4 Depth=1
                                        ; =>  This Inner Loop Header: Depth=2
	flat_load_b32 v19, v[10:11]
	flat_load_b32 v20, v[8:9]
	v_add_co_u32 v8, vcc_lo, v8, s38
	s_wait_alu 0xfffd
	v_add_co_ci_u32_e64 v9, null, s39, v9, vcc_lo
	v_add_co_u32 v10, vcc_lo, 0x400, v10
	s_wait_alu 0xfffd
	v_add_co_ci_u32_e64 v11, null, 0, v11, vcc_lo
	s_addk_co_i32 s10, 0x100
	s_delay_alu instid0(SALU_CYCLE_1)
	s_cmp_ge_i32 s10, s36
	s_wait_loadcnt_dscnt 0x0
	v_fmac_f32_e32 v18, v19, v20
	s_cbranch_scc0 .LBB234_19
.LBB234_20:                             ;   in Loop: Header=BB234_4 Depth=1
	s_and_saveexec_b32 s10, s2
	s_cbranch_execz .LBB234_22
; %bb.21:                               ;   in Loop: Header=BB234_4 Depth=1
	v_add_co_u32 v6, vcc_lo, v6, s44
	s_wait_alu 0xfffd
	v_add_co_ci_u32_e64 v7, null, s45, v7, vcc_lo
	v_add_co_u32 v4, vcc_lo, v4, v2
	s_wait_alu 0xfffd
	v_add_co_ci_u32_e64 v5, null, v5, v3, vcc_lo
	flat_load_b32 v6, v[6:7]
	flat_load_b32 v4, v[4:5]
	s_wait_loadcnt_dscnt 0x0
	v_fmac_f32_e32 v18, v6, v4
.LBB234_22:                             ;   in Loop: Header=BB234_4 Depth=1
	s_or_b32 exec_lo, exec_lo, s10
	ds_store_b32 v13, v18
	s_wait_dscnt 0x0
	s_barrier_signal -1
	s_barrier_wait -1
	global_inv scope:SCOPE_SE
	s_and_saveexec_b32 s10, s1
	s_cbranch_execz .LBB234_24
; %bb.23:                               ;   in Loop: Header=BB234_4 Depth=1
	ds_load_2addr_stride64_b32 v[4:5], v13 offset1:2
	s_wait_dscnt 0x0
	v_add_f32_e32 v4, v5, v4
	ds_store_b32 v13, v4
.LBB234_24:                             ;   in Loop: Header=BB234_4 Depth=1
	s_or_b32 exec_lo, exec_lo, s10
	s_wait_loadcnt_dscnt 0x0
	s_barrier_signal -1
	s_barrier_wait -1
	global_inv scope:SCOPE_SE
	s_and_saveexec_b32 s10, s3
	s_cbranch_execz .LBB234_26
; %bb.25:                               ;   in Loop: Header=BB234_4 Depth=1
	ds_load_2addr_stride64_b32 v[4:5], v13 offset1:1
	s_wait_dscnt 0x0
	v_add_f32_e32 v4, v5, v4
	ds_store_b32 v13, v4
.LBB234_26:                             ;   in Loop: Header=BB234_4 Depth=1
	s_or_b32 exec_lo, exec_lo, s10
	s_wait_loadcnt_dscnt 0x0
	s_barrier_signal -1
	s_barrier_wait -1
	global_inv scope:SCOPE_SE
	s_and_saveexec_b32 s10, s4
	s_cbranch_execz .LBB234_28
; %bb.27:                               ;   in Loop: Header=BB234_4 Depth=1
	ds_load_2addr_b32 v[4:5], v13 offset1:32
	s_wait_dscnt 0x0
	v_add_f32_e32 v4, v5, v4
	ds_store_b32 v13, v4
.LBB234_28:                             ;   in Loop: Header=BB234_4 Depth=1
	s_or_b32 exec_lo, exec_lo, s10
	s_wait_loadcnt_dscnt 0x0
	s_barrier_signal -1
	s_barrier_wait -1
	global_inv scope:SCOPE_SE
	s_and_saveexec_b32 s10, s5
	s_cbranch_execz .LBB234_30
; %bb.29:                               ;   in Loop: Header=BB234_4 Depth=1
	ds_load_2addr_b32 v[4:5], v13 offset1:16
	s_wait_dscnt 0x0
	v_add_f32_e32 v4, v5, v4
	ds_store_b32 v13, v4
.LBB234_30:                             ;   in Loop: Header=BB234_4 Depth=1
	;; [unrolled: 13-line block ×5, first 2 shown]
	s_or_b32 exec_lo, exec_lo, s10
	s_wait_loadcnt_dscnt 0x0
	s_barrier_signal -1
	s_barrier_wait -1
	global_inv scope:SCOPE_SE
	s_and_saveexec_b32 s10, s0
	s_cbranch_execz .LBB234_38
; %bb.37:                               ;   in Loop: Header=BB234_4 Depth=1
	ds_load_b64 v[4:5], v12
	s_wait_dscnt 0x0
	v_add_f32_e32 v4, v5, v4
	ds_store_b32 v12, v4
.LBB234_38:                             ;   in Loop: Header=BB234_4 Depth=1
	s_or_b32 exec_lo, exec_lo, s10
	s_wait_loadcnt_dscnt 0x0
	s_barrier_signal -1
	s_barrier_wait -1
	global_inv scope:SCOPE_SE
                                        ; implicit-def: $vgpr8
	s_and_saveexec_b32 s10, s0
	s_cbranch_execz .LBB234_42
; %bb.39:                               ;   in Loop: Header=BB234_4 Depth=1
	ds_load_b32 v4, v12
	s_cmp_eq_f32 s37, 0
	s_wait_dscnt 0x0
	v_mul_f32_e32 v8, v15, v4
	s_cbranch_scc1 .LBB234_41
; %bb.40:                               ;   in Loop: Header=BB234_4 Depth=1
	v_add_co_u32 v4, vcc_lo, v16, s40
	s_wait_alu 0xfffd
	v_add_co_ci_u32_e64 v5, null, s41, v17, vcc_lo
	flat_load_b32 v4, v[4:5]
	s_wait_loadcnt_dscnt 0x0
	v_fmac_f32_e32 v8, s37, v4
.LBB234_41:                             ;   in Loop: Header=BB234_4 Depth=1
	s_or_b32 s9, s9, exec_lo
.LBB234_42:                             ;   in Loop: Header=BB234_4 Depth=1
	s_or_b32 exec_lo, exec_lo, s10
.LBB234_43:                             ;   in Loop: Header=BB234_4 Depth=1
	s_wait_alu 0xfffe
	s_and_saveexec_b32 s10, s9
	s_cbranch_execz .LBB234_2
; %bb.44:                               ;   in Loop: Header=BB234_4 Depth=1
	v_add_co_u32 v4, vcc_lo, v16, s40
	s_wait_alu 0xfffd
	v_add_co_ci_u32_e64 v5, null, s41, v17, vcc_lo
	flat_store_b32 v[4:5], v8
	s_branch .LBB234_2
.LBB234_45:
	s_endpgm
	.section	.rodata,"a",@progbits
	.p2align	6, 0x0
	.amdhsa_kernel _ZL20rocblas_gemvt_kernelILb1ELi256EPKfS1_KPfEviiT2_lPKT1_lilS7_lilS4_lPT3_lili
		.amdhsa_group_segment_fixed_size 1024
		.amdhsa_private_segment_fixed_size 0
		.amdhsa_kernarg_size 140
		.amdhsa_user_sgpr_count 2
		.amdhsa_user_sgpr_dispatch_ptr 0
		.amdhsa_user_sgpr_queue_ptr 0
		.amdhsa_user_sgpr_kernarg_segment_ptr 1
		.amdhsa_user_sgpr_dispatch_id 0
		.amdhsa_user_sgpr_private_segment_size 0
		.amdhsa_wavefront_size32 1
		.amdhsa_uses_dynamic_stack 0
		.amdhsa_enable_private_segment 0
		.amdhsa_system_sgpr_workgroup_id_x 1
		.amdhsa_system_sgpr_workgroup_id_y 0
		.amdhsa_system_sgpr_workgroup_id_z 1
		.amdhsa_system_sgpr_workgroup_info 0
		.amdhsa_system_vgpr_workitem_id 0
		.amdhsa_next_free_vgpr 21
		.amdhsa_next_free_sgpr 50
		.amdhsa_reserve_vcc 1
		.amdhsa_float_round_mode_32 0
		.amdhsa_float_round_mode_16_64 0
		.amdhsa_float_denorm_mode_32 3
		.amdhsa_float_denorm_mode_16_64 3
		.amdhsa_fp16_overflow 0
		.amdhsa_workgroup_processor_mode 1
		.amdhsa_memory_ordered 1
		.amdhsa_forward_progress 1
		.amdhsa_inst_pref_size 14
		.amdhsa_round_robin_scheduling 0
		.amdhsa_exception_fp_ieee_invalid_op 0
		.amdhsa_exception_fp_denorm_src 0
		.amdhsa_exception_fp_ieee_div_zero 0
		.amdhsa_exception_fp_ieee_overflow 0
		.amdhsa_exception_fp_ieee_underflow 0
		.amdhsa_exception_fp_ieee_inexact 0
		.amdhsa_exception_int_div_zero 0
	.end_amdhsa_kernel
	.section	.text._ZL20rocblas_gemvt_kernelILb1ELi256EPKfS1_KPfEviiT2_lPKT1_lilS7_lilS4_lPT3_lili,"axG",@progbits,_ZL20rocblas_gemvt_kernelILb1ELi256EPKfS1_KPfEviiT2_lPKT1_lilS7_lilS4_lPT3_lili,comdat
.Lfunc_end234:
	.size	_ZL20rocblas_gemvt_kernelILb1ELi256EPKfS1_KPfEviiT2_lPKT1_lilS7_lilS4_lPT3_lili, .Lfunc_end234-_ZL20rocblas_gemvt_kernelILb1ELi256EPKfS1_KPfEviiT2_lPKT1_lilS7_lilS4_lPT3_lili
                                        ; -- End function
	.set _ZL20rocblas_gemvt_kernelILb1ELi256EPKfS1_KPfEviiT2_lPKT1_lilS7_lilS4_lPT3_lili.num_vgpr, 21
	.set _ZL20rocblas_gemvt_kernelILb1ELi256EPKfS1_KPfEviiT2_lPKT1_lilS7_lilS4_lPT3_lili.num_agpr, 0
	.set _ZL20rocblas_gemvt_kernelILb1ELi256EPKfS1_KPfEviiT2_lPKT1_lilS7_lilS4_lPT3_lili.numbered_sgpr, 50
	.set _ZL20rocblas_gemvt_kernelILb1ELi256EPKfS1_KPfEviiT2_lPKT1_lilS7_lilS4_lPT3_lili.num_named_barrier, 0
	.set _ZL20rocblas_gemvt_kernelILb1ELi256EPKfS1_KPfEviiT2_lPKT1_lilS7_lilS4_lPT3_lili.private_seg_size, 0
	.set _ZL20rocblas_gemvt_kernelILb1ELi256EPKfS1_KPfEviiT2_lPKT1_lilS7_lilS4_lPT3_lili.uses_vcc, 1
	.set _ZL20rocblas_gemvt_kernelILb1ELi256EPKfS1_KPfEviiT2_lPKT1_lilS7_lilS4_lPT3_lili.uses_flat_scratch, 0
	.set _ZL20rocblas_gemvt_kernelILb1ELi256EPKfS1_KPfEviiT2_lPKT1_lilS7_lilS4_lPT3_lili.has_dyn_sized_stack, 0
	.set _ZL20rocblas_gemvt_kernelILb1ELi256EPKfS1_KPfEviiT2_lPKT1_lilS7_lilS4_lPT3_lili.has_recursion, 0
	.set _ZL20rocblas_gemvt_kernelILb1ELi256EPKfS1_KPfEviiT2_lPKT1_lilS7_lilS4_lPT3_lili.has_indirect_call, 0
	.section	.AMDGPU.csdata,"",@progbits
; Kernel info:
; codeLenInByte = 1692
; TotalNumSgprs: 52
; NumVgprs: 21
; ScratchSize: 0
; MemoryBound: 0
; FloatMode: 240
; IeeeMode: 1
; LDSByteSize: 1024 bytes/workgroup (compile time only)
; SGPRBlocks: 0
; VGPRBlocks: 2
; NumSGPRsForWavesPerEU: 52
; NumVGPRsForWavesPerEU: 21
; Occupancy: 16
; WaveLimiterHint : 1
; COMPUTE_PGM_RSRC2:SCRATCH_EN: 0
; COMPUTE_PGM_RSRC2:USER_SGPR: 2
; COMPUTE_PGM_RSRC2:TRAP_HANDLER: 0
; COMPUTE_PGM_RSRC2:TGID_X_EN: 1
; COMPUTE_PGM_RSRC2:TGID_Y_EN: 0
; COMPUTE_PGM_RSRC2:TGID_Z_EN: 1
; COMPUTE_PGM_RSRC2:TIDIG_COMP_CNT: 0
	.section	.text._ZL20rocblas_gemvt_kernelILb1ELi256EPKffKPfEviiT2_lPKT1_lilS7_lilS4_lPT3_lili,"axG",@progbits,_ZL20rocblas_gemvt_kernelILb1ELi256EPKffKPfEviiT2_lPKT1_lilS7_lilS4_lPT3_lili,comdat
	.globl	_ZL20rocblas_gemvt_kernelILb1ELi256EPKffKPfEviiT2_lPKT1_lilS7_lilS4_lPT3_lili ; -- Begin function _ZL20rocblas_gemvt_kernelILb1ELi256EPKffKPfEviiT2_lPKT1_lilS7_lilS4_lPT3_lili
	.p2align	8
	.type	_ZL20rocblas_gemvt_kernelILb1ELi256EPKffKPfEviiT2_lPKT1_lilS7_lilS4_lPT3_lili,@function
_ZL20rocblas_gemvt_kernelILb1ELi256EPKffKPfEviiT2_lPKT1_lilS7_lilS4_lPT3_lili: ; @_ZL20rocblas_gemvt_kernelILb1ELi256EPKffKPfEviiT2_lPKT1_lilS7_lilS4_lPT3_lili
; %bb.0:
	s_load_b32 s33, s[0:1], 0x88
	s_lshr_b32 s10, ttmp7, 16
	s_wait_kmcnt 0x0
	s_cmp_ge_u32 s10, s33
	s_cbranch_scc1 .LBB235_48
; %bb.1:
	s_clause 0x8
	s_load_b32 s26, s[0:1], 0x28
	s_load_b32 s28, s[0:1], 0x48
	;; [unrolled: 1-line block ×6, first 2 shown]
	s_load_b128 s[12:15], s[0:1], 0x18
	s_load_b128 s[16:19], s[0:1], 0x38
	;; [unrolled: 1-line block ×3, first 2 shown]
	v_cmp_eq_u32_e64 s0, 0, v0
	v_dual_mov_b32 v13, 0 :: v_dual_lshlrev_b32 v14, 2, v0
	v_cmp_gt_u32_e64 s1, 0x80, v0
	v_cmp_gt_u32_e64 s2, 64, v0
	;; [unrolled: 1-line block ×5, first 2 shown]
	s_mov_b32 s8, ttmp9
	s_mov_b32 s11, 0
	s_wait_kmcnt 0x0
	s_ashr_i32 s27, s26, 31
	s_ashr_i32 s29, s28, 31
	;; [unrolled: 1-line block ×3, first 2 shown]
	s_cmp_eq_f32 s36, 0
	v_mad_co_i64_i32 v[1:2], null, s28, v0, 0
	v_cmp_gt_i32_e32 vcc_lo, s41, v0
	s_cselect_b32 s38, -1, 0
	s_cmp_neq_f32 s37, 1.0
	v_cndmask_b32_e32 v5, 0, v0, vcc_lo
	s_cselect_b32 s6, -1, 0
	s_cmp_neq_f32 s36, 0
	s_delay_alu instid0(VALU_DEP_3) | instskip(SKIP_1) | instid1(SALU_CYCLE_1)
	v_lshlrev_b64_e32 v[1:2], 2, v[1:2]
	s_cselect_b32 s7, -1, 0
	s_or_b32 s39, s7, s6
	s_cmp_neq_f32 s37, 0
	v_cndmask_b32_e64 v15, 0, 1, s7
	v_cmp_gt_u32_e64 s6, 4, v0
	v_cmp_gt_u32_e64 s7, 2, v0
	s_cselect_b32 s40, -1, 0
	s_ashr_i32 s9, s41, 31
	s_delay_alu instid0(SALU_CYCLE_1) | instskip(NEXT) | instid1(SALU_CYCLE_1)
	s_lshr_b32 s9, s9, 24
	s_add_co_i32 s24, s41, s9
	s_ashr_i32 s9, ttmp9, 31
	s_and_b32 s24, s24, 0xffffff00
	s_cmp_gt_i32 s41, 0xff
	v_or_b32_e32 v0, s24, v0
	s_mul_u64 s[30:31], s[30:31], s[8:9]
	s_mul_u64 s[34:35], s[26:27], s[8:9]
	s_cselect_b32 s9, -1, 0
	s_ashr_i32 s25, s24, 31
	v_mad_co_i64_i32 v[3:4], null, s28, v0, 0
	v_cmp_gt_i32_e64 s8, s41, v0
	v_lshlrev_b32_e32 v0, 2, v5
	s_lshl_b64 s[26:27], s[28:29], 10
	s_lshl_b64 s[14:15], s[14:15], 2
	;; [unrolled: 1-line block ×4, first 2 shown]
	v_lshlrev_b64_e32 v[3:4], 2, v[3:4]
	s_lshl_b64 s[28:29], s[30:31], 2
	s_lshl_b64 s[30:31], s[34:35], 2
	s_wait_alu 0xfffe
	s_lshl_b64 s[34:35], s[24:25], 2
	s_branch .LBB235_4
.LBB235_2:                              ;   in Loop: Header=BB235_4 Depth=1
	s_wait_alu 0xfffe
	s_or_b32 exec_lo, exec_lo, s41
.LBB235_3:                              ;   in Loop: Header=BB235_4 Depth=1
	s_add_co_i32 s10, s10, 0x10000
	s_delay_alu instid0(SALU_CYCLE_1)
	s_cmp_lt_u32 s10, s33
	s_cbranch_scc0 .LBB235_48
.LBB235_4:                              ; =>This Loop Header: Depth=1
                                        ;     Child Loop BB235_22 Depth 2
	s_and_not1_b32 vcc_lo, exec_lo, s39
	s_wait_alu 0xfffe
	s_cbranch_vccnz .LBB235_3
; %bb.5:                                ;   in Loop: Header=BB235_4 Depth=1
	s_and_not1_b32 vcc_lo, exec_lo, s38
	s_wait_alu 0xfffe
	s_cbranch_vccnz .LBB235_7
; %bb.6:                                ;   in Loop: Header=BB235_4 Depth=1
	s_mov_b32 s25, 0
	s_branch .LBB235_8
.LBB235_7:                              ;   in Loop: Header=BB235_4 Depth=1
	s_mov_b32 s25, -1
.LBB235_8:                              ;   in Loop: Header=BB235_4 Depth=1
	v_mov_b32_e32 v5, 0
	v_dual_mov_b32 v6, 0 :: v_dual_mov_b32 v7, 0
	v_mov_b32_e32 v8, 0
	s_wait_alu 0xfffe
	s_and_not1_b32 vcc_lo, exec_lo, s25
	s_wait_alu 0xfffe
	s_cbranch_vccnz .LBB235_10
; %bb.9:                                ;   in Loop: Header=BB235_4 Depth=1
	s_lshl_b64 s[42:43], s[10:11], 3
	s_delay_alu instid0(SALU_CYCLE_1)
	s_add_nc_u64 s[42:43], s[12:13], s[42:43]
	global_load_b64 v[7:8], v13, s[42:43]
	s_wait_loadcnt 0x0
	v_add_co_u32 v7, vcc_lo, v7, s14
	s_wait_alu 0xfffd
	v_add_co_ci_u32_e64 v8, null, s15, v8, vcc_lo
.LBB235_10:                             ;   in Loop: Header=BB235_4 Depth=1
	v_cmp_ne_u32_e32 vcc_lo, 1, v15
	s_cbranch_vccnz .LBB235_12
; %bb.11:                               ;   in Loop: Header=BB235_4 Depth=1
	s_lshl_b64 s[42:43], s[10:11], 3
	s_delay_alu instid0(SALU_CYCLE_1)
	s_add_nc_u64 s[42:43], s[16:17], s[42:43]
	global_load_b64 v[5:6], v13, s[42:43]
	s_wait_loadcnt 0x0
	v_add_co_u32 v5, vcc_lo, v5, s18
	s_wait_alu 0xfffd
	v_add_co_ci_u32_e64 v6, null, s19, v6, vcc_lo
.LBB235_12:                             ;   in Loop: Header=BB235_4 Depth=1
	s_lshl_b64 s[42:43], s[10:11], 3
	s_delay_alu instid0(SALU_CYCLE_1)
	s_add_nc_u64 s[42:43], s[20:21], s[42:43]
	global_load_b64 v[9:10], v13, s[42:43]
	s_wait_loadcnt 0x0
	v_add_co_u32 v16, vcc_lo, v9, s22
	s_wait_alu 0xfffd
	v_add_co_ci_u32_e64 v17, null, s23, v10, vcc_lo
	s_and_not1_b32 vcc_lo, exec_lo, s38
	s_wait_alu 0xfffe
	s_cbranch_vccnz .LBB235_16
; %bb.13:                               ;   in Loop: Header=BB235_4 Depth=1
	s_mov_b32 s41, 0
	s_mov_b32 s25, 0
                                        ; implicit-def: $vgpr9
	s_and_saveexec_b32 s42, s0
	s_cbranch_execz .LBB235_17
; %bb.14:                               ;   in Loop: Header=BB235_4 Depth=1
	s_and_not1_b32 vcc_lo, exec_lo, s40
	s_wait_alu 0xfffe
	s_cbranch_vccnz .LBB235_18
; %bb.15:                               ;   in Loop: Header=BB235_4 Depth=1
	v_add_co_u32 v9, vcc_lo, v16, s28
	s_wait_alu 0xfffd
	v_add_co_ci_u32_e64 v10, null, s29, v17, vcc_lo
	flat_load_b32 v9, v[9:10]
	s_wait_loadcnt_dscnt 0x0
	v_mul_f32_e32 v9, s37, v9
	s_branch .LBB235_19
.LBB235_16:                             ;   in Loop: Header=BB235_4 Depth=1
	s_mov_b32 s25, 0
                                        ; implicit-def: $vgpr9
	s_cbranch_execnz .LBB235_20
	s_branch .LBB235_46
.LBB235_17:                             ;   in Loop: Header=BB235_4 Depth=1
	s_or_b32 exec_lo, exec_lo, s42
	s_wait_alu 0xfffe
	s_and_b32 vcc_lo, exec_lo, s41
	s_wait_alu 0xfffe
	s_cbranch_vccnz .LBB235_20
	s_branch .LBB235_46
.LBB235_18:                             ;   in Loop: Header=BB235_4 Depth=1
	v_mov_b32_e32 v9, 0
.LBB235_19:                             ;   in Loop: Header=BB235_4 Depth=1
	s_mov_b32 s25, exec_lo
	s_or_b32 exec_lo, exec_lo, s42
	s_delay_alu instid0(SALU_CYCLE_1)
	s_and_b32 vcc_lo, exec_lo, s41
	s_wait_alu 0xfffe
	s_cbranch_vccz .LBB235_46
.LBB235_20:                             ;   in Loop: Header=BB235_4 Depth=1
	v_add_co_u32 v7, vcc_lo, v7, v0
	s_wait_alu 0xfffd
	v_add_co_ci_u32_e64 v8, null, 0, v8, vcc_lo
	v_mov_b32_e32 v18, 0
	s_delay_alu instid0(VALU_DEP_3) | instskip(SKIP_1) | instid1(VALU_DEP_3)
	v_add_co_u32 v7, vcc_lo, v7, s30
	s_wait_alu 0xfffd
	v_add_co_ci_u32_e64 v8, null, s31, v8, vcc_lo
	s_and_not1_b32 vcc_lo, exec_lo, s9
	s_wait_alu 0xfffe
	s_cbranch_vccnz .LBB235_23
; %bb.21:                               ;   in Loop: Header=BB235_4 Depth=1
	v_add_co_u32 v9, vcc_lo, v5, v1
	v_mov_b32_e32 v12, v8
	s_wait_alu 0xfffd
	v_add_co_ci_u32_e64 v10, null, v6, v2, vcc_lo
	v_dual_mov_b32 v18, 0 :: v_dual_mov_b32 v11, v7
	s_mov_b32 s41, 0
.LBB235_22:                             ;   Parent Loop BB235_4 Depth=1
                                        ; =>  This Inner Loop Header: Depth=2
	flat_load_b32 v19, v[11:12]
	flat_load_b32 v20, v[9:10]
	v_add_co_u32 v9, vcc_lo, v9, s26
	s_wait_alu 0xfffd
	v_add_co_ci_u32_e64 v10, null, s27, v10, vcc_lo
	v_add_co_u32 v11, vcc_lo, 0x400, v11
	s_wait_alu 0xfffd
	v_add_co_ci_u32_e64 v12, null, 0, v12, vcc_lo
	s_wait_alu 0xfffe
	s_addk_co_i32 s41, 0x100
	s_wait_alu 0xfffe
	s_cmp_ge_i32 s41, s24
	s_wait_loadcnt_dscnt 0x0
	v_fmac_f32_e32 v18, v19, v20
	s_cbranch_scc0 .LBB235_22
.LBB235_23:                             ;   in Loop: Header=BB235_4 Depth=1
	s_and_saveexec_b32 s41, s8
	s_cbranch_execz .LBB235_25
; %bb.24:                               ;   in Loop: Header=BB235_4 Depth=1
	v_add_co_u32 v7, vcc_lo, v7, s34
	s_wait_alu 0xfffd
	v_add_co_ci_u32_e64 v8, null, s35, v8, vcc_lo
	v_add_co_u32 v5, vcc_lo, v5, v3
	s_wait_alu 0xfffd
	v_add_co_ci_u32_e64 v6, null, v6, v4, vcc_lo
	flat_load_b32 v7, v[7:8]
	flat_load_b32 v5, v[5:6]
	s_wait_loadcnt_dscnt 0x0
	v_fmac_f32_e32 v18, v7, v5
.LBB235_25:                             ;   in Loop: Header=BB235_4 Depth=1
	s_wait_alu 0xfffe
	s_or_b32 exec_lo, exec_lo, s41
	ds_store_b32 v14, v18
	s_wait_dscnt 0x0
	s_barrier_signal -1
	s_barrier_wait -1
	global_inv scope:SCOPE_SE
	s_and_saveexec_b32 s41, s1
	s_cbranch_execz .LBB235_27
; %bb.26:                               ;   in Loop: Header=BB235_4 Depth=1
	ds_load_2addr_stride64_b32 v[5:6], v14 offset1:2
	s_wait_dscnt 0x0
	v_add_f32_e32 v5, v6, v5
	ds_store_b32 v14, v5
.LBB235_27:                             ;   in Loop: Header=BB235_4 Depth=1
	s_wait_alu 0xfffe
	s_or_b32 exec_lo, exec_lo, s41
	s_wait_loadcnt_dscnt 0x0
	s_barrier_signal -1
	s_barrier_wait -1
	global_inv scope:SCOPE_SE
	s_and_saveexec_b32 s41, s2
	s_cbranch_execz .LBB235_29
; %bb.28:                               ;   in Loop: Header=BB235_4 Depth=1
	ds_load_2addr_stride64_b32 v[5:6], v14 offset1:1
	s_wait_dscnt 0x0
	v_add_f32_e32 v5, v6, v5
	ds_store_b32 v14, v5
.LBB235_29:                             ;   in Loop: Header=BB235_4 Depth=1
	s_wait_alu 0xfffe
	s_or_b32 exec_lo, exec_lo, s41
	s_wait_loadcnt_dscnt 0x0
	s_barrier_signal -1
	s_barrier_wait -1
	global_inv scope:SCOPE_SE
	s_and_saveexec_b32 s41, s3
	s_cbranch_execz .LBB235_31
; %bb.30:                               ;   in Loop: Header=BB235_4 Depth=1
	ds_load_2addr_b32 v[5:6], v14 offset1:32
	s_wait_dscnt 0x0
	v_add_f32_e32 v5, v6, v5
	ds_store_b32 v14, v5
.LBB235_31:                             ;   in Loop: Header=BB235_4 Depth=1
	s_wait_alu 0xfffe
	s_or_b32 exec_lo, exec_lo, s41
	s_wait_loadcnt_dscnt 0x0
	s_barrier_signal -1
	s_barrier_wait -1
	global_inv scope:SCOPE_SE
	s_and_saveexec_b32 s41, s4
	s_cbranch_execz .LBB235_33
; %bb.32:                               ;   in Loop: Header=BB235_4 Depth=1
	ds_load_2addr_b32 v[5:6], v14 offset1:16
	s_wait_dscnt 0x0
	v_add_f32_e32 v5, v6, v5
	ds_store_b32 v14, v5
.LBB235_33:                             ;   in Loop: Header=BB235_4 Depth=1
	;; [unrolled: 14-line block ×5, first 2 shown]
	s_wait_alu 0xfffe
	s_or_b32 exec_lo, exec_lo, s41
	s_wait_loadcnt_dscnt 0x0
	s_barrier_signal -1
	s_barrier_wait -1
	global_inv scope:SCOPE_SE
	s_and_saveexec_b32 s41, s0
	s_cbranch_execz .LBB235_41
; %bb.40:                               ;   in Loop: Header=BB235_4 Depth=1
	ds_load_b64 v[5:6], v13
	s_wait_dscnt 0x0
	v_add_f32_e32 v5, v6, v5
	ds_store_b32 v13, v5
.LBB235_41:                             ;   in Loop: Header=BB235_4 Depth=1
	s_wait_alu 0xfffe
	s_or_b32 exec_lo, exec_lo, s41
	s_wait_loadcnt_dscnt 0x0
	s_barrier_signal -1
	s_barrier_wait -1
	global_inv scope:SCOPE_SE
                                        ; implicit-def: $vgpr9
	s_and_saveexec_b32 s41, s0
	s_cbranch_execz .LBB235_45
; %bb.42:                               ;   in Loop: Header=BB235_4 Depth=1
	ds_load_b32 v5, v13
	s_and_not1_b32 vcc_lo, exec_lo, s40
	s_wait_dscnt 0x0
	v_mul_f32_e32 v9, s36, v5
	s_wait_alu 0xfffe
	s_cbranch_vccnz .LBB235_44
; %bb.43:                               ;   in Loop: Header=BB235_4 Depth=1
	v_add_co_u32 v5, vcc_lo, v16, s28
	s_wait_alu 0xfffd
	v_add_co_ci_u32_e64 v6, null, s29, v17, vcc_lo
	flat_load_b32 v5, v[5:6]
	s_wait_loadcnt_dscnt 0x0
	v_fmac_f32_e32 v9, s37, v5
.LBB235_44:                             ;   in Loop: Header=BB235_4 Depth=1
	s_or_b32 s25, s25, exec_lo
.LBB235_45:                             ;   in Loop: Header=BB235_4 Depth=1
	s_wait_alu 0xfffe
	s_or_b32 exec_lo, exec_lo, s41
.LBB235_46:                             ;   in Loop: Header=BB235_4 Depth=1
	s_wait_alu 0xfffe
	s_and_saveexec_b32 s41, s25
	s_cbranch_execz .LBB235_2
; %bb.47:                               ;   in Loop: Header=BB235_4 Depth=1
	v_add_co_u32 v5, vcc_lo, v16, s28
	s_wait_alu 0xfffd
	v_add_co_ci_u32_e64 v6, null, s29, v17, vcc_lo
	flat_store_b32 v[5:6], v9
	s_branch .LBB235_2
.LBB235_48:
	s_endpgm
	.section	.rodata,"a",@progbits
	.p2align	6, 0x0
	.amdhsa_kernel _ZL20rocblas_gemvt_kernelILb1ELi256EPKffKPfEviiT2_lPKT1_lilS7_lilS4_lPT3_lili
		.amdhsa_group_segment_fixed_size 1024
		.amdhsa_private_segment_fixed_size 0
		.amdhsa_kernarg_size 140
		.amdhsa_user_sgpr_count 2
		.amdhsa_user_sgpr_dispatch_ptr 0
		.amdhsa_user_sgpr_queue_ptr 0
		.amdhsa_user_sgpr_kernarg_segment_ptr 1
		.amdhsa_user_sgpr_dispatch_id 0
		.amdhsa_user_sgpr_private_segment_size 0
		.amdhsa_wavefront_size32 1
		.amdhsa_uses_dynamic_stack 0
		.amdhsa_enable_private_segment 0
		.amdhsa_system_sgpr_workgroup_id_x 1
		.amdhsa_system_sgpr_workgroup_id_y 0
		.amdhsa_system_sgpr_workgroup_id_z 1
		.amdhsa_system_sgpr_workgroup_info 0
		.amdhsa_system_vgpr_workitem_id 0
		.amdhsa_next_free_vgpr 21
		.amdhsa_next_free_sgpr 44
		.amdhsa_reserve_vcc 1
		.amdhsa_float_round_mode_32 0
		.amdhsa_float_round_mode_16_64 0
		.amdhsa_float_denorm_mode_32 3
		.amdhsa_float_denorm_mode_16_64 3
		.amdhsa_fp16_overflow 0
		.amdhsa_workgroup_processor_mode 1
		.amdhsa_memory_ordered 1
		.amdhsa_forward_progress 1
		.amdhsa_inst_pref_size 14
		.amdhsa_round_robin_scheduling 0
		.amdhsa_exception_fp_ieee_invalid_op 0
		.amdhsa_exception_fp_denorm_src 0
		.amdhsa_exception_fp_ieee_div_zero 0
		.amdhsa_exception_fp_ieee_overflow 0
		.amdhsa_exception_fp_ieee_underflow 0
		.amdhsa_exception_fp_ieee_inexact 0
		.amdhsa_exception_int_div_zero 0
	.end_amdhsa_kernel
	.section	.text._ZL20rocblas_gemvt_kernelILb1ELi256EPKffKPfEviiT2_lPKT1_lilS7_lilS4_lPT3_lili,"axG",@progbits,_ZL20rocblas_gemvt_kernelILb1ELi256EPKffKPfEviiT2_lPKT1_lilS7_lilS4_lPT3_lili,comdat
.Lfunc_end235:
	.size	_ZL20rocblas_gemvt_kernelILb1ELi256EPKffKPfEviiT2_lPKT1_lilS7_lilS4_lPT3_lili, .Lfunc_end235-_ZL20rocblas_gemvt_kernelILb1ELi256EPKffKPfEviiT2_lPKT1_lilS7_lilS4_lPT3_lili
                                        ; -- End function
	.set _ZL20rocblas_gemvt_kernelILb1ELi256EPKffKPfEviiT2_lPKT1_lilS7_lilS4_lPT3_lili.num_vgpr, 21
	.set _ZL20rocblas_gemvt_kernelILb1ELi256EPKffKPfEviiT2_lPKT1_lilS7_lilS4_lPT3_lili.num_agpr, 0
	.set _ZL20rocblas_gemvt_kernelILb1ELi256EPKffKPfEviiT2_lPKT1_lilS7_lilS4_lPT3_lili.numbered_sgpr, 44
	.set _ZL20rocblas_gemvt_kernelILb1ELi256EPKffKPfEviiT2_lPKT1_lilS7_lilS4_lPT3_lili.num_named_barrier, 0
	.set _ZL20rocblas_gemvt_kernelILb1ELi256EPKffKPfEviiT2_lPKT1_lilS7_lilS4_lPT3_lili.private_seg_size, 0
	.set _ZL20rocblas_gemvt_kernelILb1ELi256EPKffKPfEviiT2_lPKT1_lilS7_lilS4_lPT3_lili.uses_vcc, 1
	.set _ZL20rocblas_gemvt_kernelILb1ELi256EPKffKPfEviiT2_lPKT1_lilS7_lilS4_lPT3_lili.uses_flat_scratch, 0
	.set _ZL20rocblas_gemvt_kernelILb1ELi256EPKffKPfEviiT2_lPKT1_lilS7_lilS4_lPT3_lili.has_dyn_sized_stack, 0
	.set _ZL20rocblas_gemvt_kernelILb1ELi256EPKffKPfEviiT2_lPKT1_lilS7_lilS4_lPT3_lili.has_recursion, 0
	.set _ZL20rocblas_gemvt_kernelILb1ELi256EPKffKPfEviiT2_lPKT1_lilS7_lilS4_lPT3_lili.has_indirect_call, 0
	.section	.AMDGPU.csdata,"",@progbits
; Kernel info:
; codeLenInByte = 1744
; TotalNumSgprs: 46
; NumVgprs: 21
; ScratchSize: 0
; MemoryBound: 0
; FloatMode: 240
; IeeeMode: 1
; LDSByteSize: 1024 bytes/workgroup (compile time only)
; SGPRBlocks: 0
; VGPRBlocks: 2
; NumSGPRsForWavesPerEU: 46
; NumVGPRsForWavesPerEU: 21
; Occupancy: 16
; WaveLimiterHint : 1
; COMPUTE_PGM_RSRC2:SCRATCH_EN: 0
; COMPUTE_PGM_RSRC2:USER_SGPR: 2
; COMPUTE_PGM_RSRC2:TRAP_HANDLER: 0
; COMPUTE_PGM_RSRC2:TGID_X_EN: 1
; COMPUTE_PGM_RSRC2:TGID_Y_EN: 0
; COMPUTE_PGM_RSRC2:TGID_Z_EN: 1
; COMPUTE_PGM_RSRC2:TIDIG_COMP_CNT: 0
	.section	.text._ZL32rocblas_gemvt_warp_reduce_kernelILb1ELi1024EiPKfS1_KPfEviiT3_lPKT2_lT1_lS7_lS8_lS4_lPT4_lS8_li,"axG",@progbits,_ZL32rocblas_gemvt_warp_reduce_kernelILb1ELi1024EiPKfS1_KPfEviiT3_lPKT2_lT1_lS7_lS8_lS4_lPT4_lS8_li,comdat
	.globl	_ZL32rocblas_gemvt_warp_reduce_kernelILb1ELi1024EiPKfS1_KPfEviiT3_lPKT2_lT1_lS7_lS8_lS4_lPT4_lS8_li ; -- Begin function _ZL32rocblas_gemvt_warp_reduce_kernelILb1ELi1024EiPKfS1_KPfEviiT3_lPKT2_lT1_lS7_lS8_lS4_lPT4_lS8_li
	.p2align	8
	.type	_ZL32rocblas_gemvt_warp_reduce_kernelILb1ELi1024EiPKfS1_KPfEviiT3_lPKT2_lT1_lS7_lS8_lS4_lPT4_lS8_li,@function
_ZL32rocblas_gemvt_warp_reduce_kernelILb1ELi1024EiPKfS1_KPfEviiT3_lPKT2_lT1_lS7_lS8_lS4_lPT4_lS8_li: ; @_ZL32rocblas_gemvt_warp_reduce_kernelILb1ELi1024EiPKfS1_KPfEviiT3_lPKT2_lT1_lS7_lS8_lS4_lPT4_lS8_li
; %bb.0:
	s_load_b32 s7, s[0:1], 0x88
	s_lshr_b32 s28, ttmp7, 16
	s_wait_kmcnt 0x0
	s_cmp_ge_u32 s28, s7
	s_cbranch_scc1 .LBB236_38
; %bb.1:
	s_clause 0x6
	s_load_b32 s4, s[0:1], 0x0
	s_load_b32 s3, s[0:1], 0x78
	s_load_b256 s[8:15], s[0:1], 0x8
	s_load_b32 s5, s[0:1], 0x28
	s_load_b128 s[24:27], s[0:1], 0x38
	s_load_b32 s6, s[0:1], 0x48
	s_load_b256 s[16:23], s[0:1], 0x58
	v_lshrrev_b32_e32 v2, 3, v0
	v_and_b32_e32 v1, 31, v0
	v_mov_b32_e32 v11, 0
	v_mbcnt_lo_u32_b32 v15, -1, 0
	v_cmp_eq_u32_e64 s0, 0, v0
	v_and_b32_e32 v13, 0x7c, v2
	v_lshlrev_b32_e32 v12, 2, v1
	v_cmp_gt_u32_e64 s1, 32, v0
	v_lshl_or_b32 v17, v15, 2, 64
	s_mov_b32 s29, 0
	s_wait_kmcnt 0x0
	s_ashr_i32 s2, s4, 31
	v_cmp_gt_i32_e32 vcc_lo, s4, v0
	s_lshr_b32 s2, s2, 22
	s_mul_i32 s34, s3, ttmp9
	s_add_co_i32 s30, s4, s2
	v_cmp_eq_u32_e64 s2, 0, v1
	s_and_b32 s30, s30, 0xfffffc00
	v_cndmask_b32_e32 v3, 0, v0, vcc_lo
	v_or_b32_e32 v2, s30, v0
	v_mul_lo_u32 v14, v0, s6
	s_mul_i32 s36, s5, ttmp9
	v_cmp_gt_i32_e64 s3, s30, v0
	v_lshlrev_b32_e32 v16, 2, v3
	v_mul_lo_u32 v1, s6, v2
	v_cmp_gt_i32_e64 s4, s4, v2
	s_ashr_i32 s35, s34, 31
	s_ashr_i32 s37, s36, 31
	;; [unrolled: 1-line block ×3, first 2 shown]
	s_lshl_b32 s33, s6, 10
	s_lshl_b64 s[14:15], s[14:15], 2
	s_lshl_b64 s[26:27], s[26:27], 2
	v_ashrrev_i32_e32 v2, 31, v1
	s_lshl_b64 s[22:23], s[22:23], 2
	s_lshl_b64 s[34:35], s[34:35], 2
	;; [unrolled: 1-line block ×3, first 2 shown]
	s_wait_alu 0xfffe
	s_lshl_b64 s[38:39], s[30:31], 2
	v_lshlrev_b64_e32 v[1:2], 2, v[1:2]
	s_branch .LBB236_4
.LBB236_2:                              ;   in Loop: Header=BB236_4 Depth=1
	s_wait_alu 0xfffe
	s_or_b32 exec_lo, exec_lo, s5
.LBB236_3:                              ;   in Loop: Header=BB236_4 Depth=1
	s_add_co_i32 s28, s28, 0x10000
	s_delay_alu instid0(SALU_CYCLE_1)
	s_cmp_lt_u32 s28, s7
	s_cbranch_scc0 .LBB236_38
.LBB236_4:                              ; =>This Loop Header: Depth=1
                                        ;     Child Loop BB236_27 Depth 2
	s_mul_u64 s[40:41], s[10:11], s[28:29]
	s_mul_u64 s[42:43], s[18:19], s[28:29]
	s_lshl_b64 s[40:41], s[40:41], 2
	s_lshl_b64 s[42:43], s[42:43], 2
	s_add_nc_u64 s[40:41], s[8:9], s[40:41]
	s_add_nc_u64 s[42:43], s[16:17], s[42:43]
	s_clause 0x1
	global_load_b32 v18, v11, s[40:41]
	global_load_b32 v3, v11, s[42:43]
	s_wait_loadcnt 0x1
	v_cmp_eq_f32_e64 s5, 0, v18
	s_wait_loadcnt 0x0
	v_cmp_eq_f32_e32 vcc_lo, 1.0, v3
	v_readfirstlane_b32 s31, v3
	s_and_b32 s6, s5, vcc_lo
	s_wait_alu 0xfffe
	s_and_b32 vcc_lo, exec_lo, s6
	s_wait_alu 0xfffe
	s_cbranch_vccnz .LBB236_3
; %bb.5:                                ;   in Loop: Header=BB236_4 Depth=1
	v_mov_b32_e32 v3, 0
	v_dual_mov_b32 v4, 0 :: v_dual_mov_b32 v5, 0
	v_cmp_neq_f32_e64 s6, 0, v18
	v_mov_b32_e32 v6, 0
	s_and_b32 vcc_lo, exec_lo, s5
	s_wait_alu 0xfffe
	s_cbranch_vccnz .LBB236_7
; %bb.6:                                ;   in Loop: Header=BB236_4 Depth=1
	s_lshl_b64 s[40:41], s[28:29], 3
	s_delay_alu instid0(SALU_CYCLE_1)
	s_add_nc_u64 s[40:41], s[12:13], s[40:41]
	global_load_b64 v[5:6], v11, s[40:41]
	s_wait_loadcnt 0x0
	v_add_co_u32 v5, vcc_lo, v5, s14
	s_wait_alu 0xfffd
	v_add_co_ci_u32_e64 v6, null, s15, v6, vcc_lo
.LBB236_7:                              ;   in Loop: Header=BB236_4 Depth=1
	s_and_not1_b32 vcc_lo, exec_lo, s6
	s_wait_alu 0xfffe
	s_cbranch_vccnz .LBB236_9
; %bb.8:                                ;   in Loop: Header=BB236_4 Depth=1
	s_lshl_b64 s[40:41], s[28:29], 3
	s_delay_alu instid0(SALU_CYCLE_1)
	s_add_nc_u64 s[40:41], s[24:25], s[40:41]
	global_load_b64 v[3:4], v11, s[40:41]
	s_wait_loadcnt 0x0
	v_add_co_u32 v3, vcc_lo, v3, s26
	s_wait_alu 0xfffd
	v_add_co_ci_u32_e64 v4, null, s27, v4, vcc_lo
.LBB236_9:                              ;   in Loop: Header=BB236_4 Depth=1
	s_lshl_b64 s[40:41], s[28:29], 3
	s_delay_alu instid0(SALU_CYCLE_1)
	s_add_nc_u64 s[40:41], s[20:21], s[40:41]
	s_wait_dscnt 0x0
	global_load_b64 v[7:8], v11, s[40:41]
	s_wait_loadcnt 0x0
	v_add_co_u32 v19, vcc_lo, v7, s22
	s_wait_alu 0xfffd
	v_add_co_ci_u32_e64 v20, null, s23, v8, vcc_lo
	s_and_not1_b32 vcc_lo, exec_lo, s5
	s_wait_alu 0xfffe
	s_cbranch_vccnz .LBB236_13
; %bb.10:                               ;   in Loop: Header=BB236_4 Depth=1
	s_mov_b32 s5, 0
	s_mov_b32 s6, 0
                                        ; implicit-def: $vgpr7
	s_and_saveexec_b32 s40, s0
	s_cbranch_execz .LBB236_14
; %bb.11:                               ;   in Loop: Header=BB236_4 Depth=1
	s_cmp_eq_f32 s31, 0
	s_cbranch_scc1 .LBB236_15
; %bb.12:                               ;   in Loop: Header=BB236_4 Depth=1
	v_add_co_u32 v7, vcc_lo, v19, s34
	s_wait_alu 0xfffd
	v_add_co_ci_u32_e64 v8, null, s35, v20, vcc_lo
	flat_load_b32 v7, v[7:8]
	s_wait_loadcnt_dscnt 0x0
	v_mul_f32_e32 v7, s31, v7
	s_branch .LBB236_16
.LBB236_13:                             ;   in Loop: Header=BB236_4 Depth=1
	s_mov_b32 s6, 0
                                        ; implicit-def: $vgpr7
	s_cbranch_execnz .LBB236_17
	s_branch .LBB236_36
.LBB236_14:                             ;   in Loop: Header=BB236_4 Depth=1
	s_or_b32 exec_lo, exec_lo, s40
	s_wait_alu 0xfffe
	s_and_b32 vcc_lo, exec_lo, s5
	s_wait_alu 0xfffe
	s_cbranch_vccnz .LBB236_17
	s_branch .LBB236_36
.LBB236_15:                             ;   in Loop: Header=BB236_4 Depth=1
	v_mov_b32_e32 v7, 0
.LBB236_16:                             ;   in Loop: Header=BB236_4 Depth=1
	s_mov_b32 s6, exec_lo
	s_or_b32 exec_lo, exec_lo, s40
	s_wait_alu 0xfffe
	s_and_b32 vcc_lo, exec_lo, s5
	s_wait_alu 0xfffe
	s_cbranch_vccz .LBB236_36
.LBB236_17:                             ;   in Loop: Header=BB236_4 Depth=1
	v_add_co_u32 v5, vcc_lo, v5, v16
	s_wait_alu 0xfffd
	v_add_co_ci_u32_e64 v6, null, 0, v6, vcc_lo
	v_mov_b32_e32 v21, 0
	s_delay_alu instid0(VALU_DEP_3) | instskip(SKIP_1) | instid1(VALU_DEP_3)
	v_add_co_u32 v5, vcc_lo, v5, s36
	s_wait_alu 0xfffd
	v_add_co_ci_u32_e64 v6, null, s37, v6, vcc_lo
	s_and_saveexec_b32 s40, s3
	s_cbranch_execnz .LBB236_26
; %bb.18:                               ;   in Loop: Header=BB236_4 Depth=1
	s_or_b32 exec_lo, exec_lo, s40
	s_and_saveexec_b32 s5, s4
	s_cbranch_execnz .LBB236_29
.LBB236_19:                             ;   in Loop: Header=BB236_4 Depth=1
	s_wait_alu 0xfffe
	s_or_b32 exec_lo, exec_lo, s5
	s_and_saveexec_b32 s5, s1
.LBB236_20:                             ;   in Loop: Header=BB236_4 Depth=1
	ds_store_b32 v12, v11
.LBB236_21:                             ;   in Loop: Header=BB236_4 Depth=1
	s_wait_alu 0xfffe
	s_or_b32 exec_lo, exec_lo, s5
	ds_bpermute_b32 v4, v17, v21
	v_cmp_gt_u32_e32 vcc_lo, 24, v15
	s_wait_dscnt 0x0
	s_barrier_signal -1
	s_barrier_wait -1
	global_inv scope:SCOPE_SE
	s_wait_alu 0xfffd
	v_cndmask_b32_e64 v3, 0, 8, vcc_lo
	v_cmp_gt_u32_e32 vcc_lo, 28, v15
	s_delay_alu instid0(VALU_DEP_2)
	v_add_lshl_u32 v3, v3, v15, 2
	v_add_f32_e32 v5, v21, v4
	s_wait_alu 0xfffd
	v_cndmask_b32_e64 v4, 0, 4, vcc_lo
	v_cmp_gt_u32_e32 vcc_lo, 30, v15
	ds_bpermute_b32 v6, v3, v5
	v_add_lshl_u32 v4, v4, v15, 2
	s_wait_dscnt 0x0
	v_add_f32_e32 v6, v5, v6
	s_wait_alu 0xfffd
	v_cndmask_b32_e64 v5, 0, 2, vcc_lo
	v_cmp_ne_u32_e32 vcc_lo, 31, v15
	ds_bpermute_b32 v7, v4, v6
	v_add_lshl_u32 v5, v5, v15, 2
	s_wait_alu 0xfffd
	v_add_co_ci_u32_e64 v8, null, 0, v15, vcc_lo
	s_wait_dscnt 0x0
	v_add_f32_e32 v6, v6, v7
	ds_bpermute_b32 v7, v5, v6
	s_wait_dscnt 0x0
	v_dual_add_f32 v7, v6, v7 :: v_dual_lshlrev_b32 v6, 2, v8
	ds_bpermute_b32 v8, v6, v7
	s_and_saveexec_b32 s5, s2
	s_cbranch_execz .LBB236_23
; %bb.22:                               ;   in Loop: Header=BB236_4 Depth=1
	s_wait_dscnt 0x0
	v_add_f32_e32 v7, v7, v8
	ds_store_b32 v13, v7
.LBB236_23:                             ;   in Loop: Header=BB236_4 Depth=1
	s_wait_alu 0xfffe
	s_or_b32 exec_lo, exec_lo, s5
	s_wait_dscnt 0x0
	v_mov_b32_e32 v8, 0
	s_wait_loadcnt 0x0
	s_barrier_signal -1
	s_barrier_wait -1
	global_inv scope:SCOPE_SE
	s_and_saveexec_b32 s5, s1
	s_cbranch_execnz .LBB236_30
; %bb.24:                               ;   in Loop: Header=BB236_4 Depth=1
	s_wait_alu 0xfffe
	s_or_b32 exec_lo, exec_lo, s5
	s_and_saveexec_b32 s5, s1
	s_cbranch_execnz .LBB236_31
.LBB236_25:                             ;   in Loop: Header=BB236_4 Depth=1
	s_wait_alu 0xfffe
	s_or_b32 exec_lo, exec_lo, s5
                                        ; implicit-def: $vgpr7
	s_and_saveexec_b32 s5, s0
	s_cbranch_execnz .LBB236_32
	s_branch .LBB236_35
.LBB236_26:                             ;   in Loop: Header=BB236_4 Depth=1
	v_dual_mov_b32 v21, 0 :: v_dual_mov_b32 v8, v6
	v_dual_mov_b32 v7, v5 :: v_dual_mov_b32 v22, v0
	v_mov_b32_e32 v9, v14
	s_mov_b32 s41, 0
.LBB236_27:                             ;   Parent Loop BB236_4 Depth=1
                                        ; =>  This Inner Loop Header: Depth=2
	s_delay_alu instid0(VALU_DEP_1) | instskip(NEXT) | instid1(VALU_DEP_1)
	v_ashrrev_i32_e32 v10, 31, v9
	v_lshlrev_b64_e32 v[23:24], 2, v[9:10]
	v_add_nc_u32_e32 v9, s33, v9
	s_delay_alu instid0(VALU_DEP_2) | instskip(SKIP_1) | instid1(VALU_DEP_3)
	v_add_co_u32 v23, vcc_lo, v3, v23
	s_wait_alu 0xfffd
	v_add_co_ci_u32_e64 v24, null, v4, v24, vcc_lo
	flat_load_b32 v10, v[7:8]
	flat_load_b32 v23, v[23:24]
	v_add_nc_u32_e32 v22, 0x400, v22
	v_add_co_u32 v7, vcc_lo, 0x1000, v7
	s_wait_alu 0xfffd
	v_add_co_ci_u32_e64 v8, null, 0, v8, vcc_lo
	s_wait_loadcnt_dscnt 0x0
	v_fmac_f32_e32 v21, v10, v23
	v_cmp_le_i32_e64 s5, s30, v22
	s_or_b32 s41, s5, s41
	s_delay_alu instid0(SALU_CYCLE_1)
	s_and_not1_b32 exec_lo, exec_lo, s41
	s_cbranch_execnz .LBB236_27
; %bb.28:                               ;   in Loop: Header=BB236_4 Depth=1
	s_or_b32 exec_lo, exec_lo, s41
	s_delay_alu instid0(SALU_CYCLE_1)
	s_or_b32 exec_lo, exec_lo, s40
	s_and_saveexec_b32 s5, s4
	s_cbranch_execz .LBB236_19
.LBB236_29:                             ;   in Loop: Header=BB236_4 Depth=1
	v_add_co_u32 v5, vcc_lo, v5, s38
	s_wait_alu 0xfffd
	v_add_co_ci_u32_e64 v6, null, s39, v6, vcc_lo
	v_add_co_u32 v3, vcc_lo, v3, v1
	s_wait_alu 0xfffd
	v_add_co_ci_u32_e64 v4, null, v4, v2, vcc_lo
	flat_load_b32 v5, v[5:6]
	flat_load_b32 v3, v[3:4]
	s_wait_loadcnt_dscnt 0x0
	v_fmac_f32_e32 v21, v5, v3
	s_wait_alu 0xfffe
	s_or_b32 exec_lo, exec_lo, s5
	s_and_saveexec_b32 s5, s1
	s_cbranch_execnz .LBB236_20
	s_branch .LBB236_21
.LBB236_30:                             ;   in Loop: Header=BB236_4 Depth=1
	ds_load_b32 v8, v12
	s_wait_alu 0xfffe
	s_or_b32 exec_lo, exec_lo, s5
	s_and_saveexec_b32 s5, s1
	s_cbranch_execz .LBB236_25
.LBB236_31:                             ;   in Loop: Header=BB236_4 Depth=1
	s_wait_dscnt 0x0
	ds_bpermute_b32 v7, v17, v8
	s_wait_dscnt 0x0
	v_add_f32_e32 v7, v8, v7
	ds_bpermute_b32 v3, v3, v7
	s_wait_dscnt 0x0
	v_add_f32_e32 v3, v7, v3
	;; [unrolled: 3-line block ×5, first 2 shown]
	s_wait_alu 0xfffe
	s_or_b32 exec_lo, exec_lo, s5
                                        ; implicit-def: $vgpr7
	s_and_saveexec_b32 s5, s0
	s_cbranch_execz .LBB236_35
.LBB236_32:                             ;   in Loop: Header=BB236_4 Depth=1
	s_wait_dscnt 0x0
	v_mul_f32_e32 v7, v18, v8
	s_cmp_eq_f32 s31, 0
	s_cbranch_scc1 .LBB236_34
; %bb.33:                               ;   in Loop: Header=BB236_4 Depth=1
	v_add_co_u32 v3, vcc_lo, v19, s34
	s_wait_alu 0xfffd
	v_add_co_ci_u32_e64 v4, null, s35, v20, vcc_lo
	flat_load_b32 v3, v[3:4]
	s_wait_loadcnt_dscnt 0x0
	v_fmac_f32_e32 v7, s31, v3
.LBB236_34:                             ;   in Loop: Header=BB236_4 Depth=1
	s_or_b32 s6, s6, exec_lo
.LBB236_35:                             ;   in Loop: Header=BB236_4 Depth=1
	s_wait_alu 0xfffe
	s_or_b32 exec_lo, exec_lo, s5
.LBB236_36:                             ;   in Loop: Header=BB236_4 Depth=1
	s_wait_alu 0xfffe
	s_and_saveexec_b32 s5, s6
	s_cbranch_execz .LBB236_2
; %bb.37:                               ;   in Loop: Header=BB236_4 Depth=1
	v_add_co_u32 v3, vcc_lo, v19, s34
	s_wait_alu 0xfffd
	v_add_co_ci_u32_e64 v4, null, s35, v20, vcc_lo
	flat_store_b32 v[3:4], v7
	s_branch .LBB236_2
.LBB236_38:
	s_endpgm
	.section	.rodata,"a",@progbits
	.p2align	6, 0x0
	.amdhsa_kernel _ZL32rocblas_gemvt_warp_reduce_kernelILb1ELi1024EiPKfS1_KPfEviiT3_lPKT2_lT1_lS7_lS8_lS4_lPT4_lS8_li
		.amdhsa_group_segment_fixed_size 128
		.amdhsa_private_segment_fixed_size 0
		.amdhsa_kernarg_size 140
		.amdhsa_user_sgpr_count 2
		.amdhsa_user_sgpr_dispatch_ptr 0
		.amdhsa_user_sgpr_queue_ptr 0
		.amdhsa_user_sgpr_kernarg_segment_ptr 1
		.amdhsa_user_sgpr_dispatch_id 0
		.amdhsa_user_sgpr_private_segment_size 0
		.amdhsa_wavefront_size32 1
		.amdhsa_uses_dynamic_stack 0
		.amdhsa_enable_private_segment 0
		.amdhsa_system_sgpr_workgroup_id_x 1
		.amdhsa_system_sgpr_workgroup_id_y 0
		.amdhsa_system_sgpr_workgroup_id_z 1
		.amdhsa_system_sgpr_workgroup_info 0
		.amdhsa_system_vgpr_workitem_id 0
		.amdhsa_next_free_vgpr 25
		.amdhsa_next_free_sgpr 44
		.amdhsa_reserve_vcc 1
		.amdhsa_float_round_mode_32 0
		.amdhsa_float_round_mode_16_64 0
		.amdhsa_float_denorm_mode_32 3
		.amdhsa_float_denorm_mode_16_64 3
		.amdhsa_fp16_overflow 0
		.amdhsa_workgroup_processor_mode 1
		.amdhsa_memory_ordered 1
		.amdhsa_forward_progress 1
		.amdhsa_inst_pref_size 13
		.amdhsa_round_robin_scheduling 0
		.amdhsa_exception_fp_ieee_invalid_op 0
		.amdhsa_exception_fp_denorm_src 0
		.amdhsa_exception_fp_ieee_div_zero 0
		.amdhsa_exception_fp_ieee_overflow 0
		.amdhsa_exception_fp_ieee_underflow 0
		.amdhsa_exception_fp_ieee_inexact 0
		.amdhsa_exception_int_div_zero 0
	.end_amdhsa_kernel
	.section	.text._ZL32rocblas_gemvt_warp_reduce_kernelILb1ELi1024EiPKfS1_KPfEviiT3_lPKT2_lT1_lS7_lS8_lS4_lPT4_lS8_li,"axG",@progbits,_ZL32rocblas_gemvt_warp_reduce_kernelILb1ELi1024EiPKfS1_KPfEviiT3_lPKT2_lT1_lS7_lS8_lS4_lPT4_lS8_li,comdat
.Lfunc_end236:
	.size	_ZL32rocblas_gemvt_warp_reduce_kernelILb1ELi1024EiPKfS1_KPfEviiT3_lPKT2_lT1_lS7_lS8_lS4_lPT4_lS8_li, .Lfunc_end236-_ZL32rocblas_gemvt_warp_reduce_kernelILb1ELi1024EiPKfS1_KPfEviiT3_lPKT2_lT1_lS7_lS8_lS4_lPT4_lS8_li
                                        ; -- End function
	.set _ZL32rocblas_gemvt_warp_reduce_kernelILb1ELi1024EiPKfS1_KPfEviiT3_lPKT2_lT1_lS7_lS8_lS4_lPT4_lS8_li.num_vgpr, 25
	.set _ZL32rocblas_gemvt_warp_reduce_kernelILb1ELi1024EiPKfS1_KPfEviiT3_lPKT2_lT1_lS7_lS8_lS4_lPT4_lS8_li.num_agpr, 0
	.set _ZL32rocblas_gemvt_warp_reduce_kernelILb1ELi1024EiPKfS1_KPfEviiT3_lPKT2_lT1_lS7_lS8_lS4_lPT4_lS8_li.numbered_sgpr, 44
	.set _ZL32rocblas_gemvt_warp_reduce_kernelILb1ELi1024EiPKfS1_KPfEviiT3_lPKT2_lT1_lS7_lS8_lS4_lPT4_lS8_li.num_named_barrier, 0
	.set _ZL32rocblas_gemvt_warp_reduce_kernelILb1ELi1024EiPKfS1_KPfEviiT3_lPKT2_lT1_lS7_lS8_lS4_lPT4_lS8_li.private_seg_size, 0
	.set _ZL32rocblas_gemvt_warp_reduce_kernelILb1ELi1024EiPKfS1_KPfEviiT3_lPKT2_lT1_lS7_lS8_lS4_lPT4_lS8_li.uses_vcc, 1
	.set _ZL32rocblas_gemvt_warp_reduce_kernelILb1ELi1024EiPKfS1_KPfEviiT3_lPKT2_lT1_lS7_lS8_lS4_lPT4_lS8_li.uses_flat_scratch, 0
	.set _ZL32rocblas_gemvt_warp_reduce_kernelILb1ELi1024EiPKfS1_KPfEviiT3_lPKT2_lT1_lS7_lS8_lS4_lPT4_lS8_li.has_dyn_sized_stack, 0
	.set _ZL32rocblas_gemvt_warp_reduce_kernelILb1ELi1024EiPKfS1_KPfEviiT3_lPKT2_lT1_lS7_lS8_lS4_lPT4_lS8_li.has_recursion, 0
	.set _ZL32rocblas_gemvt_warp_reduce_kernelILb1ELi1024EiPKfS1_KPfEviiT3_lPKT2_lT1_lS7_lS8_lS4_lPT4_lS8_li.has_indirect_call, 0
	.section	.AMDGPU.csdata,"",@progbits
; Kernel info:
; codeLenInByte = 1652
; TotalNumSgprs: 46
; NumVgprs: 25
; ScratchSize: 0
; MemoryBound: 0
; FloatMode: 240
; IeeeMode: 1
; LDSByteSize: 128 bytes/workgroup (compile time only)
; SGPRBlocks: 0
; VGPRBlocks: 3
; NumSGPRsForWavesPerEU: 46
; NumVGPRsForWavesPerEU: 25
; Occupancy: 16
; WaveLimiterHint : 1
; COMPUTE_PGM_RSRC2:SCRATCH_EN: 0
; COMPUTE_PGM_RSRC2:USER_SGPR: 2
; COMPUTE_PGM_RSRC2:TRAP_HANDLER: 0
; COMPUTE_PGM_RSRC2:TGID_X_EN: 1
; COMPUTE_PGM_RSRC2:TGID_Y_EN: 0
; COMPUTE_PGM_RSRC2:TGID_Z_EN: 1
; COMPUTE_PGM_RSRC2:TIDIG_COMP_CNT: 0
	.section	.text._ZL32rocblas_gemvt_warp_reduce_kernelILb1ELi1024ElPKfS1_KPfEviiT3_lPKT2_lT1_lS7_lS8_lS4_lPT4_lS8_li,"axG",@progbits,_ZL32rocblas_gemvt_warp_reduce_kernelILb1ELi1024ElPKfS1_KPfEviiT3_lPKT2_lT1_lS7_lS8_lS4_lPT4_lS8_li,comdat
	.globl	_ZL32rocblas_gemvt_warp_reduce_kernelILb1ELi1024ElPKfS1_KPfEviiT3_lPKT2_lT1_lS7_lS8_lS4_lPT4_lS8_li ; -- Begin function _ZL32rocblas_gemvt_warp_reduce_kernelILb1ELi1024ElPKfS1_KPfEviiT3_lPKT2_lT1_lS7_lS8_lS4_lPT4_lS8_li
	.p2align	8
	.type	_ZL32rocblas_gemvt_warp_reduce_kernelILb1ELi1024ElPKfS1_KPfEviiT3_lPKT2_lT1_lS7_lS8_lS4_lPT4_lS8_li,@function
_ZL32rocblas_gemvt_warp_reduce_kernelILb1ELi1024ElPKfS1_KPfEviiT3_lPKT2_lT1_lS7_lS8_lS4_lPT4_lS8_li: ; @_ZL32rocblas_gemvt_warp_reduce_kernelILb1ELi1024ElPKfS1_KPfEviiT3_lPKT2_lT1_lS7_lS8_lS4_lPT4_lS8_li
; %bb.0:
	s_load_b32 s7, s[0:1], 0x88
	s_lshr_b32 s28, ttmp7, 16
	s_wait_kmcnt 0x0
	s_cmp_ge_u32 s28, s7
	s_cbranch_scc1 .LBB237_38
; %bb.1:
	s_clause 0x6
	s_load_b32 s6, s[0:1], 0x0
	s_load_b64 s[36:37], s[0:1], 0x48
	s_load_b256 s[8:15], s[0:1], 0x8
	s_load_b64 s[34:35], s[0:1], 0x78
	s_load_b64 s[38:39], s[0:1], 0x28
	s_load_b128 s[24:27], s[0:1], 0x38
	s_load_b256 s[16:23], s[0:1], 0x58
	v_and_b32_e32 v3, 31, v0
	v_lshrrev_b32_e32 v4, 3, v0
	v_mov_b32_e32 v13, 0
	v_mbcnt_lo_u32_b32 v14, -1, 0
	s_mov_b32 s4, ttmp9
	s_ashr_i32 s5, ttmp9, 31
	v_and_b32_e32 v16, 0x7c, v4
	v_cmp_eq_u32_e64 s0, 0, v0
	v_cmp_gt_u32_e64 s1, 32, v0
	v_lshl_or_b32 v18, v14, 2, 64
	s_mov_b32 s29, 0
	s_wait_kmcnt 0x0
	s_ashr_i32 s2, s6, 31
	v_mad_co_u64_u32 v[1:2], null, s36, v0, 0
	s_lshr_b32 s3, s2, 22
	v_cmp_eq_u32_e64 s2, 0, v3
	s_add_co_i32 s3, s6, s3
	v_cmp_gt_i32_e32 vcc_lo, s6, v0
	s_and_b32 s30, s3, 0xfffffc00
	v_lshlrev_b32_e32 v15, 2, v3
	v_or_b32_e32 v5, s30, v0
	v_mad_co_u64_u32 v[2:3], null, s37, v0, v[2:3]
	s_ashr_i32 s31, s30, 31
	v_cndmask_b32_e32 v6, 0, v0, vcc_lo
	v_mul_lo_u32 v7, s37, v5
	v_mad_co_u64_u32 v[3:4], null, s36, v5, 0
	s_wait_alu 0xfffe
	s_mul_i32 s3, s36, s31
	v_lshlrev_b64_e32 v[1:2], 2, v[1:2]
	s_mul_u64 s[40:41], s[34:35], s[4:5]
	s_mul_u64 s[38:39], s[38:39], s[4:5]
	v_cmp_gt_i32_e64 s4, s6, v5
	v_lshlrev_b32_e32 v17, 2, v6
	v_add3_u32 v4, v4, s3, v7
	v_cmp_gt_i32_e64 s3, s30, v0
	s_lshl_b64 s[34:35], s[36:37], 12
	s_lshl_b64 s[14:15], s[14:15], 2
	;; [unrolled: 1-line block ×3, first 2 shown]
	v_lshlrev_b64_e32 v[3:4], 2, v[3:4]
	s_lshl_b64 s[22:23], s[22:23], 2
	s_lshl_b64 s[36:37], s[40:41], 2
	;; [unrolled: 1-line block ×4, first 2 shown]
	s_branch .LBB237_4
.LBB237_2:                              ;   in Loop: Header=BB237_4 Depth=1
	s_or_b32 exec_lo, exec_lo, s5
.LBB237_3:                              ;   in Loop: Header=BB237_4 Depth=1
	s_add_co_i32 s28, s28, 0x10000
	s_delay_alu instid0(SALU_CYCLE_1)
	s_cmp_lt_u32 s28, s7
	s_cbranch_scc0 .LBB237_38
.LBB237_4:                              ; =>This Loop Header: Depth=1
                                        ;     Child Loop BB237_27 Depth 2
	s_mul_u64 s[42:43], s[10:11], s[28:29]
	s_mul_u64 s[44:45], s[18:19], s[28:29]
	s_lshl_b64 s[42:43], s[42:43], 2
	s_lshl_b64 s[44:45], s[44:45], 2
	s_add_nc_u64 s[42:43], s[8:9], s[42:43]
	s_add_nc_u64 s[44:45], s[16:17], s[44:45]
	s_clause 0x1
	global_load_b32 v19, v13, s[42:43]
	global_load_b32 v5, v13, s[44:45]
	s_wait_loadcnt 0x1
	v_cmp_eq_f32_e64 s5, 0, v19
	s_wait_loadcnt 0x0
	v_cmp_eq_f32_e32 vcc_lo, 1.0, v5
	v_readfirstlane_b32 s31, v5
	s_and_b32 s6, s5, vcc_lo
	s_wait_alu 0xfffe
	s_and_b32 vcc_lo, exec_lo, s6
	s_wait_alu 0xfffe
	s_cbranch_vccnz .LBB237_3
; %bb.5:                                ;   in Loop: Header=BB237_4 Depth=1
	v_mov_b32_e32 v5, 0
	v_dual_mov_b32 v6, 0 :: v_dual_mov_b32 v7, 0
	v_cmp_neq_f32_e64 s6, 0, v19
	v_mov_b32_e32 v8, 0
	s_and_b32 vcc_lo, exec_lo, s5
	s_wait_alu 0xfffe
	s_cbranch_vccnz .LBB237_7
; %bb.6:                                ;   in Loop: Header=BB237_4 Depth=1
	s_lshl_b64 s[42:43], s[28:29], 3
	s_delay_alu instid0(SALU_CYCLE_1)
	s_add_nc_u64 s[42:43], s[12:13], s[42:43]
	global_load_b64 v[7:8], v13, s[42:43]
	s_wait_loadcnt 0x0
	v_add_co_u32 v7, vcc_lo, v7, s14
	s_wait_alu 0xfffd
	v_add_co_ci_u32_e64 v8, null, s15, v8, vcc_lo
.LBB237_7:                              ;   in Loop: Header=BB237_4 Depth=1
	s_and_not1_b32 vcc_lo, exec_lo, s6
	s_wait_alu 0xfffe
	s_cbranch_vccnz .LBB237_9
; %bb.8:                                ;   in Loop: Header=BB237_4 Depth=1
	s_lshl_b64 s[42:43], s[28:29], 3
	s_delay_alu instid0(SALU_CYCLE_1)
	s_add_nc_u64 s[42:43], s[24:25], s[42:43]
	global_load_b64 v[5:6], v13, s[42:43]
	s_wait_loadcnt 0x0
	v_add_co_u32 v5, vcc_lo, v5, s26
	s_wait_alu 0xfffd
	v_add_co_ci_u32_e64 v6, null, s27, v6, vcc_lo
.LBB237_9:                              ;   in Loop: Header=BB237_4 Depth=1
	s_lshl_b64 s[42:43], s[28:29], 3
	s_delay_alu instid0(SALU_CYCLE_1)
	s_add_nc_u64 s[42:43], s[20:21], s[42:43]
	s_wait_dscnt 0x0
	global_load_b64 v[9:10], v13, s[42:43]
	s_wait_loadcnt 0x0
	v_add_co_u32 v20, vcc_lo, v9, s22
	s_wait_alu 0xfffd
	v_add_co_ci_u32_e64 v21, null, s23, v10, vcc_lo
	s_and_not1_b32 vcc_lo, exec_lo, s5
	s_wait_alu 0xfffe
	s_cbranch_vccnz .LBB237_13
; %bb.10:                               ;   in Loop: Header=BB237_4 Depth=1
	s_mov_b32 s5, 0
	s_mov_b32 s6, 0
                                        ; implicit-def: $vgpr9
	s_and_saveexec_b32 s33, s0
	s_cbranch_execz .LBB237_14
; %bb.11:                               ;   in Loop: Header=BB237_4 Depth=1
	s_cmp_eq_f32 s31, 0
	s_cbranch_scc1 .LBB237_15
; %bb.12:                               ;   in Loop: Header=BB237_4 Depth=1
	v_add_co_u32 v9, vcc_lo, v20, s36
	s_wait_alu 0xfffd
	v_add_co_ci_u32_e64 v10, null, s37, v21, vcc_lo
	flat_load_b32 v9, v[9:10]
	s_wait_loadcnt_dscnt 0x0
	v_mul_f32_e32 v9, s31, v9
	s_branch .LBB237_16
.LBB237_13:                             ;   in Loop: Header=BB237_4 Depth=1
	s_mov_b32 s6, 0
                                        ; implicit-def: $vgpr9
	s_cbranch_execnz .LBB237_17
	s_branch .LBB237_36
.LBB237_14:                             ;   in Loop: Header=BB237_4 Depth=1
	s_or_b32 exec_lo, exec_lo, s33
	s_delay_alu instid0(SALU_CYCLE_1)
	s_and_b32 vcc_lo, exec_lo, s5
	s_wait_alu 0xfffe
	s_cbranch_vccnz .LBB237_17
	s_branch .LBB237_36
.LBB237_15:                             ;   in Loop: Header=BB237_4 Depth=1
	v_mov_b32_e32 v9, 0
.LBB237_16:                             ;   in Loop: Header=BB237_4 Depth=1
	s_mov_b32 s6, exec_lo
	s_or_b32 exec_lo, exec_lo, s33
	s_delay_alu instid0(SALU_CYCLE_1)
	s_and_b32 vcc_lo, exec_lo, s5
	s_wait_alu 0xfffe
	s_cbranch_vccz .LBB237_36
.LBB237_17:                             ;   in Loop: Header=BB237_4 Depth=1
	v_add_co_u32 v7, vcc_lo, v7, v17
	s_wait_alu 0xfffd
	v_add_co_ci_u32_e64 v8, null, 0, v8, vcc_lo
	v_mov_b32_e32 v22, 0
	s_delay_alu instid0(VALU_DEP_3) | instskip(SKIP_1) | instid1(VALU_DEP_3)
	v_add_co_u32 v7, vcc_lo, v7, s38
	s_wait_alu 0xfffd
	v_add_co_ci_u32_e64 v8, null, s39, v8, vcc_lo
	s_and_saveexec_b32 s33, s3
	s_cbranch_execnz .LBB237_26
; %bb.18:                               ;   in Loop: Header=BB237_4 Depth=1
	s_or_b32 exec_lo, exec_lo, s33
	s_and_saveexec_b32 s5, s4
	s_cbranch_execnz .LBB237_29
.LBB237_19:                             ;   in Loop: Header=BB237_4 Depth=1
	s_or_b32 exec_lo, exec_lo, s5
	s_and_saveexec_b32 s5, s1
.LBB237_20:                             ;   in Loop: Header=BB237_4 Depth=1
	ds_store_b32 v15, v13
.LBB237_21:                             ;   in Loop: Header=BB237_4 Depth=1
	s_or_b32 exec_lo, exec_lo, s5
	ds_bpermute_b32 v6, v18, v22
	v_cmp_gt_u32_e32 vcc_lo, 24, v14
	s_wait_dscnt 0x0
	s_barrier_signal -1
	s_barrier_wait -1
	global_inv scope:SCOPE_SE
	s_wait_alu 0xfffd
	v_cndmask_b32_e64 v5, 0, 8, vcc_lo
	v_cmp_gt_u32_e32 vcc_lo, 28, v14
	s_delay_alu instid0(VALU_DEP_2)
	v_add_lshl_u32 v5, v5, v14, 2
	v_add_f32_e32 v7, v22, v6
	s_wait_alu 0xfffd
	v_cndmask_b32_e64 v6, 0, 4, vcc_lo
	v_cmp_gt_u32_e32 vcc_lo, 30, v14
	ds_bpermute_b32 v8, v5, v7
	v_add_lshl_u32 v6, v6, v14, 2
	s_wait_dscnt 0x0
	v_add_f32_e32 v8, v7, v8
	s_wait_alu 0xfffd
	v_cndmask_b32_e64 v7, 0, 2, vcc_lo
	v_cmp_ne_u32_e32 vcc_lo, 31, v14
	ds_bpermute_b32 v9, v6, v8
	v_add_lshl_u32 v7, v7, v14, 2
	s_wait_alu 0xfffd
	v_add_co_ci_u32_e64 v10, null, 0, v14, vcc_lo
	s_wait_dscnt 0x0
	v_add_f32_e32 v8, v8, v9
	ds_bpermute_b32 v9, v7, v8
	s_wait_dscnt 0x0
	v_dual_add_f32 v9, v8, v9 :: v_dual_lshlrev_b32 v8, 2, v10
	ds_bpermute_b32 v10, v8, v9
	s_and_saveexec_b32 s5, s2
	s_cbranch_execz .LBB237_23
; %bb.22:                               ;   in Loop: Header=BB237_4 Depth=1
	s_wait_dscnt 0x0
	v_add_f32_e32 v9, v9, v10
	ds_store_b32 v16, v9
.LBB237_23:                             ;   in Loop: Header=BB237_4 Depth=1
	s_or_b32 exec_lo, exec_lo, s5
	s_wait_dscnt 0x0
	v_mov_b32_e32 v10, 0
	s_wait_loadcnt 0x0
	s_barrier_signal -1
	s_barrier_wait -1
	global_inv scope:SCOPE_SE
	s_and_saveexec_b32 s5, s1
	s_cbranch_execnz .LBB237_30
; %bb.24:                               ;   in Loop: Header=BB237_4 Depth=1
	s_or_b32 exec_lo, exec_lo, s5
	s_and_saveexec_b32 s5, s1
	s_cbranch_execnz .LBB237_31
.LBB237_25:                             ;   in Loop: Header=BB237_4 Depth=1
	s_or_b32 exec_lo, exec_lo, s5
                                        ; implicit-def: $vgpr9
	s_and_saveexec_b32 s5, s0
	s_cbranch_execnz .LBB237_32
	s_branch .LBB237_35
.LBB237_26:                             ;   in Loop: Header=BB237_4 Depth=1
	v_add_co_u32 v9, vcc_lo, v5, v1
	v_dual_mov_b32 v12, v8 :: v_dual_mov_b32 v23, v0
	s_wait_alu 0xfffd
	v_add_co_ci_u32_e64 v10, null, v6, v2, vcc_lo
	v_dual_mov_b32 v22, 0 :: v_dual_mov_b32 v11, v7
	s_mov_b32 s42, 0
.LBB237_27:                             ;   Parent Loop BB237_4 Depth=1
                                        ; =>  This Inner Loop Header: Depth=2
	flat_load_b32 v24, v[11:12]
	flat_load_b32 v25, v[9:10]
	v_add_nc_u32_e32 v23, 0x400, v23
	v_add_co_u32 v11, vcc_lo, 0x1000, v11
	s_wait_alu 0xfffd
	v_add_co_ci_u32_e64 v12, null, 0, v12, vcc_lo
	v_add_co_u32 v9, vcc_lo, v9, s34
	s_wait_alu 0xfffd
	v_add_co_ci_u32_e64 v10, null, s35, v10, vcc_lo
	s_wait_loadcnt_dscnt 0x0
	v_fmac_f32_e32 v22, v24, v25
	v_cmp_le_i32_e64 s5, s30, v23
	s_or_b32 s42, s5, s42
	s_delay_alu instid0(SALU_CYCLE_1)
	s_and_not1_b32 exec_lo, exec_lo, s42
	s_cbranch_execnz .LBB237_27
; %bb.28:                               ;   in Loop: Header=BB237_4 Depth=1
	s_or_b32 exec_lo, exec_lo, s42
	s_delay_alu instid0(SALU_CYCLE_1)
	s_or_b32 exec_lo, exec_lo, s33
	s_and_saveexec_b32 s5, s4
	s_cbranch_execz .LBB237_19
.LBB237_29:                             ;   in Loop: Header=BB237_4 Depth=1
	v_add_co_u32 v7, vcc_lo, v7, s40
	s_wait_alu 0xfffd
	v_add_co_ci_u32_e64 v8, null, s41, v8, vcc_lo
	v_add_co_u32 v5, vcc_lo, v5, v3
	s_wait_alu 0xfffd
	v_add_co_ci_u32_e64 v6, null, v6, v4, vcc_lo
	flat_load_b32 v7, v[7:8]
	flat_load_b32 v5, v[5:6]
	s_wait_loadcnt_dscnt 0x0
	v_fmac_f32_e32 v22, v7, v5
	s_or_b32 exec_lo, exec_lo, s5
	s_and_saveexec_b32 s5, s1
	s_cbranch_execnz .LBB237_20
	s_branch .LBB237_21
.LBB237_30:                             ;   in Loop: Header=BB237_4 Depth=1
	ds_load_b32 v10, v15
	s_or_b32 exec_lo, exec_lo, s5
	s_and_saveexec_b32 s5, s1
	s_cbranch_execz .LBB237_25
.LBB237_31:                             ;   in Loop: Header=BB237_4 Depth=1
	s_wait_dscnt 0x0
	ds_bpermute_b32 v9, v18, v10
	s_wait_dscnt 0x0
	v_add_f32_e32 v9, v10, v9
	ds_bpermute_b32 v5, v5, v9
	s_wait_dscnt 0x0
	v_add_f32_e32 v5, v9, v5
	;; [unrolled: 3-line block ×5, first 2 shown]
	s_or_b32 exec_lo, exec_lo, s5
                                        ; implicit-def: $vgpr9
	s_and_saveexec_b32 s5, s0
	s_cbranch_execz .LBB237_35
.LBB237_32:                             ;   in Loop: Header=BB237_4 Depth=1
	s_wait_dscnt 0x0
	v_mul_f32_e32 v9, v19, v10
	s_cmp_eq_f32 s31, 0
	s_cbranch_scc1 .LBB237_34
; %bb.33:                               ;   in Loop: Header=BB237_4 Depth=1
	v_add_co_u32 v5, vcc_lo, v20, s36
	s_wait_alu 0xfffd
	v_add_co_ci_u32_e64 v6, null, s37, v21, vcc_lo
	flat_load_b32 v5, v[5:6]
	s_wait_loadcnt_dscnt 0x0
	v_fmac_f32_e32 v9, s31, v5
.LBB237_34:                             ;   in Loop: Header=BB237_4 Depth=1
	s_wait_alu 0xfffe
	s_or_b32 s6, s6, exec_lo
.LBB237_35:                             ;   in Loop: Header=BB237_4 Depth=1
	s_or_b32 exec_lo, exec_lo, s5
.LBB237_36:                             ;   in Loop: Header=BB237_4 Depth=1
	s_wait_alu 0xfffe
	s_and_saveexec_b32 s5, s6
	s_cbranch_execz .LBB237_2
; %bb.37:                               ;   in Loop: Header=BB237_4 Depth=1
	v_add_co_u32 v5, vcc_lo, v20, s36
	s_wait_alu 0xfffd
	v_add_co_ci_u32_e64 v6, null, s37, v21, vcc_lo
	flat_store_b32 v[5:6], v9
	s_branch .LBB237_2
.LBB237_38:
	s_endpgm
	.section	.rodata,"a",@progbits
	.p2align	6, 0x0
	.amdhsa_kernel _ZL32rocblas_gemvt_warp_reduce_kernelILb1ELi1024ElPKfS1_KPfEviiT3_lPKT2_lT1_lS7_lS8_lS4_lPT4_lS8_li
		.amdhsa_group_segment_fixed_size 128
		.amdhsa_private_segment_fixed_size 0
		.amdhsa_kernarg_size 140
		.amdhsa_user_sgpr_count 2
		.amdhsa_user_sgpr_dispatch_ptr 0
		.amdhsa_user_sgpr_queue_ptr 0
		.amdhsa_user_sgpr_kernarg_segment_ptr 1
		.amdhsa_user_sgpr_dispatch_id 0
		.amdhsa_user_sgpr_private_segment_size 0
		.amdhsa_wavefront_size32 1
		.amdhsa_uses_dynamic_stack 0
		.amdhsa_enable_private_segment 0
		.amdhsa_system_sgpr_workgroup_id_x 1
		.amdhsa_system_sgpr_workgroup_id_y 0
		.amdhsa_system_sgpr_workgroup_id_z 1
		.amdhsa_system_sgpr_workgroup_info 0
		.amdhsa_system_vgpr_workitem_id 0
		.amdhsa_next_free_vgpr 26
		.amdhsa_next_free_sgpr 46
		.amdhsa_reserve_vcc 1
		.amdhsa_float_round_mode_32 0
		.amdhsa_float_round_mode_16_64 0
		.amdhsa_float_denorm_mode_32 3
		.amdhsa_float_denorm_mode_16_64 3
		.amdhsa_fp16_overflow 0
		.amdhsa_workgroup_processor_mode 1
		.amdhsa_memory_ordered 1
		.amdhsa_forward_progress 1
		.amdhsa_inst_pref_size 13
		.amdhsa_round_robin_scheduling 0
		.amdhsa_exception_fp_ieee_invalid_op 0
		.amdhsa_exception_fp_denorm_src 0
		.amdhsa_exception_fp_ieee_div_zero 0
		.amdhsa_exception_fp_ieee_overflow 0
		.amdhsa_exception_fp_ieee_underflow 0
		.amdhsa_exception_fp_ieee_inexact 0
		.amdhsa_exception_int_div_zero 0
	.end_amdhsa_kernel
	.section	.text._ZL32rocblas_gemvt_warp_reduce_kernelILb1ELi1024ElPKfS1_KPfEviiT3_lPKT2_lT1_lS7_lS8_lS4_lPT4_lS8_li,"axG",@progbits,_ZL32rocblas_gemvt_warp_reduce_kernelILb1ELi1024ElPKfS1_KPfEviiT3_lPKT2_lT1_lS7_lS8_lS4_lPT4_lS8_li,comdat
.Lfunc_end237:
	.size	_ZL32rocblas_gemvt_warp_reduce_kernelILb1ELi1024ElPKfS1_KPfEviiT3_lPKT2_lT1_lS7_lS8_lS4_lPT4_lS8_li, .Lfunc_end237-_ZL32rocblas_gemvt_warp_reduce_kernelILb1ELi1024ElPKfS1_KPfEviiT3_lPKT2_lT1_lS7_lS8_lS4_lPT4_lS8_li
                                        ; -- End function
	.set _ZL32rocblas_gemvt_warp_reduce_kernelILb1ELi1024ElPKfS1_KPfEviiT3_lPKT2_lT1_lS7_lS8_lS4_lPT4_lS8_li.num_vgpr, 26
	.set _ZL32rocblas_gemvt_warp_reduce_kernelILb1ELi1024ElPKfS1_KPfEviiT3_lPKT2_lT1_lS7_lS8_lS4_lPT4_lS8_li.num_agpr, 0
	.set _ZL32rocblas_gemvt_warp_reduce_kernelILb1ELi1024ElPKfS1_KPfEviiT3_lPKT2_lT1_lS7_lS8_lS4_lPT4_lS8_li.numbered_sgpr, 46
	.set _ZL32rocblas_gemvt_warp_reduce_kernelILb1ELi1024ElPKfS1_KPfEviiT3_lPKT2_lT1_lS7_lS8_lS4_lPT4_lS8_li.num_named_barrier, 0
	.set _ZL32rocblas_gemvt_warp_reduce_kernelILb1ELi1024ElPKfS1_KPfEviiT3_lPKT2_lT1_lS7_lS8_lS4_lPT4_lS8_li.private_seg_size, 0
	.set _ZL32rocblas_gemvt_warp_reduce_kernelILb1ELi1024ElPKfS1_KPfEviiT3_lPKT2_lT1_lS7_lS8_lS4_lPT4_lS8_li.uses_vcc, 1
	.set _ZL32rocblas_gemvt_warp_reduce_kernelILb1ELi1024ElPKfS1_KPfEviiT3_lPKT2_lT1_lS7_lS8_lS4_lPT4_lS8_li.uses_flat_scratch, 0
	.set _ZL32rocblas_gemvt_warp_reduce_kernelILb1ELi1024ElPKfS1_KPfEviiT3_lPKT2_lT1_lS7_lS8_lS4_lPT4_lS8_li.has_dyn_sized_stack, 0
	.set _ZL32rocblas_gemvt_warp_reduce_kernelILb1ELi1024ElPKfS1_KPfEviiT3_lPKT2_lT1_lS7_lS8_lS4_lPT4_lS8_li.has_recursion, 0
	.set _ZL32rocblas_gemvt_warp_reduce_kernelILb1ELi1024ElPKfS1_KPfEviiT3_lPKT2_lT1_lS7_lS8_lS4_lPT4_lS8_li.has_indirect_call, 0
	.section	.AMDGPU.csdata,"",@progbits
; Kernel info:
; codeLenInByte = 1640
; TotalNumSgprs: 48
; NumVgprs: 26
; ScratchSize: 0
; MemoryBound: 0
; FloatMode: 240
; IeeeMode: 1
; LDSByteSize: 128 bytes/workgroup (compile time only)
; SGPRBlocks: 0
; VGPRBlocks: 3
; NumSGPRsForWavesPerEU: 48
; NumVGPRsForWavesPerEU: 26
; Occupancy: 16
; WaveLimiterHint : 1
; COMPUTE_PGM_RSRC2:SCRATCH_EN: 0
; COMPUTE_PGM_RSRC2:USER_SGPR: 2
; COMPUTE_PGM_RSRC2:TRAP_HANDLER: 0
; COMPUTE_PGM_RSRC2:TGID_X_EN: 1
; COMPUTE_PGM_RSRC2:TGID_Y_EN: 0
; COMPUTE_PGM_RSRC2:TGID_Z_EN: 1
; COMPUTE_PGM_RSRC2:TIDIG_COMP_CNT: 0
	.section	.text._ZL32rocblas_gemvt_warp_reduce_kernelILb1ELi1024EiPKffKPfEviiT3_lPKT2_lT1_lS7_lS8_lS4_lPT4_lS8_li,"axG",@progbits,_ZL32rocblas_gemvt_warp_reduce_kernelILb1ELi1024EiPKffKPfEviiT3_lPKT2_lT1_lS7_lS8_lS4_lPT4_lS8_li,comdat
	.globl	_ZL32rocblas_gemvt_warp_reduce_kernelILb1ELi1024EiPKffKPfEviiT3_lPKT2_lT1_lS7_lS8_lS4_lPT4_lS8_li ; -- Begin function _ZL32rocblas_gemvt_warp_reduce_kernelILb1ELi1024EiPKffKPfEviiT3_lPKT2_lT1_lS7_lS8_lS4_lPT4_lS8_li
	.p2align	8
	.type	_ZL32rocblas_gemvt_warp_reduce_kernelILb1ELi1024EiPKffKPfEviiT3_lPKT2_lT1_lS7_lS8_lS4_lPT4_lS8_li,@function
_ZL32rocblas_gemvt_warp_reduce_kernelILb1ELi1024EiPKffKPfEviiT3_lPKT2_lT1_lS7_lS8_lS4_lPT4_lS8_li: ; @_ZL32rocblas_gemvt_warp_reduce_kernelILb1ELi1024EiPKffKPfEviiT3_lPKT2_lT1_lS7_lS8_lS4_lPT4_lS8_li
; %bb.0:
	s_load_b32 s28, s[0:1], 0x88
	s_lshr_b32 s6, ttmp7, 16
	s_wait_kmcnt 0x0
	s_cmp_ge_u32 s6, s28
	s_cbranch_scc1 .LBB238_41
; %bb.1:
	s_clause 0x8
	s_load_b32 s29, s[0:1], 0x8
	s_load_b32 s30, s[0:1], 0x58
	s_load_b128 s[8:11], s[0:1], 0x18
	s_load_b32 s3, s[0:1], 0x28
	s_load_b32 s4, s[0:1], 0x0
	s_load_b128 s[12:15], s[0:1], 0x38
	s_load_b32 s5, s[0:1], 0x48
	s_load_b128 s[16:19], s[0:1], 0x68
	s_load_b32 s20, s[0:1], 0x78
	v_lshrrev_b32_e32 v2, 3, v0
	v_mov_b32_e32 v11, 0
	v_and_b32_e32 v1, 31, v0
	v_mbcnt_lo_u32_b32 v16, -1, 0
	v_cmp_eq_u32_e64 s0, 0, v0
	v_and_b32_e32 v14, 0x7c, v2
	s_mov_b32 s7, 0
	v_lshlrev_b32_e32 v13, 2, v1
	v_lshl_or_b32 v18, v16, 2, 64
	s_wait_kmcnt 0x0
	s_cmp_eq_f32 s29, 0
	v_cmp_gt_i32_e32 vcc_lo, s4, v0
	s_mul_i32 s24, s3, ttmp9
	s_cselect_b32 s31, -1, 0
	s_cmp_neq_f32 s30, 1.0
	s_mul_i32 s22, s20, ttmp9
	v_cndmask_b32_e32 v3, 0, v0, vcc_lo
	v_mul_lo_u32 v15, v0, s5
	s_cselect_b32 s1, -1, 0
	s_cmp_neq_f32 s29, 0
	s_delay_alu instid0(VALU_DEP_2) | instskip(SKIP_1) | instid1(SALU_CYCLE_1)
	v_lshlrev_b32_e32 v17, 2, v3
	s_cselect_b32 s2, -1, 0
	s_or_b32 s33, s2, s1
	s_cmp_neq_f32 s30, 0
	v_cndmask_b32_e64 v12, 0, 1, s2
	v_cmp_eq_u32_e64 s2, 0, v1
	v_cmp_gt_u32_e64 s1, 32, v0
	s_cselect_b32 s34, -1, 0
	s_ashr_i32 s21, s4, 31
	s_ashr_i32 s23, s22, 31
	s_lshr_b32 s21, s21, 22
	s_ashr_i32 s25, s24, 31
	s_add_co_i32 s21, s4, s21
	s_lshl_b32 s35, s5, 10
	s_and_b32 s20, s21, 0xfffffc00
	s_lshl_b64 s[10:11], s[10:11], 2
	v_or_b32_e32 v2, s20, v0
	v_cmp_gt_i32_e64 s3, s20, v0
	s_ashr_i32 s21, s20, 31
	s_lshl_b64 s[14:15], s[14:15], 2
	s_lshl_b64 s[18:19], s[18:19], 2
	v_mul_lo_u32 v1, s5, v2
	v_cmp_gt_i32_e64 s4, s4, v2
	s_lshl_b64 s[22:23], s[22:23], 2
	s_lshl_b64 s[24:25], s[24:25], 2
	s_wait_alu 0xfffe
	s_lshl_b64 s[26:27], s[20:21], 2
	v_ashrrev_i32_e32 v2, 31, v1
	s_delay_alu instid0(VALU_DEP_1)
	v_lshlrev_b64_e32 v[1:2], 2, v[1:2]
	s_branch .LBB238_4
.LBB238_2:                              ;   in Loop: Header=BB238_4 Depth=1
	s_wait_alu 0xfffe
	s_or_b32 exec_lo, exec_lo, s5
.LBB238_3:                              ;   in Loop: Header=BB238_4 Depth=1
	s_add_co_i32 s6, s6, 0x10000
	s_delay_alu instid0(SALU_CYCLE_1)
	s_cmp_lt_u32 s6, s28
	s_cbranch_scc0 .LBB238_41
.LBB238_4:                              ; =>This Loop Header: Depth=1
                                        ;     Child Loop BB238_30 Depth 2
	s_and_not1_b32 vcc_lo, exec_lo, s33
	s_wait_alu 0xfffe
	s_cbranch_vccnz .LBB238_3
; %bb.5:                                ;   in Loop: Header=BB238_4 Depth=1
	s_and_not1_b32 vcc_lo, exec_lo, s31
	s_wait_alu 0xfffe
	s_cbranch_vccnz .LBB238_7
; %bb.6:                                ;   in Loop: Header=BB238_4 Depth=1
	s_mov_b32 s5, 0
	s_branch .LBB238_8
.LBB238_7:                              ;   in Loop: Header=BB238_4 Depth=1
	s_mov_b32 s5, -1
.LBB238_8:                              ;   in Loop: Header=BB238_4 Depth=1
	v_mov_b32_e32 v3, 0
	v_dual_mov_b32 v4, 0 :: v_dual_mov_b32 v5, 0
	v_mov_b32_e32 v6, 0
	s_wait_alu 0xfffe
	s_and_not1_b32 vcc_lo, exec_lo, s5
	s_wait_alu 0xfffe
	s_cbranch_vccnz .LBB238_10
; %bb.9:                                ;   in Loop: Header=BB238_4 Depth=1
	s_lshl_b64 s[36:37], s[6:7], 3
	s_delay_alu instid0(SALU_CYCLE_1)
	s_add_nc_u64 s[36:37], s[8:9], s[36:37]
	global_load_b64 v[5:6], v11, s[36:37]
	s_wait_loadcnt 0x0
	v_add_co_u32 v5, vcc_lo, v5, s10
	s_wait_alu 0xfffd
	v_add_co_ci_u32_e64 v6, null, s11, v6, vcc_lo
.LBB238_10:                             ;   in Loop: Header=BB238_4 Depth=1
	v_cmp_ne_u32_e32 vcc_lo, 1, v12
	s_cbranch_vccnz .LBB238_12
; %bb.11:                               ;   in Loop: Header=BB238_4 Depth=1
	s_lshl_b64 s[36:37], s[6:7], 3
	s_delay_alu instid0(SALU_CYCLE_1)
	s_add_nc_u64 s[36:37], s[12:13], s[36:37]
	global_load_b64 v[3:4], v11, s[36:37]
	s_wait_loadcnt 0x0
	v_add_co_u32 v3, vcc_lo, v3, s14
	s_wait_alu 0xfffd
	v_add_co_ci_u32_e64 v4, null, s15, v4, vcc_lo
.LBB238_12:                             ;   in Loop: Header=BB238_4 Depth=1
	s_lshl_b64 s[36:37], s[6:7], 3
	s_delay_alu instid0(SALU_CYCLE_1)
	s_add_nc_u64 s[36:37], s[16:17], s[36:37]
	s_wait_dscnt 0x0
	global_load_b64 v[7:8], v11, s[36:37]
	s_wait_loadcnt 0x0
	v_add_co_u32 v19, vcc_lo, v7, s18
	s_wait_alu 0xfffd
	v_add_co_ci_u32_e64 v20, null, s19, v8, vcc_lo
	s_and_not1_b32 vcc_lo, exec_lo, s31
	s_wait_alu 0xfffe
	s_cbranch_vccnz .LBB238_16
; %bb.13:                               ;   in Loop: Header=BB238_4 Depth=1
	s_mov_b32 s5, 0
	s_mov_b32 s21, 0
                                        ; implicit-def: $vgpr7
	s_and_saveexec_b32 s36, s0
	s_cbranch_execz .LBB238_17
; %bb.14:                               ;   in Loop: Header=BB238_4 Depth=1
	s_and_not1_b32 vcc_lo, exec_lo, s34
	s_wait_alu 0xfffe
	s_cbranch_vccnz .LBB238_18
; %bb.15:                               ;   in Loop: Header=BB238_4 Depth=1
	v_add_co_u32 v7, vcc_lo, v19, s22
	s_wait_alu 0xfffd
	v_add_co_ci_u32_e64 v8, null, s23, v20, vcc_lo
	flat_load_b32 v7, v[7:8]
	s_wait_loadcnt_dscnt 0x0
	v_mul_f32_e32 v7, s30, v7
	s_branch .LBB238_19
.LBB238_16:                             ;   in Loop: Header=BB238_4 Depth=1
	s_mov_b32 s21, 0
                                        ; implicit-def: $vgpr7
	s_cbranch_execnz .LBB238_20
	s_branch .LBB238_39
.LBB238_17:                             ;   in Loop: Header=BB238_4 Depth=1
	s_or_b32 exec_lo, exec_lo, s36
	s_wait_alu 0xfffe
	s_and_b32 vcc_lo, exec_lo, s5
	s_wait_alu 0xfffe
	s_cbranch_vccnz .LBB238_20
	s_branch .LBB238_39
.LBB238_18:                             ;   in Loop: Header=BB238_4 Depth=1
	v_mov_b32_e32 v7, 0
.LBB238_19:                             ;   in Loop: Header=BB238_4 Depth=1
	s_mov_b32 s21, exec_lo
	s_or_b32 exec_lo, exec_lo, s36
	s_delay_alu instid0(SALU_CYCLE_1)
	s_and_b32 vcc_lo, exec_lo, s5
	s_wait_alu 0xfffe
	s_cbranch_vccz .LBB238_39
.LBB238_20:                             ;   in Loop: Header=BB238_4 Depth=1
	v_add_co_u32 v5, vcc_lo, v5, v17
	s_wait_alu 0xfffd
	v_add_co_ci_u32_e64 v6, null, 0, v6, vcc_lo
	v_mov_b32_e32 v21, 0
	s_delay_alu instid0(VALU_DEP_3) | instskip(SKIP_1) | instid1(VALU_DEP_3)
	v_add_co_u32 v5, vcc_lo, v5, s24
	s_wait_alu 0xfffd
	v_add_co_ci_u32_e64 v6, null, s25, v6, vcc_lo
	s_and_saveexec_b32 s36, s3
	s_cbranch_execnz .LBB238_29
; %bb.21:                               ;   in Loop: Header=BB238_4 Depth=1
	s_or_b32 exec_lo, exec_lo, s36
	s_and_saveexec_b32 s5, s4
	s_cbranch_execnz .LBB238_32
.LBB238_22:                             ;   in Loop: Header=BB238_4 Depth=1
	s_wait_alu 0xfffe
	s_or_b32 exec_lo, exec_lo, s5
	s_and_saveexec_b32 s5, s1
.LBB238_23:                             ;   in Loop: Header=BB238_4 Depth=1
	ds_store_b32 v13, v11
.LBB238_24:                             ;   in Loop: Header=BB238_4 Depth=1
	s_wait_alu 0xfffe
	s_or_b32 exec_lo, exec_lo, s5
	ds_bpermute_b32 v4, v18, v21
	v_cmp_gt_u32_e32 vcc_lo, 24, v16
	s_wait_dscnt 0x0
	s_barrier_signal -1
	s_barrier_wait -1
	global_inv scope:SCOPE_SE
	s_wait_alu 0xfffd
	v_cndmask_b32_e64 v3, 0, 8, vcc_lo
	v_cmp_gt_u32_e32 vcc_lo, 28, v16
	s_delay_alu instid0(VALU_DEP_2)
	v_add_lshl_u32 v3, v3, v16, 2
	v_add_f32_e32 v5, v21, v4
	s_wait_alu 0xfffd
	v_cndmask_b32_e64 v4, 0, 4, vcc_lo
	v_cmp_gt_u32_e32 vcc_lo, 30, v16
	ds_bpermute_b32 v6, v3, v5
	v_add_lshl_u32 v4, v4, v16, 2
	s_wait_dscnt 0x0
	v_add_f32_e32 v6, v5, v6
	s_wait_alu 0xfffd
	v_cndmask_b32_e64 v5, 0, 2, vcc_lo
	v_cmp_ne_u32_e32 vcc_lo, 31, v16
	ds_bpermute_b32 v7, v4, v6
	v_add_lshl_u32 v5, v5, v16, 2
	s_wait_alu 0xfffd
	v_add_co_ci_u32_e64 v8, null, 0, v16, vcc_lo
	s_wait_dscnt 0x0
	v_add_f32_e32 v6, v6, v7
	ds_bpermute_b32 v7, v5, v6
	s_wait_dscnt 0x0
	v_dual_add_f32 v7, v6, v7 :: v_dual_lshlrev_b32 v6, 2, v8
	ds_bpermute_b32 v8, v6, v7
	s_and_saveexec_b32 s5, s2
	s_cbranch_execz .LBB238_26
; %bb.25:                               ;   in Loop: Header=BB238_4 Depth=1
	s_wait_dscnt 0x0
	v_add_f32_e32 v7, v7, v8
	ds_store_b32 v14, v7
.LBB238_26:                             ;   in Loop: Header=BB238_4 Depth=1
	s_wait_alu 0xfffe
	s_or_b32 exec_lo, exec_lo, s5
	s_wait_dscnt 0x0
	v_mov_b32_e32 v8, 0
	s_wait_loadcnt 0x0
	s_barrier_signal -1
	s_barrier_wait -1
	global_inv scope:SCOPE_SE
	s_and_saveexec_b32 s5, s1
	s_cbranch_execnz .LBB238_33
; %bb.27:                               ;   in Loop: Header=BB238_4 Depth=1
	s_wait_alu 0xfffe
	s_or_b32 exec_lo, exec_lo, s5
	s_and_saveexec_b32 s5, s1
	s_cbranch_execnz .LBB238_34
.LBB238_28:                             ;   in Loop: Header=BB238_4 Depth=1
	s_wait_alu 0xfffe
	s_or_b32 exec_lo, exec_lo, s5
                                        ; implicit-def: $vgpr7
	s_and_saveexec_b32 s5, s0
	s_cbranch_execnz .LBB238_35
	s_branch .LBB238_38
.LBB238_29:                             ;   in Loop: Header=BB238_4 Depth=1
	v_dual_mov_b32 v21, 0 :: v_dual_mov_b32 v8, v6
	v_dual_mov_b32 v7, v5 :: v_dual_mov_b32 v22, v0
	v_mov_b32_e32 v9, v15
	s_mov_b32 s37, 0
.LBB238_30:                             ;   Parent Loop BB238_4 Depth=1
                                        ; =>  This Inner Loop Header: Depth=2
	s_delay_alu instid0(VALU_DEP_1) | instskip(NEXT) | instid1(VALU_DEP_1)
	v_ashrrev_i32_e32 v10, 31, v9
	v_lshlrev_b64_e32 v[23:24], 2, v[9:10]
	v_add_nc_u32_e32 v9, s35, v9
	s_delay_alu instid0(VALU_DEP_2) | instskip(SKIP_1) | instid1(VALU_DEP_3)
	v_add_co_u32 v23, vcc_lo, v3, v23
	s_wait_alu 0xfffd
	v_add_co_ci_u32_e64 v24, null, v4, v24, vcc_lo
	flat_load_b32 v10, v[7:8]
	flat_load_b32 v23, v[23:24]
	v_add_nc_u32_e32 v22, 0x400, v22
	v_add_co_u32 v7, vcc_lo, 0x1000, v7
	s_wait_alu 0xfffd
	v_add_co_ci_u32_e64 v8, null, 0, v8, vcc_lo
	s_wait_loadcnt_dscnt 0x0
	v_fmac_f32_e32 v21, v10, v23
	v_cmp_le_i32_e64 s5, s20, v22
	s_or_b32 s37, s5, s37
	s_delay_alu instid0(SALU_CYCLE_1)
	s_and_not1_b32 exec_lo, exec_lo, s37
	s_cbranch_execnz .LBB238_30
; %bb.31:                               ;   in Loop: Header=BB238_4 Depth=1
	s_or_b32 exec_lo, exec_lo, s37
	s_delay_alu instid0(SALU_CYCLE_1)
	s_or_b32 exec_lo, exec_lo, s36
	s_and_saveexec_b32 s5, s4
	s_cbranch_execz .LBB238_22
.LBB238_32:                             ;   in Loop: Header=BB238_4 Depth=1
	v_add_co_u32 v5, vcc_lo, v5, s26
	s_wait_alu 0xfffd
	v_add_co_ci_u32_e64 v6, null, s27, v6, vcc_lo
	v_add_co_u32 v3, vcc_lo, v3, v1
	s_wait_alu 0xfffd
	v_add_co_ci_u32_e64 v4, null, v4, v2, vcc_lo
	flat_load_b32 v5, v[5:6]
	flat_load_b32 v3, v[3:4]
	s_wait_loadcnt_dscnt 0x0
	v_fmac_f32_e32 v21, v5, v3
	s_wait_alu 0xfffe
	s_or_b32 exec_lo, exec_lo, s5
	s_and_saveexec_b32 s5, s1
	s_cbranch_execnz .LBB238_23
	s_branch .LBB238_24
.LBB238_33:                             ;   in Loop: Header=BB238_4 Depth=1
	ds_load_b32 v8, v13
	s_wait_alu 0xfffe
	s_or_b32 exec_lo, exec_lo, s5
	s_and_saveexec_b32 s5, s1
	s_cbranch_execz .LBB238_28
.LBB238_34:                             ;   in Loop: Header=BB238_4 Depth=1
	s_wait_dscnt 0x0
	ds_bpermute_b32 v7, v18, v8
	s_wait_dscnt 0x0
	v_add_f32_e32 v7, v8, v7
	ds_bpermute_b32 v3, v3, v7
	s_wait_dscnt 0x0
	v_add_f32_e32 v3, v7, v3
	ds_bpermute_b32 v4, v4, v3
	s_wait_dscnt 0x0
	v_add_f32_e32 v3, v3, v4
	ds_bpermute_b32 v4, v5, v3
	s_wait_dscnt 0x0
	v_add_f32_e32 v3, v3, v4
	ds_bpermute_b32 v4, v6, v3
	s_wait_dscnt 0x0
	v_add_f32_e32 v8, v3, v4
	s_wait_alu 0xfffe
	s_or_b32 exec_lo, exec_lo, s5
                                        ; implicit-def: $vgpr7
	s_and_saveexec_b32 s5, s0
	s_cbranch_execz .LBB238_38
.LBB238_35:                             ;   in Loop: Header=BB238_4 Depth=1
	s_wait_dscnt 0x0
	v_mul_f32_e32 v7, s29, v8
	s_and_not1_b32 vcc_lo, exec_lo, s34
	s_wait_alu 0xfffe
	s_cbranch_vccnz .LBB238_37
; %bb.36:                               ;   in Loop: Header=BB238_4 Depth=1
	v_add_co_u32 v3, vcc_lo, v19, s22
	s_wait_alu 0xfffd
	v_add_co_ci_u32_e64 v4, null, s23, v20, vcc_lo
	flat_load_b32 v3, v[3:4]
	s_wait_loadcnt_dscnt 0x0
	v_fmac_f32_e32 v7, s30, v3
.LBB238_37:                             ;   in Loop: Header=BB238_4 Depth=1
	s_or_b32 s21, s21, exec_lo
.LBB238_38:                             ;   in Loop: Header=BB238_4 Depth=1
	s_wait_alu 0xfffe
	s_or_b32 exec_lo, exec_lo, s5
.LBB238_39:                             ;   in Loop: Header=BB238_4 Depth=1
	s_wait_alu 0xfffe
	s_and_saveexec_b32 s5, s21
	s_cbranch_execz .LBB238_2
; %bb.40:                               ;   in Loop: Header=BB238_4 Depth=1
	v_add_co_u32 v3, vcc_lo, v19, s22
	s_wait_alu 0xfffd
	v_add_co_ci_u32_e64 v4, null, s23, v20, vcc_lo
	flat_store_b32 v[3:4], v7
	s_branch .LBB238_2
.LBB238_41:
	s_endpgm
	.section	.rodata,"a",@progbits
	.p2align	6, 0x0
	.amdhsa_kernel _ZL32rocblas_gemvt_warp_reduce_kernelILb1ELi1024EiPKffKPfEviiT3_lPKT2_lT1_lS7_lS8_lS4_lPT4_lS8_li
		.amdhsa_group_segment_fixed_size 128
		.amdhsa_private_segment_fixed_size 0
		.amdhsa_kernarg_size 140
		.amdhsa_user_sgpr_count 2
		.amdhsa_user_sgpr_dispatch_ptr 0
		.amdhsa_user_sgpr_queue_ptr 0
		.amdhsa_user_sgpr_kernarg_segment_ptr 1
		.amdhsa_user_sgpr_dispatch_id 0
		.amdhsa_user_sgpr_private_segment_size 0
		.amdhsa_wavefront_size32 1
		.amdhsa_uses_dynamic_stack 0
		.amdhsa_enable_private_segment 0
		.amdhsa_system_sgpr_workgroup_id_x 1
		.amdhsa_system_sgpr_workgroup_id_y 0
		.amdhsa_system_sgpr_workgroup_id_z 1
		.amdhsa_system_sgpr_workgroup_info 0
		.amdhsa_system_vgpr_workitem_id 0
		.amdhsa_next_free_vgpr 25
		.amdhsa_next_free_sgpr 38
		.amdhsa_reserve_vcc 1
		.amdhsa_float_round_mode_32 0
		.amdhsa_float_round_mode_16_64 0
		.amdhsa_float_denorm_mode_32 3
		.amdhsa_float_denorm_mode_16_64 3
		.amdhsa_fp16_overflow 0
		.amdhsa_workgroup_processor_mode 1
		.amdhsa_memory_ordered 1
		.amdhsa_forward_progress 1
		.amdhsa_inst_pref_size 13
		.amdhsa_round_robin_scheduling 0
		.amdhsa_exception_fp_ieee_invalid_op 0
		.amdhsa_exception_fp_denorm_src 0
		.amdhsa_exception_fp_ieee_div_zero 0
		.amdhsa_exception_fp_ieee_overflow 0
		.amdhsa_exception_fp_ieee_underflow 0
		.amdhsa_exception_fp_ieee_inexact 0
		.amdhsa_exception_int_div_zero 0
	.end_amdhsa_kernel
	.section	.text._ZL32rocblas_gemvt_warp_reduce_kernelILb1ELi1024EiPKffKPfEviiT3_lPKT2_lT1_lS7_lS8_lS4_lPT4_lS8_li,"axG",@progbits,_ZL32rocblas_gemvt_warp_reduce_kernelILb1ELi1024EiPKffKPfEviiT3_lPKT2_lT1_lS7_lS8_lS4_lPT4_lS8_li,comdat
.Lfunc_end238:
	.size	_ZL32rocblas_gemvt_warp_reduce_kernelILb1ELi1024EiPKffKPfEviiT3_lPKT2_lT1_lS7_lS8_lS4_lPT4_lS8_li, .Lfunc_end238-_ZL32rocblas_gemvt_warp_reduce_kernelILb1ELi1024EiPKffKPfEviiT3_lPKT2_lT1_lS7_lS8_lS4_lPT4_lS8_li
                                        ; -- End function
	.set _ZL32rocblas_gemvt_warp_reduce_kernelILb1ELi1024EiPKffKPfEviiT3_lPKT2_lT1_lS7_lS8_lS4_lPT4_lS8_li.num_vgpr, 25
	.set _ZL32rocblas_gemvt_warp_reduce_kernelILb1ELi1024EiPKffKPfEviiT3_lPKT2_lT1_lS7_lS8_lS4_lPT4_lS8_li.num_agpr, 0
	.set _ZL32rocblas_gemvt_warp_reduce_kernelILb1ELi1024EiPKffKPfEviiT3_lPKT2_lT1_lS7_lS8_lS4_lPT4_lS8_li.numbered_sgpr, 38
	.set _ZL32rocblas_gemvt_warp_reduce_kernelILb1ELi1024EiPKffKPfEviiT3_lPKT2_lT1_lS7_lS8_lS4_lPT4_lS8_li.num_named_barrier, 0
	.set _ZL32rocblas_gemvt_warp_reduce_kernelILb1ELi1024EiPKffKPfEviiT3_lPKT2_lT1_lS7_lS8_lS4_lPT4_lS8_li.private_seg_size, 0
	.set _ZL32rocblas_gemvt_warp_reduce_kernelILb1ELi1024EiPKffKPfEviiT3_lPKT2_lT1_lS7_lS8_lS4_lPT4_lS8_li.uses_vcc, 1
	.set _ZL32rocblas_gemvt_warp_reduce_kernelILb1ELi1024EiPKffKPfEviiT3_lPKT2_lT1_lS7_lS8_lS4_lPT4_lS8_li.uses_flat_scratch, 0
	.set _ZL32rocblas_gemvt_warp_reduce_kernelILb1ELi1024EiPKffKPfEviiT3_lPKT2_lT1_lS7_lS8_lS4_lPT4_lS8_li.has_dyn_sized_stack, 0
	.set _ZL32rocblas_gemvt_warp_reduce_kernelILb1ELi1024EiPKffKPfEviiT3_lPKT2_lT1_lS7_lS8_lS4_lPT4_lS8_li.has_recursion, 0
	.set _ZL32rocblas_gemvt_warp_reduce_kernelILb1ELi1024EiPKffKPfEviiT3_lPKT2_lT1_lS7_lS8_lS4_lPT4_lS8_li.has_indirect_call, 0
	.section	.AMDGPU.csdata,"",@progbits
; Kernel info:
; codeLenInByte = 1660
; TotalNumSgprs: 40
; NumVgprs: 25
; ScratchSize: 0
; MemoryBound: 0
; FloatMode: 240
; IeeeMode: 1
; LDSByteSize: 128 bytes/workgroup (compile time only)
; SGPRBlocks: 0
; VGPRBlocks: 3
; NumSGPRsForWavesPerEU: 40
; NumVGPRsForWavesPerEU: 25
; Occupancy: 16
; WaveLimiterHint : 1
; COMPUTE_PGM_RSRC2:SCRATCH_EN: 0
; COMPUTE_PGM_RSRC2:USER_SGPR: 2
; COMPUTE_PGM_RSRC2:TRAP_HANDLER: 0
; COMPUTE_PGM_RSRC2:TGID_X_EN: 1
; COMPUTE_PGM_RSRC2:TGID_Y_EN: 0
; COMPUTE_PGM_RSRC2:TGID_Z_EN: 1
; COMPUTE_PGM_RSRC2:TIDIG_COMP_CNT: 0
	.section	.text._ZL32rocblas_gemvt_warp_reduce_kernelILb1ELi1024ElPKffKPfEviiT3_lPKT2_lT1_lS7_lS8_lS4_lPT4_lS8_li,"axG",@progbits,_ZL32rocblas_gemvt_warp_reduce_kernelILb1ELi1024ElPKffKPfEviiT3_lPKT2_lT1_lS7_lS8_lS4_lPT4_lS8_li,comdat
	.globl	_ZL32rocblas_gemvt_warp_reduce_kernelILb1ELi1024ElPKffKPfEviiT3_lPKT2_lT1_lS7_lS8_lS4_lPT4_lS8_li ; -- Begin function _ZL32rocblas_gemvt_warp_reduce_kernelILb1ELi1024ElPKffKPfEviiT3_lPKT2_lT1_lS7_lS8_lS4_lPT4_lS8_li
	.p2align	8
	.type	_ZL32rocblas_gemvt_warp_reduce_kernelILb1ELi1024ElPKffKPfEviiT3_lPKT2_lT1_lS7_lS8_lS4_lPT4_lS8_li,@function
_ZL32rocblas_gemvt_warp_reduce_kernelILb1ELi1024ElPKffKPfEviiT3_lPKT2_lT1_lS7_lS8_lS4_lPT4_lS8_li: ; @_ZL32rocblas_gemvt_warp_reduce_kernelILb1ELi1024ElPKffKPfEviiT3_lPKT2_lT1_lS7_lS8_lS4_lPT4_lS8_li
; %bb.0:
	s_load_b32 s30, s[0:1], 0x88
	s_lshr_b32 s6, ttmp7, 16
	s_wait_kmcnt 0x0
	s_cmp_ge_u32 s6, s30
	s_cbranch_scc1 .LBB239_41
; %bb.1:
	s_clause 0x8
	s_load_b32 s31, s[0:1], 0x8
	s_load_b32 s33, s[0:1], 0x58
	s_load_b64 s[24:25], s[0:1], 0x48
	s_load_b128 s[8:11], s[0:1], 0x38
	s_load_b32 s37, s[0:1], 0x0
	s_load_b128 s[12:15], s[0:1], 0x18
	s_load_b64 s[26:27], s[0:1], 0x28
	s_load_b64 s[28:29], s[0:1], 0x78
	s_load_b128 s[16:19], s[0:1], 0x68
	v_and_b32_e32 v3, 31, v0
	v_lshrrev_b32_e32 v4, 3, v0
	v_mov_b32_e32 v13, 0
	s_mov_b32 s4, ttmp9
	v_mbcnt_lo_u32_b32 v17, -1, 0
	v_lshlrev_b32_e32 v14, 2, v3
	v_and_b32_e32 v16, 0x7c, v4
	v_cmp_eq_u32_e64 s0, 0, v0
	v_cmp_gt_u32_e64 s1, 32, v0
	v_lshl_or_b32 v19, v17, 2, 64
	s_mov_b32 s7, 0
	s_wait_kmcnt 0x0
	s_cmp_eq_f32 s31, 0
	v_mad_co_u64_u32 v[1:2], null, s24, v0, 0
	s_cselect_b32 s34, -1, 0
	s_cmp_neq_f32 s33, 1.0
	v_cmp_gt_i32_e32 vcc_lo, s37, v0
	s_cselect_b32 s2, -1, 0
	s_cmp_neq_f32 s31, 0
	v_cndmask_b32_e32 v5, 0, v0, vcc_lo
	s_cselect_b32 s3, -1, 0
	s_delay_alu instid0(SALU_CYCLE_1)
	s_or_b32 s35, s3, s2
	s_cmp_neq_f32 s33, 0
	v_cndmask_b32_e64 v15, 0, 1, s3
	v_cmp_eq_u32_e64 s2, 0, v3
	v_mad_co_u64_u32 v[2:3], null, s25, v0, v[2:3]
	s_cselect_b32 s36, -1, 0
	s_ashr_i32 s3, s37, 31
	s_ashr_i32 s5, ttmp9, 31
	s_wait_alu 0xfffe
	s_lshr_b32 s3, s3, 22
	s_mul_u64 s[28:29], s[28:29], s[4:5]
	s_wait_alu 0xfffe
	s_add_co_i32 s3, s37, s3
	s_mul_u64 s[26:27], s[26:27], s[4:5]
	s_wait_alu 0xfffe
	s_and_b32 s20, s3, 0xfffffc00
	v_lshlrev_b64_e32 v[1:2], 2, v[1:2]
	v_or_b32_e32 v6, s20, v0
	s_ashr_i32 s21, s20, 31
	v_cmp_gt_i32_e64 s3, s20, v0
	s_wait_alu 0xfffe
	s_mul_i32 s5, s24, s21
	v_lshlrev_b32_e32 v18, 2, v5
	v_mul_lo_u32 v7, s25, v6
	v_mad_co_u64_u32 v[3:4], null, s24, v6, 0
	v_cmp_gt_i32_e64 s4, s37, v6
	s_lshl_b64 s[22:23], s[24:25], 12
	s_lshl_b64 s[14:15], s[14:15], 2
	;; [unrolled: 1-line block ×5, first 2 shown]
	v_add3_u32 v4, v4, s5, v7
	s_lshl_b64 s[26:27], s[26:27], 2
	s_lshl_b64 s[28:29], s[20:21], 2
	s_delay_alu instid0(VALU_DEP_1)
	v_lshlrev_b64_e32 v[3:4], 2, v[3:4]
	s_branch .LBB239_4
.LBB239_2:                              ;   in Loop: Header=BB239_4 Depth=1
	s_wait_alu 0xfffe
	s_or_b32 exec_lo, exec_lo, s5
.LBB239_3:                              ;   in Loop: Header=BB239_4 Depth=1
	s_add_co_i32 s6, s6, 0x10000
	s_delay_alu instid0(SALU_CYCLE_1)
	s_cmp_lt_u32 s6, s30
	s_cbranch_scc0 .LBB239_41
.LBB239_4:                              ; =>This Loop Header: Depth=1
                                        ;     Child Loop BB239_30 Depth 2
	s_and_not1_b32 vcc_lo, exec_lo, s35
	s_wait_alu 0xfffe
	s_cbranch_vccnz .LBB239_3
; %bb.5:                                ;   in Loop: Header=BB239_4 Depth=1
	s_and_not1_b32 vcc_lo, exec_lo, s34
	s_wait_alu 0xfffe
	s_cbranch_vccnz .LBB239_7
; %bb.6:                                ;   in Loop: Header=BB239_4 Depth=1
	s_mov_b32 s5, 0
	s_branch .LBB239_8
.LBB239_7:                              ;   in Loop: Header=BB239_4 Depth=1
	s_mov_b32 s5, -1
.LBB239_8:                              ;   in Loop: Header=BB239_4 Depth=1
	v_mov_b32_e32 v5, 0
	v_dual_mov_b32 v6, 0 :: v_dual_mov_b32 v7, 0
	v_mov_b32_e32 v8, 0
	s_wait_alu 0xfffe
	s_and_not1_b32 vcc_lo, exec_lo, s5
	s_wait_alu 0xfffe
	s_cbranch_vccnz .LBB239_10
; %bb.9:                                ;   in Loop: Header=BB239_4 Depth=1
	s_lshl_b64 s[38:39], s[6:7], 3
	s_delay_alu instid0(SALU_CYCLE_1)
	s_add_nc_u64 s[38:39], s[12:13], s[38:39]
	global_load_b64 v[7:8], v13, s[38:39]
	s_wait_loadcnt 0x0
	v_add_co_u32 v7, vcc_lo, v7, s14
	s_wait_alu 0xfffd
	v_add_co_ci_u32_e64 v8, null, s15, v8, vcc_lo
.LBB239_10:                             ;   in Loop: Header=BB239_4 Depth=1
	v_cmp_ne_u32_e32 vcc_lo, 1, v15
	s_cbranch_vccnz .LBB239_12
; %bb.11:                               ;   in Loop: Header=BB239_4 Depth=1
	s_lshl_b64 s[38:39], s[6:7], 3
	s_delay_alu instid0(SALU_CYCLE_1)
	s_add_nc_u64 s[38:39], s[8:9], s[38:39]
	global_load_b64 v[5:6], v13, s[38:39]
	s_wait_loadcnt 0x0
	v_add_co_u32 v5, vcc_lo, v5, s10
	s_wait_alu 0xfffd
	v_add_co_ci_u32_e64 v6, null, s11, v6, vcc_lo
.LBB239_12:                             ;   in Loop: Header=BB239_4 Depth=1
	s_lshl_b64 s[38:39], s[6:7], 3
	s_delay_alu instid0(SALU_CYCLE_1)
	s_add_nc_u64 s[38:39], s[16:17], s[38:39]
	s_wait_dscnt 0x0
	global_load_b64 v[9:10], v13, s[38:39]
	s_wait_loadcnt 0x0
	v_add_co_u32 v20, vcc_lo, v9, s18
	s_wait_alu 0xfffd
	v_add_co_ci_u32_e64 v21, null, s19, v10, vcc_lo
	s_and_not1_b32 vcc_lo, exec_lo, s34
	s_wait_alu 0xfffe
	s_cbranch_vccnz .LBB239_16
; %bb.13:                               ;   in Loop: Header=BB239_4 Depth=1
	s_mov_b32 s5, 0
	s_mov_b32 s21, 0
                                        ; implicit-def: $vgpr9
	s_and_saveexec_b32 s37, s0
	s_cbranch_execz .LBB239_17
; %bb.14:                               ;   in Loop: Header=BB239_4 Depth=1
	s_and_not1_b32 vcc_lo, exec_lo, s36
	s_wait_alu 0xfffe
	s_cbranch_vccnz .LBB239_18
; %bb.15:                               ;   in Loop: Header=BB239_4 Depth=1
	v_add_co_u32 v9, vcc_lo, v20, s24
	s_wait_alu 0xfffd
	v_add_co_ci_u32_e64 v10, null, s25, v21, vcc_lo
	flat_load_b32 v9, v[9:10]
	s_wait_loadcnt_dscnt 0x0
	v_mul_f32_e32 v9, s33, v9
	s_branch .LBB239_19
.LBB239_16:                             ;   in Loop: Header=BB239_4 Depth=1
	s_mov_b32 s21, 0
                                        ; implicit-def: $vgpr9
	s_cbranch_execnz .LBB239_20
	s_branch .LBB239_39
.LBB239_17:                             ;   in Loop: Header=BB239_4 Depth=1
	s_wait_alu 0xfffe
	s_or_b32 exec_lo, exec_lo, s37
	s_delay_alu instid0(SALU_CYCLE_1)
	s_and_b32 vcc_lo, exec_lo, s5
	s_wait_alu 0xfffe
	s_cbranch_vccnz .LBB239_20
	s_branch .LBB239_39
.LBB239_18:                             ;   in Loop: Header=BB239_4 Depth=1
	v_mov_b32_e32 v9, 0
.LBB239_19:                             ;   in Loop: Header=BB239_4 Depth=1
	s_mov_b32 s21, exec_lo
	s_or_b32 exec_lo, exec_lo, s37
	s_delay_alu instid0(SALU_CYCLE_1)
	s_and_b32 vcc_lo, exec_lo, s5
	s_wait_alu 0xfffe
	s_cbranch_vccz .LBB239_39
.LBB239_20:                             ;   in Loop: Header=BB239_4 Depth=1
	v_add_co_u32 v7, vcc_lo, v7, v18
	s_wait_alu 0xfffd
	v_add_co_ci_u32_e64 v8, null, 0, v8, vcc_lo
	v_mov_b32_e32 v22, 0
	s_delay_alu instid0(VALU_DEP_3) | instskip(SKIP_1) | instid1(VALU_DEP_3)
	v_add_co_u32 v7, vcc_lo, v7, s26
	s_wait_alu 0xfffd
	v_add_co_ci_u32_e64 v8, null, s27, v8, vcc_lo
	s_and_saveexec_b32 s37, s3
	s_cbranch_execnz .LBB239_29
; %bb.21:                               ;   in Loop: Header=BB239_4 Depth=1
	s_wait_alu 0xfffe
	s_or_b32 exec_lo, exec_lo, s37
	s_and_saveexec_b32 s5, s4
	s_cbranch_execnz .LBB239_32
.LBB239_22:                             ;   in Loop: Header=BB239_4 Depth=1
	s_wait_alu 0xfffe
	s_or_b32 exec_lo, exec_lo, s5
	s_and_saveexec_b32 s5, s1
.LBB239_23:                             ;   in Loop: Header=BB239_4 Depth=1
	ds_store_b32 v14, v13
.LBB239_24:                             ;   in Loop: Header=BB239_4 Depth=1
	s_wait_alu 0xfffe
	s_or_b32 exec_lo, exec_lo, s5
	ds_bpermute_b32 v6, v19, v22
	v_cmp_gt_u32_e32 vcc_lo, 24, v17
	s_wait_dscnt 0x0
	s_barrier_signal -1
	s_barrier_wait -1
	global_inv scope:SCOPE_SE
	s_wait_alu 0xfffd
	v_cndmask_b32_e64 v5, 0, 8, vcc_lo
	v_cmp_gt_u32_e32 vcc_lo, 28, v17
	s_delay_alu instid0(VALU_DEP_2)
	v_add_lshl_u32 v5, v5, v17, 2
	v_add_f32_e32 v7, v22, v6
	s_wait_alu 0xfffd
	v_cndmask_b32_e64 v6, 0, 4, vcc_lo
	v_cmp_gt_u32_e32 vcc_lo, 30, v17
	ds_bpermute_b32 v8, v5, v7
	v_add_lshl_u32 v6, v6, v17, 2
	s_wait_dscnt 0x0
	v_add_f32_e32 v8, v7, v8
	s_wait_alu 0xfffd
	v_cndmask_b32_e64 v7, 0, 2, vcc_lo
	v_cmp_ne_u32_e32 vcc_lo, 31, v17
	ds_bpermute_b32 v9, v6, v8
	v_add_lshl_u32 v7, v7, v17, 2
	s_wait_alu 0xfffd
	v_add_co_ci_u32_e64 v10, null, 0, v17, vcc_lo
	s_wait_dscnt 0x0
	v_add_f32_e32 v8, v8, v9
	ds_bpermute_b32 v9, v7, v8
	s_wait_dscnt 0x0
	v_dual_add_f32 v9, v8, v9 :: v_dual_lshlrev_b32 v8, 2, v10
	ds_bpermute_b32 v10, v8, v9
	s_and_saveexec_b32 s5, s2
	s_cbranch_execz .LBB239_26
; %bb.25:                               ;   in Loop: Header=BB239_4 Depth=1
	s_wait_dscnt 0x0
	v_add_f32_e32 v9, v9, v10
	ds_store_b32 v16, v9
.LBB239_26:                             ;   in Loop: Header=BB239_4 Depth=1
	s_wait_alu 0xfffe
	s_or_b32 exec_lo, exec_lo, s5
	s_wait_dscnt 0x0
	v_mov_b32_e32 v10, 0
	s_wait_loadcnt 0x0
	s_barrier_signal -1
	s_barrier_wait -1
	global_inv scope:SCOPE_SE
	s_and_saveexec_b32 s5, s1
	s_cbranch_execnz .LBB239_33
; %bb.27:                               ;   in Loop: Header=BB239_4 Depth=1
	s_wait_alu 0xfffe
	s_or_b32 exec_lo, exec_lo, s5
	s_and_saveexec_b32 s5, s1
	s_cbranch_execnz .LBB239_34
.LBB239_28:                             ;   in Loop: Header=BB239_4 Depth=1
	s_wait_alu 0xfffe
	s_or_b32 exec_lo, exec_lo, s5
                                        ; implicit-def: $vgpr9
	s_and_saveexec_b32 s5, s0
	s_cbranch_execnz .LBB239_35
	s_branch .LBB239_38
.LBB239_29:                             ;   in Loop: Header=BB239_4 Depth=1
	v_add_co_u32 v9, vcc_lo, v5, v1
	v_dual_mov_b32 v12, v8 :: v_dual_mov_b32 v23, v0
	s_wait_alu 0xfffd
	v_add_co_ci_u32_e64 v10, null, v6, v2, vcc_lo
	v_dual_mov_b32 v22, 0 :: v_dual_mov_b32 v11, v7
	s_mov_b32 s38, 0
.LBB239_30:                             ;   Parent Loop BB239_4 Depth=1
                                        ; =>  This Inner Loop Header: Depth=2
	flat_load_b32 v24, v[11:12]
	flat_load_b32 v25, v[9:10]
	v_add_nc_u32_e32 v23, 0x400, v23
	v_add_co_u32 v11, vcc_lo, 0x1000, v11
	s_wait_alu 0xfffd
	v_add_co_ci_u32_e64 v12, null, 0, v12, vcc_lo
	v_add_co_u32 v9, vcc_lo, v9, s22
	s_wait_alu 0xfffd
	v_add_co_ci_u32_e64 v10, null, s23, v10, vcc_lo
	s_wait_loadcnt_dscnt 0x0
	v_fmac_f32_e32 v22, v24, v25
	v_cmp_le_i32_e64 s5, s20, v23
	s_or_b32 s38, s5, s38
	s_delay_alu instid0(SALU_CYCLE_1)
	s_and_not1_b32 exec_lo, exec_lo, s38
	s_cbranch_execnz .LBB239_30
; %bb.31:                               ;   in Loop: Header=BB239_4 Depth=1
	s_or_b32 exec_lo, exec_lo, s38
	s_wait_alu 0xfffe
	s_or_b32 exec_lo, exec_lo, s37
	s_and_saveexec_b32 s5, s4
	s_cbranch_execz .LBB239_22
.LBB239_32:                             ;   in Loop: Header=BB239_4 Depth=1
	v_add_co_u32 v7, vcc_lo, v7, s28
	s_wait_alu 0xfffd
	v_add_co_ci_u32_e64 v8, null, s29, v8, vcc_lo
	v_add_co_u32 v5, vcc_lo, v5, v3
	s_wait_alu 0xfffd
	v_add_co_ci_u32_e64 v6, null, v6, v4, vcc_lo
	flat_load_b32 v7, v[7:8]
	flat_load_b32 v5, v[5:6]
	s_wait_loadcnt_dscnt 0x0
	v_fmac_f32_e32 v22, v7, v5
	s_wait_alu 0xfffe
	s_or_b32 exec_lo, exec_lo, s5
	s_and_saveexec_b32 s5, s1
	s_cbranch_execnz .LBB239_23
	s_branch .LBB239_24
.LBB239_33:                             ;   in Loop: Header=BB239_4 Depth=1
	ds_load_b32 v10, v14
	s_wait_alu 0xfffe
	s_or_b32 exec_lo, exec_lo, s5
	s_and_saveexec_b32 s5, s1
	s_cbranch_execz .LBB239_28
.LBB239_34:                             ;   in Loop: Header=BB239_4 Depth=1
	s_wait_dscnt 0x0
	ds_bpermute_b32 v9, v19, v10
	s_wait_dscnt 0x0
	v_add_f32_e32 v9, v10, v9
	ds_bpermute_b32 v5, v5, v9
	s_wait_dscnt 0x0
	v_add_f32_e32 v5, v9, v5
	;; [unrolled: 3-line block ×5, first 2 shown]
	s_wait_alu 0xfffe
	s_or_b32 exec_lo, exec_lo, s5
                                        ; implicit-def: $vgpr9
	s_and_saveexec_b32 s5, s0
	s_cbranch_execz .LBB239_38
.LBB239_35:                             ;   in Loop: Header=BB239_4 Depth=1
	s_wait_dscnt 0x0
	v_mul_f32_e32 v9, s31, v10
	s_and_not1_b32 vcc_lo, exec_lo, s36
	s_wait_alu 0xfffe
	s_cbranch_vccnz .LBB239_37
; %bb.36:                               ;   in Loop: Header=BB239_4 Depth=1
	v_add_co_u32 v5, vcc_lo, v20, s24
	s_wait_alu 0xfffd
	v_add_co_ci_u32_e64 v6, null, s25, v21, vcc_lo
	flat_load_b32 v5, v[5:6]
	s_wait_loadcnt_dscnt 0x0
	v_fmac_f32_e32 v9, s33, v5
.LBB239_37:                             ;   in Loop: Header=BB239_4 Depth=1
	s_or_b32 s21, s21, exec_lo
.LBB239_38:                             ;   in Loop: Header=BB239_4 Depth=1
	s_wait_alu 0xfffe
	s_or_b32 exec_lo, exec_lo, s5
.LBB239_39:                             ;   in Loop: Header=BB239_4 Depth=1
	s_wait_alu 0xfffe
	s_and_saveexec_b32 s5, s21
	s_cbranch_execz .LBB239_2
; %bb.40:                               ;   in Loop: Header=BB239_4 Depth=1
	v_add_co_u32 v5, vcc_lo, v20, s24
	s_wait_alu 0xfffd
	v_add_co_ci_u32_e64 v6, null, s25, v21, vcc_lo
	flat_store_b32 v[5:6], v9
	s_branch .LBB239_2
.LBB239_41:
	s_endpgm
	.section	.rodata,"a",@progbits
	.p2align	6, 0x0
	.amdhsa_kernel _ZL32rocblas_gemvt_warp_reduce_kernelILb1ELi1024ElPKffKPfEviiT3_lPKT2_lT1_lS7_lS8_lS4_lPT4_lS8_li
		.amdhsa_group_segment_fixed_size 128
		.amdhsa_private_segment_fixed_size 0
		.amdhsa_kernarg_size 140
		.amdhsa_user_sgpr_count 2
		.amdhsa_user_sgpr_dispatch_ptr 0
		.amdhsa_user_sgpr_queue_ptr 0
		.amdhsa_user_sgpr_kernarg_segment_ptr 1
		.amdhsa_user_sgpr_dispatch_id 0
		.amdhsa_user_sgpr_private_segment_size 0
		.amdhsa_wavefront_size32 1
		.amdhsa_uses_dynamic_stack 0
		.amdhsa_enable_private_segment 0
		.amdhsa_system_sgpr_workgroup_id_x 1
		.amdhsa_system_sgpr_workgroup_id_y 0
		.amdhsa_system_sgpr_workgroup_id_z 1
		.amdhsa_system_sgpr_workgroup_info 0
		.amdhsa_system_vgpr_workitem_id 0
		.amdhsa_next_free_vgpr 26
		.amdhsa_next_free_sgpr 40
		.amdhsa_reserve_vcc 1
		.amdhsa_float_round_mode_32 0
		.amdhsa_float_round_mode_16_64 0
		.amdhsa_float_denorm_mode_32 3
		.amdhsa_float_denorm_mode_16_64 3
		.amdhsa_fp16_overflow 0
		.amdhsa_workgroup_processor_mode 1
		.amdhsa_memory_ordered 1
		.amdhsa_forward_progress 1
		.amdhsa_inst_pref_size 14
		.amdhsa_round_robin_scheduling 0
		.amdhsa_exception_fp_ieee_invalid_op 0
		.amdhsa_exception_fp_denorm_src 0
		.amdhsa_exception_fp_ieee_div_zero 0
		.amdhsa_exception_fp_ieee_overflow 0
		.amdhsa_exception_fp_ieee_underflow 0
		.amdhsa_exception_fp_ieee_inexact 0
		.amdhsa_exception_int_div_zero 0
	.end_amdhsa_kernel
	.section	.text._ZL32rocblas_gemvt_warp_reduce_kernelILb1ELi1024ElPKffKPfEviiT3_lPKT2_lT1_lS7_lS8_lS4_lPT4_lS8_li,"axG",@progbits,_ZL32rocblas_gemvt_warp_reduce_kernelILb1ELi1024ElPKffKPfEviiT3_lPKT2_lT1_lS7_lS8_lS4_lPT4_lS8_li,comdat
.Lfunc_end239:
	.size	_ZL32rocblas_gemvt_warp_reduce_kernelILb1ELi1024ElPKffKPfEviiT3_lPKT2_lT1_lS7_lS8_lS4_lPT4_lS8_li, .Lfunc_end239-_ZL32rocblas_gemvt_warp_reduce_kernelILb1ELi1024ElPKffKPfEviiT3_lPKT2_lT1_lS7_lS8_lS4_lPT4_lS8_li
                                        ; -- End function
	.set _ZL32rocblas_gemvt_warp_reduce_kernelILb1ELi1024ElPKffKPfEviiT3_lPKT2_lT1_lS7_lS8_lS4_lPT4_lS8_li.num_vgpr, 26
	.set _ZL32rocblas_gemvt_warp_reduce_kernelILb1ELi1024ElPKffKPfEviiT3_lPKT2_lT1_lS7_lS8_lS4_lPT4_lS8_li.num_agpr, 0
	.set _ZL32rocblas_gemvt_warp_reduce_kernelILb1ELi1024ElPKffKPfEviiT3_lPKT2_lT1_lS7_lS8_lS4_lPT4_lS8_li.numbered_sgpr, 40
	.set _ZL32rocblas_gemvt_warp_reduce_kernelILb1ELi1024ElPKffKPfEviiT3_lPKT2_lT1_lS7_lS8_lS4_lPT4_lS8_li.num_named_barrier, 0
	.set _ZL32rocblas_gemvt_warp_reduce_kernelILb1ELi1024ElPKffKPfEviiT3_lPKT2_lT1_lS7_lS8_lS4_lPT4_lS8_li.private_seg_size, 0
	.set _ZL32rocblas_gemvt_warp_reduce_kernelILb1ELi1024ElPKffKPfEviiT3_lPKT2_lT1_lS7_lS8_lS4_lPT4_lS8_li.uses_vcc, 1
	.set _ZL32rocblas_gemvt_warp_reduce_kernelILb1ELi1024ElPKffKPfEviiT3_lPKT2_lT1_lS7_lS8_lS4_lPT4_lS8_li.uses_flat_scratch, 0
	.set _ZL32rocblas_gemvt_warp_reduce_kernelILb1ELi1024ElPKffKPfEviiT3_lPKT2_lT1_lS7_lS8_lS4_lPT4_lS8_li.has_dyn_sized_stack, 0
	.set _ZL32rocblas_gemvt_warp_reduce_kernelILb1ELi1024ElPKffKPfEviiT3_lPKT2_lT1_lS7_lS8_lS4_lPT4_lS8_li.has_recursion, 0
	.set _ZL32rocblas_gemvt_warp_reduce_kernelILb1ELi1024ElPKffKPfEviiT3_lPKT2_lT1_lS7_lS8_lS4_lPT4_lS8_li.has_indirect_call, 0
	.section	.AMDGPU.csdata,"",@progbits
; Kernel info:
; codeLenInByte = 1704
; TotalNumSgprs: 42
; NumVgprs: 26
; ScratchSize: 0
; MemoryBound: 0
; FloatMode: 240
; IeeeMode: 1
; LDSByteSize: 128 bytes/workgroup (compile time only)
; SGPRBlocks: 0
; VGPRBlocks: 3
; NumSGPRsForWavesPerEU: 42
; NumVGPRsForWavesPerEU: 26
; Occupancy: 16
; WaveLimiterHint : 1
; COMPUTE_PGM_RSRC2:SCRATCH_EN: 0
; COMPUTE_PGM_RSRC2:USER_SGPR: 2
; COMPUTE_PGM_RSRC2:TRAP_HANDLER: 0
; COMPUTE_PGM_RSRC2:TGID_X_EN: 1
; COMPUTE_PGM_RSRC2:TGID_Y_EN: 0
; COMPUTE_PGM_RSRC2:TGID_Z_EN: 1
; COMPUTE_PGM_RSRC2:TIDIG_COMP_CNT: 0
	.section	.text._ZL34rocblas_gemvn_sm_mn_batched_kernelILi32ELi24EPKdS1_KPdEviiT2_lPKT1_lilS7_lilS4_lPT3_lili,"axG",@progbits,_ZL34rocblas_gemvn_sm_mn_batched_kernelILi32ELi24EPKdS1_KPdEviiT2_lPKT1_lilS7_lilS4_lPT3_lili,comdat
	.globl	_ZL34rocblas_gemvn_sm_mn_batched_kernelILi32ELi24EPKdS1_KPdEviiT2_lPKT1_lilS7_lilS4_lPT3_lili ; -- Begin function _ZL34rocblas_gemvn_sm_mn_batched_kernelILi32ELi24EPKdS1_KPdEviiT2_lPKT1_lilS7_lilS4_lPT3_lili
	.p2align	8
	.type	_ZL34rocblas_gemvn_sm_mn_batched_kernelILi32ELi24EPKdS1_KPdEviiT2_lPKT1_lilS7_lilS4_lPT3_lili,@function
_ZL34rocblas_gemvn_sm_mn_batched_kernelILi32ELi24EPKdS1_KPdEviiT2_lPKT1_lilS7_lilS4_lPT3_lili: ; @_ZL34rocblas_gemvn_sm_mn_batched_kernelILi32ELi24EPKdS1_KPdEviiT2_lPKT1_lilS7_lilS4_lPT3_lili
; %bb.0:
	s_endpgm
	.section	.rodata,"a",@progbits
	.p2align	6, 0x0
	.amdhsa_kernel _ZL34rocblas_gemvn_sm_mn_batched_kernelILi32ELi24EPKdS1_KPdEviiT2_lPKT1_lilS7_lilS4_lPT3_lili
		.amdhsa_group_segment_fixed_size 0
		.amdhsa_private_segment_fixed_size 0
		.amdhsa_kernarg_size 140
		.amdhsa_user_sgpr_count 2
		.amdhsa_user_sgpr_dispatch_ptr 0
		.amdhsa_user_sgpr_queue_ptr 0
		.amdhsa_user_sgpr_kernarg_segment_ptr 1
		.amdhsa_user_sgpr_dispatch_id 0
		.amdhsa_user_sgpr_private_segment_size 0
		.amdhsa_wavefront_size32 1
		.amdhsa_uses_dynamic_stack 0
		.amdhsa_enable_private_segment 0
		.amdhsa_system_sgpr_workgroup_id_x 1
		.amdhsa_system_sgpr_workgroup_id_y 0
		.amdhsa_system_sgpr_workgroup_id_z 0
		.amdhsa_system_sgpr_workgroup_info 0
		.amdhsa_system_vgpr_workitem_id 0
		.amdhsa_next_free_vgpr 1
		.amdhsa_next_free_sgpr 1
		.amdhsa_reserve_vcc 0
		.amdhsa_float_round_mode_32 0
		.amdhsa_float_round_mode_16_64 0
		.amdhsa_float_denorm_mode_32 3
		.amdhsa_float_denorm_mode_16_64 3
		.amdhsa_fp16_overflow 0
		.amdhsa_workgroup_processor_mode 1
		.amdhsa_memory_ordered 1
		.amdhsa_forward_progress 1
		.amdhsa_inst_pref_size 1
		.amdhsa_round_robin_scheduling 0
		.amdhsa_exception_fp_ieee_invalid_op 0
		.amdhsa_exception_fp_denorm_src 0
		.amdhsa_exception_fp_ieee_div_zero 0
		.amdhsa_exception_fp_ieee_overflow 0
		.amdhsa_exception_fp_ieee_underflow 0
		.amdhsa_exception_fp_ieee_inexact 0
		.amdhsa_exception_int_div_zero 0
	.end_amdhsa_kernel
	.section	.text._ZL34rocblas_gemvn_sm_mn_batched_kernelILi32ELi24EPKdS1_KPdEviiT2_lPKT1_lilS7_lilS4_lPT3_lili,"axG",@progbits,_ZL34rocblas_gemvn_sm_mn_batched_kernelILi32ELi24EPKdS1_KPdEviiT2_lPKT1_lilS7_lilS4_lPT3_lili,comdat
.Lfunc_end240:
	.size	_ZL34rocblas_gemvn_sm_mn_batched_kernelILi32ELi24EPKdS1_KPdEviiT2_lPKT1_lilS7_lilS4_lPT3_lili, .Lfunc_end240-_ZL34rocblas_gemvn_sm_mn_batched_kernelILi32ELi24EPKdS1_KPdEviiT2_lPKT1_lilS7_lilS4_lPT3_lili
                                        ; -- End function
	.set _ZL34rocblas_gemvn_sm_mn_batched_kernelILi32ELi24EPKdS1_KPdEviiT2_lPKT1_lilS7_lilS4_lPT3_lili.num_vgpr, 0
	.set _ZL34rocblas_gemvn_sm_mn_batched_kernelILi32ELi24EPKdS1_KPdEviiT2_lPKT1_lilS7_lilS4_lPT3_lili.num_agpr, 0
	.set _ZL34rocblas_gemvn_sm_mn_batched_kernelILi32ELi24EPKdS1_KPdEviiT2_lPKT1_lilS7_lilS4_lPT3_lili.numbered_sgpr, 0
	.set _ZL34rocblas_gemvn_sm_mn_batched_kernelILi32ELi24EPKdS1_KPdEviiT2_lPKT1_lilS7_lilS4_lPT3_lili.num_named_barrier, 0
	.set _ZL34rocblas_gemvn_sm_mn_batched_kernelILi32ELi24EPKdS1_KPdEviiT2_lPKT1_lilS7_lilS4_lPT3_lili.private_seg_size, 0
	.set _ZL34rocblas_gemvn_sm_mn_batched_kernelILi32ELi24EPKdS1_KPdEviiT2_lPKT1_lilS7_lilS4_lPT3_lili.uses_vcc, 0
	.set _ZL34rocblas_gemvn_sm_mn_batched_kernelILi32ELi24EPKdS1_KPdEviiT2_lPKT1_lilS7_lilS4_lPT3_lili.uses_flat_scratch, 0
	.set _ZL34rocblas_gemvn_sm_mn_batched_kernelILi32ELi24EPKdS1_KPdEviiT2_lPKT1_lilS7_lilS4_lPT3_lili.has_dyn_sized_stack, 0
	.set _ZL34rocblas_gemvn_sm_mn_batched_kernelILi32ELi24EPKdS1_KPdEviiT2_lPKT1_lilS7_lilS4_lPT3_lili.has_recursion, 0
	.set _ZL34rocblas_gemvn_sm_mn_batched_kernelILi32ELi24EPKdS1_KPdEviiT2_lPKT1_lilS7_lilS4_lPT3_lili.has_indirect_call, 0
	.section	.AMDGPU.csdata,"",@progbits
; Kernel info:
; codeLenInByte = 4
; TotalNumSgprs: 0
; NumVgprs: 0
; ScratchSize: 0
; MemoryBound: 0
; FloatMode: 240
; IeeeMode: 1
; LDSByteSize: 0 bytes/workgroup (compile time only)
; SGPRBlocks: 0
; VGPRBlocks: 0
; NumSGPRsForWavesPerEU: 1
; NumVGPRsForWavesPerEU: 1
; Occupancy: 16
; WaveLimiterHint : 0
; COMPUTE_PGM_RSRC2:SCRATCH_EN: 0
; COMPUTE_PGM_RSRC2:USER_SGPR: 2
; COMPUTE_PGM_RSRC2:TRAP_HANDLER: 0
; COMPUTE_PGM_RSRC2:TGID_X_EN: 1
; COMPUTE_PGM_RSRC2:TGID_Y_EN: 0
; COMPUTE_PGM_RSRC2:TGID_Z_EN: 0
; COMPUTE_PGM_RSRC2:TIDIG_COMP_CNT: 0
	.section	.text._ZL34rocblas_gemvn_sm_mn_batched_kernelILi32ELi24EPKddKPdEviiT2_lPKT1_lilS7_lilS4_lPT3_lili,"axG",@progbits,_ZL34rocblas_gemvn_sm_mn_batched_kernelILi32ELi24EPKddKPdEviiT2_lPKT1_lilS7_lilS4_lPT3_lili,comdat
	.globl	_ZL34rocblas_gemvn_sm_mn_batched_kernelILi32ELi24EPKddKPdEviiT2_lPKT1_lilS7_lilS4_lPT3_lili ; -- Begin function _ZL34rocblas_gemvn_sm_mn_batched_kernelILi32ELi24EPKddKPdEviiT2_lPKT1_lilS7_lilS4_lPT3_lili
	.p2align	8
	.type	_ZL34rocblas_gemvn_sm_mn_batched_kernelILi32ELi24EPKddKPdEviiT2_lPKT1_lilS7_lilS4_lPT3_lili,@function
_ZL34rocblas_gemvn_sm_mn_batched_kernelILi32ELi24EPKddKPdEviiT2_lPKT1_lilS7_lilS4_lPT3_lili: ; @_ZL34rocblas_gemvn_sm_mn_batched_kernelILi32ELi24EPKddKPdEviiT2_lPKT1_lilS7_lilS4_lPT3_lili
; %bb.0:
	s_endpgm
	.section	.rodata,"a",@progbits
	.p2align	6, 0x0
	.amdhsa_kernel _ZL34rocblas_gemvn_sm_mn_batched_kernelILi32ELi24EPKddKPdEviiT2_lPKT1_lilS7_lilS4_lPT3_lili
		.amdhsa_group_segment_fixed_size 0
		.amdhsa_private_segment_fixed_size 0
		.amdhsa_kernarg_size 140
		.amdhsa_user_sgpr_count 2
		.amdhsa_user_sgpr_dispatch_ptr 0
		.amdhsa_user_sgpr_queue_ptr 0
		.amdhsa_user_sgpr_kernarg_segment_ptr 1
		.amdhsa_user_sgpr_dispatch_id 0
		.amdhsa_user_sgpr_private_segment_size 0
		.amdhsa_wavefront_size32 1
		.amdhsa_uses_dynamic_stack 0
		.amdhsa_enable_private_segment 0
		.amdhsa_system_sgpr_workgroup_id_x 1
		.amdhsa_system_sgpr_workgroup_id_y 0
		.amdhsa_system_sgpr_workgroup_id_z 0
		.amdhsa_system_sgpr_workgroup_info 0
		.amdhsa_system_vgpr_workitem_id 0
		.amdhsa_next_free_vgpr 1
		.amdhsa_next_free_sgpr 1
		.amdhsa_reserve_vcc 0
		.amdhsa_float_round_mode_32 0
		.amdhsa_float_round_mode_16_64 0
		.amdhsa_float_denorm_mode_32 3
		.amdhsa_float_denorm_mode_16_64 3
		.amdhsa_fp16_overflow 0
		.amdhsa_workgroup_processor_mode 1
		.amdhsa_memory_ordered 1
		.amdhsa_forward_progress 1
		.amdhsa_inst_pref_size 1
		.amdhsa_round_robin_scheduling 0
		.amdhsa_exception_fp_ieee_invalid_op 0
		.amdhsa_exception_fp_denorm_src 0
		.amdhsa_exception_fp_ieee_div_zero 0
		.amdhsa_exception_fp_ieee_overflow 0
		.amdhsa_exception_fp_ieee_underflow 0
		.amdhsa_exception_fp_ieee_inexact 0
		.amdhsa_exception_int_div_zero 0
	.end_amdhsa_kernel
	.section	.text._ZL34rocblas_gemvn_sm_mn_batched_kernelILi32ELi24EPKddKPdEviiT2_lPKT1_lilS7_lilS4_lPT3_lili,"axG",@progbits,_ZL34rocblas_gemvn_sm_mn_batched_kernelILi32ELi24EPKddKPdEviiT2_lPKT1_lilS7_lilS4_lPT3_lili,comdat
.Lfunc_end241:
	.size	_ZL34rocblas_gemvn_sm_mn_batched_kernelILi32ELi24EPKddKPdEviiT2_lPKT1_lilS7_lilS4_lPT3_lili, .Lfunc_end241-_ZL34rocblas_gemvn_sm_mn_batched_kernelILi32ELi24EPKddKPdEviiT2_lPKT1_lilS7_lilS4_lPT3_lili
                                        ; -- End function
	.set _ZL34rocblas_gemvn_sm_mn_batched_kernelILi32ELi24EPKddKPdEviiT2_lPKT1_lilS7_lilS4_lPT3_lili.num_vgpr, 0
	.set _ZL34rocblas_gemvn_sm_mn_batched_kernelILi32ELi24EPKddKPdEviiT2_lPKT1_lilS7_lilS4_lPT3_lili.num_agpr, 0
	.set _ZL34rocblas_gemvn_sm_mn_batched_kernelILi32ELi24EPKddKPdEviiT2_lPKT1_lilS7_lilS4_lPT3_lili.numbered_sgpr, 0
	.set _ZL34rocblas_gemvn_sm_mn_batched_kernelILi32ELi24EPKddKPdEviiT2_lPKT1_lilS7_lilS4_lPT3_lili.num_named_barrier, 0
	.set _ZL34rocblas_gemvn_sm_mn_batched_kernelILi32ELi24EPKddKPdEviiT2_lPKT1_lilS7_lilS4_lPT3_lili.private_seg_size, 0
	.set _ZL34rocblas_gemvn_sm_mn_batched_kernelILi32ELi24EPKddKPdEviiT2_lPKT1_lilS7_lilS4_lPT3_lili.uses_vcc, 0
	.set _ZL34rocblas_gemvn_sm_mn_batched_kernelILi32ELi24EPKddKPdEviiT2_lPKT1_lilS7_lilS4_lPT3_lili.uses_flat_scratch, 0
	.set _ZL34rocblas_gemvn_sm_mn_batched_kernelILi32ELi24EPKddKPdEviiT2_lPKT1_lilS7_lilS4_lPT3_lili.has_dyn_sized_stack, 0
	.set _ZL34rocblas_gemvn_sm_mn_batched_kernelILi32ELi24EPKddKPdEviiT2_lPKT1_lilS7_lilS4_lPT3_lili.has_recursion, 0
	.set _ZL34rocblas_gemvn_sm_mn_batched_kernelILi32ELi24EPKddKPdEviiT2_lPKT1_lilS7_lilS4_lPT3_lili.has_indirect_call, 0
	.section	.AMDGPU.csdata,"",@progbits
; Kernel info:
; codeLenInByte = 4
; TotalNumSgprs: 0
; NumVgprs: 0
; ScratchSize: 0
; MemoryBound: 0
; FloatMode: 240
; IeeeMode: 1
; LDSByteSize: 0 bytes/workgroup (compile time only)
; SGPRBlocks: 0
; VGPRBlocks: 0
; NumSGPRsForWavesPerEU: 1
; NumVGPRsForWavesPerEU: 1
; Occupancy: 16
; WaveLimiterHint : 0
; COMPUTE_PGM_RSRC2:SCRATCH_EN: 0
; COMPUTE_PGM_RSRC2:USER_SGPR: 2
; COMPUTE_PGM_RSRC2:TRAP_HANDLER: 0
; COMPUTE_PGM_RSRC2:TGID_X_EN: 1
; COMPUTE_PGM_RSRC2:TGID_Y_EN: 0
; COMPUTE_PGM_RSRC2:TGID_Z_EN: 0
; COMPUTE_PGM_RSRC2:TIDIG_COMP_CNT: 0
	.section	.text._ZL20rocblas_gemvn_kernelILi64ELi4EiPKdS1_KPdEviiT3_lPKT2_lT1_lS7_lS8_lS4_lPT4_lS8_li,"axG",@progbits,_ZL20rocblas_gemvn_kernelILi64ELi4EiPKdS1_KPdEviiT3_lPKT2_lT1_lS7_lS8_lS4_lPT4_lS8_li,comdat
	.globl	_ZL20rocblas_gemvn_kernelILi64ELi4EiPKdS1_KPdEviiT3_lPKT2_lT1_lS7_lS8_lS4_lPT4_lS8_li ; -- Begin function _ZL20rocblas_gemvn_kernelILi64ELi4EiPKdS1_KPdEviiT3_lPKT2_lT1_lS7_lS8_lS4_lPT4_lS8_li
	.p2align	8
	.type	_ZL20rocblas_gemvn_kernelILi64ELi4EiPKdS1_KPdEviiT3_lPKT2_lT1_lS7_lS8_lS4_lPT4_lS8_li,@function
_ZL20rocblas_gemvn_kernelILi64ELi4EiPKdS1_KPdEviiT3_lPKT2_lT1_lS7_lS8_lS4_lPT4_lS8_li: ; @_ZL20rocblas_gemvn_kernelILi64ELi4EiPKdS1_KPdEviiT3_lPKT2_lT1_lS7_lS8_lS4_lPT4_lS8_li
; %bb.0:
	s_clause 0x1
	s_load_b64 s[2:3], s[0:1], 0x9c
	s_load_b32 s33, s[0:1], 0x88
	s_lshr_b32 s10, ttmp7, 16
	s_wait_kmcnt 0x0
	s_lshr_b32 s4, s2, 16
	s_and_b32 s2, s2, 0xffff
	s_and_b32 s3, s3, 0xffff
	s_mul_i32 s2, s4, s2
	s_delay_alu instid0(SALU_CYCLE_1) | instskip(NEXT) | instid1(SALU_CYCLE_1)
	s_mul_i32 s2, s2, s3
	s_cmp_lg_u32 s2, 0x100
	s_cselect_b32 s2, -1, 0
	s_cmp_ge_u32 s10, s33
	s_cselect_b32 s3, -1, 0
	s_delay_alu instid0(SALU_CYCLE_1) | instskip(NEXT) | instid1(SALU_CYCLE_1)
	s_or_b32 s2, s2, s3
	s_and_b32 vcc_lo, exec_lo, s2
	s_cbranch_vccnz .LBB242_55
; %bb.1:
	s_clause 0x2
	s_load_b32 s6, s[0:1], 0x78
	s_load_b64 s[8:9], s[0:1], 0x0
	s_load_b256 s[12:19], s[0:1], 0x8
	v_and_b32_e32 v9, 0x3ff, v0
	v_bfe_u32 v8, v0, 10, 10
	s_clause 0x3
	s_load_b32 s35, s[0:1], 0x28
	s_load_b128 s[28:31], s[0:1], 0x38
	s_load_b32 s34, s[0:1], 0x48
	s_load_b256 s[20:27], s[0:1], 0x58
	s_lshl_b32 s36, ttmp9, 8
	v_mov_b32_e32 v1, 0
	v_or_b32_e32 v67, s36, v9
	v_lshl_add_u32 v5, v8, 6, v9
	v_lshlrev_b32_e32 v68, 2, v8
	v_lshlrev_b32_e32 v6, 3, v9
	s_mov_b32 s11, 0
	v_add_nc_u32_e32 v7, 0x80, v67
	v_add_nc_u32_e32 v0, s36, v5
	;; [unrolled: 1-line block ×3, first 2 shown]
	v_or_b32_e32 v11, s36, v5
	v_add_nc_u32_e32 v10, 0xc0, v67
	v_or_b32_e32 v12, 3, v68
	v_lshl_add_u32 v69, v8, 9, v6
	s_wait_kmcnt 0x0
	v_mad_co_u64_u32 v[2:3], null, s6, v0, 0
	s_ashr_i32 s3, s6, 31
	v_cmp_gt_i32_e64 s2, s8, v7
	v_mul_lo_u32 v7, s35, v68
	s_ashr_i32 s7, s9, 31
	v_cmp_gt_i32_e64 s1, s8, v4
	s_wait_alu 0xfffe
	s_lshr_b32 s7, s7, 28
	v_mad_co_u64_u32 v[3:4], null, s3, v0, v[3:4]
	v_mul_lo_u32 v4, s6, v11
	v_cmp_gt_i32_e64 s6, s8, v11
	v_mul_lo_u32 v11, v8, s35
	v_cmp_gt_i32_e64 s3, s8, v10
	v_or_b32_e32 v10, 2, v68
	s_wait_alu 0xfffe
	s_add_co_i32 s7, s9, s7
	v_mul_lo_u32 v13, v8, s34
	s_ashr_i32 s5, s8, 31
	s_mov_b32 s4, s8
	s_wait_alu 0xfffe
	s_and_b32 s37, s7, -16
	v_cmp_gt_i64_e32 vcc_lo, s[4:5], v[0:1]
	v_lshl_add_u32 v0, v8, 11, v6
	v_add3_u32 v70, v7, s35, v9
	v_mad_co_u64_u32 v[6:7], null, s35, v10, v[9:10]
	s_wait_alu 0xfffe
	s_sub_co_i32 s5, s9, s37
	v_mad_co_u64_u32 v[7:8], null, s35, v12, v[9:10]
	v_lshl_add_u32 v71, v11, 2, v9
	v_mad_co_u64_u32 v[8:9], null, s34, v68, s[34:35]
	v_mul_lo_u32 v72, s34, v10
	v_mul_lo_u32 v73, s34, v12
	s_wait_alu 0xfffe
	s_cmp_gt_i32 s5, 0
	v_cmp_gt_u32_e64 s5, 0x100, v5
	v_lshlrev_b64_e32 v[9:10], 3, v[2:3]
	v_cmp_gt_i32_e64 s0, s8, v67
	v_cmp_gt_i32_e64 s4, s37, v68
	v_ashrrev_i32_e32 v5, 31, v4
	v_lshlrev_b32_e32 v74, 2, v13
	s_cselect_b32 s38, -1, 0
	s_and_b32 s39, s5, vcc_lo
	s_lshl_b32 s40, s35, 4
	s_lshl_b32 s41, s34, 4
	s_lshl_b64 s[18:19], s[18:19], 3
	s_lshl_b64 s[30:31], s[30:31], 3
	;; [unrolled: 1-line block ×3, first 2 shown]
	s_branch .LBB242_4
.LBB242_2:                              ;   in Loop: Header=BB242_4 Depth=1
	s_wait_alu 0xfffe
	s_or_b32 exec_lo, exec_lo, s7
.LBB242_3:                              ;   in Loop: Header=BB242_4 Depth=1
	s_add_co_i32 s10, s10, 0x10000
	s_delay_alu instid0(SALU_CYCLE_1)
	s_cmp_lt_u32 s10, s33
	s_cbranch_scc0 .LBB242_55
.LBB242_4:                              ; =>This Loop Header: Depth=1
                                        ;     Child Loop BB242_21 Depth 2
	s_mul_u64 s[42:43], s[14:15], s[10:11]
	s_mul_u64 s[44:45], s[22:23], s[10:11]
	s_wait_alu 0xfffe
	s_lshl_b64 s[42:43], s[42:43], 3
	s_lshl_b64 s[44:45], s[44:45], 3
	s_wait_alu 0xfffe
	s_add_nc_u64 s[42:43], s[12:13], s[42:43]
	s_add_nc_u64 s[44:45], s[20:21], s[44:45]
	s_clause 0x1
	global_load_b64 v[13:14], v1, s[42:43]
	global_load_b64 v[11:12], v1, s[44:45]
	s_wait_loadcnt 0x1
	v_cmp_eq_f64_e64 s7, 0, v[13:14]
	s_wait_loadcnt 0x0
	v_cmp_eq_f64_e32 vcc_lo, 1.0, v[11:12]
	s_and_b32 s8, s7, vcc_lo
	s_wait_alu 0xfffe
	s_and_b32 vcc_lo, exec_lo, s8
	s_wait_alu 0xfffe
	s_cbranch_vccnz .LBB242_3
; %bb.5:                                ;   in Loop: Header=BB242_4 Depth=1
	v_cmp_neq_f64_e64 s8, 0, v[13:14]
	v_mov_b32_e32 v25, 0
	v_dual_mov_b32 v26, 0 :: v_dual_mov_b32 v17, 0
	v_mov_b32_e32 v18, 0
	s_and_b32 vcc_lo, exec_lo, s7
	s_wait_alu 0xfffe
	s_cbranch_vccnz .LBB242_7
; %bb.6:                                ;   in Loop: Header=BB242_4 Depth=1
	s_lshl_b64 s[42:43], s[10:11], 3
	s_wait_alu 0xfffe
	s_add_nc_u64 s[42:43], s[16:17], s[42:43]
	global_load_b64 v[15:16], v1, s[42:43]
	s_wait_loadcnt 0x0
	v_add_co_u32 v17, vcc_lo, v15, s18
	s_wait_alu 0xfffd
	v_add_co_ci_u32_e64 v18, null, s19, v16, vcc_lo
.LBB242_7:                              ;   in Loop: Header=BB242_4 Depth=1
	s_and_not1_b32 vcc_lo, exec_lo, s8
	s_wait_alu 0xfffe
	s_cbranch_vccnz .LBB242_9
; %bb.8:                                ;   in Loop: Header=BB242_4 Depth=1
	s_lshl_b64 s[42:43], s[10:11], 3
	s_wait_alu 0xfffe
	s_add_nc_u64 s[42:43], s[28:29], s[42:43]
	global_load_b64 v[15:16], v1, s[42:43]
	s_wait_loadcnt 0x0
	v_add_co_u32 v25, vcc_lo, v15, s30
	s_wait_alu 0xfffd
	v_add_co_ci_u32_e64 v26, null, s31, v16, vcc_lo
.LBB242_9:                              ;   in Loop: Header=BB242_4 Depth=1
	s_lshl_b64 s[42:43], s[10:11], 3
	s_wait_alu 0xfffe
	s_add_nc_u64 s[42:43], s[24:25], s[42:43]
	global_load_b64 v[15:16], v1, s[42:43]
	s_wait_loadcnt 0x0
	v_add_co_u32 v75, vcc_lo, v15, s26
	s_wait_alu 0xfffd
	v_add_co_ci_u32_e64 v76, null, s27, v16, vcc_lo
	s_and_not1_b32 vcc_lo, exec_lo, s7
	s_wait_alu 0xfffe
	s_cbranch_vccnz .LBB242_14
; %bb.10:                               ;   in Loop: Header=BB242_4 Depth=1
	s_mov_b32 s7, 0
	s_mov_b32 s8, 0
                                        ; implicit-def: $vgpr15_vgpr16
	s_and_saveexec_b32 s42, s39
	s_cbranch_execz .LBB242_26
; %bb.11:                               ;   in Loop: Header=BB242_4 Depth=1
	v_cmp_eq_f64_e32 vcc_lo, 0, v[11:12]
	v_mov_b32_e32 v15, 0
	v_mov_b32_e32 v16, 0
	s_cbranch_vccnz .LBB242_13
; %bb.12:                               ;   in Loop: Header=BB242_4 Depth=1
	v_add_co_u32 v15, vcc_lo, v75, v9
	s_wait_alu 0xfffd
	v_add_co_ci_u32_e64 v16, null, v76, v10, vcc_lo
	flat_load_b64 v[15:16], v[15:16]
	s_wait_loadcnt_dscnt 0x0
	v_mul_f64_e32 v[15:16], v[11:12], v[15:16]
.LBB242_13:                             ;   in Loop: Header=BB242_4 Depth=1
	s_mov_b32 s8, exec_lo
	s_wait_alu 0xfffe
	s_or_b32 exec_lo, exec_lo, s42
	s_delay_alu instid0(SALU_CYCLE_1)
	s_and_b32 vcc_lo, exec_lo, s7
	s_wait_alu 0xfffe
	s_cbranch_vccnz .LBB242_15
	s_branch .LBB242_27
.LBB242_14:                             ;   in Loop: Header=BB242_4 Depth=1
	s_mov_b32 s8, 0
                                        ; implicit-def: $vgpr15_vgpr16
	s_cbranch_execz .LBB242_27
.LBB242_15:                             ;   in Loop: Header=BB242_4 Depth=1
	v_mov_b32_e32 v15, 0
	v_dual_mov_b32 v21, 0 :: v_dual_mov_b32 v16, 0
	v_dual_mov_b32 v19, 0 :: v_dual_mov_b32 v22, 0
	;; [unrolled: 1-line block ×4, first 2 shown]
	s_and_saveexec_b32 s7, s4
	s_cbranch_execz .LBB242_29
; %bb.16:                               ;   in Loop: Header=BB242_4 Depth=1
	v_mov_b32_e32 v19, 0
	v_dual_mov_b32 v15, 0 :: v_dual_mov_b32 v78, v71
	v_dual_mov_b32 v20, 0 :: v_dual_mov_b32 v21, 0
	;; [unrolled: 1-line block ×6, first 2 shown]
	s_mov_b32 s42, 0
	s_mov_b32 s43, 0
	s_branch .LBB242_21
.LBB242_17:                             ;   in Loop: Header=BB242_21 Depth=2
	s_or_b32 exec_lo, exec_lo, s47
	s_wait_loadcnt_dscnt 0x303
	v_fma_f64 v[21:22], v[27:28], v[59:60], v[21:22]
	s_wait_loadcnt_dscnt 0x202
	s_delay_alu instid0(VALU_DEP_1) | instskip(SKIP_1) | instid1(VALU_DEP_1)
	v_fma_f64 v[21:22], v[29:30], v[61:62], v[21:22]
	s_wait_loadcnt_dscnt 0x101
	v_fma_f64 v[21:22], v[31:32], v[63:64], v[21:22]
	s_wait_loadcnt_dscnt 0x0
	s_delay_alu instid0(VALU_DEP_1)
	v_fma_f64 v[21:22], v[33:34], v[65:66], v[21:22]
.LBB242_18:                             ;   in Loop: Header=BB242_21 Depth=2
	s_or_b32 exec_lo, exec_lo, s46
	s_wait_loadcnt_dscnt 0x303
	v_fma_f64 v[19:20], v[27:28], v[51:52], v[19:20]
	s_wait_loadcnt_dscnt 0x202
	s_delay_alu instid0(VALU_DEP_1) | instskip(SKIP_1) | instid1(VALU_DEP_1)
	v_fma_f64 v[19:20], v[29:30], v[53:54], v[19:20]
	s_wait_loadcnt_dscnt 0x101
	v_fma_f64 v[19:20], v[31:32], v[55:56], v[19:20]
	s_wait_loadcnt_dscnt 0x0
	s_delay_alu instid0(VALU_DEP_1)
	v_fma_f64 v[19:20], v[33:34], v[57:58], v[19:20]
.LBB242_19:                             ;   in Loop: Header=BB242_21 Depth=2
	s_or_b32 exec_lo, exec_lo, s45
	s_wait_loadcnt_dscnt 0x303
	v_fma_f64 v[15:16], v[27:28], v[35:36], v[15:16]
	s_wait_loadcnt_dscnt 0x202
	s_delay_alu instid0(VALU_DEP_1) | instskip(SKIP_1) | instid1(VALU_DEP_1)
	v_fma_f64 v[15:16], v[29:30], v[37:38], v[15:16]
	s_wait_loadcnt_dscnt 0x101
	v_fma_f64 v[15:16], v[31:32], v[39:40], v[15:16]
	s_wait_loadcnt_dscnt 0x0
	s_delay_alu instid0(VALU_DEP_1)
	v_fma_f64 v[15:16], v[33:34], v[41:42], v[15:16]
.LBB242_20:                             ;   in Loop: Header=BB242_21 Depth=2
	s_or_b32 exec_lo, exec_lo, s44
	v_add_nc_u32_e32 v77, 16, v77
	v_add_nc_u32_e32 v81, s40, v81
	;; [unrolled: 1-line block ×5, first 2 shown]
	v_cmp_le_i32_e32 vcc_lo, s37, v77
	s_wait_alu 0xfffe
	s_add_co_i32 s43, s43, s41
	s_or_b32 s42, vcc_lo, s42
	s_wait_alu 0xfffe
	s_and_not1_b32 exec_lo, exec_lo, s42
	s_cbranch_execz .LBB242_28
.LBB242_21:                             ;   Parent Loop BB242_4 Depth=1
                                        ; =>  This Inner Loop Header: Depth=2
	s_and_saveexec_b32 s44, s0
	s_cbranch_execz .LBB242_20
; %bb.22:                               ;   in Loop: Header=BB242_21 Depth=2
	s_wait_alu 0xfffe
	v_add_nc_u32_e32 v27, s43, v74
	v_add_nc_u32_e32 v29, s43, v8
	;; [unrolled: 1-line block ×5, first 2 shown]
	v_ashrrev_i32_e32 v28, 31, v27
	v_ashrrev_i32_e32 v30, 31, v29
	;; [unrolled: 1-line block ×3, first 2 shown]
	v_add_nc_u32_e32 v37, s36, v81
	v_ashrrev_i32_e32 v34, 31, v33
	v_lshlrev_b64_e32 v[27:28], 3, v[27:28]
	v_lshlrev_b64_e32 v[29:30], 3, v[29:30]
	v_ashrrev_i32_e32 v36, 31, v35
	v_lshlrev_b64_e32 v[31:32], 3, v[31:32]
	v_ashrrev_i32_e32 v38, 31, v37
	v_lshlrev_b64_e32 v[33:34], 3, v[33:34]
	v_add_co_u32 v27, vcc_lo, v25, v27
	v_add_nc_u32_e32 v39, s36, v80
	s_wait_alu 0xfffd
	v_add_co_ci_u32_e64 v28, null, v26, v28, vcc_lo
	v_add_co_u32 v29, vcc_lo, v25, v29
	v_lshlrev_b64_e32 v[35:36], 3, v[35:36]
	v_add_nc_u32_e32 v41, s36, v79
	s_wait_alu 0xfffd
	v_add_co_ci_u32_e64 v30, null, v26, v30, vcc_lo
	v_add_co_u32 v31, vcc_lo, v25, v31
	v_lshlrev_b64_e32 v[37:38], 3, v[37:38]
	v_ashrrev_i32_e32 v40, 31, v39
	s_wait_alu 0xfffd
	v_add_co_ci_u32_e64 v32, null, v26, v32, vcc_lo
	v_add_co_u32 v33, vcc_lo, v25, v33
	v_ashrrev_i32_e32 v42, 31, v41
	s_wait_alu 0xfffd
	v_add_co_ci_u32_e64 v34, null, v26, v34, vcc_lo
	v_add_co_u32 v43, vcc_lo, v17, v35
	s_wait_alu 0xfffd
	v_add_co_ci_u32_e64 v44, null, v18, v36, vcc_lo
	v_lshlrev_b64_e32 v[35:36], 3, v[39:40]
	v_add_co_u32 v45, vcc_lo, v17, v37
	s_wait_alu 0xfffd
	v_add_co_ci_u32_e64 v46, null, v18, v38, vcc_lo
	v_lshlrev_b64_e32 v[37:38], 3, v[41:42]
	s_delay_alu instid0(VALU_DEP_4) | instskip(SKIP_2) | instid1(VALU_DEP_3)
	v_add_co_u32 v47, vcc_lo, v17, v35
	s_wait_alu 0xfffd
	v_add_co_ci_u32_e64 v48, null, v18, v36, vcc_lo
	v_add_co_u32 v49, vcc_lo, v17, v37
	s_wait_alu 0xfffd
	v_add_co_ci_u32_e64 v50, null, v18, v38, vcc_lo
	s_clause 0x3
	flat_load_b64 v[27:28], v[27:28]
	flat_load_b64 v[29:30], v[29:30]
	;; [unrolled: 1-line block ×4, first 2 shown]
	s_clause 0x3
	flat_load_b64 v[35:36], v[43:44]
	flat_load_b64 v[37:38], v[45:46]
	;; [unrolled: 1-line block ×4, first 2 shown]
	s_and_saveexec_b32 s45, s1
	s_cbranch_execz .LBB242_19
; %bb.23:                               ;   in Loop: Header=BB242_21 Depth=2
	s_clause 0x3
	flat_load_b64 v[51:52], v[43:44] offset:512
	flat_load_b64 v[53:54], v[45:46] offset:512
	flat_load_b64 v[55:56], v[47:48] offset:512
	flat_load_b64 v[57:58], v[49:50] offset:512
	s_and_saveexec_b32 s46, s2
	s_cbranch_execz .LBB242_18
; %bb.24:                               ;   in Loop: Header=BB242_21 Depth=2
	s_clause 0x3
	flat_load_b64 v[59:60], v[43:44] offset:1024
	flat_load_b64 v[61:62], v[45:46] offset:1024
	flat_load_b64 v[63:64], v[47:48] offset:1024
	flat_load_b64 v[65:66], v[49:50] offset:1024
	;; [unrolled: 8-line block ×3, first 2 shown]
	s_wait_loadcnt_dscnt 0x303
	v_fma_f64 v[23:24], v[27:28], v[43:44], v[23:24]
	s_wait_loadcnt_dscnt 0x202
	s_delay_alu instid0(VALU_DEP_1) | instskip(SKIP_1) | instid1(VALU_DEP_1)
	v_fma_f64 v[23:24], v[29:30], v[45:46], v[23:24]
	s_wait_loadcnt_dscnt 0x101
	v_fma_f64 v[23:24], v[31:32], v[47:48], v[23:24]
	s_wait_loadcnt_dscnt 0x0
	s_delay_alu instid0(VALU_DEP_1)
	v_fma_f64 v[23:24], v[33:34], v[49:50], v[23:24]
	s_branch .LBB242_17
.LBB242_26:                             ;   in Loop: Header=BB242_4 Depth=1
	s_wait_alu 0xfffe
	s_or_b32 exec_lo, exec_lo, s42
	s_delay_alu instid0(SALU_CYCLE_1)
	s_and_b32 vcc_lo, exec_lo, s7
	s_wait_alu 0xfffe
	s_cbranch_vccnz .LBB242_15
.LBB242_27:                             ;   in Loop: Header=BB242_4 Depth=1
	v_dual_mov_b32 v12, v3 :: v_dual_mov_b32 v11, v2
	s_wait_alu 0xfffe
	s_and_saveexec_b32 s7, s8
	s_cbranch_execz .LBB242_2
	s_branch .LBB242_54
.LBB242_28:                             ;   in Loop: Header=BB242_4 Depth=1
	s_or_b32 exec_lo, exec_lo, s42
.LBB242_29:                             ;   in Loop: Header=BB242_4 Depth=1
	s_wait_alu 0xfffe
	s_or_b32 exec_lo, exec_lo, s7
	s_delay_alu instid0(SALU_CYCLE_1)
	s_and_not1_b32 vcc_lo, exec_lo, s38
	s_wait_alu 0xfffe
	s_cbranch_vccnz .LBB242_47
; %bb.30:                               ;   in Loop: Header=BB242_4 Depth=1
	v_mov_b32_e32 v33, 0
	v_dual_mov_b32 v29, 0 :: v_dual_mov_b32 v34, 0
	v_dual_mov_b32 v31, 0 :: v_dual_mov_b32 v30, 0
	v_mov_b32_e32 v27, 0
	v_cmp_gt_i32_e32 vcc_lo, s9, v77
	v_mov_b32_e32 v32, 0
	v_mov_b32_e32 v28, 0
	v_or_b32_e32 v35, 1, v77
	s_and_saveexec_b32 s42, vcc_lo
	s_cbranch_execz .LBB242_38
; %bb.31:                               ;   in Loop: Header=BB242_4 Depth=1
	v_mul_lo_u32 v27, v77, s34
	v_mov_b32_e32 v29, 0
	v_dual_mov_b32 v30, 0 :: v_dual_mov_b32 v31, 0
	v_dual_mov_b32 v33, 0 :: v_dual_mov_b32 v32, 0
	v_mov_b32_e32 v34, 0
	s_mov_b32 s43, exec_lo
	v_ashrrev_i32_e32 v28, 31, v27
	s_delay_alu instid0(VALU_DEP_1) | instskip(NEXT) | instid1(VALU_DEP_1)
	v_lshlrev_b64_e32 v[27:28], 3, v[27:28]
	v_add_co_u32 v27, s7, v25, v27
	s_wait_alu 0xf1ff
	s_delay_alu instid0(VALU_DEP_2)
	v_add_co_ci_u32_e64 v28, null, v26, v28, s7
	flat_load_b64 v[27:28], v[27:28]
	v_cmpx_gt_i32_e64 s9, v35
	s_cbranch_execz .LBB242_37
; %bb.32:                               ;   in Loop: Header=BB242_4 Depth=1
	v_mul_lo_u32 v29, v35, s34
	v_mov_b32_e32 v31, 0
	v_dual_mov_b32 v32, 0 :: v_dual_mov_b32 v33, 0
	v_or_b32_e32 v36, 2, v77
	v_mov_b32_e32 v34, 0
	s_mov_b32 s44, exec_lo
	v_ashrrev_i32_e32 v30, 31, v29
	s_delay_alu instid0(VALU_DEP_1) | instskip(NEXT) | instid1(VALU_DEP_1)
	v_lshlrev_b64_e32 v[29:30], 3, v[29:30]
	v_add_co_u32 v29, s7, v25, v29
	s_wait_alu 0xf1ff
	s_delay_alu instid0(VALU_DEP_2)
	v_add_co_ci_u32_e64 v30, null, v26, v30, s7
	flat_load_b64 v[29:30], v[29:30]
	v_cmpx_gt_i32_e64 s9, v36
	s_cbranch_execz .LBB242_36
; %bb.33:                               ;   in Loop: Header=BB242_4 Depth=1
	v_mul_lo_u32 v31, v36, s34
	v_mov_b32_e32 v33, 0
	v_or_b32_e32 v36, 3, v77
	v_mov_b32_e32 v34, 0
	s_mov_b32 s45, exec_lo
	s_delay_alu instid0(VALU_DEP_4) | instskip(NEXT) | instid1(VALU_DEP_1)
	v_ashrrev_i32_e32 v32, 31, v31
	v_lshlrev_b64_e32 v[31:32], 3, v[31:32]
	s_delay_alu instid0(VALU_DEP_1) | instskip(SKIP_1) | instid1(VALU_DEP_2)
	v_add_co_u32 v31, s7, v25, v31
	s_wait_alu 0xf1ff
	v_add_co_ci_u32_e64 v32, null, v26, v32, s7
	flat_load_b64 v[31:32], v[31:32]
	v_cmpx_gt_i32_e64 s9, v36
	s_cbranch_execz .LBB242_35
; %bb.34:                               ;   in Loop: Header=BB242_4 Depth=1
	v_mul_lo_u32 v33, v36, s34
	s_delay_alu instid0(VALU_DEP_1) | instskip(NEXT) | instid1(VALU_DEP_1)
	v_ashrrev_i32_e32 v34, 31, v33
	v_lshlrev_b64_e32 v[33:34], 3, v[33:34]
	s_delay_alu instid0(VALU_DEP_1) | instskip(SKIP_1) | instid1(VALU_DEP_2)
	v_add_co_u32 v25, s7, v25, v33
	s_wait_alu 0xf1ff
	v_add_co_ci_u32_e64 v26, null, v26, v34, s7
	flat_load_b64 v[33:34], v[25:26]
.LBB242_35:                             ;   in Loop: Header=BB242_4 Depth=1
	s_or_b32 exec_lo, exec_lo, s45
.LBB242_36:                             ;   in Loop: Header=BB242_4 Depth=1
	s_delay_alu instid0(SALU_CYCLE_1)
	s_or_b32 exec_lo, exec_lo, s44
.LBB242_37:                             ;   in Loop: Header=BB242_4 Depth=1
	s_wait_alu 0xfffe
	s_or_b32 exec_lo, exec_lo, s43
.LBB242_38:                             ;   in Loop: Header=BB242_4 Depth=1
	s_wait_alu 0xfffe
	s_or_b32 exec_lo, exec_lo, s42
	s_and_saveexec_b32 s7, s0
	s_cbranch_execz .LBB242_46
; %bb.39:                               ;   in Loop: Header=BB242_4 Depth=1
	v_mul_lo_u32 v26, v77, s35
	v_or_b32_e32 v25, 2, v77
	v_mul_lo_u32 v37, v35, s35
	v_or_b32_e32 v36, 3, v77
	s_delay_alu instid0(VALU_DEP_3) | instskip(NEXT) | instid1(VALU_DEP_2)
	v_mul_lo_u32 v38, v25, s35
	v_mul_lo_u32 v39, v36, s35
	v_cndmask_b32_e32 v26, 0, v26, vcc_lo
	v_cmp_gt_i32_e32 vcc_lo, s9, v35
	s_wait_alu 0xfffd
	v_cndmask_b32_e32 v35, 0, v37, vcc_lo
	v_cmp_gt_i32_e32 vcc_lo, s9, v25
	v_add_nc_u32_e32 v25, v26, v67
	s_delay_alu instid0(VALU_DEP_3)
	v_add_nc_u32_e32 v35, v35, v67
	s_wait_alu 0xfffd
	v_cndmask_b32_e32 v37, 0, v38, vcc_lo
	v_cmp_gt_i32_e32 vcc_lo, s9, v36
	v_ashrrev_i32_e32 v26, 31, v25
	s_wait_alu 0xfffd
	v_cndmask_b32_e32 v36, 0, v39, vcc_lo
	v_add_nc_u32_e32 v37, v37, v67
	s_delay_alu instid0(VALU_DEP_3) | instskip(NEXT) | instid1(VALU_DEP_3)
	v_lshlrev_b64_e32 v[25:26], 3, v[25:26]
	v_add_nc_u32_e32 v39, v36, v67
	v_ashrrev_i32_e32 v36, 31, v35
	s_delay_alu instid0(VALU_DEP_4) | instskip(NEXT) | instid1(VALU_DEP_4)
	v_ashrrev_i32_e32 v38, 31, v37
	v_add_co_u32 v47, vcc_lo, v17, v25
	s_delay_alu instid0(VALU_DEP_4) | instskip(NEXT) | instid1(VALU_DEP_4)
	v_ashrrev_i32_e32 v40, 31, v39
	v_lshlrev_b64_e32 v[35:36], 3, v[35:36]
	s_delay_alu instid0(VALU_DEP_4) | instskip(SKIP_3) | instid1(VALU_DEP_4)
	v_lshlrev_b64_e32 v[37:38], 3, v[37:38]
	s_wait_alu 0xfffd
	v_add_co_ci_u32_e64 v48, null, v18, v26, vcc_lo
	v_lshlrev_b64_e32 v[39:40], 3, v[39:40]
	v_add_co_u32 v49, vcc_lo, v17, v35
	s_wait_alu 0xfffd
	v_add_co_ci_u32_e64 v50, null, v18, v36, vcc_lo
	v_add_co_u32 v51, vcc_lo, v17, v37
	s_wait_alu 0xfffd
	v_add_co_ci_u32_e64 v52, null, v18, v38, vcc_lo
	;; [unrolled: 3-line block ×3, first 2 shown]
	s_clause 0x3
	flat_load_b64 v[17:18], v[47:48]
	flat_load_b64 v[25:26], v[49:50]
	;; [unrolled: 1-line block ×4, first 2 shown]
	s_and_saveexec_b32 s42, s1
	s_cbranch_execz .LBB242_45
; %bb.40:                               ;   in Loop: Header=BB242_4 Depth=1
	s_clause 0x3
	flat_load_b64 v[39:40], v[47:48] offset:512
	flat_load_b64 v[41:42], v[49:50] offset:512
	flat_load_b64 v[43:44], v[51:52] offset:512
	flat_load_b64 v[45:46], v[53:54] offset:512
	s_and_saveexec_b32 s43, s2
	s_cbranch_execz .LBB242_44
; %bb.41:                               ;   in Loop: Header=BB242_4 Depth=1
	s_clause 0x3
	flat_load_b64 v[55:56], v[47:48] offset:1024
	flat_load_b64 v[57:58], v[49:50] offset:1024
	flat_load_b64 v[59:60], v[51:52] offset:1024
	flat_load_b64 v[61:62], v[53:54] offset:1024
	;; [unrolled: 8-line block ×3, first 2 shown]
	s_wait_loadcnt_dscnt 0x303
	v_fma_f64 v[23:24], v[27:28], v[47:48], v[23:24]
	s_wait_loadcnt_dscnt 0x202
	s_delay_alu instid0(VALU_DEP_1) | instskip(SKIP_1) | instid1(VALU_DEP_1)
	v_fma_f64 v[23:24], v[29:30], v[49:50], v[23:24]
	s_wait_loadcnt_dscnt 0x101
	v_fma_f64 v[23:24], v[31:32], v[51:52], v[23:24]
	s_wait_loadcnt_dscnt 0x0
	s_delay_alu instid0(VALU_DEP_1)
	v_fma_f64 v[23:24], v[33:34], v[53:54], v[23:24]
.LBB242_43:                             ;   in Loop: Header=BB242_4 Depth=1
	s_or_b32 exec_lo, exec_lo, s44
	s_wait_loadcnt_dscnt 0x303
	v_fma_f64 v[21:22], v[27:28], v[55:56], v[21:22]
	s_wait_loadcnt_dscnt 0x202
	s_delay_alu instid0(VALU_DEP_1) | instskip(SKIP_1) | instid1(VALU_DEP_1)
	v_fma_f64 v[21:22], v[29:30], v[57:58], v[21:22]
	s_wait_loadcnt_dscnt 0x101
	v_fma_f64 v[21:22], v[31:32], v[59:60], v[21:22]
	s_wait_loadcnt_dscnt 0x0
	s_delay_alu instid0(VALU_DEP_1)
	v_fma_f64 v[21:22], v[33:34], v[61:62], v[21:22]
.LBB242_44:                             ;   in Loop: Header=BB242_4 Depth=1
	s_wait_alu 0xfffe
	s_or_b32 exec_lo, exec_lo, s43
	s_wait_loadcnt_dscnt 0x303
	v_fma_f64 v[19:20], v[27:28], v[39:40], v[19:20]
	s_wait_loadcnt_dscnt 0x202
	s_delay_alu instid0(VALU_DEP_1) | instskip(SKIP_1) | instid1(VALU_DEP_1)
	v_fma_f64 v[19:20], v[29:30], v[41:42], v[19:20]
	s_wait_loadcnt_dscnt 0x101
	v_fma_f64 v[19:20], v[31:32], v[43:44], v[19:20]
	s_wait_loadcnt_dscnt 0x0
	s_delay_alu instid0(VALU_DEP_1)
	v_fma_f64 v[19:20], v[33:34], v[45:46], v[19:20]
.LBB242_45:                             ;   in Loop: Header=BB242_4 Depth=1
	s_wait_alu 0xfffe
	s_or_b32 exec_lo, exec_lo, s42
	s_wait_loadcnt_dscnt 0x303
	v_fma_f64 v[15:16], v[27:28], v[17:18], v[15:16]
	s_wait_loadcnt_dscnt 0x202
	s_delay_alu instid0(VALU_DEP_1) | instskip(SKIP_1) | instid1(VALU_DEP_1)
	v_fma_f64 v[15:16], v[29:30], v[25:26], v[15:16]
	s_wait_loadcnt_dscnt 0x101
	v_fma_f64 v[15:16], v[31:32], v[35:36], v[15:16]
	s_wait_loadcnt_dscnt 0x0
	s_delay_alu instid0(VALU_DEP_1)
	v_fma_f64 v[15:16], v[33:34], v[37:38], v[15:16]
.LBB242_46:                             ;   in Loop: Header=BB242_4 Depth=1
	s_wait_alu 0xfffe
	s_or_b32 exec_lo, exec_lo, s7
.LBB242_47:                             ;   in Loop: Header=BB242_4 Depth=1
	ds_store_2addr_stride64_b64 v0, v[15:16], v[19:20] offset1:1
	ds_store_2addr_stride64_b64 v0, v[21:22], v[23:24] offset0:2 offset1:3
	s_wait_loadcnt_dscnt 0x0
	s_barrier_signal -1
	s_barrier_wait -1
	global_inv scope:SCOPE_SE
                                        ; implicit-def: $vgpr15_vgpr16
	s_and_saveexec_b32 s7, s5
	s_cbranch_execz .LBB242_53
; %bb.48:                               ;   in Loop: Header=BB242_4 Depth=1
	ds_load_2addr_stride64_b64 v[15:18], v69 offset1:4
	s_mov_b32 s43, s8
	s_wait_dscnt 0x0
	v_add_f64_e32 v[19:20], v[15:16], v[17:18]
	ds_load_2addr_stride64_b64 v[15:18], v69 offset0:8 offset1:12
	s_wait_dscnt 0x0
	v_add_f64_e32 v[15:16], v[15:16], v[19:20]
	s_delay_alu instid0(VALU_DEP_1)
	v_add_f64_e32 v[17:18], v[17:18], v[15:16]
                                        ; implicit-def: $vgpr15_vgpr16
	ds_store_b64 v69, v[17:18]
	s_and_saveexec_b32 s42, s6
	s_cbranch_execz .LBB242_52
; %bb.49:                               ;   in Loop: Header=BB242_4 Depth=1
	v_cmp_eq_f64_e32 vcc_lo, 0, v[11:12]
	v_mul_f64_e32 v[15:16], v[13:14], v[17:18]
	s_cbranch_vccnz .LBB242_51
; %bb.50:                               ;   in Loop: Header=BB242_4 Depth=1
	v_lshlrev_b64_e32 v[13:14], 3, v[4:5]
	s_delay_alu instid0(VALU_DEP_1) | instskip(SKIP_1) | instid1(VALU_DEP_2)
	v_add_co_u32 v13, vcc_lo, v75, v13
	s_wait_alu 0xfffd
	v_add_co_ci_u32_e64 v14, null, v76, v14, vcc_lo
	flat_load_b64 v[13:14], v[13:14]
	s_wait_loadcnt_dscnt 0x0
	v_fma_f64 v[15:16], v[11:12], v[13:14], v[15:16]
.LBB242_51:                             ;   in Loop: Header=BB242_4 Depth=1
	s_or_b32 s43, s8, exec_lo
.LBB242_52:                             ;   in Loop: Header=BB242_4 Depth=1
	s_wait_alu 0xfffe
	s_or_b32 exec_lo, exec_lo, s42
	s_delay_alu instid0(SALU_CYCLE_1)
	s_and_not1_b32 s8, s8, exec_lo
	s_and_b32 s42, s43, exec_lo
	s_wait_alu 0xfffe
	s_or_b32 s8, s8, s42
.LBB242_53:                             ;   in Loop: Header=BB242_4 Depth=1
	s_wait_alu 0xfffe
	s_or_b32 exec_lo, exec_lo, s7
	v_dual_mov_b32 v12, v5 :: v_dual_mov_b32 v11, v4
	s_and_saveexec_b32 s7, s8
	s_cbranch_execz .LBB242_2
.LBB242_54:                             ;   in Loop: Header=BB242_4 Depth=1
	s_delay_alu instid0(VALU_DEP_1) | instskip(NEXT) | instid1(VALU_DEP_1)
	v_lshlrev_b64_e32 v[11:12], 3, v[11:12]
	v_add_co_u32 v11, vcc_lo, v75, v11
	s_wait_alu 0xfffd
	s_delay_alu instid0(VALU_DEP_2)
	v_add_co_ci_u32_e64 v12, null, v76, v12, vcc_lo
	flat_store_b64 v[11:12], v[15:16]
	s_branch .LBB242_2
.LBB242_55:
	s_endpgm
	.section	.rodata,"a",@progbits
	.p2align	6, 0x0
	.amdhsa_kernel _ZL20rocblas_gemvn_kernelILi64ELi4EiPKdS1_KPdEviiT3_lPKT2_lT1_lS7_lS8_lS4_lPT4_lS8_li
		.amdhsa_group_segment_fixed_size 8192
		.amdhsa_private_segment_fixed_size 0
		.amdhsa_kernarg_size 400
		.amdhsa_user_sgpr_count 2
		.amdhsa_user_sgpr_dispatch_ptr 0
		.amdhsa_user_sgpr_queue_ptr 0
		.amdhsa_user_sgpr_kernarg_segment_ptr 1
		.amdhsa_user_sgpr_dispatch_id 0
		.amdhsa_user_sgpr_private_segment_size 0
		.amdhsa_wavefront_size32 1
		.amdhsa_uses_dynamic_stack 0
		.amdhsa_enable_private_segment 0
		.amdhsa_system_sgpr_workgroup_id_x 1
		.amdhsa_system_sgpr_workgroup_id_y 0
		.amdhsa_system_sgpr_workgroup_id_z 1
		.amdhsa_system_sgpr_workgroup_info 0
		.amdhsa_system_vgpr_workitem_id 1
		.amdhsa_next_free_vgpr 82
		.amdhsa_next_free_sgpr 48
		.amdhsa_reserve_vcc 1
		.amdhsa_float_round_mode_32 0
		.amdhsa_float_round_mode_16_64 0
		.amdhsa_float_denorm_mode_32 3
		.amdhsa_float_denorm_mode_16_64 3
		.amdhsa_fp16_overflow 0
		.amdhsa_workgroup_processor_mode 1
		.amdhsa_memory_ordered 1
		.amdhsa_forward_progress 1
		.amdhsa_inst_pref_size 27
		.amdhsa_round_robin_scheduling 0
		.amdhsa_exception_fp_ieee_invalid_op 0
		.amdhsa_exception_fp_denorm_src 0
		.amdhsa_exception_fp_ieee_div_zero 0
		.amdhsa_exception_fp_ieee_overflow 0
		.amdhsa_exception_fp_ieee_underflow 0
		.amdhsa_exception_fp_ieee_inexact 0
		.amdhsa_exception_int_div_zero 0
	.end_amdhsa_kernel
	.section	.text._ZL20rocblas_gemvn_kernelILi64ELi4EiPKdS1_KPdEviiT3_lPKT2_lT1_lS7_lS8_lS4_lPT4_lS8_li,"axG",@progbits,_ZL20rocblas_gemvn_kernelILi64ELi4EiPKdS1_KPdEviiT3_lPKT2_lT1_lS7_lS8_lS4_lPT4_lS8_li,comdat
.Lfunc_end242:
	.size	_ZL20rocblas_gemvn_kernelILi64ELi4EiPKdS1_KPdEviiT3_lPKT2_lT1_lS7_lS8_lS4_lPT4_lS8_li, .Lfunc_end242-_ZL20rocblas_gemvn_kernelILi64ELi4EiPKdS1_KPdEviiT3_lPKT2_lT1_lS7_lS8_lS4_lPT4_lS8_li
                                        ; -- End function
	.set _ZL20rocblas_gemvn_kernelILi64ELi4EiPKdS1_KPdEviiT3_lPKT2_lT1_lS7_lS8_lS4_lPT4_lS8_li.num_vgpr, 82
	.set _ZL20rocblas_gemvn_kernelILi64ELi4EiPKdS1_KPdEviiT3_lPKT2_lT1_lS7_lS8_lS4_lPT4_lS8_li.num_agpr, 0
	.set _ZL20rocblas_gemvn_kernelILi64ELi4EiPKdS1_KPdEviiT3_lPKT2_lT1_lS7_lS8_lS4_lPT4_lS8_li.numbered_sgpr, 48
	.set _ZL20rocblas_gemvn_kernelILi64ELi4EiPKdS1_KPdEviiT3_lPKT2_lT1_lS7_lS8_lS4_lPT4_lS8_li.num_named_barrier, 0
	.set _ZL20rocblas_gemvn_kernelILi64ELi4EiPKdS1_KPdEviiT3_lPKT2_lT1_lS7_lS8_lS4_lPT4_lS8_li.private_seg_size, 0
	.set _ZL20rocblas_gemvn_kernelILi64ELi4EiPKdS1_KPdEviiT3_lPKT2_lT1_lS7_lS8_lS4_lPT4_lS8_li.uses_vcc, 1
	.set _ZL20rocblas_gemvn_kernelILi64ELi4EiPKdS1_KPdEviiT3_lPKT2_lT1_lS7_lS8_lS4_lPT4_lS8_li.uses_flat_scratch, 1
	.set _ZL20rocblas_gemvn_kernelILi64ELi4EiPKdS1_KPdEviiT3_lPKT2_lT1_lS7_lS8_lS4_lPT4_lS8_li.has_dyn_sized_stack, 0
	.set _ZL20rocblas_gemvn_kernelILi64ELi4EiPKdS1_KPdEviiT3_lPKT2_lT1_lS7_lS8_lS4_lPT4_lS8_li.has_recursion, 0
	.set _ZL20rocblas_gemvn_kernelILi64ELi4EiPKdS1_KPdEviiT3_lPKT2_lT1_lS7_lS8_lS4_lPT4_lS8_li.has_indirect_call, 0
	.section	.AMDGPU.csdata,"",@progbits
; Kernel info:
; codeLenInByte = 3416
; TotalNumSgprs: 50
; NumVgprs: 82
; ScratchSize: 0
; MemoryBound: 0
; FloatMode: 240
; IeeeMode: 1
; LDSByteSize: 8192 bytes/workgroup (compile time only)
; SGPRBlocks: 0
; VGPRBlocks: 10
; NumSGPRsForWavesPerEU: 50
; NumVGPRsForWavesPerEU: 82
; Occupancy: 16
; WaveLimiterHint : 1
; COMPUTE_PGM_RSRC2:SCRATCH_EN: 0
; COMPUTE_PGM_RSRC2:USER_SGPR: 2
; COMPUTE_PGM_RSRC2:TRAP_HANDLER: 0
; COMPUTE_PGM_RSRC2:TGID_X_EN: 1
; COMPUTE_PGM_RSRC2:TGID_Y_EN: 0
; COMPUTE_PGM_RSRC2:TGID_Z_EN: 1
; COMPUTE_PGM_RSRC2:TIDIG_COMP_CNT: 1
	.section	.text._ZL20rocblas_gemvn_kernelILi64ELi4ElPKdS1_KPdEviiT3_lPKT2_lT1_lS7_lS8_lS4_lPT4_lS8_li,"axG",@progbits,_ZL20rocblas_gemvn_kernelILi64ELi4ElPKdS1_KPdEviiT3_lPKT2_lT1_lS7_lS8_lS4_lPT4_lS8_li,comdat
	.globl	_ZL20rocblas_gemvn_kernelILi64ELi4ElPKdS1_KPdEviiT3_lPKT2_lT1_lS7_lS8_lS4_lPT4_lS8_li ; -- Begin function _ZL20rocblas_gemvn_kernelILi64ELi4ElPKdS1_KPdEviiT3_lPKT2_lT1_lS7_lS8_lS4_lPT4_lS8_li
	.p2align	8
	.type	_ZL20rocblas_gemvn_kernelILi64ELi4ElPKdS1_KPdEviiT3_lPKT2_lT1_lS7_lS8_lS4_lPT4_lS8_li,@function
_ZL20rocblas_gemvn_kernelILi64ELi4ElPKdS1_KPdEviiT3_lPKT2_lT1_lS7_lS8_lS4_lPT4_lS8_li: ; @_ZL20rocblas_gemvn_kernelILi64ELi4ElPKdS1_KPdEviiT3_lPKT2_lT1_lS7_lS8_lS4_lPT4_lS8_li
; %bb.0:
	s_clause 0x1
	s_load_b64 s[2:3], s[0:1], 0x9c
	s_load_b32 s33, s[0:1], 0x88
	s_lshr_b32 s10, ttmp7, 16
	s_wait_kmcnt 0x0
	s_lshr_b32 s4, s2, 16
	s_and_b32 s2, s2, 0xffff
	s_and_b32 s3, s3, 0xffff
	s_mul_i32 s2, s4, s2
	s_delay_alu instid0(SALU_CYCLE_1) | instskip(NEXT) | instid1(SALU_CYCLE_1)
	s_mul_i32 s2, s2, s3
	s_cmp_lg_u32 s2, 0x100
	s_cselect_b32 s2, -1, 0
	s_cmp_ge_u32 s10, s33
	s_cselect_b32 s3, -1, 0
	s_delay_alu instid0(SALU_CYCLE_1) | instskip(NEXT) | instid1(SALU_CYCLE_1)
	s_or_b32 s2, s2, s3
	s_and_b32 vcc_lo, exec_lo, s2
	s_cbranch_vccnz .LBB243_55
; %bb.1:
	s_clause 0x6
	s_load_b64 s[6:7], s[0:1], 0x78
	s_load_b64 s[8:9], s[0:1], 0x0
	s_load_b256 s[12:19], s[0:1], 0x8
	s_load_b64 s[34:35], s[0:1], 0x28
	s_load_b128 s[28:31], s[0:1], 0x38
	s_load_b64 s[36:37], s[0:1], 0x48
	s_load_b256 s[20:27], s[0:1], 0x58
	v_dual_mov_b32 v1, 0 :: v_dual_and_b32 v2, 0x3ff, v0
	s_lshl_b32 s38, ttmp9, 8
	v_bfe_u32 v26, v0, 10, 10
	s_mov_b32 s11, 0
	s_delay_alu instid0(VALU_DEP_2) | instskip(SKIP_1) | instid1(VALU_DEP_3)
	v_or_b32_e32 v8, s38, v2
	v_lshlrev_b32_e32 v16, 3, v2
	v_lshl_add_u32 v5, v26, 6, v2
	s_delay_alu instid0(VALU_DEP_3) | instskip(SKIP_2) | instid1(VALU_DEP_4)
	v_add_nc_u32_e32 v6, 0x80, v8
	v_add_nc_u32_e32 v7, 0xc0, v8
	;; [unrolled: 1-line block ×3, first 2 shown]
	v_or_b32_e32 v17, s38, v5
	v_lshl_add_u32 v85, v26, 9, v16
	v_ashrrev_i32_e32 v9, 31, v8
	s_wait_kmcnt 0x0
	s_ashr_i32 s2, s9, 31
	s_ashr_i32 s5, s8, 31
	s_lshr_b32 s3, s2, 28
	v_cmp_gt_i32_e64 s2, s8, v6
	s_add_co_i32 s3, s9, s3
	s_mov_b32 s4, s8
	s_and_b32 s42, s3, -16
	v_cmp_gt_i32_e64 s3, s8, v7
	v_mad_co_u64_u32 v[6:7], null, s36, v26, 0
	v_cmp_gt_i32_e64 s1, s8, v4
	s_sub_co_i32 s39, s9, s42
	v_mul_lo_u32 v18, s7, v17
	s_wait_alu 0xfffe
	s_cmp_gt_i32 s39, 0
	v_cmp_gt_i32_e64 s0, s8, v8
	s_cselect_b32 s43, -1, 0
	v_mad_co_u64_u32 v[14:15], null, s37, v26, v[7:8]
	v_lshlrev_b32_e32 v84, 2, v26
	v_lshlrev_b64_e32 v[8:9], 3, v[8:9]
	s_lshl_b64 s[40:41], s[34:35], 7
	s_lshl_b64 s[18:19], s[18:19], 3
	;; [unrolled: 1-line block ×4, first 2 shown]
	s_delay_alu instid0(VALU_DEP_3) | instskip(SKIP_4) | instid1(VALU_DEP_4)
	v_mov_b32_e32 v7, v14
	v_or_b32_e32 v19, 3, v84
	v_or_b32_e32 v29, 2, v84
	v_mad_co_u64_u32 v[22:23], null, s36, v84, s[36:37]
	v_mad_co_u64_u32 v[24:25], null, s34, v84, s[34:35]
	;; [unrolled: 1-line block ×5, first 2 shown]
	v_lshlrev_b64_e32 v[6:7], 5, v[6:7]
	s_delay_alu instid0(VALU_DEP_3) | instskip(SKIP_2) | instid1(VALU_DEP_2)
	v_mad_co_u64_u32 v[14:15], null, s35, v19, v[11:12]
	v_add_nc_u32_e32 v0, s38, v5
	s_ashr_i32 s38, s38, 31
	v_mov_b32_e32 v11, v14
	s_delay_alu instid0(VALU_DEP_2) | instskip(SKIP_2) | instid1(VALU_DEP_4)
	v_mad_co_u64_u32 v[2:3], null, s6, v0, 0
	v_cmp_gt_i64_e32 vcc_lo, s[4:5], v[0:1]
	v_cmp_gt_u32_e64 s5, 0x100, v5
	v_lshlrev_b64_e32 v[10:11], 3, v[10:11]
	v_cmp_gt_i32_e64 s4, s42, v84
	v_mad_co_u64_u32 v[3:4], null, s7, v0, v[3:4]
	v_mad_co_u64_u32 v[4:5], null, s6, v17, 0
	s_wait_alu 0xfffe
	s_mul_i32 s7, s6, s38
	v_lshl_add_u32 v0, v26, 11, v16
	v_mad_co_u64_u32 v[15:16], null, s37, v19, v[13:14]
	v_cmp_gt_i32_e64 s6, s8, v17
	v_mad_co_u64_u32 v[16:17], null, s34, v26, 0
	s_wait_alu 0xfffe
	v_add3_u32 v5, v5, s7, v18
	v_mad_co_u64_u32 v[18:19], null, s34, v29, 0
	v_mov_b32_e32 v13, v15
	s_and_b32 s44, s5, vcc_lo
	s_lshl_b64 s[38:39], s[36:37], 7
	s_delay_alu instid0(VALU_DEP_4) | instskip(NEXT) | instid1(VALU_DEP_2)
	v_dual_mov_b32 v14, v17 :: v_dual_mov_b32 v17, v25
	v_lshlrev_b64_e32 v[12:13], 3, v[12:13]
	s_delay_alu instid0(VALU_DEP_4) | instskip(NEXT) | instid1(VALU_DEP_1)
	v_mov_b32_e32 v15, v19
	v_mad_co_u64_u32 v[26:27], null, s35, v26, v[14:15]
	v_mov_b32_e32 v14, v21
	v_mad_co_u64_u32 v[27:28], null, s35, v29, v[15:16]
	v_mov_b32_e32 v15, v23
	s_delay_alu instid0(VALU_DEP_1)
	v_mad_co_u64_u32 v[28:29], null, s37, v29, v[14:15]
	v_mad_co_u64_u32 v[14:15], null, s37, v84, v[15:16]
	;; [unrolled: 1-line block ×3, first 2 shown]
	v_mov_b32_e32 v17, v26
	v_mov_b32_e32 v19, v27
	;; [unrolled: 1-line block ×4, first 2 shown]
	s_delay_alu instid0(VALU_DEP_4) | instskip(SKIP_4) | instid1(VALU_DEP_4)
	v_lshlrev_b64_e32 v[14:15], 5, v[16:17]
	v_mov_b32_e32 v25, v29
	v_lshlrev_b64_e32 v[16:17], 3, v[18:19]
	v_lshlrev_b64_e32 v[18:19], 3, v[20:21]
	;; [unrolled: 1-line block ×5, first 2 shown]
	s_branch .LBB243_4
.LBB243_2:                              ;   in Loop: Header=BB243_4 Depth=1
	s_wait_alu 0xfffe
	s_or_b32 exec_lo, exec_lo, s7
.LBB243_3:                              ;   in Loop: Header=BB243_4 Depth=1
	s_add_co_i32 s10, s10, 0x10000
	s_delay_alu instid0(SALU_CYCLE_1)
	s_cmp_lt_u32 s10, s33
	s_cbranch_scc0 .LBB243_55
.LBB243_4:                              ; =>This Loop Header: Depth=1
                                        ;     Child Loop BB243_21 Depth 2
	s_mul_u64 s[46:47], s[14:15], s[10:11]
	s_mul_u64 s[48:49], s[22:23], s[10:11]
	s_lshl_b64 s[46:47], s[46:47], 3
	s_lshl_b64 s[48:49], s[48:49], 3
	s_add_nc_u64 s[46:47], s[12:13], s[46:47]
	s_add_nc_u64 s[48:49], s[20:21], s[48:49]
	s_clause 0x1
	global_load_b64 v[28:29], v1, s[46:47]
	global_load_b64 v[26:27], v1, s[48:49]
	s_wait_loadcnt 0x1
	v_cmp_eq_f64_e64 s7, 0, v[28:29]
	s_wait_loadcnt 0x0
	v_cmp_eq_f64_e32 vcc_lo, 1.0, v[26:27]
	s_and_b32 s8, s7, vcc_lo
	s_wait_alu 0xfffe
	s_and_b32 vcc_lo, exec_lo, s8
	s_wait_alu 0xfffe
	s_cbranch_vccnz .LBB243_3
; %bb.5:                                ;   in Loop: Header=BB243_4 Depth=1
	v_cmp_neq_f64_e64 s8, 0, v[28:29]
	v_mov_b32_e32 v40, 0
	v_dual_mov_b32 v41, 0 :: v_dual_mov_b32 v30, 0
	v_mov_b32_e32 v31, 0
	s_and_b32 vcc_lo, exec_lo, s7
	s_wait_alu 0xfffe
	s_cbranch_vccnz .LBB243_7
; %bb.6:                                ;   in Loop: Header=BB243_4 Depth=1
	s_lshl_b64 s[46:47], s[10:11], 3
	s_delay_alu instid0(SALU_CYCLE_1)
	s_add_nc_u64 s[46:47], s[16:17], s[46:47]
	global_load_b64 v[30:31], v1, s[46:47]
	s_wait_loadcnt 0x0
	v_add_co_u32 v30, vcc_lo, v30, s18
	s_wait_alu 0xfffd
	v_add_co_ci_u32_e64 v31, null, s19, v31, vcc_lo
.LBB243_7:                              ;   in Loop: Header=BB243_4 Depth=1
	s_and_not1_b32 vcc_lo, exec_lo, s8
	s_wait_alu 0xfffe
	s_cbranch_vccnz .LBB243_9
; %bb.8:                                ;   in Loop: Header=BB243_4 Depth=1
	s_lshl_b64 s[46:47], s[10:11], 3
	s_delay_alu instid0(SALU_CYCLE_1)
	s_add_nc_u64 s[46:47], s[28:29], s[46:47]
	global_load_b64 v[32:33], v1, s[46:47]
	s_wait_loadcnt 0x0
	v_add_co_u32 v40, vcc_lo, v32, s30
	s_wait_alu 0xfffd
	v_add_co_ci_u32_e64 v41, null, s31, v33, vcc_lo
.LBB243_9:                              ;   in Loop: Header=BB243_4 Depth=1
	s_lshl_b64 s[46:47], s[10:11], 3
	s_delay_alu instid0(SALU_CYCLE_1)
	s_add_nc_u64 s[46:47], s[24:25], s[46:47]
	global_load_b64 v[32:33], v1, s[46:47]
	s_wait_loadcnt 0x0
	v_add_co_u32 v86, vcc_lo, v32, s26
	s_wait_alu 0xfffd
	v_add_co_ci_u32_e64 v87, null, s27, v33, vcc_lo
	s_and_not1_b32 vcc_lo, exec_lo, s7
	s_wait_alu 0xfffe
	s_cbranch_vccnz .LBB243_14
; %bb.10:                               ;   in Loop: Header=BB243_4 Depth=1
	s_mov_b32 s7, 0
	s_mov_b32 s8, 0
                                        ; implicit-def: $vgpr32_vgpr33
	s_and_saveexec_b32 s45, s44
	s_cbranch_execz .LBB243_26
; %bb.11:                               ;   in Loop: Header=BB243_4 Depth=1
	v_cmp_eq_f64_e32 vcc_lo, 0, v[26:27]
	v_mov_b32_e32 v32, 0
	v_mov_b32_e32 v33, 0
	s_cbranch_vccnz .LBB243_13
; %bb.12:                               ;   in Loop: Header=BB243_4 Depth=1
	v_add_co_u32 v32, vcc_lo, v86, v24
	s_wait_alu 0xfffd
	v_add_co_ci_u32_e64 v33, null, v87, v25, vcc_lo
	flat_load_b64 v[32:33], v[32:33]
	s_wait_loadcnt_dscnt 0x0
	v_mul_f64_e32 v[32:33], v[26:27], v[32:33]
.LBB243_13:                             ;   in Loop: Header=BB243_4 Depth=1
	s_mov_b32 s8, exec_lo
	s_or_b32 exec_lo, exec_lo, s45
	s_wait_alu 0xfffe
	s_and_b32 vcc_lo, exec_lo, s7
	s_wait_alu 0xfffe
	s_cbranch_vccnz .LBB243_15
	s_branch .LBB243_27
.LBB243_14:                             ;   in Loop: Header=BB243_4 Depth=1
	s_mov_b32 s8, 0
                                        ; implicit-def: $vgpr32_vgpr33
	s_cbranch_execz .LBB243_27
.LBB243_15:                             ;   in Loop: Header=BB243_4 Depth=1
	v_mov_b32_e32 v32, 0
	v_dual_mov_b32 v36, 0 :: v_dual_mov_b32 v33, 0
	v_dual_mov_b32 v34, 0 :: v_dual_mov_b32 v37, 0
	;; [unrolled: 1-line block ×4, first 2 shown]
	s_and_saveexec_b32 s45, s4
	s_cbranch_execz .LBB243_29
; %bb.16:                               ;   in Loop: Header=BB243_4 Depth=1
	v_add_co_u32 v89, vcc_lo, v30, v10
	s_wait_alu 0xfffd
	v_add_co_ci_u32_e64 v90, null, v31, v11, vcc_lo
	v_add_co_u32 v91, vcc_lo, v30, v14
	s_wait_alu 0xfffd
	v_add_co_ci_u32_e64 v92, null, v31, v15, vcc_lo
	;; [unrolled: 3-line block ×3, first 2 shown]
	v_add_co_u32 v95, vcc_lo, v30, v22
	v_mov_b32_e32 v34, 0
	v_dual_mov_b32 v32, 0 :: v_dual_mov_b32 v43, v41
	v_dual_mov_b32 v35, 0 :: v_dual_mov_b32 v36, 0
	v_mov_b32_e32 v38, 0
	s_wait_alu 0xfffd
	v_add_co_ci_u32_e64 v96, null, v31, v23, vcc_lo
	v_dual_mov_b32 v33, 0 :: v_dual_mov_b32 v42, v40
	v_mov_b32_e32 v37, 0
	v_dual_mov_b32 v39, 0 :: v_dual_mov_b32 v88, v84
	s_mov_b32 s46, 0
	s_branch .LBB243_21
.LBB243_17:                             ;   in Loop: Header=BB243_21 Depth=2
	s_or_b32 exec_lo, exec_lo, s49
	s_wait_loadcnt_dscnt 0x303
	v_fma_f64 v[36:37], v[44:45], v[76:77], v[36:37]
	s_wait_loadcnt_dscnt 0x202
	s_delay_alu instid0(VALU_DEP_1) | instskip(SKIP_1) | instid1(VALU_DEP_1)
	v_fma_f64 v[36:37], v[46:47], v[78:79], v[36:37]
	s_wait_loadcnt_dscnt 0x101
	v_fma_f64 v[36:37], v[48:49], v[80:81], v[36:37]
	s_wait_loadcnt_dscnt 0x0
	s_delay_alu instid0(VALU_DEP_1)
	v_fma_f64 v[36:37], v[50:51], v[82:83], v[36:37]
.LBB243_18:                             ;   in Loop: Header=BB243_21 Depth=2
	s_or_b32 exec_lo, exec_lo, s48
	s_wait_loadcnt_dscnt 0x303
	v_fma_f64 v[34:35], v[44:45], v[68:69], v[34:35]
	s_wait_loadcnt_dscnt 0x202
	s_delay_alu instid0(VALU_DEP_1) | instskip(SKIP_1) | instid1(VALU_DEP_1)
	v_fma_f64 v[34:35], v[46:47], v[70:71], v[34:35]
	s_wait_loadcnt_dscnt 0x101
	v_fma_f64 v[34:35], v[48:49], v[72:73], v[34:35]
	s_wait_loadcnt_dscnt 0x0
	s_delay_alu instid0(VALU_DEP_1)
	v_fma_f64 v[34:35], v[50:51], v[74:75], v[34:35]
.LBB243_19:                             ;   in Loop: Header=BB243_21 Depth=2
	s_or_b32 exec_lo, exec_lo, s47
	s_wait_loadcnt_dscnt 0x303
	v_fma_f64 v[32:33], v[44:45], v[52:53], v[32:33]
	s_wait_loadcnt_dscnt 0x202
	s_delay_alu instid0(VALU_DEP_1) | instskip(SKIP_1) | instid1(VALU_DEP_1)
	v_fma_f64 v[32:33], v[46:47], v[54:55], v[32:33]
	s_wait_loadcnt_dscnt 0x101
	v_fma_f64 v[32:33], v[48:49], v[56:57], v[32:33]
	s_wait_loadcnt_dscnt 0x0
	s_delay_alu instid0(VALU_DEP_1)
	v_fma_f64 v[32:33], v[50:51], v[58:59], v[32:33]
.LBB243_20:                             ;   in Loop: Header=BB243_21 Depth=2
	s_wait_alu 0xfffe
	s_or_b32 exec_lo, exec_lo, s7
	v_add_co_u32 v42, vcc_lo, v42, s38
	s_wait_alu 0xfffd
	v_add_co_ci_u32_e64 v43, null, s39, v43, vcc_lo
	v_add_co_u32 v89, vcc_lo, v89, s40
	v_add_nc_u32_e32 v88, 16, v88
	s_wait_alu 0xfffd
	v_add_co_ci_u32_e64 v90, null, s41, v90, vcc_lo
	v_add_co_u32 v91, vcc_lo, v91, s40
	s_wait_alu 0xfffd
	v_add_co_ci_u32_e64 v92, null, s41, v92, vcc_lo
	v_add_co_u32 v93, vcc_lo, v93, s40
	s_wait_alu 0xfffd
	v_add_co_ci_u32_e64 v94, null, s41, v94, vcc_lo
	v_cmp_le_i32_e32 vcc_lo, s42, v88
	v_add_co_u32 v95, s7, v95, s40
	s_wait_alu 0xf1ff
	v_add_co_ci_u32_e64 v96, null, s41, v96, s7
	s_or_b32 s46, vcc_lo, s46
	s_delay_alu instid0(SALU_CYCLE_1)
	s_and_not1_b32 exec_lo, exec_lo, s46
	s_cbranch_execz .LBB243_28
.LBB243_21:                             ;   Parent Loop BB243_4 Depth=1
                                        ; =>  This Inner Loop Header: Depth=2
	s_and_saveexec_b32 s7, s0
	s_cbranch_execz .LBB243_20
; %bb.22:                               ;   in Loop: Header=BB243_21 Depth=2
	v_add_co_u32 v44, vcc_lo, v42, v6
	s_wait_alu 0xfffd
	v_add_co_ci_u32_e64 v45, null, v43, v7, vcc_lo
	v_add_co_u32 v46, vcc_lo, v42, v20
	s_wait_alu 0xfffd
	v_add_co_ci_u32_e64 v47, null, v43, v21, vcc_lo
	;; [unrolled: 3-line block ×8, first 2 shown]
	s_clause 0x3
	flat_load_b64 v[44:45], v[44:45]
	flat_load_b64 v[46:47], v[46:47]
	flat_load_b64 v[48:49], v[48:49]
	flat_load_b64 v[50:51], v[50:51]
	flat_load_b64 v[52:53], v[60:61]
	flat_load_b64 v[54:55], v[62:63]
	flat_load_b64 v[56:57], v[64:65]
	flat_load_b64 v[58:59], v[66:67]
	s_and_saveexec_b32 s47, s1
	s_cbranch_execz .LBB243_19
; %bb.23:                               ;   in Loop: Header=BB243_21 Depth=2
	flat_load_b64 v[68:69], v[60:61] offset:512
	flat_load_b64 v[70:71], v[62:63] offset:512
	flat_load_b64 v[72:73], v[64:65] offset:512
	flat_load_b64 v[74:75], v[66:67] offset:512
	s_and_saveexec_b32 s48, s2
	s_cbranch_execz .LBB243_18
; %bb.24:                               ;   in Loop: Header=BB243_21 Depth=2
	flat_load_b64 v[76:77], v[60:61] offset:1024
	flat_load_b64 v[78:79], v[62:63] offset:1024
	flat_load_b64 v[80:81], v[64:65] offset:1024
	flat_load_b64 v[82:83], v[66:67] offset:1024
	;; [unrolled: 7-line block ×3, first 2 shown]
	s_wait_loadcnt_dscnt 0x303
	v_fma_f64 v[38:39], v[44:45], v[60:61], v[38:39]
	s_wait_loadcnt_dscnt 0x202
	s_delay_alu instid0(VALU_DEP_1) | instskip(SKIP_1) | instid1(VALU_DEP_1)
	v_fma_f64 v[38:39], v[46:47], v[62:63], v[38:39]
	s_wait_loadcnt_dscnt 0x101
	v_fma_f64 v[38:39], v[48:49], v[64:65], v[38:39]
	s_wait_loadcnt_dscnt 0x0
	s_delay_alu instid0(VALU_DEP_1)
	v_fma_f64 v[38:39], v[50:51], v[66:67], v[38:39]
	s_branch .LBB243_17
.LBB243_26:                             ;   in Loop: Header=BB243_4 Depth=1
	s_or_b32 exec_lo, exec_lo, s45
	s_wait_alu 0xfffe
	s_and_b32 vcc_lo, exec_lo, s7
	s_wait_alu 0xfffe
	s_cbranch_vccnz .LBB243_15
.LBB243_27:                             ;   in Loop: Header=BB243_4 Depth=1
	v_dual_mov_b32 v27, v3 :: v_dual_mov_b32 v26, v2
	s_wait_alu 0xfffe
	s_and_saveexec_b32 s7, s8
	s_cbranch_execz .LBB243_2
	s_branch .LBB243_54
.LBB243_28:                             ;   in Loop: Header=BB243_4 Depth=1
	s_or_b32 exec_lo, exec_lo, s46
.LBB243_29:                             ;   in Loop: Header=BB243_4 Depth=1
	s_delay_alu instid0(SALU_CYCLE_1) | instskip(NEXT) | instid1(SALU_CYCLE_1)
	s_or_b32 exec_lo, exec_lo, s45
	s_and_not1_b32 vcc_lo, exec_lo, s43
	s_wait_alu 0xfffe
	s_cbranch_vccnz .LBB243_47
; %bb.30:                               ;   in Loop: Header=BB243_4 Depth=1
	v_mov_b32_e32 v48, 0
	v_dual_mov_b32 v44, 0 :: v_dual_mov_b32 v49, 0
	v_dual_mov_b32 v46, 0 :: v_dual_mov_b32 v45, 0
	v_mov_b32_e32 v42, 0
	v_cmp_gt_i32_e32 vcc_lo, s9, v88
	v_mov_b32_e32 v47, 0
	v_mov_b32_e32 v43, 0
	v_or_b32_e32 v50, 1, v88
	s_and_saveexec_b32 s45, vcc_lo
	s_cbranch_execz .LBB243_38
; %bb.31:                               ;   in Loop: Header=BB243_4 Depth=1
	v_mad_co_u64_u32 v[42:43], null, s36, v88, 0
	v_mov_b32_e32 v48, 0
	v_mov_b32_e32 v49, 0
	s_mov_b32 s46, exec_lo
	v_mov_b32_e32 v46, 0
	v_mov_b32_e32 v47, 0
	v_mad_co_u64_u32 v[43:44], null, s37, v88, v[43:44]
	v_mov_b32_e32 v44, 0
	v_mov_b32_e32 v45, 0
	s_delay_alu instid0(VALU_DEP_3) | instskip(NEXT) | instid1(VALU_DEP_1)
	v_lshlrev_b64_e32 v[42:43], 3, v[42:43]
	v_add_co_u32 v42, s7, v40, v42
	s_wait_alu 0xf1ff
	s_delay_alu instid0(VALU_DEP_2)
	v_add_co_ci_u32_e64 v43, null, v41, v43, s7
	flat_load_b64 v[42:43], v[42:43]
	v_cmpx_gt_i32_e64 s9, v50
	s_cbranch_execz .LBB243_37
; %bb.32:                               ;   in Loop: Header=BB243_4 Depth=1
	v_mad_co_u64_u32 v[44:45], null, s36, v50, 0
	v_or_b32_e32 v51, 2, v88
	s_mov_b32 s47, exec_lo
	v_mov_b32_e32 v48, 0
	v_mov_b32_e32 v49, 0
	s_delay_alu instid0(VALU_DEP_4) | instskip(SKIP_2) | instid1(VALU_DEP_3)
	v_mad_co_u64_u32 v[45:46], null, s37, v50, v[45:46]
	v_mov_b32_e32 v46, 0
	v_mov_b32_e32 v47, 0
	v_lshlrev_b64_e32 v[44:45], 3, v[44:45]
	s_delay_alu instid0(VALU_DEP_1) | instskip(SKIP_1) | instid1(VALU_DEP_2)
	v_add_co_u32 v44, s7, v40, v44
	s_wait_alu 0xf1ff
	v_add_co_ci_u32_e64 v45, null, v41, v45, s7
	flat_load_b64 v[44:45], v[44:45]
	v_cmpx_gt_i32_e64 s9, v51
	s_cbranch_execz .LBB243_36
; %bb.33:                               ;   in Loop: Header=BB243_4 Depth=1
	v_mad_co_u64_u32 v[46:47], null, s36, v51, 0
	s_mov_b32 s48, exec_lo
	v_mad_co_u64_u32 v[47:48], null, s37, v51, v[47:48]
	v_mov_b32_e32 v48, 0
	v_or_b32_e32 v51, 3, v88
	v_mov_b32_e32 v49, 0
	s_delay_alu instid0(VALU_DEP_4) | instskip(NEXT) | instid1(VALU_DEP_1)
	v_lshlrev_b64_e32 v[46:47], 3, v[46:47]
	v_add_co_u32 v46, s7, v40, v46
	s_wait_alu 0xf1ff
	s_delay_alu instid0(VALU_DEP_2)
	v_add_co_ci_u32_e64 v47, null, v41, v47, s7
	flat_load_b64 v[46:47], v[46:47]
	v_cmpx_gt_i32_e64 s9, v51
	s_cbranch_execz .LBB243_35
; %bb.34:                               ;   in Loop: Header=BB243_4 Depth=1
	v_mad_co_u64_u32 v[48:49], null, s36, v51, 0
	s_delay_alu instid0(VALU_DEP_1) | instskip(NEXT) | instid1(VALU_DEP_1)
	v_mad_co_u64_u32 v[51:52], null, s37, v51, v[49:50]
	v_mov_b32_e32 v49, v51
	s_delay_alu instid0(VALU_DEP_1) | instskip(NEXT) | instid1(VALU_DEP_1)
	v_lshlrev_b64_e32 v[48:49], 3, v[48:49]
	v_add_co_u32 v40, s7, v40, v48
	s_wait_alu 0xf1ff
	s_delay_alu instid0(VALU_DEP_2)
	v_add_co_ci_u32_e64 v41, null, v41, v49, s7
	flat_load_b64 v[48:49], v[40:41]
.LBB243_35:                             ;   in Loop: Header=BB243_4 Depth=1
	s_or_b32 exec_lo, exec_lo, s48
.LBB243_36:                             ;   in Loop: Header=BB243_4 Depth=1
	s_delay_alu instid0(SALU_CYCLE_1)
	s_or_b32 exec_lo, exec_lo, s47
.LBB243_37:                             ;   in Loop: Header=BB243_4 Depth=1
	s_delay_alu instid0(SALU_CYCLE_1)
	s_or_b32 exec_lo, exec_lo, s46
.LBB243_38:                             ;   in Loop: Header=BB243_4 Depth=1
	s_delay_alu instid0(SALU_CYCLE_1)
	s_or_b32 exec_lo, exec_lo, s45
	s_and_saveexec_b32 s45, s0
	s_cbranch_execz .LBB243_46
; %bb.39:                               ;   in Loop: Header=BB243_4 Depth=1
	v_or_b32_e32 v59, 2, v88
	v_mad_co_u64_u32 v[40:41], null, s34, v88, 0
	v_mad_co_u64_u32 v[51:52], null, s34, v50, 0
	s_delay_alu instid0(VALU_DEP_3) | instskip(SKIP_4) | instid1(VALU_DEP_4)
	v_mad_co_u64_u32 v[53:54], null, s34, v59, 0
	v_cmp_gt_i32_e64 s7, s9, v50
	v_or_b32_e32 v61, 3, v88
	s_wait_loadcnt_dscnt 0x0
	v_mad_co_u64_u32 v[55:56], null, s35, v88, v[41:42]
	v_dual_mov_b32 v41, v54 :: v_dual_cndmask_b32 v54, 0, v40
	v_mad_co_u64_u32 v[56:57], null, s35, v50, v[52:53]
	s_wait_alu 0xf1ff
	v_cndmask_b32_e64 v40, 0, v51, s7
	s_delay_alu instid0(VALU_DEP_3)
	v_mad_co_u64_u32 v[50:51], null, s35, v59, v[41:42]
	v_cndmask_b32_e32 v55, 0, v55, vcc_lo
	v_cmp_gt_i32_e32 vcc_lo, s9, v59
	v_mad_co_u64_u32 v[57:58], null, s34, v61, 0
	v_cndmask_b32_e64 v41, 0, v56, s7
	s_wait_alu 0xfffd
	v_dual_cndmask_b32 v59, 0, v53 :: v_dual_cndmask_b32 v60, 0, v50
	v_lshlrev_b64_e32 v[51:52], 3, v[54:55]
	s_delay_alu instid0(VALU_DEP_3) | instskip(SKIP_1) | instid1(VALU_DEP_3)
	v_lshlrev_b64_e32 v[40:41], 3, v[40:41]
	v_mov_b32_e32 v53, v58
	v_add_co_u32 v51, s7, v30, v51
	s_wait_alu 0xf1ff
	s_delay_alu instid0(VALU_DEP_4) | instskip(NEXT) | instid1(VALU_DEP_2)
	v_add_co_ci_u32_e64 v52, null, v31, v52, s7
	v_add_co_u32 v54, vcc_lo, v51, v8
	s_wait_alu 0xfffd
	s_delay_alu instid0(VALU_DEP_2) | instskip(SKIP_1) | instid1(VALU_DEP_3)
	v_add_co_ci_u32_e64 v55, null, v52, v9, vcc_lo
	v_cmp_gt_i32_e32 vcc_lo, s9, v61
	v_mad_co_u64_u32 v[50:51], null, s35, v61, v[53:54]
	v_add_co_u32 v53, s7, v30, v40
	s_wait_alu 0xfffd
	v_cndmask_b32_e32 v51, 0, v57, vcc_lo
	s_wait_alu 0xf1ff
	v_add_co_ci_u32_e64 v58, null, v31, v41, s7
	s_delay_alu instid0(VALU_DEP_4)
	v_cndmask_b32_e32 v52, 0, v50, vcc_lo
	v_lshlrev_b64_e32 v[40:41], 3, v[59:60]
	v_add_co_u32 v56, vcc_lo, v53, v8
	s_wait_alu 0xfffd
	v_add_co_ci_u32_e64 v57, null, v58, v9, vcc_lo
	v_lshlrev_b64_e32 v[50:51], 3, v[51:52]
	s_delay_alu instid0(VALU_DEP_4) | instskip(SKIP_2) | instid1(VALU_DEP_3)
	v_add_co_u32 v40, vcc_lo, v30, v40
	s_wait_alu 0xfffd
	v_add_co_ci_u32_e64 v41, null, v31, v41, vcc_lo
	v_add_co_u32 v30, vcc_lo, v30, v50
	s_wait_alu 0xfffd
	v_add_co_ci_u32_e64 v31, null, v31, v51, vcc_lo
	;; [unrolled: 3-line block ×4, first 2 shown]
	s_clause 0x3
	flat_load_b64 v[30:31], v[54:55]
	flat_load_b64 v[40:41], v[56:57]
	;; [unrolled: 1-line block ×4, first 2 shown]
	s_and_saveexec_b32 s7, s1
	s_cbranch_execz .LBB243_45
; %bb.40:                               ;   in Loop: Header=BB243_4 Depth=1
	s_clause 0x3
	flat_load_b64 v[58:59], v[54:55] offset:512
	flat_load_b64 v[60:61], v[56:57] offset:512
	flat_load_b64 v[62:63], v[66:67] offset:512
	flat_load_b64 v[64:65], v[68:69] offset:512
	s_and_saveexec_b32 s46, s2
	s_cbranch_execz .LBB243_44
; %bb.41:                               ;   in Loop: Header=BB243_4 Depth=1
	s_clause 0x3
	flat_load_b64 v[70:71], v[54:55] offset:1024
	flat_load_b64 v[72:73], v[56:57] offset:1024
	flat_load_b64 v[74:75], v[66:67] offset:1024
	flat_load_b64 v[76:77], v[68:69] offset:1024
	;; [unrolled: 8-line block ×3, first 2 shown]
	s_wait_loadcnt_dscnt 0x303
	v_fma_f64 v[38:39], v[42:43], v[54:55], v[38:39]
	s_wait_loadcnt_dscnt 0x202
	s_delay_alu instid0(VALU_DEP_1) | instskip(SKIP_1) | instid1(VALU_DEP_1)
	v_fma_f64 v[38:39], v[44:45], v[56:57], v[38:39]
	s_wait_loadcnt_dscnt 0x101
	v_fma_f64 v[38:39], v[46:47], v[66:67], v[38:39]
	s_wait_loadcnt_dscnt 0x0
	s_delay_alu instid0(VALU_DEP_1)
	v_fma_f64 v[38:39], v[48:49], v[68:69], v[38:39]
.LBB243_43:                             ;   in Loop: Header=BB243_4 Depth=1
	s_or_b32 exec_lo, exec_lo, s47
	s_wait_loadcnt_dscnt 0x303
	v_fma_f64 v[36:37], v[42:43], v[70:71], v[36:37]
	s_wait_loadcnt_dscnt 0x202
	s_delay_alu instid0(VALU_DEP_1) | instskip(SKIP_1) | instid1(VALU_DEP_1)
	v_fma_f64 v[36:37], v[44:45], v[72:73], v[36:37]
	s_wait_loadcnt_dscnt 0x101
	v_fma_f64 v[36:37], v[46:47], v[74:75], v[36:37]
	s_wait_loadcnt_dscnt 0x0
	s_delay_alu instid0(VALU_DEP_1)
	v_fma_f64 v[36:37], v[48:49], v[76:77], v[36:37]
.LBB243_44:                             ;   in Loop: Header=BB243_4 Depth=1
	s_or_b32 exec_lo, exec_lo, s46
	s_wait_loadcnt_dscnt 0x303
	v_fma_f64 v[34:35], v[42:43], v[58:59], v[34:35]
	s_wait_loadcnt_dscnt 0x202
	s_delay_alu instid0(VALU_DEP_1) | instskip(SKIP_1) | instid1(VALU_DEP_1)
	v_fma_f64 v[34:35], v[44:45], v[60:61], v[34:35]
	s_wait_loadcnt_dscnt 0x101
	v_fma_f64 v[34:35], v[46:47], v[62:63], v[34:35]
	s_wait_loadcnt_dscnt 0x0
	s_delay_alu instid0(VALU_DEP_1)
	v_fma_f64 v[34:35], v[48:49], v[64:65], v[34:35]
.LBB243_45:                             ;   in Loop: Header=BB243_4 Depth=1
	s_wait_alu 0xfffe
	s_or_b32 exec_lo, exec_lo, s7
	s_wait_loadcnt_dscnt 0x303
	v_fma_f64 v[30:31], v[42:43], v[30:31], v[32:33]
	s_wait_loadcnt_dscnt 0x202
	s_delay_alu instid0(VALU_DEP_1) | instskip(SKIP_1) | instid1(VALU_DEP_1)
	v_fma_f64 v[30:31], v[44:45], v[40:41], v[30:31]
	s_wait_loadcnt_dscnt 0x101
	v_fma_f64 v[30:31], v[46:47], v[50:51], v[30:31]
	s_wait_loadcnt_dscnt 0x0
	s_delay_alu instid0(VALU_DEP_1)
	v_fma_f64 v[32:33], v[48:49], v[52:53], v[30:31]
.LBB243_46:                             ;   in Loop: Header=BB243_4 Depth=1
	s_or_b32 exec_lo, exec_lo, s45
.LBB243_47:                             ;   in Loop: Header=BB243_4 Depth=1
	ds_store_2addr_stride64_b64 v0, v[32:33], v[34:35] offset1:1
	ds_store_2addr_stride64_b64 v0, v[36:37], v[38:39] offset0:2 offset1:3
	s_wait_loadcnt_dscnt 0x0
	s_barrier_signal -1
	s_barrier_wait -1
	global_inv scope:SCOPE_SE
                                        ; implicit-def: $vgpr32_vgpr33
	s_and_saveexec_b32 s7, s5
	s_cbranch_execz .LBB243_53
; %bb.48:                               ;   in Loop: Header=BB243_4 Depth=1
	ds_load_2addr_stride64_b64 v[30:33], v85 offset1:4
	s_mov_b32 s46, s8
	s_wait_dscnt 0x0
	v_add_f64_e32 v[34:35], v[30:31], v[32:33]
	ds_load_2addr_stride64_b64 v[30:33], v85 offset0:8 offset1:12
	s_wait_dscnt 0x0
	v_add_f64_e32 v[30:31], v[30:31], v[34:35]
	s_delay_alu instid0(VALU_DEP_1)
	v_add_f64_e32 v[30:31], v[32:33], v[30:31]
                                        ; implicit-def: $vgpr32_vgpr33
	ds_store_b64 v85, v[30:31]
	s_and_saveexec_b32 s45, s6
	s_cbranch_execz .LBB243_52
; %bb.49:                               ;   in Loop: Header=BB243_4 Depth=1
	v_cmp_eq_f64_e32 vcc_lo, 0, v[26:27]
	v_mul_f64_e32 v[32:33], v[28:29], v[30:31]
	s_cbranch_vccnz .LBB243_51
; %bb.50:                               ;   in Loop: Header=BB243_4 Depth=1
	v_lshlrev_b64_e32 v[28:29], 3, v[4:5]
	s_delay_alu instid0(VALU_DEP_1) | instskip(SKIP_1) | instid1(VALU_DEP_2)
	v_add_co_u32 v28, vcc_lo, v86, v28
	s_wait_alu 0xfffd
	v_add_co_ci_u32_e64 v29, null, v87, v29, vcc_lo
	flat_load_b64 v[28:29], v[28:29]
	s_wait_loadcnt_dscnt 0x0
	v_fma_f64 v[32:33], v[26:27], v[28:29], v[32:33]
.LBB243_51:                             ;   in Loop: Header=BB243_4 Depth=1
	s_or_b32 s46, s8, exec_lo
.LBB243_52:                             ;   in Loop: Header=BB243_4 Depth=1
	s_or_b32 exec_lo, exec_lo, s45
	s_delay_alu instid0(SALU_CYCLE_1)
	s_and_not1_b32 s8, s8, exec_lo
	s_and_b32 s45, s46, exec_lo
	s_wait_alu 0xfffe
	s_or_b32 s8, s8, s45
.LBB243_53:                             ;   in Loop: Header=BB243_4 Depth=1
	s_wait_alu 0xfffe
	s_or_b32 exec_lo, exec_lo, s7
	v_dual_mov_b32 v27, v5 :: v_dual_mov_b32 v26, v4
	s_and_saveexec_b32 s7, s8
	s_cbranch_execz .LBB243_2
.LBB243_54:                             ;   in Loop: Header=BB243_4 Depth=1
	s_delay_alu instid0(VALU_DEP_1) | instskip(NEXT) | instid1(VALU_DEP_1)
	v_lshlrev_b64_e32 v[26:27], 3, v[26:27]
	v_add_co_u32 v26, vcc_lo, v86, v26
	s_wait_alu 0xfffd
	s_delay_alu instid0(VALU_DEP_2)
	v_add_co_ci_u32_e64 v27, null, v87, v27, vcc_lo
	flat_store_b64 v[26:27], v[32:33]
	s_branch .LBB243_2
.LBB243_55:
	s_nop 0
	s_sendmsg sendmsg(MSG_DEALLOC_VGPRS)
	s_endpgm
	.section	.rodata,"a",@progbits
	.p2align	6, 0x0
	.amdhsa_kernel _ZL20rocblas_gemvn_kernelILi64ELi4ElPKdS1_KPdEviiT3_lPKT2_lT1_lS7_lS8_lS4_lPT4_lS8_li
		.amdhsa_group_segment_fixed_size 8192
		.amdhsa_private_segment_fixed_size 0
		.amdhsa_kernarg_size 400
		.amdhsa_user_sgpr_count 2
		.amdhsa_user_sgpr_dispatch_ptr 0
		.amdhsa_user_sgpr_queue_ptr 0
		.amdhsa_user_sgpr_kernarg_segment_ptr 1
		.amdhsa_user_sgpr_dispatch_id 0
		.amdhsa_user_sgpr_private_segment_size 0
		.amdhsa_wavefront_size32 1
		.amdhsa_uses_dynamic_stack 0
		.amdhsa_enable_private_segment 0
		.amdhsa_system_sgpr_workgroup_id_x 1
		.amdhsa_system_sgpr_workgroup_id_y 0
		.amdhsa_system_sgpr_workgroup_id_z 1
		.amdhsa_system_sgpr_workgroup_info 0
		.amdhsa_system_vgpr_workitem_id 1
		.amdhsa_next_free_vgpr 97
		.amdhsa_next_free_sgpr 50
		.amdhsa_reserve_vcc 1
		.amdhsa_float_round_mode_32 0
		.amdhsa_float_round_mode_16_64 0
		.amdhsa_float_denorm_mode_32 3
		.amdhsa_float_denorm_mode_16_64 3
		.amdhsa_fp16_overflow 0
		.amdhsa_workgroup_processor_mode 1
		.amdhsa_memory_ordered 1
		.amdhsa_forward_progress 1
		.amdhsa_inst_pref_size 30
		.amdhsa_round_robin_scheduling 0
		.amdhsa_exception_fp_ieee_invalid_op 0
		.amdhsa_exception_fp_denorm_src 0
		.amdhsa_exception_fp_ieee_div_zero 0
		.amdhsa_exception_fp_ieee_overflow 0
		.amdhsa_exception_fp_ieee_underflow 0
		.amdhsa_exception_fp_ieee_inexact 0
		.amdhsa_exception_int_div_zero 0
	.end_amdhsa_kernel
	.section	.text._ZL20rocblas_gemvn_kernelILi64ELi4ElPKdS1_KPdEviiT3_lPKT2_lT1_lS7_lS8_lS4_lPT4_lS8_li,"axG",@progbits,_ZL20rocblas_gemvn_kernelILi64ELi4ElPKdS1_KPdEviiT3_lPKT2_lT1_lS7_lS8_lS4_lPT4_lS8_li,comdat
.Lfunc_end243:
	.size	_ZL20rocblas_gemvn_kernelILi64ELi4ElPKdS1_KPdEviiT3_lPKT2_lT1_lS7_lS8_lS4_lPT4_lS8_li, .Lfunc_end243-_ZL20rocblas_gemvn_kernelILi64ELi4ElPKdS1_KPdEviiT3_lPKT2_lT1_lS7_lS8_lS4_lPT4_lS8_li
                                        ; -- End function
	.set _ZL20rocblas_gemvn_kernelILi64ELi4ElPKdS1_KPdEviiT3_lPKT2_lT1_lS7_lS8_lS4_lPT4_lS8_li.num_vgpr, 97
	.set _ZL20rocblas_gemvn_kernelILi64ELi4ElPKdS1_KPdEviiT3_lPKT2_lT1_lS7_lS8_lS4_lPT4_lS8_li.num_agpr, 0
	.set _ZL20rocblas_gemvn_kernelILi64ELi4ElPKdS1_KPdEviiT3_lPKT2_lT1_lS7_lS8_lS4_lPT4_lS8_li.numbered_sgpr, 50
	.set _ZL20rocblas_gemvn_kernelILi64ELi4ElPKdS1_KPdEviiT3_lPKT2_lT1_lS7_lS8_lS4_lPT4_lS8_li.num_named_barrier, 0
	.set _ZL20rocblas_gemvn_kernelILi64ELi4ElPKdS1_KPdEviiT3_lPKT2_lT1_lS7_lS8_lS4_lPT4_lS8_li.private_seg_size, 0
	.set _ZL20rocblas_gemvn_kernelILi64ELi4ElPKdS1_KPdEviiT3_lPKT2_lT1_lS7_lS8_lS4_lPT4_lS8_li.uses_vcc, 1
	.set _ZL20rocblas_gemvn_kernelILi64ELi4ElPKdS1_KPdEviiT3_lPKT2_lT1_lS7_lS8_lS4_lPT4_lS8_li.uses_flat_scratch, 1
	.set _ZL20rocblas_gemvn_kernelILi64ELi4ElPKdS1_KPdEviiT3_lPKT2_lT1_lS7_lS8_lS4_lPT4_lS8_li.has_dyn_sized_stack, 0
	.set _ZL20rocblas_gemvn_kernelILi64ELi4ElPKdS1_KPdEviiT3_lPKT2_lT1_lS7_lS8_lS4_lPT4_lS8_li.has_recursion, 0
	.set _ZL20rocblas_gemvn_kernelILi64ELi4ElPKdS1_KPdEviiT3_lPKT2_lT1_lS7_lS8_lS4_lPT4_lS8_li.has_indirect_call, 0
	.section	.AMDGPU.csdata,"",@progbits
; Kernel info:
; codeLenInByte = 3744
; TotalNumSgprs: 52
; NumVgprs: 97
; ScratchSize: 0
; MemoryBound: 1
; FloatMode: 240
; IeeeMode: 1
; LDSByteSize: 8192 bytes/workgroup (compile time only)
; SGPRBlocks: 0
; VGPRBlocks: 12
; NumSGPRsForWavesPerEU: 52
; NumVGPRsForWavesPerEU: 97
; Occupancy: 12
; WaveLimiterHint : 1
; COMPUTE_PGM_RSRC2:SCRATCH_EN: 0
; COMPUTE_PGM_RSRC2:USER_SGPR: 2
; COMPUTE_PGM_RSRC2:TRAP_HANDLER: 0
; COMPUTE_PGM_RSRC2:TGID_X_EN: 1
; COMPUTE_PGM_RSRC2:TGID_Y_EN: 0
; COMPUTE_PGM_RSRC2:TGID_Z_EN: 1
; COMPUTE_PGM_RSRC2:TIDIG_COMP_CNT: 1
	.section	.text._ZL20rocblas_gemvn_kernelILi64ELi4EiPKddKPdEviiT3_lPKT2_lT1_lS7_lS8_lS4_lPT4_lS8_li,"axG",@progbits,_ZL20rocblas_gemvn_kernelILi64ELi4EiPKddKPdEviiT3_lPKT2_lT1_lS7_lS8_lS4_lPT4_lS8_li,comdat
	.globl	_ZL20rocblas_gemvn_kernelILi64ELi4EiPKddKPdEviiT3_lPKT2_lT1_lS7_lS8_lS4_lPT4_lS8_li ; -- Begin function _ZL20rocblas_gemvn_kernelILi64ELi4EiPKddKPdEviiT3_lPKT2_lT1_lS7_lS8_lS4_lPT4_lS8_li
	.p2align	8
	.type	_ZL20rocblas_gemvn_kernelILi64ELi4EiPKddKPdEviiT3_lPKT2_lT1_lS7_lS8_lS4_lPT4_lS8_li,@function
_ZL20rocblas_gemvn_kernelILi64ELi4EiPKddKPdEviiT3_lPKT2_lT1_lS7_lS8_lS4_lPT4_lS8_li: ; @_ZL20rocblas_gemvn_kernelILi64ELi4EiPKddKPdEviiT3_lPKT2_lT1_lS7_lS8_lS4_lPT4_lS8_li
; %bb.0:
	s_clause 0x1
	s_load_b64 s[2:3], s[0:1], 0x9c
	s_load_b32 s29, s[0:1], 0x88
	s_lshr_b32 s24, ttmp7, 16
	s_wait_kmcnt 0x0
	s_lshr_b32 s4, s2, 16
	s_and_b32 s2, s2, 0xffff
	s_and_b32 s3, s3, 0xffff
	s_mul_i32 s2, s4, s2
	s_delay_alu instid0(SALU_CYCLE_1) | instskip(NEXT) | instid1(SALU_CYCLE_1)
	s_mul_i32 s2, s2, s3
	s_cmp_lg_u32 s2, 0x100
	s_cselect_b32 s2, -1, 0
	s_cmp_ge_u32 s24, s29
	s_cselect_b32 s3, -1, 0
	s_delay_alu instid0(SALU_CYCLE_1) | instskip(NEXT) | instid1(SALU_CYCLE_1)
	s_or_b32 s2, s2, s3
	s_and_b32 vcc_lo, exec_lo, s2
	s_cbranch_vccnz .LBB244_59
; %bb.1:
	s_clause 0x7
	s_load_b64 s[26:27], s[0:1], 0x58
	s_load_b128 s[8:11], s[0:1], 0x0
	s_load_b32 s30, s[0:1], 0x28
	s_load_b128 s[12:15], s[0:1], 0x38
	s_load_b32 s28, s[0:1], 0x48
	s_load_b128 s[16:19], s[0:1], 0x18
	s_load_b128 s[20:23], s[0:1], 0x68
	s_load_b32 s33, s[0:1], 0x78
	v_and_b32_e32 v9, 0x3ff, v0
	v_bfe_u32 v8, v0, 10, 10
	s_lshl_b32 s31, ttmp9, 8
	v_mov_b32_e32 v1, 0
	s_mov_b32 s25, 0
	v_or_b32_e32 v63, s31, v9
	v_lshl_add_u32 v2, v8, 6, v9
	v_lshlrev_b32_e32 v3, 3, v9
	v_lshlrev_b32_e32 v64, 2, v8
	s_delay_alu instid0(VALU_DEP_4) | instskip(NEXT) | instid1(VALU_DEP_4)
	v_add_nc_u32_e32 v4, 64, v63
	v_add_nc_u32_e32 v0, s31, v2
	v_or_b32_e32 v7, s31, v2
	s_wait_kmcnt 0x0
	v_cmp_neq_f64_e64 s34, s[26:27], 1.0
	v_cmp_neq_f64_e64 s35, s[10:11], 0
	v_cmp_eq_f64_e64 s38, s[10:11], 0
	v_cmp_neq_f64_e64 s39, s[26:27], 0
	v_lshl_add_u32 v65, v8, 11, v3
	v_cmp_gt_u32_e64 s0, 0x100, v2
	v_lshl_add_u32 v66, v8, 9, v3
	v_mad_co_u64_u32 v[2:3], null, s33, v0, 0
	v_cmp_gt_i32_e64 s2, s8, v4
	v_mul_lo_u32 v4, s33, v7
	v_add_nc_u32_e32 v6, 0xc0, v63
	s_ashr_i32 s36, s33, 31
	v_cmp_gt_i32_e64 s5, s8, v7
	v_mul_lo_u32 v12, s30, v64
	v_add_nc_u32_e32 v5, 0x80, v63
	v_cmp_gt_i32_e64 s4, s8, v6
	v_mul_lo_u32 v13, v8, s30
	v_mad_co_u64_u32 v[6:7], null, s36, v0, v[3:4]
	v_or_b32_e32 v10, 2, v64
	s_ashr_i32 s7, s8, 31
	s_mov_b32 s6, s8
	v_or_b32_e32 v11, 3, v64
	s_ashr_i32 s37, s9, 31
	v_cmp_gt_i32_e64 s1, s8, v63
	s_delay_alu instid0(VALU_DEP_4)
	v_mov_b32_e32 v3, v6
	v_cmp_gt_i64_e32 vcc_lo, s[6:7], v[0:1]
	v_add3_u32 v0, v12, s30, v9
	v_mul_lo_u32 v12, v8, s28
	v_cmp_gt_i32_e64 s3, s8, v5
	s_wait_alu 0xfffe
	s_lshr_b32 s8, s37, 28
	v_mad_co_u64_u32 v[6:7], null, s30, v10, v[9:10]
	s_wait_alu 0xfffe
	s_add_co_i32 s8, s9, s8
	v_mad_co_u64_u32 v[7:8], null, s30, v11, v[9:10]
	s_wait_alu 0xfffe
	s_and_b32 s8, s8, -16
	v_lshl_add_u32 v68, v13, 2, v9
	v_mad_co_u64_u32 v[8:9], null, s28, v64, s[28:29]
	v_mul_lo_u32 v69, s28, v10
	v_mul_lo_u32 v70, s28, v11
	s_wait_alu 0xfffe
	s_sub_co_i32 s7, s9, s8
	v_lshlrev_b64_e32 v[9:10], 3, v[2:3]
	v_cndmask_b32_e64 v67, 0, 1, s35
	v_cmp_gt_i32_e64 s6, s8, v64
	v_ashrrev_i32_e32 v5, 31, v4
	s_or_b32 s33, s35, s34
	v_lshlrev_b32_e32 v71, 2, v12
	s_wait_alu 0xfffe
	s_cmp_gt_i32 s7, 0
	s_cselect_b32 s34, -1, 0
	s_and_b32 s35, s0, vcc_lo
	s_lshl_b32 s36, s30, 4
	s_lshl_b32 s37, s28, 4
	s_lshl_b64 s[18:19], s[18:19], 3
	s_lshl_b64 s[14:15], s[14:15], 3
	;; [unrolled: 1-line block ×3, first 2 shown]
	s_branch .LBB244_4
.LBB244_2:                              ;   in Loop: Header=BB244_4 Depth=1
	s_wait_alu 0xfffe
	s_or_b32 exec_lo, exec_lo, s7
.LBB244_3:                              ;   in Loop: Header=BB244_4 Depth=1
	s_add_co_i32 s24, s24, 0x10000
	s_delay_alu instid0(SALU_CYCLE_1)
	s_cmp_lt_u32 s24, s29
	s_cbranch_scc0 .LBB244_59
.LBB244_4:                              ; =>This Loop Header: Depth=1
                                        ;     Child Loop BB244_27 Depth 2
	s_and_not1_b32 vcc_lo, exec_lo, s33
	s_wait_alu 0xfffe
	s_cbranch_vccnz .LBB244_3
; %bb.5:                                ;   in Loop: Header=BB244_4 Depth=1
	s_and_not1_b32 vcc_lo, exec_lo, s38
	s_wait_alu 0xfffe
	s_cbranch_vccnz .LBB244_7
; %bb.6:                                ;   in Loop: Header=BB244_4 Depth=1
	s_mov_b32 s7, 0
	s_branch .LBB244_8
.LBB244_7:                              ;   in Loop: Header=BB244_4 Depth=1
	s_mov_b32 s7, -1
.LBB244_8:                              ;   in Loop: Header=BB244_4 Depth=1
	v_mov_b32_e32 v21, 0
	v_dual_mov_b32 v22, 0 :: v_dual_mov_b32 v13, 0
	v_mov_b32_e32 v14, 0
	s_wait_alu 0xfffe
	s_and_not1_b32 vcc_lo, exec_lo, s7
	s_wait_alu 0xfffe
	s_cbranch_vccnz .LBB244_10
; %bb.9:                                ;   in Loop: Header=BB244_4 Depth=1
	s_lshl_b64 s[40:41], s[24:25], 3
	s_delay_alu instid0(SALU_CYCLE_1)
	s_add_nc_u64 s[40:41], s[16:17], s[40:41]
	global_load_b64 v[11:12], v1, s[40:41]
	s_wait_loadcnt 0x0
	v_add_co_u32 v13, vcc_lo, v11, s18
	s_wait_alu 0xfffd
	v_add_co_ci_u32_e64 v14, null, s19, v12, vcc_lo
.LBB244_10:                             ;   in Loop: Header=BB244_4 Depth=1
	v_cmp_ne_u32_e32 vcc_lo, 1, v67
	s_cbranch_vccnz .LBB244_12
; %bb.11:                               ;   in Loop: Header=BB244_4 Depth=1
	s_lshl_b64 s[40:41], s[24:25], 3
	s_delay_alu instid0(SALU_CYCLE_1)
	s_add_nc_u64 s[40:41], s[12:13], s[40:41]
	global_load_b64 v[11:12], v1, s[40:41]
	s_wait_loadcnt 0x0
	v_add_co_u32 v21, vcc_lo, v11, s14
	s_wait_alu 0xfffd
	v_add_co_ci_u32_e64 v22, null, s15, v12, vcc_lo
.LBB244_12:                             ;   in Loop: Header=BB244_4 Depth=1
	s_lshl_b64 s[40:41], s[24:25], 3
	s_delay_alu instid0(SALU_CYCLE_1)
	s_add_nc_u64 s[40:41], s[20:21], s[40:41]
	global_load_b64 v[11:12], v1, s[40:41]
	s_wait_loadcnt 0x0
	v_add_co_u32 v72, vcc_lo, v11, s22
	s_wait_alu 0xfffd
	v_add_co_ci_u32_e64 v73, null, s23, v12, vcc_lo
	s_and_not1_b32 vcc_lo, exec_lo, s38
	s_wait_alu 0xfffe
	s_cbranch_vccnz .LBB244_16
; %bb.13:                               ;   in Loop: Header=BB244_4 Depth=1
	s_mov_b32 s7, 0
	s_mov_b32 s40, 0
                                        ; implicit-def: $vgpr11_vgpr12
	s_and_saveexec_b32 s41, s35
	s_cbranch_execz .LBB244_17
; %bb.14:                               ;   in Loop: Header=BB244_4 Depth=1
	s_and_not1_b32 vcc_lo, exec_lo, s39
	s_wait_alu 0xfffe
	s_cbranch_vccnz .LBB244_19
; %bb.15:                               ;   in Loop: Header=BB244_4 Depth=1
	v_add_co_u32 v11, vcc_lo, v72, v9
	s_wait_alu 0xfffd
	v_add_co_ci_u32_e64 v12, null, v73, v10, vcc_lo
	flat_load_b64 v[11:12], v[11:12]
	s_wait_loadcnt_dscnt 0x0
	v_mul_f64_e32 v[11:12], s[26:27], v[11:12]
	s_branch .LBB244_20
.LBB244_16:                             ;   in Loop: Header=BB244_4 Depth=1
	s_mov_b32 s40, 0
                                        ; implicit-def: $vgpr11_vgpr12
	s_cbranch_execz .LBB244_18
	s_branch .LBB244_21
.LBB244_17:                             ;   in Loop: Header=BB244_4 Depth=1
	s_or_b32 exec_lo, exec_lo, s41
	s_wait_alu 0xfffe
	s_and_b32 vcc_lo, exec_lo, s7
	s_wait_alu 0xfffe
	s_cbranch_vccnz .LBB244_21
.LBB244_18:                             ;   in Loop: Header=BB244_4 Depth=1
	v_dual_mov_b32 v14, v3 :: v_dual_mov_b32 v13, v2
	s_and_saveexec_b32 s7, s40
	s_cbranch_execz .LBB244_2
	s_branch .LBB244_58
.LBB244_19:                             ;   in Loop: Header=BB244_4 Depth=1
	v_mov_b32_e32 v11, 0
	v_mov_b32_e32 v12, 0
.LBB244_20:                             ;   in Loop: Header=BB244_4 Depth=1
	s_mov_b32 s40, exec_lo
	s_or_b32 exec_lo, exec_lo, s41
	s_delay_alu instid0(SALU_CYCLE_1)
	s_and_b32 vcc_lo, exec_lo, s7
	s_wait_alu 0xfffe
	s_cbranch_vccz .LBB244_18
.LBB244_21:                             ;   in Loop: Header=BB244_4 Depth=1
	v_mov_b32_e32 v11, 0
	v_dual_mov_b32 v17, 0 :: v_dual_mov_b32 v12, 0
	v_dual_mov_b32 v15, 0 :: v_dual_mov_b32 v18, 0
	;; [unrolled: 1-line block ×3, first 2 shown]
	v_mov_b32_e32 v20, 0
	v_mov_b32_e32 v74, v64
	s_and_saveexec_b32 s7, s6
	s_cbranch_execz .LBB244_33
; %bb.22:                               ;   in Loop: Header=BB244_4 Depth=1
	v_mov_b32_e32 v15, 0
	v_dual_mov_b32 v11, 0 :: v_dual_mov_b32 v76, v7
	v_dual_mov_b32 v16, 0 :: v_dual_mov_b32 v17, 0
	v_dual_mov_b32 v19, 0 :: v_dual_mov_b32 v74, v64
	v_dual_mov_b32 v12, 0 :: v_dual_mov_b32 v75, v68
	v_dual_mov_b32 v77, v6 :: v_dual_mov_b32 v78, v0
	v_mov_b32_e32 v18, 0
	v_mov_b32_e32 v20, 0
	s_mov_b32 s41, 0
	s_mov_b32 s42, 0
	s_branch .LBB244_27
.LBB244_23:                             ;   in Loop: Header=BB244_27 Depth=2
	s_or_b32 exec_lo, exec_lo, s46
	s_wait_loadcnt_dscnt 0x303
	v_fma_f64 v[17:18], v[23:24], v[55:56], v[17:18]
	s_wait_loadcnt_dscnt 0x202
	s_delay_alu instid0(VALU_DEP_1) | instskip(SKIP_1) | instid1(VALU_DEP_1)
	v_fma_f64 v[17:18], v[25:26], v[57:58], v[17:18]
	s_wait_loadcnt_dscnt 0x101
	v_fma_f64 v[17:18], v[27:28], v[59:60], v[17:18]
	s_wait_loadcnt_dscnt 0x0
	s_delay_alu instid0(VALU_DEP_1)
	v_fma_f64 v[17:18], v[29:30], v[61:62], v[17:18]
.LBB244_24:                             ;   in Loop: Header=BB244_27 Depth=2
	s_or_b32 exec_lo, exec_lo, s45
	s_wait_loadcnt_dscnt 0x303
	v_fma_f64 v[15:16], v[23:24], v[47:48], v[15:16]
	s_wait_loadcnt_dscnt 0x202
	s_delay_alu instid0(VALU_DEP_1) | instskip(SKIP_1) | instid1(VALU_DEP_1)
	v_fma_f64 v[15:16], v[25:26], v[49:50], v[15:16]
	s_wait_loadcnt_dscnt 0x101
	v_fma_f64 v[15:16], v[27:28], v[51:52], v[15:16]
	s_wait_loadcnt_dscnt 0x0
	s_delay_alu instid0(VALU_DEP_1)
	v_fma_f64 v[15:16], v[29:30], v[53:54], v[15:16]
.LBB244_25:                             ;   in Loop: Header=BB244_27 Depth=2
	s_or_b32 exec_lo, exec_lo, s44
	s_wait_loadcnt_dscnt 0x303
	v_fma_f64 v[11:12], v[23:24], v[31:32], v[11:12]
	s_wait_loadcnt_dscnt 0x202
	s_delay_alu instid0(VALU_DEP_1) | instskip(SKIP_1) | instid1(VALU_DEP_1)
	v_fma_f64 v[11:12], v[25:26], v[33:34], v[11:12]
	s_wait_loadcnt_dscnt 0x101
	v_fma_f64 v[11:12], v[27:28], v[35:36], v[11:12]
	s_wait_loadcnt_dscnt 0x0
	s_delay_alu instid0(VALU_DEP_1)
	v_fma_f64 v[11:12], v[29:30], v[37:38], v[11:12]
.LBB244_26:                             ;   in Loop: Header=BB244_27 Depth=2
	s_wait_alu 0xfffe
	s_or_b32 exec_lo, exec_lo, s43
	v_add_nc_u32_e32 v74, 16, v74
	v_add_nc_u32_e32 v78, s36, v78
	;; [unrolled: 1-line block ×5, first 2 shown]
	v_cmp_le_i32_e32 vcc_lo, s8, v74
	s_add_co_i32 s42, s42, s37
	s_or_b32 s41, vcc_lo, s41
	s_delay_alu instid0(SALU_CYCLE_1)
	s_and_not1_b32 exec_lo, exec_lo, s41
	s_cbranch_execz .LBB244_32
.LBB244_27:                             ;   Parent Loop BB244_4 Depth=1
                                        ; =>  This Inner Loop Header: Depth=2
	s_and_saveexec_b32 s43, s1
	s_cbranch_execz .LBB244_26
; %bb.28:                               ;   in Loop: Header=BB244_27 Depth=2
	s_wait_alu 0xfffe
	v_add_nc_u32_e32 v23, s42, v71
	v_add_nc_u32_e32 v25, s42, v8
	;; [unrolled: 1-line block ×5, first 2 shown]
	v_ashrrev_i32_e32 v24, 31, v23
	v_ashrrev_i32_e32 v26, 31, v25
	;; [unrolled: 1-line block ×3, first 2 shown]
	v_add_nc_u32_e32 v33, s31, v78
	v_ashrrev_i32_e32 v30, 31, v29
	v_lshlrev_b64_e32 v[23:24], 3, v[23:24]
	v_lshlrev_b64_e32 v[25:26], 3, v[25:26]
	v_ashrrev_i32_e32 v32, 31, v31
	v_lshlrev_b64_e32 v[27:28], 3, v[27:28]
	v_ashrrev_i32_e32 v34, 31, v33
	v_lshlrev_b64_e32 v[29:30], 3, v[29:30]
	v_add_co_u32 v23, vcc_lo, v21, v23
	v_add_nc_u32_e32 v35, s31, v77
	s_wait_alu 0xfffd
	v_add_co_ci_u32_e64 v24, null, v22, v24, vcc_lo
	v_add_co_u32 v25, vcc_lo, v21, v25
	v_lshlrev_b64_e32 v[31:32], 3, v[31:32]
	v_add_nc_u32_e32 v37, s31, v76
	s_wait_alu 0xfffd
	v_add_co_ci_u32_e64 v26, null, v22, v26, vcc_lo
	v_add_co_u32 v27, vcc_lo, v21, v27
	v_lshlrev_b64_e32 v[33:34], 3, v[33:34]
	v_ashrrev_i32_e32 v36, 31, v35
	s_wait_alu 0xfffd
	v_add_co_ci_u32_e64 v28, null, v22, v28, vcc_lo
	v_add_co_u32 v29, vcc_lo, v21, v29
	v_ashrrev_i32_e32 v38, 31, v37
	s_wait_alu 0xfffd
	v_add_co_ci_u32_e64 v30, null, v22, v30, vcc_lo
	v_add_co_u32 v39, vcc_lo, v13, v31
	s_wait_alu 0xfffd
	v_add_co_ci_u32_e64 v40, null, v14, v32, vcc_lo
	v_lshlrev_b64_e32 v[31:32], 3, v[35:36]
	v_add_co_u32 v41, vcc_lo, v13, v33
	s_wait_alu 0xfffd
	v_add_co_ci_u32_e64 v42, null, v14, v34, vcc_lo
	v_lshlrev_b64_e32 v[33:34], 3, v[37:38]
	s_delay_alu instid0(VALU_DEP_4) | instskip(SKIP_2) | instid1(VALU_DEP_3)
	v_add_co_u32 v43, vcc_lo, v13, v31
	s_wait_alu 0xfffd
	v_add_co_ci_u32_e64 v44, null, v14, v32, vcc_lo
	v_add_co_u32 v45, vcc_lo, v13, v33
	s_wait_alu 0xfffd
	v_add_co_ci_u32_e64 v46, null, v14, v34, vcc_lo
	s_clause 0x3
	flat_load_b64 v[23:24], v[23:24]
	flat_load_b64 v[25:26], v[25:26]
	;; [unrolled: 1-line block ×4, first 2 shown]
	s_clause 0x3
	flat_load_b64 v[31:32], v[39:40]
	flat_load_b64 v[33:34], v[41:42]
	;; [unrolled: 1-line block ×4, first 2 shown]
	s_and_saveexec_b32 s44, s2
	s_cbranch_execz .LBB244_25
; %bb.29:                               ;   in Loop: Header=BB244_27 Depth=2
	s_clause 0x3
	flat_load_b64 v[47:48], v[39:40] offset:512
	flat_load_b64 v[49:50], v[41:42] offset:512
	flat_load_b64 v[51:52], v[43:44] offset:512
	flat_load_b64 v[53:54], v[45:46] offset:512
	s_and_saveexec_b32 s45, s3
	s_cbranch_execz .LBB244_24
; %bb.30:                               ;   in Loop: Header=BB244_27 Depth=2
	s_clause 0x3
	flat_load_b64 v[55:56], v[39:40] offset:1024
	flat_load_b64 v[57:58], v[41:42] offset:1024
	flat_load_b64 v[59:60], v[43:44] offset:1024
	flat_load_b64 v[61:62], v[45:46] offset:1024
	;; [unrolled: 8-line block ×3, first 2 shown]
	s_wait_loadcnt_dscnt 0x303
	v_fma_f64 v[19:20], v[23:24], v[39:40], v[19:20]
	s_wait_loadcnt_dscnt 0x202
	s_delay_alu instid0(VALU_DEP_1) | instskip(SKIP_1) | instid1(VALU_DEP_1)
	v_fma_f64 v[19:20], v[25:26], v[41:42], v[19:20]
	s_wait_loadcnt_dscnt 0x101
	v_fma_f64 v[19:20], v[27:28], v[43:44], v[19:20]
	s_wait_loadcnt_dscnt 0x0
	s_delay_alu instid0(VALU_DEP_1)
	v_fma_f64 v[19:20], v[29:30], v[45:46], v[19:20]
	s_branch .LBB244_23
.LBB244_32:                             ;   in Loop: Header=BB244_4 Depth=1
	s_or_b32 exec_lo, exec_lo, s41
.LBB244_33:                             ;   in Loop: Header=BB244_4 Depth=1
	s_wait_alu 0xfffe
	s_or_b32 exec_lo, exec_lo, s7
	s_delay_alu instid0(SALU_CYCLE_1)
	s_and_not1_b32 vcc_lo, exec_lo, s34
	s_wait_alu 0xfffe
	s_cbranch_vccnz .LBB244_51
; %bb.34:                               ;   in Loop: Header=BB244_4 Depth=1
	v_mov_b32_e32 v29, 0
	v_dual_mov_b32 v25, 0 :: v_dual_mov_b32 v30, 0
	v_dual_mov_b32 v27, 0 :: v_dual_mov_b32 v26, 0
	v_mov_b32_e32 v23, 0
	v_cmp_gt_i32_e32 vcc_lo, s9, v74
	v_mov_b32_e32 v28, 0
	v_mov_b32_e32 v24, 0
	v_or_b32_e32 v31, 1, v74
	s_and_saveexec_b32 s41, vcc_lo
	s_cbranch_execz .LBB244_42
; %bb.35:                               ;   in Loop: Header=BB244_4 Depth=1
	v_mul_lo_u32 v23, v74, s28
	v_mov_b32_e32 v25, 0
	v_dual_mov_b32 v26, 0 :: v_dual_mov_b32 v27, 0
	v_dual_mov_b32 v29, 0 :: v_dual_mov_b32 v28, 0
	v_mov_b32_e32 v30, 0
	s_mov_b32 s42, exec_lo
	v_ashrrev_i32_e32 v24, 31, v23
	s_delay_alu instid0(VALU_DEP_1) | instskip(NEXT) | instid1(VALU_DEP_1)
	v_lshlrev_b64_e32 v[23:24], 3, v[23:24]
	v_add_co_u32 v23, s7, v21, v23
	s_wait_alu 0xf1ff
	s_delay_alu instid0(VALU_DEP_2)
	v_add_co_ci_u32_e64 v24, null, v22, v24, s7
	flat_load_b64 v[23:24], v[23:24]
	v_cmpx_gt_i32_e64 s9, v31
	s_cbranch_execz .LBB244_41
; %bb.36:                               ;   in Loop: Header=BB244_4 Depth=1
	v_mul_lo_u32 v25, v31, s28
	v_mov_b32_e32 v27, 0
	v_dual_mov_b32 v28, 0 :: v_dual_mov_b32 v29, 0
	v_or_b32_e32 v32, 2, v74
	v_mov_b32_e32 v30, 0
	s_mov_b32 s43, exec_lo
	v_ashrrev_i32_e32 v26, 31, v25
	s_delay_alu instid0(VALU_DEP_1) | instskip(NEXT) | instid1(VALU_DEP_1)
	v_lshlrev_b64_e32 v[25:26], 3, v[25:26]
	v_add_co_u32 v25, s7, v21, v25
	s_wait_alu 0xf1ff
	s_delay_alu instid0(VALU_DEP_2)
	v_add_co_ci_u32_e64 v26, null, v22, v26, s7
	flat_load_b64 v[25:26], v[25:26]
	v_cmpx_gt_i32_e64 s9, v32
	s_cbranch_execz .LBB244_40
; %bb.37:                               ;   in Loop: Header=BB244_4 Depth=1
	v_mul_lo_u32 v27, v32, s28
	v_mov_b32_e32 v29, 0
	v_or_b32_e32 v32, 3, v74
	v_mov_b32_e32 v30, 0
	s_mov_b32 s44, exec_lo
	s_delay_alu instid0(VALU_DEP_4) | instskip(NEXT) | instid1(VALU_DEP_1)
	v_ashrrev_i32_e32 v28, 31, v27
	v_lshlrev_b64_e32 v[27:28], 3, v[27:28]
	s_delay_alu instid0(VALU_DEP_1) | instskip(SKIP_1) | instid1(VALU_DEP_2)
	v_add_co_u32 v27, s7, v21, v27
	s_wait_alu 0xf1ff
	v_add_co_ci_u32_e64 v28, null, v22, v28, s7
	flat_load_b64 v[27:28], v[27:28]
	v_cmpx_gt_i32_e64 s9, v32
	s_cbranch_execz .LBB244_39
; %bb.38:                               ;   in Loop: Header=BB244_4 Depth=1
	v_mul_lo_u32 v29, v32, s28
	s_delay_alu instid0(VALU_DEP_1) | instskip(NEXT) | instid1(VALU_DEP_1)
	v_ashrrev_i32_e32 v30, 31, v29
	v_lshlrev_b64_e32 v[29:30], 3, v[29:30]
	s_delay_alu instid0(VALU_DEP_1) | instskip(SKIP_1) | instid1(VALU_DEP_2)
	v_add_co_u32 v21, s7, v21, v29
	s_wait_alu 0xf1ff
	v_add_co_ci_u32_e64 v22, null, v22, v30, s7
	flat_load_b64 v[29:30], v[21:22]
.LBB244_39:                             ;   in Loop: Header=BB244_4 Depth=1
	s_or_b32 exec_lo, exec_lo, s44
.LBB244_40:                             ;   in Loop: Header=BB244_4 Depth=1
	s_wait_alu 0xfffe
	s_or_b32 exec_lo, exec_lo, s43
.LBB244_41:                             ;   in Loop: Header=BB244_4 Depth=1
	s_wait_alu 0xfffe
	s_or_b32 exec_lo, exec_lo, s42
.LBB244_42:                             ;   in Loop: Header=BB244_4 Depth=1
	s_delay_alu instid0(SALU_CYCLE_1)
	s_or_b32 exec_lo, exec_lo, s41
	s_and_saveexec_b32 s7, s1
	s_cbranch_execz .LBB244_50
; %bb.43:                               ;   in Loop: Header=BB244_4 Depth=1
	v_mul_lo_u32 v22, v74, s30
	v_or_b32_e32 v21, 2, v74
	v_mul_lo_u32 v33, v31, s30
	v_or_b32_e32 v32, 3, v74
	s_delay_alu instid0(VALU_DEP_3) | instskip(NEXT) | instid1(VALU_DEP_2)
	v_mul_lo_u32 v34, v21, s30
	v_mul_lo_u32 v35, v32, s30
	v_cndmask_b32_e32 v22, 0, v22, vcc_lo
	v_cmp_gt_i32_e32 vcc_lo, s9, v31
	s_wait_alu 0xfffd
	v_cndmask_b32_e32 v31, 0, v33, vcc_lo
	v_cmp_gt_i32_e32 vcc_lo, s9, v21
	v_add_nc_u32_e32 v21, v22, v63
	s_delay_alu instid0(VALU_DEP_3)
	v_add_nc_u32_e32 v31, v31, v63
	s_wait_alu 0xfffd
	v_cndmask_b32_e32 v33, 0, v34, vcc_lo
	v_cmp_gt_i32_e32 vcc_lo, s9, v32
	v_ashrrev_i32_e32 v22, 31, v21
	s_wait_alu 0xfffd
	v_cndmask_b32_e32 v32, 0, v35, vcc_lo
	v_add_nc_u32_e32 v33, v33, v63
	s_delay_alu instid0(VALU_DEP_3) | instskip(NEXT) | instid1(VALU_DEP_3)
	v_lshlrev_b64_e32 v[21:22], 3, v[21:22]
	v_add_nc_u32_e32 v35, v32, v63
	v_ashrrev_i32_e32 v32, 31, v31
	s_delay_alu instid0(VALU_DEP_4) | instskip(NEXT) | instid1(VALU_DEP_4)
	v_ashrrev_i32_e32 v34, 31, v33
	v_add_co_u32 v43, vcc_lo, v13, v21
	s_delay_alu instid0(VALU_DEP_4) | instskip(NEXT) | instid1(VALU_DEP_4)
	v_ashrrev_i32_e32 v36, 31, v35
	v_lshlrev_b64_e32 v[31:32], 3, v[31:32]
	s_delay_alu instid0(VALU_DEP_4) | instskip(SKIP_3) | instid1(VALU_DEP_4)
	v_lshlrev_b64_e32 v[33:34], 3, v[33:34]
	s_wait_alu 0xfffd
	v_add_co_ci_u32_e64 v44, null, v14, v22, vcc_lo
	v_lshlrev_b64_e32 v[35:36], 3, v[35:36]
	v_add_co_u32 v45, vcc_lo, v13, v31
	s_wait_alu 0xfffd
	v_add_co_ci_u32_e64 v46, null, v14, v32, vcc_lo
	v_add_co_u32 v47, vcc_lo, v13, v33
	s_wait_alu 0xfffd
	v_add_co_ci_u32_e64 v48, null, v14, v34, vcc_lo
	;; [unrolled: 3-line block ×3, first 2 shown]
	s_clause 0x3
	flat_load_b64 v[13:14], v[43:44]
	flat_load_b64 v[21:22], v[45:46]
	;; [unrolled: 1-line block ×4, first 2 shown]
	s_and_saveexec_b32 s41, s2
	s_cbranch_execz .LBB244_49
; %bb.44:                               ;   in Loop: Header=BB244_4 Depth=1
	s_clause 0x3
	flat_load_b64 v[35:36], v[43:44] offset:512
	flat_load_b64 v[37:38], v[45:46] offset:512
	flat_load_b64 v[39:40], v[47:48] offset:512
	flat_load_b64 v[41:42], v[49:50] offset:512
	s_and_saveexec_b32 s42, s3
	s_cbranch_execz .LBB244_48
; %bb.45:                               ;   in Loop: Header=BB244_4 Depth=1
	s_clause 0x3
	flat_load_b64 v[51:52], v[43:44] offset:1024
	flat_load_b64 v[53:54], v[45:46] offset:1024
	flat_load_b64 v[55:56], v[47:48] offset:1024
	flat_load_b64 v[57:58], v[49:50] offset:1024
	;; [unrolled: 8-line block ×3, first 2 shown]
	s_wait_loadcnt_dscnt 0x303
	v_fma_f64 v[19:20], v[23:24], v[43:44], v[19:20]
	s_wait_loadcnt_dscnt 0x202
	s_delay_alu instid0(VALU_DEP_1) | instskip(SKIP_1) | instid1(VALU_DEP_1)
	v_fma_f64 v[19:20], v[25:26], v[45:46], v[19:20]
	s_wait_loadcnt_dscnt 0x101
	v_fma_f64 v[19:20], v[27:28], v[47:48], v[19:20]
	s_wait_loadcnt_dscnt 0x0
	s_delay_alu instid0(VALU_DEP_1)
	v_fma_f64 v[19:20], v[29:30], v[49:50], v[19:20]
.LBB244_47:                             ;   in Loop: Header=BB244_4 Depth=1
	s_wait_alu 0xfffe
	s_or_b32 exec_lo, exec_lo, s43
	s_wait_loadcnt_dscnt 0x303
	v_fma_f64 v[17:18], v[23:24], v[51:52], v[17:18]
	s_wait_loadcnt_dscnt 0x202
	s_delay_alu instid0(VALU_DEP_1) | instskip(SKIP_1) | instid1(VALU_DEP_1)
	v_fma_f64 v[17:18], v[25:26], v[53:54], v[17:18]
	s_wait_loadcnt_dscnt 0x101
	v_fma_f64 v[17:18], v[27:28], v[55:56], v[17:18]
	s_wait_loadcnt_dscnt 0x0
	s_delay_alu instid0(VALU_DEP_1)
	v_fma_f64 v[17:18], v[29:30], v[57:58], v[17:18]
.LBB244_48:                             ;   in Loop: Header=BB244_4 Depth=1
	s_wait_alu 0xfffe
	s_or_b32 exec_lo, exec_lo, s42
	s_wait_loadcnt_dscnt 0x303
	v_fma_f64 v[15:16], v[23:24], v[35:36], v[15:16]
	s_wait_loadcnt_dscnt 0x202
	s_delay_alu instid0(VALU_DEP_1) | instskip(SKIP_1) | instid1(VALU_DEP_1)
	v_fma_f64 v[15:16], v[25:26], v[37:38], v[15:16]
	s_wait_loadcnt_dscnt 0x101
	v_fma_f64 v[15:16], v[27:28], v[39:40], v[15:16]
	s_wait_loadcnt_dscnt 0x0
	s_delay_alu instid0(VALU_DEP_1)
	v_fma_f64 v[15:16], v[29:30], v[41:42], v[15:16]
.LBB244_49:                             ;   in Loop: Header=BB244_4 Depth=1
	s_or_b32 exec_lo, exec_lo, s41
	s_wait_loadcnt_dscnt 0x303
	v_fma_f64 v[11:12], v[23:24], v[13:14], v[11:12]
	s_wait_loadcnt_dscnt 0x202
	s_delay_alu instid0(VALU_DEP_1) | instskip(SKIP_1) | instid1(VALU_DEP_1)
	v_fma_f64 v[11:12], v[25:26], v[21:22], v[11:12]
	s_wait_loadcnt_dscnt 0x101
	v_fma_f64 v[11:12], v[27:28], v[31:32], v[11:12]
	s_wait_loadcnt_dscnt 0x0
	s_delay_alu instid0(VALU_DEP_1)
	v_fma_f64 v[11:12], v[29:30], v[33:34], v[11:12]
.LBB244_50:                             ;   in Loop: Header=BB244_4 Depth=1
	s_wait_alu 0xfffe
	s_or_b32 exec_lo, exec_lo, s7
.LBB244_51:                             ;   in Loop: Header=BB244_4 Depth=1
	ds_store_2addr_stride64_b64 v65, v[11:12], v[15:16] offset1:1
	ds_store_2addr_stride64_b64 v65, v[17:18], v[19:20] offset0:2 offset1:3
	s_wait_loadcnt_dscnt 0x0
	s_barrier_signal -1
	s_barrier_wait -1
	global_inv scope:SCOPE_SE
                                        ; implicit-def: $vgpr11_vgpr12
	s_and_saveexec_b32 s7, s0
	s_cbranch_execz .LBB244_57
; %bb.52:                               ;   in Loop: Header=BB244_4 Depth=1
	ds_load_2addr_stride64_b64 v[11:14], v66 offset1:4
	s_mov_b32 s42, s40
	s_wait_dscnt 0x0
	v_add_f64_e32 v[15:16], v[11:12], v[13:14]
	ds_load_2addr_stride64_b64 v[11:14], v66 offset0:8 offset1:12
	s_wait_dscnt 0x0
	v_add_f64_e32 v[11:12], v[11:12], v[15:16]
	s_delay_alu instid0(VALU_DEP_1)
	v_add_f64_e32 v[13:14], v[13:14], v[11:12]
                                        ; implicit-def: $vgpr11_vgpr12
	ds_store_b64 v66, v[13:14]
	s_and_saveexec_b32 s41, s5
	s_cbranch_execz .LBB244_56
; %bb.53:                               ;   in Loop: Header=BB244_4 Depth=1
	v_mul_f64_e32 v[11:12], s[10:11], v[13:14]
	s_and_not1_b32 vcc_lo, exec_lo, s39
	s_wait_alu 0xfffe
	s_cbranch_vccnz .LBB244_55
; %bb.54:                               ;   in Loop: Header=BB244_4 Depth=1
	v_lshlrev_b64_e32 v[13:14], 3, v[4:5]
	s_delay_alu instid0(VALU_DEP_1) | instskip(SKIP_1) | instid1(VALU_DEP_2)
	v_add_co_u32 v13, vcc_lo, v72, v13
	s_wait_alu 0xfffd
	v_add_co_ci_u32_e64 v14, null, v73, v14, vcc_lo
	flat_load_b64 v[13:14], v[13:14]
	s_wait_loadcnt_dscnt 0x0
	v_fma_f64 v[11:12], s[26:27], v[13:14], v[11:12]
.LBB244_55:                             ;   in Loop: Header=BB244_4 Depth=1
	s_or_b32 s42, s40, exec_lo
.LBB244_56:                             ;   in Loop: Header=BB244_4 Depth=1
	s_or_b32 exec_lo, exec_lo, s41
	s_delay_alu instid0(SALU_CYCLE_1) | instskip(SKIP_2) | instid1(SALU_CYCLE_1)
	s_and_not1_b32 s40, s40, exec_lo
	s_wait_alu 0xfffe
	s_and_b32 s41, s42, exec_lo
	s_or_b32 s40, s40, s41
.LBB244_57:                             ;   in Loop: Header=BB244_4 Depth=1
	s_wait_alu 0xfffe
	s_or_b32 exec_lo, exec_lo, s7
	v_dual_mov_b32 v14, v5 :: v_dual_mov_b32 v13, v4
	s_and_saveexec_b32 s7, s40
	s_cbranch_execz .LBB244_2
.LBB244_58:                             ;   in Loop: Header=BB244_4 Depth=1
	s_delay_alu instid0(VALU_DEP_1) | instskip(NEXT) | instid1(VALU_DEP_1)
	v_lshlrev_b64_e32 v[13:14], 3, v[13:14]
	v_add_co_u32 v13, vcc_lo, v72, v13
	s_wait_alu 0xfffd
	s_delay_alu instid0(VALU_DEP_2)
	v_add_co_ci_u32_e64 v14, null, v73, v14, vcc_lo
	flat_store_b64 v[13:14], v[11:12]
	s_branch .LBB244_2
.LBB244_59:
	s_endpgm
	.section	.rodata,"a",@progbits
	.p2align	6, 0x0
	.amdhsa_kernel _ZL20rocblas_gemvn_kernelILi64ELi4EiPKddKPdEviiT3_lPKT2_lT1_lS7_lS8_lS4_lPT4_lS8_li
		.amdhsa_group_segment_fixed_size 8192
		.amdhsa_private_segment_fixed_size 0
		.amdhsa_kernarg_size 400
		.amdhsa_user_sgpr_count 2
		.amdhsa_user_sgpr_dispatch_ptr 0
		.amdhsa_user_sgpr_queue_ptr 0
		.amdhsa_user_sgpr_kernarg_segment_ptr 1
		.amdhsa_user_sgpr_dispatch_id 0
		.amdhsa_user_sgpr_private_segment_size 0
		.amdhsa_wavefront_size32 1
		.amdhsa_uses_dynamic_stack 0
		.amdhsa_enable_private_segment 0
		.amdhsa_system_sgpr_workgroup_id_x 1
		.amdhsa_system_sgpr_workgroup_id_y 0
		.amdhsa_system_sgpr_workgroup_id_z 1
		.amdhsa_system_sgpr_workgroup_info 0
		.amdhsa_system_vgpr_workitem_id 1
		.amdhsa_next_free_vgpr 79
		.amdhsa_next_free_sgpr 47
		.amdhsa_reserve_vcc 1
		.amdhsa_float_round_mode_32 0
		.amdhsa_float_round_mode_16_64 0
		.amdhsa_float_denorm_mode_32 3
		.amdhsa_float_denorm_mode_16_64 3
		.amdhsa_fp16_overflow 0
		.amdhsa_workgroup_processor_mode 1
		.amdhsa_memory_ordered 1
		.amdhsa_forward_progress 1
		.amdhsa_inst_pref_size 27
		.amdhsa_round_robin_scheduling 0
		.amdhsa_exception_fp_ieee_invalid_op 0
		.amdhsa_exception_fp_denorm_src 0
		.amdhsa_exception_fp_ieee_div_zero 0
		.amdhsa_exception_fp_ieee_overflow 0
		.amdhsa_exception_fp_ieee_underflow 0
		.amdhsa_exception_fp_ieee_inexact 0
		.amdhsa_exception_int_div_zero 0
	.end_amdhsa_kernel
	.section	.text._ZL20rocblas_gemvn_kernelILi64ELi4EiPKddKPdEviiT3_lPKT2_lT1_lS7_lS8_lS4_lPT4_lS8_li,"axG",@progbits,_ZL20rocblas_gemvn_kernelILi64ELi4EiPKddKPdEviiT3_lPKT2_lT1_lS7_lS8_lS4_lPT4_lS8_li,comdat
.Lfunc_end244:
	.size	_ZL20rocblas_gemvn_kernelILi64ELi4EiPKddKPdEviiT3_lPKT2_lT1_lS7_lS8_lS4_lPT4_lS8_li, .Lfunc_end244-_ZL20rocblas_gemvn_kernelILi64ELi4EiPKddKPdEviiT3_lPKT2_lT1_lS7_lS8_lS4_lPT4_lS8_li
                                        ; -- End function
	.set _ZL20rocblas_gemvn_kernelILi64ELi4EiPKddKPdEviiT3_lPKT2_lT1_lS7_lS8_lS4_lPT4_lS8_li.num_vgpr, 79
	.set _ZL20rocblas_gemvn_kernelILi64ELi4EiPKddKPdEviiT3_lPKT2_lT1_lS7_lS8_lS4_lPT4_lS8_li.num_agpr, 0
	.set _ZL20rocblas_gemvn_kernelILi64ELi4EiPKddKPdEviiT3_lPKT2_lT1_lS7_lS8_lS4_lPT4_lS8_li.numbered_sgpr, 47
	.set _ZL20rocblas_gemvn_kernelILi64ELi4EiPKddKPdEviiT3_lPKT2_lT1_lS7_lS8_lS4_lPT4_lS8_li.num_named_barrier, 0
	.set _ZL20rocblas_gemvn_kernelILi64ELi4EiPKddKPdEviiT3_lPKT2_lT1_lS7_lS8_lS4_lPT4_lS8_li.private_seg_size, 0
	.set _ZL20rocblas_gemvn_kernelILi64ELi4EiPKddKPdEviiT3_lPKT2_lT1_lS7_lS8_lS4_lPT4_lS8_li.uses_vcc, 1
	.set _ZL20rocblas_gemvn_kernelILi64ELi4EiPKddKPdEviiT3_lPKT2_lT1_lS7_lS8_lS4_lPT4_lS8_li.uses_flat_scratch, 1
	.set _ZL20rocblas_gemvn_kernelILi64ELi4EiPKddKPdEviiT3_lPKT2_lT1_lS7_lS8_lS4_lPT4_lS8_li.has_dyn_sized_stack, 0
	.set _ZL20rocblas_gemvn_kernelILi64ELi4EiPKddKPdEviiT3_lPKT2_lT1_lS7_lS8_lS4_lPT4_lS8_li.has_recursion, 0
	.set _ZL20rocblas_gemvn_kernelILi64ELi4EiPKddKPdEviiT3_lPKT2_lT1_lS7_lS8_lS4_lPT4_lS8_li.has_indirect_call, 0
	.section	.AMDGPU.csdata,"",@progbits
; Kernel info:
; codeLenInByte = 3400
; TotalNumSgprs: 49
; NumVgprs: 79
; ScratchSize: 0
; MemoryBound: 0
; FloatMode: 240
; IeeeMode: 1
; LDSByteSize: 8192 bytes/workgroup (compile time only)
; SGPRBlocks: 0
; VGPRBlocks: 9
; NumSGPRsForWavesPerEU: 49
; NumVGPRsForWavesPerEU: 79
; Occupancy: 16
; WaveLimiterHint : 1
; COMPUTE_PGM_RSRC2:SCRATCH_EN: 0
; COMPUTE_PGM_RSRC2:USER_SGPR: 2
; COMPUTE_PGM_RSRC2:TRAP_HANDLER: 0
; COMPUTE_PGM_RSRC2:TGID_X_EN: 1
; COMPUTE_PGM_RSRC2:TGID_Y_EN: 0
; COMPUTE_PGM_RSRC2:TGID_Z_EN: 1
; COMPUTE_PGM_RSRC2:TIDIG_COMP_CNT: 1
	.section	.text._ZL20rocblas_gemvn_kernelILi64ELi4ElPKddKPdEviiT3_lPKT2_lT1_lS7_lS8_lS4_lPT4_lS8_li,"axG",@progbits,_ZL20rocblas_gemvn_kernelILi64ELi4ElPKddKPdEviiT3_lPKT2_lT1_lS7_lS8_lS4_lPT4_lS8_li,comdat
	.globl	_ZL20rocblas_gemvn_kernelILi64ELi4ElPKddKPdEviiT3_lPKT2_lT1_lS7_lS8_lS4_lPT4_lS8_li ; -- Begin function _ZL20rocblas_gemvn_kernelILi64ELi4ElPKddKPdEviiT3_lPKT2_lT1_lS7_lS8_lS4_lPT4_lS8_li
	.p2align	8
	.type	_ZL20rocblas_gemvn_kernelILi64ELi4ElPKddKPdEviiT3_lPKT2_lT1_lS7_lS8_lS4_lPT4_lS8_li,@function
_ZL20rocblas_gemvn_kernelILi64ELi4ElPKddKPdEviiT3_lPKT2_lT1_lS7_lS8_lS4_lPT4_lS8_li: ; @_ZL20rocblas_gemvn_kernelILi64ELi4ElPKddKPdEviiT3_lPKT2_lT1_lS7_lS8_lS4_lPT4_lS8_li
; %bb.0:
	s_clause 0x1
	s_load_b64 s[2:3], s[0:1], 0x9c
	s_load_b32 s33, s[0:1], 0x88
	s_lshr_b32 s24, ttmp7, 16
	s_wait_kmcnt 0x0
	s_lshr_b32 s4, s2, 16
	s_and_b32 s2, s2, 0xffff
	s_and_b32 s3, s3, 0xffff
	s_mul_i32 s2, s4, s2
	s_delay_alu instid0(SALU_CYCLE_1) | instskip(NEXT) | instid1(SALU_CYCLE_1)
	s_mul_i32 s2, s2, s3
	s_cmp_lg_u32 s2, 0x100
	s_cselect_b32 s2, -1, 0
	s_cmp_ge_u32 s24, s33
	s_cselect_b32 s3, -1, 0
	s_delay_alu instid0(SALU_CYCLE_1) | instskip(NEXT) | instid1(SALU_CYCLE_1)
	s_or_b32 s2, s2, s3
	s_and_b32 vcc_lo, exec_lo, s2
	s_cbranch_vccnz .LBB245_59
; %bb.1:
	s_clause 0x5
	s_load_b64 s[26:27], s[0:1], 0x58
	s_load_b128 s[8:11], s[0:1], 0x0
	s_load_b64 s[28:29], s[0:1], 0x48
	s_load_b128 s[12:15], s[0:1], 0x18
	;; [unrolled: 2-line block ×3, first 2 shown]
	v_dual_mov_b32 v1, 0 :: v_dual_and_b32 v2, 0x3ff, v0
	s_clause 0x1
	s_load_b64 s[6:7], s[0:1], 0x78
	s_load_b128 s[20:23], s[0:1], 0x68
	s_lshl_b32 s36, ttmp9, 8
	v_bfe_u32 v26, v0, 10, 10
	v_or_b32_e32 v8, s36, v2
	v_lshlrev_b32_e32 v16, 3, v2
	s_mov_b32 s25, 0
	s_delay_alu instid0(VALU_DEP_3) | instskip(NEXT) | instid1(VALU_DEP_3)
	v_lshl_add_u32 v3, v26, 6, v2
	v_add_nc_u32_e32 v6, 0xc0, v8
	v_add_nc_u32_e32 v4, 64, v8
	v_ashrrev_i32_e32 v9, 31, v8
	s_delay_alu instid0(VALU_DEP_4)
	v_add_nc_u32_e32 v0, s36, v3
	s_wait_kmcnt 0x0
	v_cmp_neq_f64_e64 s37, s[26:27], 1.0
	v_cmp_neq_f64_e64 s39, s[10:11], 0
	v_or_b32_e32 v17, s36, v3
	v_cmp_gt_i32_e64 s4, s8, v6
	v_mad_co_u64_u32 v[6:7], null, s28, v26, 0
	v_add_nc_u32_e32 v5, 0x80, v8
	v_cmp_gt_u32_e64 s0, 0x100, v3
	v_mad_co_u64_u32 v[2:3], null, s6, v0, 0
	v_cmp_gt_i32_e64 s2, s8, v4
	s_delay_alu instid0(VALU_DEP_4)
	v_cmp_gt_i32_e64 s3, s8, v5
	v_mad_co_u64_u32 v[4:5], null, s6, v17, 0
	s_ashr_i32 s35, s8, 31
	s_mov_b32 s34, s8
	s_ashr_i32 s5, s9, 31
	v_cmp_gt_i64_e32 vcc_lo, s[34:35], v[0:1]
	s_lshr_b32 s5, s5, 28
	v_mul_lo_u32 v19, s7, v17
	v_mad_co_u64_u32 v[14:15], null, s7, v0, v[3:4]
	v_lshlrev_b32_e32 v80, 2, v26
	v_mov_b32_e32 v0, v7
	s_add_co_i32 s5, s9, s5
	v_cmp_eq_f64_e64 s41, s[10:11], 0
	s_and_b32 s38, s5, -16
	v_cmp_neq_f64_e64 s42, s[26:27], 0
	v_mov_b32_e32 v3, v14
	v_or_b32_e32 v18, 3, v80
	v_mad_co_u64_u32 v[14:15], null, s29, v26, v[0:1]
	s_sub_co_i32 s7, s9, s38
	v_or_b32_e32 v29, 2, v80
	v_mad_co_u64_u32 v[10:11], null, s30, v18, 0
	v_mad_co_u64_u32 v[12:13], null, s28, v18, 0
	v_mov_b32_e32 v7, v14
	v_cndmask_b32_e64 v82, 0, 1, s39
	s_or_b32 s39, s39, s37
	s_wait_alu 0xfffe
	s_cmp_gt_i32 s7, 0
	v_lshl_add_u32 v81, v26, 11, v16
	s_cselect_b32 s40, -1, 0
	v_mad_co_u64_u32 v[14:15], null, s31, v18, v[11:12]
	s_ashr_i32 s7, s36, 31
	v_lshl_add_u32 v0, v26, 9, v16
	s_wait_alu 0xfffe
	s_mul_i32 s7, s6, s7
	v_cmp_gt_i32_e64 s6, s8, v17
	s_wait_alu 0xfffe
	v_add3_u32 v5, v5, s7, v19
	v_mad_co_u64_u32 v[20:21], null, s28, v29, 0
	v_mad_co_u64_u32 v[15:16], null, s29, v18, v[13:14]
	v_mad_co_u64_u32 v[16:17], null, s30, v26, 0
	v_mad_co_u64_u32 v[18:19], null, s30, v29, 0
	v_mad_co_u64_u32 v[22:23], null, s28, v80, s[28:29]
	v_mad_co_u64_u32 v[24:25], null, s30, v80, s[30:31]
	v_mov_b32_e32 v11, v14
	v_dual_mov_b32 v13, v15 :: v_dual_mov_b32 v14, v17
	v_mov_b32_e32 v15, v19
	v_cmp_gt_i32_e64 s1, s8, v8
	v_lshlrev_b64_e32 v[6:7], 5, v[6:7]
	v_mov_b32_e32 v17, v25
	v_lshlrev_b64_e32 v[8:9], 3, v[8:9]
	v_mad_co_u64_u32 v[26:27], null, s31, v26, v[14:15]
	v_mov_b32_e32 v14, v21
	v_mad_co_u64_u32 v[27:28], null, s31, v29, v[15:16]
	v_mov_b32_e32 v15, v23
	v_lshlrev_b64_e32 v[10:11], 3, v[10:11]
	v_lshlrev_b64_e32 v[12:13], 3, v[12:13]
	v_cmp_gt_i32_e64 s5, s38, v80
	s_and_b32 s8, s0, vcc_lo
	v_mad_co_u64_u32 v[28:29], null, s29, v29, v[14:15]
	v_mad_co_u64_u32 v[14:15], null, s29, v80, v[15:16]
	;; [unrolled: 1-line block ×3, first 2 shown]
	v_mov_b32_e32 v17, v26
	v_mov_b32_e32 v19, v27
	;; [unrolled: 1-line block ×3, first 2 shown]
	s_lshl_b64 s[34:35], s[28:29], 7
	v_mov_b32_e32 v23, v14
	v_lshlrev_b64_e32 v[14:15], 5, v[16:17]
	v_mov_b32_e32 v25, v29
	v_lshlrev_b64_e32 v[16:17], 3, v[18:19]
	v_lshlrev_b64_e32 v[18:19], 3, v[20:21]
	;; [unrolled: 1-line block ×3, first 2 shown]
	s_lshl_b64 s[36:37], s[30:31], 7
	v_lshlrev_b64_e32 v[22:23], 3, v[24:25]
	v_lshlrev_b64_e32 v[24:25], 3, v[2:3]
	s_lshl_b64 s[14:15], s[14:15], 3
	s_lshl_b64 s[18:19], s[18:19], 3
	;; [unrolled: 1-line block ×3, first 2 shown]
	s_branch .LBB245_4
.LBB245_2:                              ;   in Loop: Header=BB245_4 Depth=1
	s_wait_alu 0xfffe
	s_or_b32 exec_lo, exec_lo, s7
.LBB245_3:                              ;   in Loop: Header=BB245_4 Depth=1
	s_add_co_i32 s24, s24, 0x10000
	s_delay_alu instid0(SALU_CYCLE_1)
	s_cmp_lt_u32 s24, s33
	s_cbranch_scc0 .LBB245_59
.LBB245_4:                              ; =>This Loop Header: Depth=1
                                        ;     Child Loop BB245_27 Depth 2
	s_and_not1_b32 vcc_lo, exec_lo, s39
	s_wait_alu 0xfffe
	s_cbranch_vccnz .LBB245_3
; %bb.5:                                ;   in Loop: Header=BB245_4 Depth=1
	s_and_not1_b32 vcc_lo, exec_lo, s41
	s_wait_alu 0xfffe
	s_cbranch_vccnz .LBB245_7
; %bb.6:                                ;   in Loop: Header=BB245_4 Depth=1
	s_mov_b32 s7, 0
	s_branch .LBB245_8
.LBB245_7:                              ;   in Loop: Header=BB245_4 Depth=1
	s_mov_b32 s7, -1
.LBB245_8:                              ;   in Loop: Header=BB245_4 Depth=1
	v_mov_b32_e32 v36, 0
	v_dual_mov_b32 v37, 0 :: v_dual_mov_b32 v26, 0
	v_mov_b32_e32 v27, 0
	s_wait_alu 0xfffe
	s_and_not1_b32 vcc_lo, exec_lo, s7
	s_wait_alu 0xfffe
	s_cbranch_vccnz .LBB245_10
; %bb.9:                                ;   in Loop: Header=BB245_4 Depth=1
	s_lshl_b64 s[44:45], s[24:25], 3
	s_delay_alu instid0(SALU_CYCLE_1)
	s_add_nc_u64 s[44:45], s[12:13], s[44:45]
	global_load_b64 v[26:27], v1, s[44:45]
	s_wait_loadcnt 0x0
	v_add_co_u32 v26, vcc_lo, v26, s14
	s_wait_alu 0xfffd
	v_add_co_ci_u32_e64 v27, null, s15, v27, vcc_lo
.LBB245_10:                             ;   in Loop: Header=BB245_4 Depth=1
	v_cmp_ne_u32_e32 vcc_lo, 1, v82
	s_cbranch_vccnz .LBB245_12
; %bb.11:                               ;   in Loop: Header=BB245_4 Depth=1
	s_lshl_b64 s[44:45], s[24:25], 3
	s_delay_alu instid0(SALU_CYCLE_1)
	s_add_nc_u64 s[44:45], s[16:17], s[44:45]
	global_load_b64 v[28:29], v1, s[44:45]
	s_wait_loadcnt 0x0
	v_add_co_u32 v36, vcc_lo, v28, s18
	s_wait_alu 0xfffd
	v_add_co_ci_u32_e64 v37, null, s19, v29, vcc_lo
.LBB245_12:                             ;   in Loop: Header=BB245_4 Depth=1
	s_lshl_b64 s[44:45], s[24:25], 3
	s_delay_alu instid0(SALU_CYCLE_1)
	s_add_nc_u64 s[44:45], s[20:21], s[44:45]
	global_load_b64 v[28:29], v1, s[44:45]
	s_wait_loadcnt 0x0
	v_add_co_u32 v83, vcc_lo, v28, s22
	s_wait_alu 0xfffd
	v_add_co_ci_u32_e64 v84, null, s23, v29, vcc_lo
	s_and_not1_b32 vcc_lo, exec_lo, s41
	s_wait_alu 0xfffe
	s_cbranch_vccnz .LBB245_16
; %bb.13:                               ;   in Loop: Header=BB245_4 Depth=1
	s_mov_b32 s7, 0
	s_mov_b32 s43, 0
                                        ; implicit-def: $vgpr28_vgpr29
	s_and_saveexec_b32 s44, s8
	s_cbranch_execz .LBB245_17
; %bb.14:                               ;   in Loop: Header=BB245_4 Depth=1
	s_and_not1_b32 vcc_lo, exec_lo, s42
	s_wait_alu 0xfffe
	s_cbranch_vccnz .LBB245_19
; %bb.15:                               ;   in Loop: Header=BB245_4 Depth=1
	v_add_co_u32 v28, vcc_lo, v83, v24
	s_wait_alu 0xfffd
	v_add_co_ci_u32_e64 v29, null, v84, v25, vcc_lo
	flat_load_b64 v[28:29], v[28:29]
	s_wait_loadcnt_dscnt 0x0
	v_mul_f64_e32 v[28:29], s[26:27], v[28:29]
	s_branch .LBB245_20
.LBB245_16:                             ;   in Loop: Header=BB245_4 Depth=1
	s_mov_b32 s43, 0
                                        ; implicit-def: $vgpr28_vgpr29
	s_cbranch_execz .LBB245_18
	s_branch .LBB245_21
.LBB245_17:                             ;   in Loop: Header=BB245_4 Depth=1
	s_or_b32 exec_lo, exec_lo, s44
	s_wait_alu 0xfffe
	s_and_b32 vcc_lo, exec_lo, s7
	s_wait_alu 0xfffe
	s_cbranch_vccnz .LBB245_21
.LBB245_18:                             ;   in Loop: Header=BB245_4 Depth=1
	v_dual_mov_b32 v27, v3 :: v_dual_mov_b32 v26, v2
	s_and_saveexec_b32 s7, s43
	s_cbranch_execz .LBB245_2
	s_branch .LBB245_58
.LBB245_19:                             ;   in Loop: Header=BB245_4 Depth=1
	v_mov_b32_e32 v28, 0
	v_mov_b32_e32 v29, 0
.LBB245_20:                             ;   in Loop: Header=BB245_4 Depth=1
	s_mov_b32 s43, exec_lo
	s_or_b32 exec_lo, exec_lo, s44
	s_delay_alu instid0(SALU_CYCLE_1)
	s_and_b32 vcc_lo, exec_lo, s7
	s_wait_alu 0xfffe
	s_cbranch_vccz .LBB245_18
.LBB245_21:                             ;   in Loop: Header=BB245_4 Depth=1
	v_mov_b32_e32 v28, 0
	v_dual_mov_b32 v32, 0 :: v_dual_mov_b32 v29, 0
	v_dual_mov_b32 v30, 0 :: v_dual_mov_b32 v33, 0
	;; [unrolled: 1-line block ×3, first 2 shown]
	v_mov_b32_e32 v35, 0
	v_mov_b32_e32 v85, v80
	s_and_saveexec_b32 s44, s5
	s_cbranch_execz .LBB245_33
; %bb.22:                               ;   in Loop: Header=BB245_4 Depth=1
	v_add_co_u32 v86, vcc_lo, v26, v10
	s_wait_alu 0xfffd
	v_add_co_ci_u32_e64 v87, null, v27, v11, vcc_lo
	v_add_co_u32 v88, vcc_lo, v26, v14
	s_wait_alu 0xfffd
	v_add_co_ci_u32_e64 v89, null, v27, v15, vcc_lo
	v_add_co_u32 v90, vcc_lo, v26, v16
	s_wait_alu 0xfffd
	v_add_co_ci_u32_e64 v91, null, v27, v17, vcc_lo
	v_add_co_u32 v92, vcc_lo, v26, v22
	v_mov_b32_e32 v30, 0
	v_dual_mov_b32 v28, 0 :: v_dual_mov_b32 v39, v37
	v_dual_mov_b32 v31, 0 :: v_dual_mov_b32 v32, 0
	;; [unrolled: 1-line block ×3, first 2 shown]
	s_wait_alu 0xfffd
	v_add_co_ci_u32_e64 v93, null, v27, v23, vcc_lo
	v_dual_mov_b32 v29, 0 :: v_dual_mov_b32 v38, v36
	v_mov_b32_e32 v33, 0
	v_mov_b32_e32 v35, 0
	s_mov_b32 s45, 0
	s_branch .LBB245_27
.LBB245_23:                             ;   in Loop: Header=BB245_27 Depth=2
	s_or_b32 exec_lo, exec_lo, s48
	s_wait_loadcnt_dscnt 0x303
	v_fma_f64 v[32:33], v[40:41], v[72:73], v[32:33]
	s_wait_loadcnt_dscnt 0x202
	s_delay_alu instid0(VALU_DEP_1) | instskip(SKIP_1) | instid1(VALU_DEP_1)
	v_fma_f64 v[32:33], v[42:43], v[74:75], v[32:33]
	s_wait_loadcnt_dscnt 0x101
	v_fma_f64 v[32:33], v[44:45], v[76:77], v[32:33]
	s_wait_loadcnt_dscnt 0x0
	s_delay_alu instid0(VALU_DEP_1)
	v_fma_f64 v[32:33], v[46:47], v[78:79], v[32:33]
.LBB245_24:                             ;   in Loop: Header=BB245_27 Depth=2
	s_or_b32 exec_lo, exec_lo, s47
	s_wait_loadcnt_dscnt 0x303
	v_fma_f64 v[30:31], v[40:41], v[64:65], v[30:31]
	s_wait_loadcnt_dscnt 0x202
	s_delay_alu instid0(VALU_DEP_1) | instskip(SKIP_1) | instid1(VALU_DEP_1)
	v_fma_f64 v[30:31], v[42:43], v[66:67], v[30:31]
	s_wait_loadcnt_dscnt 0x101
	v_fma_f64 v[30:31], v[44:45], v[68:69], v[30:31]
	s_wait_loadcnt_dscnt 0x0
	s_delay_alu instid0(VALU_DEP_1)
	v_fma_f64 v[30:31], v[46:47], v[70:71], v[30:31]
.LBB245_25:                             ;   in Loop: Header=BB245_27 Depth=2
	s_or_b32 exec_lo, exec_lo, s46
	s_wait_loadcnt_dscnt 0x303
	v_fma_f64 v[28:29], v[40:41], v[48:49], v[28:29]
	s_wait_loadcnt_dscnt 0x202
	s_delay_alu instid0(VALU_DEP_1) | instskip(SKIP_1) | instid1(VALU_DEP_1)
	v_fma_f64 v[28:29], v[42:43], v[50:51], v[28:29]
	s_wait_loadcnt_dscnt 0x101
	v_fma_f64 v[28:29], v[44:45], v[52:53], v[28:29]
	s_wait_loadcnt_dscnt 0x0
	s_delay_alu instid0(VALU_DEP_1)
	v_fma_f64 v[28:29], v[46:47], v[54:55], v[28:29]
.LBB245_26:                             ;   in Loop: Header=BB245_27 Depth=2
	s_wait_alu 0xfffe
	s_or_b32 exec_lo, exec_lo, s7
	v_add_co_u32 v38, vcc_lo, v38, s34
	s_wait_alu 0xfffd
	v_add_co_ci_u32_e64 v39, null, s35, v39, vcc_lo
	v_add_co_u32 v86, vcc_lo, v86, s36
	v_add_nc_u32_e32 v85, 16, v85
	s_wait_alu 0xfffd
	v_add_co_ci_u32_e64 v87, null, s37, v87, vcc_lo
	v_add_co_u32 v88, vcc_lo, v88, s36
	s_wait_alu 0xfffd
	v_add_co_ci_u32_e64 v89, null, s37, v89, vcc_lo
	v_add_co_u32 v90, vcc_lo, v90, s36
	s_wait_alu 0xfffd
	v_add_co_ci_u32_e64 v91, null, s37, v91, vcc_lo
	v_cmp_le_i32_e32 vcc_lo, s38, v85
	v_add_co_u32 v92, s7, v92, s36
	s_wait_alu 0xf1ff
	v_add_co_ci_u32_e64 v93, null, s37, v93, s7
	s_or_b32 s45, vcc_lo, s45
	s_delay_alu instid0(SALU_CYCLE_1)
	s_and_not1_b32 exec_lo, exec_lo, s45
	s_cbranch_execz .LBB245_32
.LBB245_27:                             ;   Parent Loop BB245_4 Depth=1
                                        ; =>  This Inner Loop Header: Depth=2
	s_and_saveexec_b32 s7, s1
	s_cbranch_execz .LBB245_26
; %bb.28:                               ;   in Loop: Header=BB245_27 Depth=2
	v_add_co_u32 v40, vcc_lo, v38, v6
	s_wait_alu 0xfffd
	v_add_co_ci_u32_e64 v41, null, v39, v7, vcc_lo
	v_add_co_u32 v42, vcc_lo, v38, v20
	s_wait_alu 0xfffd
	v_add_co_ci_u32_e64 v43, null, v39, v21, vcc_lo
	;; [unrolled: 3-line block ×8, first 2 shown]
	s_clause 0x3
	flat_load_b64 v[40:41], v[40:41]
	flat_load_b64 v[42:43], v[42:43]
	;; [unrolled: 1-line block ×8, first 2 shown]
	s_and_saveexec_b32 s46, s2
	s_cbranch_execz .LBB245_25
; %bb.29:                               ;   in Loop: Header=BB245_27 Depth=2
	flat_load_b64 v[64:65], v[56:57] offset:512
	flat_load_b64 v[66:67], v[58:59] offset:512
	flat_load_b64 v[68:69], v[60:61] offset:512
	flat_load_b64 v[70:71], v[62:63] offset:512
	s_and_saveexec_b32 s47, s3
	s_cbranch_execz .LBB245_24
; %bb.30:                               ;   in Loop: Header=BB245_27 Depth=2
	flat_load_b64 v[72:73], v[56:57] offset:1024
	flat_load_b64 v[74:75], v[58:59] offset:1024
	flat_load_b64 v[76:77], v[60:61] offset:1024
	flat_load_b64 v[78:79], v[62:63] offset:1024
	;; [unrolled: 7-line block ×3, first 2 shown]
	s_wait_loadcnt_dscnt 0x303
	v_fma_f64 v[34:35], v[40:41], v[56:57], v[34:35]
	s_wait_loadcnt_dscnt 0x202
	s_delay_alu instid0(VALU_DEP_1) | instskip(SKIP_1) | instid1(VALU_DEP_1)
	v_fma_f64 v[34:35], v[42:43], v[58:59], v[34:35]
	s_wait_loadcnt_dscnt 0x101
	v_fma_f64 v[34:35], v[44:45], v[60:61], v[34:35]
	s_wait_loadcnt_dscnt 0x0
	s_delay_alu instid0(VALU_DEP_1)
	v_fma_f64 v[34:35], v[46:47], v[62:63], v[34:35]
	s_branch .LBB245_23
.LBB245_32:                             ;   in Loop: Header=BB245_4 Depth=1
	s_or_b32 exec_lo, exec_lo, s45
.LBB245_33:                             ;   in Loop: Header=BB245_4 Depth=1
	s_delay_alu instid0(SALU_CYCLE_1) | instskip(NEXT) | instid1(SALU_CYCLE_1)
	s_or_b32 exec_lo, exec_lo, s44
	s_and_not1_b32 vcc_lo, exec_lo, s40
	s_wait_alu 0xfffe
	s_cbranch_vccnz .LBB245_51
; %bb.34:                               ;   in Loop: Header=BB245_4 Depth=1
	v_mov_b32_e32 v44, 0
	v_dual_mov_b32 v40, 0 :: v_dual_mov_b32 v45, 0
	v_dual_mov_b32 v42, 0 :: v_dual_mov_b32 v41, 0
	v_mov_b32_e32 v38, 0
	v_cmp_gt_i32_e32 vcc_lo, s9, v85
	v_mov_b32_e32 v43, 0
	v_mov_b32_e32 v39, 0
	v_or_b32_e32 v46, 1, v85
	s_and_saveexec_b32 s44, vcc_lo
	s_cbranch_execz .LBB245_42
; %bb.35:                               ;   in Loop: Header=BB245_4 Depth=1
	v_mad_co_u64_u32 v[38:39], null, s28, v85, 0
	v_mov_b32_e32 v44, 0
	v_mov_b32_e32 v45, 0
	s_mov_b32 s45, exec_lo
	v_mov_b32_e32 v42, 0
	v_mov_b32_e32 v43, 0
	v_mad_co_u64_u32 v[39:40], null, s29, v85, v[39:40]
	v_mov_b32_e32 v40, 0
	v_mov_b32_e32 v41, 0
	s_delay_alu instid0(VALU_DEP_3) | instskip(NEXT) | instid1(VALU_DEP_1)
	v_lshlrev_b64_e32 v[38:39], 3, v[38:39]
	v_add_co_u32 v38, s7, v36, v38
	s_wait_alu 0xf1ff
	s_delay_alu instid0(VALU_DEP_2)
	v_add_co_ci_u32_e64 v39, null, v37, v39, s7
	flat_load_b64 v[38:39], v[38:39]
	v_cmpx_gt_i32_e64 s9, v46
	s_cbranch_execz .LBB245_41
; %bb.36:                               ;   in Loop: Header=BB245_4 Depth=1
	v_mad_co_u64_u32 v[40:41], null, s28, v46, 0
	v_or_b32_e32 v47, 2, v85
	s_mov_b32 s46, exec_lo
	v_mov_b32_e32 v44, 0
	v_mov_b32_e32 v45, 0
	s_delay_alu instid0(VALU_DEP_4) | instskip(SKIP_2) | instid1(VALU_DEP_3)
	v_mad_co_u64_u32 v[41:42], null, s29, v46, v[41:42]
	v_mov_b32_e32 v42, 0
	v_mov_b32_e32 v43, 0
	v_lshlrev_b64_e32 v[40:41], 3, v[40:41]
	s_delay_alu instid0(VALU_DEP_1) | instskip(SKIP_1) | instid1(VALU_DEP_2)
	v_add_co_u32 v40, s7, v36, v40
	s_wait_alu 0xf1ff
	v_add_co_ci_u32_e64 v41, null, v37, v41, s7
	flat_load_b64 v[40:41], v[40:41]
	v_cmpx_gt_i32_e64 s9, v47
	s_cbranch_execz .LBB245_40
; %bb.37:                               ;   in Loop: Header=BB245_4 Depth=1
	v_mad_co_u64_u32 v[42:43], null, s28, v47, 0
	s_mov_b32 s47, exec_lo
	v_mad_co_u64_u32 v[43:44], null, s29, v47, v[43:44]
	v_mov_b32_e32 v44, 0
	v_or_b32_e32 v47, 3, v85
	v_mov_b32_e32 v45, 0
	s_delay_alu instid0(VALU_DEP_4) | instskip(NEXT) | instid1(VALU_DEP_1)
	v_lshlrev_b64_e32 v[42:43], 3, v[42:43]
	v_add_co_u32 v42, s7, v36, v42
	s_wait_alu 0xf1ff
	s_delay_alu instid0(VALU_DEP_2)
	v_add_co_ci_u32_e64 v43, null, v37, v43, s7
	flat_load_b64 v[42:43], v[42:43]
	v_cmpx_gt_i32_e64 s9, v47
	s_cbranch_execz .LBB245_39
; %bb.38:                               ;   in Loop: Header=BB245_4 Depth=1
	v_mad_co_u64_u32 v[44:45], null, s28, v47, 0
	s_delay_alu instid0(VALU_DEP_1) | instskip(NEXT) | instid1(VALU_DEP_1)
	v_mad_co_u64_u32 v[47:48], null, s29, v47, v[45:46]
	v_mov_b32_e32 v45, v47
	s_delay_alu instid0(VALU_DEP_1) | instskip(NEXT) | instid1(VALU_DEP_1)
	v_lshlrev_b64_e32 v[44:45], 3, v[44:45]
	v_add_co_u32 v36, s7, v36, v44
	s_wait_alu 0xf1ff
	s_delay_alu instid0(VALU_DEP_2)
	v_add_co_ci_u32_e64 v37, null, v37, v45, s7
	flat_load_b64 v[44:45], v[36:37]
.LBB245_39:                             ;   in Loop: Header=BB245_4 Depth=1
	s_or_b32 exec_lo, exec_lo, s47
.LBB245_40:                             ;   in Loop: Header=BB245_4 Depth=1
	s_delay_alu instid0(SALU_CYCLE_1)
	s_or_b32 exec_lo, exec_lo, s46
.LBB245_41:                             ;   in Loop: Header=BB245_4 Depth=1
	s_delay_alu instid0(SALU_CYCLE_1)
	s_or_b32 exec_lo, exec_lo, s45
.LBB245_42:                             ;   in Loop: Header=BB245_4 Depth=1
	s_delay_alu instid0(SALU_CYCLE_1)
	s_or_b32 exec_lo, exec_lo, s44
	s_and_saveexec_b32 s44, s1
	s_cbranch_execz .LBB245_50
; %bb.43:                               ;   in Loop: Header=BB245_4 Depth=1
	v_or_b32_e32 v55, 2, v85
	v_mad_co_u64_u32 v[36:37], null, s30, v85, 0
	v_mad_co_u64_u32 v[47:48], null, s30, v46, 0
	s_delay_alu instid0(VALU_DEP_3) | instskip(SKIP_4) | instid1(VALU_DEP_4)
	v_mad_co_u64_u32 v[49:50], null, s30, v55, 0
	v_cmp_gt_i32_e64 s7, s9, v46
	v_or_b32_e32 v57, 3, v85
	s_wait_loadcnt_dscnt 0x0
	v_mad_co_u64_u32 v[51:52], null, s31, v85, v[37:38]
	v_dual_mov_b32 v37, v50 :: v_dual_cndmask_b32 v50, 0, v36
	v_mad_co_u64_u32 v[52:53], null, s31, v46, v[48:49]
	s_wait_alu 0xf1ff
	v_cndmask_b32_e64 v36, 0, v47, s7
	s_delay_alu instid0(VALU_DEP_3)
	v_mad_co_u64_u32 v[46:47], null, s31, v55, v[37:38]
	v_cndmask_b32_e32 v51, 0, v51, vcc_lo
	v_cmp_gt_i32_e32 vcc_lo, s9, v55
	v_mad_co_u64_u32 v[53:54], null, s30, v57, 0
	v_cndmask_b32_e64 v37, 0, v52, s7
	s_wait_alu 0xfffd
	v_dual_cndmask_b32 v55, 0, v49 :: v_dual_cndmask_b32 v56, 0, v46
	v_lshlrev_b64_e32 v[47:48], 3, v[50:51]
	s_delay_alu instid0(VALU_DEP_3) | instskip(SKIP_1) | instid1(VALU_DEP_3)
	v_lshlrev_b64_e32 v[36:37], 3, v[36:37]
	v_mov_b32_e32 v49, v54
	v_add_co_u32 v47, s7, v26, v47
	s_wait_alu 0xf1ff
	s_delay_alu instid0(VALU_DEP_4) | instskip(NEXT) | instid1(VALU_DEP_2)
	v_add_co_ci_u32_e64 v48, null, v27, v48, s7
	v_add_co_u32 v50, vcc_lo, v47, v8
	s_wait_alu 0xfffd
	s_delay_alu instid0(VALU_DEP_2) | instskip(SKIP_1) | instid1(VALU_DEP_3)
	v_add_co_ci_u32_e64 v51, null, v48, v9, vcc_lo
	v_cmp_gt_i32_e32 vcc_lo, s9, v57
	v_mad_co_u64_u32 v[46:47], null, s31, v57, v[49:50]
	v_add_co_u32 v49, s7, v26, v36
	s_wait_alu 0xfffd
	v_cndmask_b32_e32 v47, 0, v53, vcc_lo
	s_wait_alu 0xf1ff
	v_add_co_ci_u32_e64 v54, null, v27, v37, s7
	s_delay_alu instid0(VALU_DEP_4)
	v_cndmask_b32_e32 v48, 0, v46, vcc_lo
	v_lshlrev_b64_e32 v[36:37], 3, v[55:56]
	v_add_co_u32 v52, vcc_lo, v49, v8
	s_wait_alu 0xfffd
	v_add_co_ci_u32_e64 v53, null, v54, v9, vcc_lo
	v_lshlrev_b64_e32 v[46:47], 3, v[47:48]
	s_delay_alu instid0(VALU_DEP_4) | instskip(SKIP_2) | instid1(VALU_DEP_3)
	v_add_co_u32 v36, vcc_lo, v26, v36
	s_wait_alu 0xfffd
	v_add_co_ci_u32_e64 v37, null, v27, v37, vcc_lo
	v_add_co_u32 v26, vcc_lo, v26, v46
	s_wait_alu 0xfffd
	v_add_co_ci_u32_e64 v27, null, v27, v47, vcc_lo
	;; [unrolled: 3-line block ×4, first 2 shown]
	s_clause 0x3
	flat_load_b64 v[26:27], v[50:51]
	flat_load_b64 v[36:37], v[52:53]
	;; [unrolled: 1-line block ×4, first 2 shown]
	s_and_saveexec_b32 s7, s2
	s_cbranch_execz .LBB245_49
; %bb.44:                               ;   in Loop: Header=BB245_4 Depth=1
	s_clause 0x3
	flat_load_b64 v[54:55], v[50:51] offset:512
	flat_load_b64 v[56:57], v[52:53] offset:512
	flat_load_b64 v[58:59], v[62:63] offset:512
	flat_load_b64 v[60:61], v[64:65] offset:512
	s_and_saveexec_b32 s45, s3
	s_cbranch_execz .LBB245_48
; %bb.45:                               ;   in Loop: Header=BB245_4 Depth=1
	s_clause 0x3
	flat_load_b64 v[66:67], v[50:51] offset:1024
	flat_load_b64 v[68:69], v[52:53] offset:1024
	flat_load_b64 v[70:71], v[62:63] offset:1024
	flat_load_b64 v[72:73], v[64:65] offset:1024
	;; [unrolled: 8-line block ×3, first 2 shown]
	s_wait_loadcnt_dscnt 0x303
	v_fma_f64 v[34:35], v[38:39], v[50:51], v[34:35]
	s_wait_loadcnt_dscnt 0x202
	s_delay_alu instid0(VALU_DEP_1) | instskip(SKIP_1) | instid1(VALU_DEP_1)
	v_fma_f64 v[34:35], v[40:41], v[52:53], v[34:35]
	s_wait_loadcnt_dscnt 0x101
	v_fma_f64 v[34:35], v[42:43], v[62:63], v[34:35]
	s_wait_loadcnt_dscnt 0x0
	s_delay_alu instid0(VALU_DEP_1)
	v_fma_f64 v[34:35], v[44:45], v[64:65], v[34:35]
.LBB245_47:                             ;   in Loop: Header=BB245_4 Depth=1
	s_or_b32 exec_lo, exec_lo, s46
	s_wait_loadcnt_dscnt 0x303
	v_fma_f64 v[32:33], v[38:39], v[66:67], v[32:33]
	s_wait_loadcnt_dscnt 0x202
	s_delay_alu instid0(VALU_DEP_1) | instskip(SKIP_1) | instid1(VALU_DEP_1)
	v_fma_f64 v[32:33], v[40:41], v[68:69], v[32:33]
	s_wait_loadcnt_dscnt 0x101
	v_fma_f64 v[32:33], v[42:43], v[70:71], v[32:33]
	s_wait_loadcnt_dscnt 0x0
	s_delay_alu instid0(VALU_DEP_1)
	v_fma_f64 v[32:33], v[44:45], v[72:73], v[32:33]
.LBB245_48:                             ;   in Loop: Header=BB245_4 Depth=1
	s_or_b32 exec_lo, exec_lo, s45
	s_wait_loadcnt_dscnt 0x303
	v_fma_f64 v[30:31], v[38:39], v[54:55], v[30:31]
	s_wait_loadcnt_dscnt 0x202
	s_delay_alu instid0(VALU_DEP_1) | instskip(SKIP_1) | instid1(VALU_DEP_1)
	v_fma_f64 v[30:31], v[40:41], v[56:57], v[30:31]
	s_wait_loadcnt_dscnt 0x101
	v_fma_f64 v[30:31], v[42:43], v[58:59], v[30:31]
	s_wait_loadcnt_dscnt 0x0
	s_delay_alu instid0(VALU_DEP_1)
	v_fma_f64 v[30:31], v[44:45], v[60:61], v[30:31]
.LBB245_49:                             ;   in Loop: Header=BB245_4 Depth=1
	s_wait_alu 0xfffe
	s_or_b32 exec_lo, exec_lo, s7
	s_wait_loadcnt_dscnt 0x303
	v_fma_f64 v[26:27], v[38:39], v[26:27], v[28:29]
	s_wait_loadcnt_dscnt 0x202
	s_delay_alu instid0(VALU_DEP_1) | instskip(SKIP_1) | instid1(VALU_DEP_1)
	v_fma_f64 v[26:27], v[40:41], v[36:37], v[26:27]
	s_wait_loadcnt_dscnt 0x101
	v_fma_f64 v[26:27], v[42:43], v[46:47], v[26:27]
	s_wait_loadcnt_dscnt 0x0
	s_delay_alu instid0(VALU_DEP_1)
	v_fma_f64 v[28:29], v[44:45], v[48:49], v[26:27]
.LBB245_50:                             ;   in Loop: Header=BB245_4 Depth=1
	s_or_b32 exec_lo, exec_lo, s44
.LBB245_51:                             ;   in Loop: Header=BB245_4 Depth=1
	ds_store_2addr_stride64_b64 v81, v[28:29], v[30:31] offset1:1
	ds_store_2addr_stride64_b64 v81, v[32:33], v[34:35] offset0:2 offset1:3
	s_wait_loadcnt_dscnt 0x0
	s_barrier_signal -1
	s_barrier_wait -1
	global_inv scope:SCOPE_SE
                                        ; implicit-def: $vgpr28_vgpr29
	s_and_saveexec_b32 s7, s0
	s_cbranch_execz .LBB245_57
; %bb.52:                               ;   in Loop: Header=BB245_4 Depth=1
	ds_load_2addr_stride64_b64 v[26:29], v0 offset1:4
	s_mov_b32 s45, s43
	s_wait_dscnt 0x0
	v_add_f64_e32 v[30:31], v[26:27], v[28:29]
	ds_load_2addr_stride64_b64 v[26:29], v0 offset0:8 offset1:12
	s_wait_dscnt 0x0
	v_add_f64_e32 v[26:27], v[26:27], v[30:31]
	s_delay_alu instid0(VALU_DEP_1)
	v_add_f64_e32 v[26:27], v[28:29], v[26:27]
                                        ; implicit-def: $vgpr28_vgpr29
	ds_store_b64 v0, v[26:27]
	s_and_saveexec_b32 s44, s6
	s_cbranch_execz .LBB245_56
; %bb.53:                               ;   in Loop: Header=BB245_4 Depth=1
	v_mul_f64_e32 v[28:29], s[10:11], v[26:27]
	s_and_not1_b32 vcc_lo, exec_lo, s42
	s_wait_alu 0xfffe
	s_cbranch_vccnz .LBB245_55
; %bb.54:                               ;   in Loop: Header=BB245_4 Depth=1
	v_lshlrev_b64_e32 v[26:27], 3, v[4:5]
	s_delay_alu instid0(VALU_DEP_1) | instskip(SKIP_1) | instid1(VALU_DEP_2)
	v_add_co_u32 v26, vcc_lo, v83, v26
	s_wait_alu 0xfffd
	v_add_co_ci_u32_e64 v27, null, v84, v27, vcc_lo
	flat_load_b64 v[26:27], v[26:27]
	s_wait_loadcnt_dscnt 0x0
	v_fma_f64 v[28:29], s[26:27], v[26:27], v[28:29]
.LBB245_55:                             ;   in Loop: Header=BB245_4 Depth=1
	s_or_b32 s45, s43, exec_lo
.LBB245_56:                             ;   in Loop: Header=BB245_4 Depth=1
	s_or_b32 exec_lo, exec_lo, s44
	s_delay_alu instid0(SALU_CYCLE_1) | instskip(SKIP_1) | instid1(SALU_CYCLE_1)
	s_and_not1_b32 s43, s43, exec_lo
	s_and_b32 s44, s45, exec_lo
	s_or_b32 s43, s43, s44
.LBB245_57:                             ;   in Loop: Header=BB245_4 Depth=1
	s_wait_alu 0xfffe
	s_or_b32 exec_lo, exec_lo, s7
	v_dual_mov_b32 v27, v5 :: v_dual_mov_b32 v26, v4
	s_and_saveexec_b32 s7, s43
	s_cbranch_execz .LBB245_2
.LBB245_58:                             ;   in Loop: Header=BB245_4 Depth=1
	s_delay_alu instid0(VALU_DEP_1) | instskip(NEXT) | instid1(VALU_DEP_1)
	v_lshlrev_b64_e32 v[26:27], 3, v[26:27]
	v_add_co_u32 v26, vcc_lo, v83, v26
	s_wait_alu 0xfffd
	s_delay_alu instid0(VALU_DEP_2)
	v_add_co_ci_u32_e64 v27, null, v84, v27, vcc_lo
	flat_store_b64 v[26:27], v[28:29]
	s_branch .LBB245_2
.LBB245_59:
	s_endpgm
	.section	.rodata,"a",@progbits
	.p2align	6, 0x0
	.amdhsa_kernel _ZL20rocblas_gemvn_kernelILi64ELi4ElPKddKPdEviiT3_lPKT2_lT1_lS7_lS8_lS4_lPT4_lS8_li
		.amdhsa_group_segment_fixed_size 8192
		.amdhsa_private_segment_fixed_size 0
		.amdhsa_kernarg_size 400
		.amdhsa_user_sgpr_count 2
		.amdhsa_user_sgpr_dispatch_ptr 0
		.amdhsa_user_sgpr_queue_ptr 0
		.amdhsa_user_sgpr_kernarg_segment_ptr 1
		.amdhsa_user_sgpr_dispatch_id 0
		.amdhsa_user_sgpr_private_segment_size 0
		.amdhsa_wavefront_size32 1
		.amdhsa_uses_dynamic_stack 0
		.amdhsa_enable_private_segment 0
		.amdhsa_system_sgpr_workgroup_id_x 1
		.amdhsa_system_sgpr_workgroup_id_y 0
		.amdhsa_system_sgpr_workgroup_id_z 1
		.amdhsa_system_sgpr_workgroup_info 0
		.amdhsa_system_vgpr_workitem_id 1
		.amdhsa_next_free_vgpr 94
		.amdhsa_next_free_sgpr 49
		.amdhsa_reserve_vcc 1
		.amdhsa_float_round_mode_32 0
		.amdhsa_float_round_mode_16_64 0
		.amdhsa_float_denorm_mode_32 3
		.amdhsa_float_denorm_mode_16_64 3
		.amdhsa_fp16_overflow 0
		.amdhsa_workgroup_processor_mode 1
		.amdhsa_memory_ordered 1
		.amdhsa_forward_progress 1
		.amdhsa_inst_pref_size 30
		.amdhsa_round_robin_scheduling 0
		.amdhsa_exception_fp_ieee_invalid_op 0
		.amdhsa_exception_fp_denorm_src 0
		.amdhsa_exception_fp_ieee_div_zero 0
		.amdhsa_exception_fp_ieee_overflow 0
		.amdhsa_exception_fp_ieee_underflow 0
		.amdhsa_exception_fp_ieee_inexact 0
		.amdhsa_exception_int_div_zero 0
	.end_amdhsa_kernel
	.section	.text._ZL20rocblas_gemvn_kernelILi64ELi4ElPKddKPdEviiT3_lPKT2_lT1_lS7_lS8_lS4_lPT4_lS8_li,"axG",@progbits,_ZL20rocblas_gemvn_kernelILi64ELi4ElPKddKPdEviiT3_lPKT2_lT1_lS7_lS8_lS4_lPT4_lS8_li,comdat
.Lfunc_end245:
	.size	_ZL20rocblas_gemvn_kernelILi64ELi4ElPKddKPdEviiT3_lPKT2_lT1_lS7_lS8_lS4_lPT4_lS8_li, .Lfunc_end245-_ZL20rocblas_gemvn_kernelILi64ELi4ElPKddKPdEviiT3_lPKT2_lT1_lS7_lS8_lS4_lPT4_lS8_li
                                        ; -- End function
	.set _ZL20rocblas_gemvn_kernelILi64ELi4ElPKddKPdEviiT3_lPKT2_lT1_lS7_lS8_lS4_lPT4_lS8_li.num_vgpr, 94
	.set _ZL20rocblas_gemvn_kernelILi64ELi4ElPKddKPdEviiT3_lPKT2_lT1_lS7_lS8_lS4_lPT4_lS8_li.num_agpr, 0
	.set _ZL20rocblas_gemvn_kernelILi64ELi4ElPKddKPdEviiT3_lPKT2_lT1_lS7_lS8_lS4_lPT4_lS8_li.numbered_sgpr, 49
	.set _ZL20rocblas_gemvn_kernelILi64ELi4ElPKddKPdEviiT3_lPKT2_lT1_lS7_lS8_lS4_lPT4_lS8_li.num_named_barrier, 0
	.set _ZL20rocblas_gemvn_kernelILi64ELi4ElPKddKPdEviiT3_lPKT2_lT1_lS7_lS8_lS4_lPT4_lS8_li.private_seg_size, 0
	.set _ZL20rocblas_gemvn_kernelILi64ELi4ElPKddKPdEviiT3_lPKT2_lT1_lS7_lS8_lS4_lPT4_lS8_li.uses_vcc, 1
	.set _ZL20rocblas_gemvn_kernelILi64ELi4ElPKddKPdEviiT3_lPKT2_lT1_lS7_lS8_lS4_lPT4_lS8_li.uses_flat_scratch, 1
	.set _ZL20rocblas_gemvn_kernelILi64ELi4ElPKddKPdEviiT3_lPKT2_lT1_lS7_lS8_lS4_lPT4_lS8_li.has_dyn_sized_stack, 0
	.set _ZL20rocblas_gemvn_kernelILi64ELi4ElPKddKPdEviiT3_lPKT2_lT1_lS7_lS8_lS4_lPT4_lS8_li.has_recursion, 0
	.set _ZL20rocblas_gemvn_kernelILi64ELi4ElPKddKPdEviiT3_lPKT2_lT1_lS7_lS8_lS4_lPT4_lS8_li.has_indirect_call, 0
	.section	.AMDGPU.csdata,"",@progbits
; Kernel info:
; codeLenInByte = 3716
; TotalNumSgprs: 51
; NumVgprs: 94
; ScratchSize: 0
; MemoryBound: 1
; FloatMode: 240
; IeeeMode: 1
; LDSByteSize: 8192 bytes/workgroup (compile time only)
; SGPRBlocks: 0
; VGPRBlocks: 11
; NumSGPRsForWavesPerEU: 51
; NumVGPRsForWavesPerEU: 94
; Occupancy: 16
; WaveLimiterHint : 1
; COMPUTE_PGM_RSRC2:SCRATCH_EN: 0
; COMPUTE_PGM_RSRC2:USER_SGPR: 2
; COMPUTE_PGM_RSRC2:TRAP_HANDLER: 0
; COMPUTE_PGM_RSRC2:TGID_X_EN: 1
; COMPUTE_PGM_RSRC2:TGID_Y_EN: 0
; COMPUTE_PGM_RSRC2:TGID_Z_EN: 1
; COMPUTE_PGM_RSRC2:TIDIG_COMP_CNT: 1
	.section	.text._ZL24rocblas_gemv_scal_kernelILi256EPKdPKPdEviT0_lT1_lili,"axG",@progbits,_ZL24rocblas_gemv_scal_kernelILi256EPKdPKPdEviT0_lT1_lili,comdat
	.globl	_ZL24rocblas_gemv_scal_kernelILi256EPKdPKPdEviT0_lT1_lili ; -- Begin function _ZL24rocblas_gemv_scal_kernelILi256EPKdPKPdEviT0_lT1_lili
	.p2align	8
	.type	_ZL24rocblas_gemv_scal_kernelILi256EPKdPKPdEviT0_lT1_lili,@function
_ZL24rocblas_gemv_scal_kernelILi256EPKdPKPdEviT0_lT1_lili: ; @_ZL24rocblas_gemv_scal_kernelILi256EPKdPKPdEviT0_lT1_lili
; %bb.0:
	s_load_b32 s16, s[0:1], 0x38
	s_lshr_b32 s2, ttmp7, 16
	s_wait_kmcnt 0x0
	s_cmp_ge_u32 s2, s16
	s_cbranch_scc1 .LBB246_9
; %bb.1:
	s_clause 0x2
	s_load_b32 s12, s[0:1], 0x0
	s_load_b32 s17, s[0:1], 0x28
	s_load_b256 s[4:11], s[0:1], 0x8
	v_mov_b32_e32 v2, 0
	s_add_nc_u64 s[14:15], s[0:1], 64
	s_mov_b32 s3, 0
	s_wait_kmcnt 0x0
	s_ashr_i32 s13, s12, 31
	s_ashr_i32 s1, s17, 31
	s_lshl_b64 s[10:11], s[10:11], 3
	s_branch .LBB246_5
.LBB246_2:                              ;   in Loop: Header=BB246_5 Depth=1
	flat_store_b64 v[5:6], v[7:8]
.LBB246_3:                              ;   in Loop: Header=BB246_5 Depth=1
	s_or_b32 exec_lo, exec_lo, s18
.LBB246_4:                              ;   in Loop: Header=BB246_5 Depth=1
	s_add_co_i32 s2, s2, 0x10000
	s_delay_alu instid0(SALU_CYCLE_1)
	s_cmp_lt_u32 s2, s16
	s_cbranch_scc0 .LBB246_9
.LBB246_5:                              ; =>This Inner Loop Header: Depth=1
	s_mul_u64 s[18:19], s[6:7], s[2:3]
	s_delay_alu instid0(SALU_CYCLE_1) | instskip(NEXT) | instid1(SALU_CYCLE_1)
	s_lshl_b64 s[18:19], s[18:19], 3
	s_add_nc_u64 s[18:19], s[4:5], s[18:19]
	global_load_b64 v[3:4], v2, s[18:19]
	s_wait_loadcnt 0x0
	v_cmp_eq_f64_e32 vcc_lo, 1.0, v[3:4]
	s_cbranch_vccnz .LBB246_4
; %bb.6:                                ;   in Loop: Header=BB246_5 Depth=1
	s_load_b32 s0, s[14:15], 0xc
	s_mov_b32 s18, exec_lo
	s_wait_kmcnt 0x0
	s_and_b32 s0, s0, 0xffff
	s_wait_alu 0xfffe
	v_mad_co_u64_u32 v[5:6], null, ttmp9, s0, v[0:1]
	s_delay_alu instid0(VALU_DEP_1) | instskip(NEXT) | instid1(VALU_DEP_1)
	v_mov_b32_e32 v1, v5
	v_cmpx_gt_i64_e64 s[12:13], v[1:2]
	s_cbranch_execz .LBB246_3
; %bb.7:                                ;   in Loop: Header=BB246_5 Depth=1
	v_cmp_eq_f64_e32 vcc_lo, 0, v[3:4]
	s_lshl_b64 s[20:21], s[2:3], 3
	v_mad_co_u64_u32 v[5:6], null, v1, s17, 0
	s_wait_alu 0xfffe
	s_add_nc_u64 s[20:21], s[8:9], s[20:21]
	s_load_b64 s[20:21], s[20:21], 0x0
	s_delay_alu instid0(VALU_DEP_1) | instskip(SKIP_2) | instid1(VALU_DEP_3)
	v_mad_co_u64_u32 v[6:7], null, v1, s1, v[6:7]
	v_mov_b32_e32 v7, 0
	v_mov_b32_e32 v8, 0
	v_lshlrev_b64_e32 v[5:6], 3, v[5:6]
	s_wait_kmcnt 0x0
	s_add_nc_u64 s[20:21], s[20:21], s[10:11]
	s_wait_alu 0xfffe
	s_delay_alu instid0(VALU_DEP_1)
	v_add_co_u32 v5, s0, s20, v5
	s_wait_alu 0xf1ff
	v_add_co_ci_u32_e64 v6, null, s21, v6, s0
	s_cbranch_vccnz .LBB246_2
; %bb.8:                                ;   in Loop: Header=BB246_5 Depth=1
	flat_load_b64 v[7:8], v[5:6]
	s_wait_loadcnt_dscnt 0x0
	v_mul_f64_e32 v[7:8], v[3:4], v[7:8]
	s_branch .LBB246_2
.LBB246_9:
	s_endpgm
	.section	.rodata,"a",@progbits
	.p2align	6, 0x0
	.amdhsa_kernel _ZL24rocblas_gemv_scal_kernelILi256EPKdPKPdEviT0_lT1_lili
		.amdhsa_group_segment_fixed_size 0
		.amdhsa_private_segment_fixed_size 0
		.amdhsa_kernarg_size 320
		.amdhsa_user_sgpr_count 2
		.amdhsa_user_sgpr_dispatch_ptr 0
		.amdhsa_user_sgpr_queue_ptr 0
		.amdhsa_user_sgpr_kernarg_segment_ptr 1
		.amdhsa_user_sgpr_dispatch_id 0
		.amdhsa_user_sgpr_private_segment_size 0
		.amdhsa_wavefront_size32 1
		.amdhsa_uses_dynamic_stack 0
		.amdhsa_enable_private_segment 0
		.amdhsa_system_sgpr_workgroup_id_x 1
		.amdhsa_system_sgpr_workgroup_id_y 0
		.amdhsa_system_sgpr_workgroup_id_z 1
		.amdhsa_system_sgpr_workgroup_info 0
		.amdhsa_system_vgpr_workitem_id 0
		.amdhsa_next_free_vgpr 9
		.amdhsa_next_free_sgpr 22
		.amdhsa_reserve_vcc 1
		.amdhsa_float_round_mode_32 0
		.amdhsa_float_round_mode_16_64 0
		.amdhsa_float_denorm_mode_32 3
		.amdhsa_float_denorm_mode_16_64 3
		.amdhsa_fp16_overflow 0
		.amdhsa_workgroup_processor_mode 1
		.amdhsa_memory_ordered 1
		.amdhsa_forward_progress 1
		.amdhsa_inst_pref_size 3
		.amdhsa_round_robin_scheduling 0
		.amdhsa_exception_fp_ieee_invalid_op 0
		.amdhsa_exception_fp_denorm_src 0
		.amdhsa_exception_fp_ieee_div_zero 0
		.amdhsa_exception_fp_ieee_overflow 0
		.amdhsa_exception_fp_ieee_underflow 0
		.amdhsa_exception_fp_ieee_inexact 0
		.amdhsa_exception_int_div_zero 0
	.end_amdhsa_kernel
	.section	.text._ZL24rocblas_gemv_scal_kernelILi256EPKdPKPdEviT0_lT1_lili,"axG",@progbits,_ZL24rocblas_gemv_scal_kernelILi256EPKdPKPdEviT0_lT1_lili,comdat
.Lfunc_end246:
	.size	_ZL24rocblas_gemv_scal_kernelILi256EPKdPKPdEviT0_lT1_lili, .Lfunc_end246-_ZL24rocblas_gemv_scal_kernelILi256EPKdPKPdEviT0_lT1_lili
                                        ; -- End function
	.set _ZL24rocblas_gemv_scal_kernelILi256EPKdPKPdEviT0_lT1_lili.num_vgpr, 9
	.set _ZL24rocblas_gemv_scal_kernelILi256EPKdPKPdEviT0_lT1_lili.num_agpr, 0
	.set _ZL24rocblas_gemv_scal_kernelILi256EPKdPKPdEviT0_lT1_lili.numbered_sgpr, 22
	.set _ZL24rocblas_gemv_scal_kernelILi256EPKdPKPdEviT0_lT1_lili.num_named_barrier, 0
	.set _ZL24rocblas_gemv_scal_kernelILi256EPKdPKPdEviT0_lT1_lili.private_seg_size, 0
	.set _ZL24rocblas_gemv_scal_kernelILi256EPKdPKPdEviT0_lT1_lili.uses_vcc, 1
	.set _ZL24rocblas_gemv_scal_kernelILi256EPKdPKPdEviT0_lT1_lili.uses_flat_scratch, 0
	.set _ZL24rocblas_gemv_scal_kernelILi256EPKdPKPdEviT0_lT1_lili.has_dyn_sized_stack, 0
	.set _ZL24rocblas_gemv_scal_kernelILi256EPKdPKPdEviT0_lT1_lili.has_recursion, 0
	.set _ZL24rocblas_gemv_scal_kernelILi256EPKdPKPdEviT0_lT1_lili.has_indirect_call, 0
	.section	.AMDGPU.csdata,"",@progbits
; Kernel info:
; codeLenInByte = 340
; TotalNumSgprs: 24
; NumVgprs: 9
; ScratchSize: 0
; MemoryBound: 1
; FloatMode: 240
; IeeeMode: 1
; LDSByteSize: 0 bytes/workgroup (compile time only)
; SGPRBlocks: 0
; VGPRBlocks: 1
; NumSGPRsForWavesPerEU: 24
; NumVGPRsForWavesPerEU: 9
; Occupancy: 16
; WaveLimiterHint : 1
; COMPUTE_PGM_RSRC2:SCRATCH_EN: 0
; COMPUTE_PGM_RSRC2:USER_SGPR: 2
; COMPUTE_PGM_RSRC2:TRAP_HANDLER: 0
; COMPUTE_PGM_RSRC2:TGID_X_EN: 1
; COMPUTE_PGM_RSRC2:TGID_Y_EN: 0
; COMPUTE_PGM_RSRC2:TGID_Z_EN: 1
; COMPUTE_PGM_RSRC2:TIDIG_COMP_CNT: 0
	.section	.text._ZL24rocblas_gemv_scal_kernelILi256EdPKPdEviT0_lT1_lili,"axG",@progbits,_ZL24rocblas_gemv_scal_kernelILi256EdPKPdEviT0_lT1_lili,comdat
	.globl	_ZL24rocblas_gemv_scal_kernelILi256EdPKPdEviT0_lT1_lili ; -- Begin function _ZL24rocblas_gemv_scal_kernelILi256EdPKPdEviT0_lT1_lili
	.p2align	8
	.type	_ZL24rocblas_gemv_scal_kernelILi256EdPKPdEviT0_lT1_lili,@function
_ZL24rocblas_gemv_scal_kernelILi256EdPKPdEviT0_lT1_lili: ; @_ZL24rocblas_gemv_scal_kernelILi256EdPKPdEviT0_lT1_lili
; %bb.0:
	s_load_b32 s12, s[0:1], 0x38
	s_lshr_b32 s2, ttmp7, 16
	s_wait_kmcnt 0x0
	s_cmp_ge_u32 s2, s12
	s_cbranch_scc1 .LBB247_10
; %bb.1:
	s_clause 0x3
	s_load_b32 s8, s[0:1], 0x0
	s_load_b32 s13, s[0:1], 0x28
	s_load_b64 s[10:11], s[0:1], 0x8
	s_load_b128 s[4:7], s[0:1], 0x18
	v_mov_b32_e32 v2, 0
	s_add_nc_u64 s[0:1], s[0:1], 64
	s_mov_b32 s3, 0
	s_wait_kmcnt 0x0
	s_ashr_i32 s9, s8, 31
	s_ashr_i32 s14, s13, 31
	v_cmp_neq_f64_e64 s15, s[10:11], 1.0
	v_cmp_neq_f64_e64 s16, s[10:11], 0
	s_lshl_b64 s[6:7], s[6:7], 3
	s_branch .LBB247_6
.LBB247_2:                              ;   in Loop: Header=BB247_6 Depth=1
	flat_load_b64 v[5:6], v[3:4]
	s_wait_loadcnt_dscnt 0x0
	v_mul_f64_e32 v[5:6], s[10:11], v[5:6]
.LBB247_3:                              ;   in Loop: Header=BB247_6 Depth=1
	flat_store_b64 v[3:4], v[5:6]
.LBB247_4:                              ;   in Loop: Header=BB247_6 Depth=1
	s_wait_alu 0xfffe
	s_or_b32 exec_lo, exec_lo, s17
.LBB247_5:                              ;   in Loop: Header=BB247_6 Depth=1
	s_add_co_i32 s2, s2, 0x10000
	s_delay_alu instid0(SALU_CYCLE_1)
	s_cmp_lt_u32 s2, s12
	s_cbranch_scc0 .LBB247_10
.LBB247_6:                              ; =>This Inner Loop Header: Depth=1
	s_and_not1_b32 vcc_lo, exec_lo, s15
	s_wait_alu 0xfffe
	s_cbranch_vccnz .LBB247_5
; %bb.7:                                ;   in Loop: Header=BB247_6 Depth=1
	s_load_b32 s17, s[0:1], 0xc
	s_wait_kmcnt 0x0
	s_and_b32 s17, s17, 0xffff
	s_wait_alu 0xfffe
	v_mad_co_u64_u32 v[3:4], null, ttmp9, s17, v[0:1]
	s_mov_b32 s17, exec_lo
	v_mov_b32_e32 v1, v3
	s_delay_alu instid0(VALU_DEP_1)
	v_cmpx_gt_i64_e64 s[8:9], v[1:2]
	s_cbranch_execz .LBB247_4
; %bb.8:                                ;   in Loop: Header=BB247_6 Depth=1
	s_lshl_b64 s[18:19], s[2:3], 3
	v_mad_co_u64_u32 v[3:4], null, v1, s13, 0
	s_wait_alu 0xfffe
	s_add_nc_u64 s[18:19], s[4:5], s[18:19]
	s_load_b64 s[18:19], s[18:19], 0x0
	s_delay_alu instid0(VALU_DEP_1) | instskip(NEXT) | instid1(VALU_DEP_1)
	v_mad_co_u64_u32 v[4:5], null, v1, s14, v[4:5]
	v_lshlrev_b64_e32 v[3:4], 3, v[3:4]
	s_wait_kmcnt 0x0
	s_add_nc_u64 s[18:19], s[18:19], s[6:7]
	s_wait_alu 0xfffe
	s_delay_alu instid0(VALU_DEP_1)
	v_add_co_u32 v3, vcc_lo, s18, v3
	s_wait_alu 0xfffd
	v_add_co_ci_u32_e64 v4, null, s19, v4, vcc_lo
	s_and_not1_b32 vcc_lo, exec_lo, s16
	s_wait_alu 0xfffe
	s_cbranch_vccz .LBB247_2
; %bb.9:                                ;   in Loop: Header=BB247_6 Depth=1
	v_mov_b32_e32 v5, 0
	v_mov_b32_e32 v6, 0
	s_branch .LBB247_3
.LBB247_10:
	s_endpgm
	.section	.rodata,"a",@progbits
	.p2align	6, 0x0
	.amdhsa_kernel _ZL24rocblas_gemv_scal_kernelILi256EdPKPdEviT0_lT1_lili
		.amdhsa_group_segment_fixed_size 0
		.amdhsa_private_segment_fixed_size 0
		.amdhsa_kernarg_size 320
		.amdhsa_user_sgpr_count 2
		.amdhsa_user_sgpr_dispatch_ptr 0
		.amdhsa_user_sgpr_queue_ptr 0
		.amdhsa_user_sgpr_kernarg_segment_ptr 1
		.amdhsa_user_sgpr_dispatch_id 0
		.amdhsa_user_sgpr_private_segment_size 0
		.amdhsa_wavefront_size32 1
		.amdhsa_uses_dynamic_stack 0
		.amdhsa_enable_private_segment 0
		.amdhsa_system_sgpr_workgroup_id_x 1
		.amdhsa_system_sgpr_workgroup_id_y 0
		.amdhsa_system_sgpr_workgroup_id_z 1
		.amdhsa_system_sgpr_workgroup_info 0
		.amdhsa_system_vgpr_workitem_id 0
		.amdhsa_next_free_vgpr 7
		.amdhsa_next_free_sgpr 20
		.amdhsa_reserve_vcc 1
		.amdhsa_float_round_mode_32 0
		.amdhsa_float_round_mode_16_64 0
		.amdhsa_float_denorm_mode_32 3
		.amdhsa_float_denorm_mode_16_64 3
		.amdhsa_fp16_overflow 0
		.amdhsa_workgroup_processor_mode 1
		.amdhsa_memory_ordered 1
		.amdhsa_forward_progress 1
		.amdhsa_inst_pref_size 3
		.amdhsa_round_robin_scheduling 0
		.amdhsa_exception_fp_ieee_invalid_op 0
		.amdhsa_exception_fp_denorm_src 0
		.amdhsa_exception_fp_ieee_div_zero 0
		.amdhsa_exception_fp_ieee_overflow 0
		.amdhsa_exception_fp_ieee_underflow 0
		.amdhsa_exception_fp_ieee_inexact 0
		.amdhsa_exception_int_div_zero 0
	.end_amdhsa_kernel
	.section	.text._ZL24rocblas_gemv_scal_kernelILi256EdPKPdEviT0_lT1_lili,"axG",@progbits,_ZL24rocblas_gemv_scal_kernelILi256EdPKPdEviT0_lT1_lili,comdat
.Lfunc_end247:
	.size	_ZL24rocblas_gemv_scal_kernelILi256EdPKPdEviT0_lT1_lili, .Lfunc_end247-_ZL24rocblas_gemv_scal_kernelILi256EdPKPdEviT0_lT1_lili
                                        ; -- End function
	.set _ZL24rocblas_gemv_scal_kernelILi256EdPKPdEviT0_lT1_lili.num_vgpr, 7
	.set _ZL24rocblas_gemv_scal_kernelILi256EdPKPdEviT0_lT1_lili.num_agpr, 0
	.set _ZL24rocblas_gemv_scal_kernelILi256EdPKPdEviT0_lT1_lili.numbered_sgpr, 20
	.set _ZL24rocblas_gemv_scal_kernelILi256EdPKPdEviT0_lT1_lili.num_named_barrier, 0
	.set _ZL24rocblas_gemv_scal_kernelILi256EdPKPdEviT0_lT1_lili.private_seg_size, 0
	.set _ZL24rocblas_gemv_scal_kernelILi256EdPKPdEviT0_lT1_lili.uses_vcc, 1
	.set _ZL24rocblas_gemv_scal_kernelILi256EdPKPdEviT0_lT1_lili.uses_flat_scratch, 0
	.set _ZL24rocblas_gemv_scal_kernelILi256EdPKPdEviT0_lT1_lili.has_dyn_sized_stack, 0
	.set _ZL24rocblas_gemv_scal_kernelILi256EdPKPdEviT0_lT1_lili.has_recursion, 0
	.set _ZL24rocblas_gemv_scal_kernelILi256EdPKPdEviT0_lT1_lili.has_indirect_call, 0
	.section	.AMDGPU.csdata,"",@progbits
; Kernel info:
; codeLenInByte = 344
; TotalNumSgprs: 22
; NumVgprs: 7
; ScratchSize: 0
; MemoryBound: 1
; FloatMode: 240
; IeeeMode: 1
; LDSByteSize: 0 bytes/workgroup (compile time only)
; SGPRBlocks: 0
; VGPRBlocks: 0
; NumSGPRsForWavesPerEU: 22
; NumVGPRsForWavesPerEU: 7
; Occupancy: 16
; WaveLimiterHint : 1
; COMPUTE_PGM_RSRC2:SCRATCH_EN: 0
; COMPUTE_PGM_RSRC2:USER_SGPR: 2
; COMPUTE_PGM_RSRC2:TRAP_HANDLER: 0
; COMPUTE_PGM_RSRC2:TGID_X_EN: 1
; COMPUTE_PGM_RSRC2:TGID_Y_EN: 0
; COMPUTE_PGM_RSRC2:TGID_Z_EN: 1
; COMPUTE_PGM_RSRC2:TIDIG_COMP_CNT: 0
	.section	.text._ZL36rocblas_gemvn_double_buffered_kernelILi128ELi4ELi16EPKdS1_KPdEviiT3_lPKT2_lilS7_lilPT4_lili,"axG",@progbits,_ZL36rocblas_gemvn_double_buffered_kernelILi128ELi4ELi16EPKdS1_KPdEviiT3_lPKT2_lilS7_lilPT4_lili,comdat
	.globl	_ZL36rocblas_gemvn_double_buffered_kernelILi128ELi4ELi16EPKdS1_KPdEviiT3_lPKT2_lilS7_lilPT4_lili ; -- Begin function _ZL36rocblas_gemvn_double_buffered_kernelILi128ELi4ELi16EPKdS1_KPdEviiT3_lPKT2_lilS7_lilPT4_lili
	.p2align	8
	.type	_ZL36rocblas_gemvn_double_buffered_kernelILi128ELi4ELi16EPKdS1_KPdEviiT3_lPKT2_lilS7_lilPT4_lili,@function
_ZL36rocblas_gemvn_double_buffered_kernelILi128ELi4ELi16EPKdS1_KPdEviiT3_lPKT2_lilS7_lilPT4_lili: ; @_ZL36rocblas_gemvn_double_buffered_kernelILi128ELi4ELi16EPKdS1_KPdEviiT3_lPKT2_lilS7_lilPT4_lili
; %bb.0:
	s_load_b32 s33, s[0:1], 0x78
	s_lshr_b32 s2, ttmp7, 16
	s_wait_kmcnt 0x0
	s_cmp_ge_u32 s2, s33
	s_cbranch_scc1 .LBB248_16
; %bb.1:
	v_and_b32_e32 v4, 0x3ff, v0
	v_bfe_u32 v5, v0, 10, 10
	s_and_b32 s48, ttmp7, 0xffff
	v_dual_mov_b32 v64, 0 :: v_dual_and_b32 v63, 63, v0
	s_clause 0x3
	s_load_b32 s3, s[0:1], 0x4
	s_load_b32 s20, s[0:1], 0x28
	;; [unrolled: 1-line block ×4, first 2 shown]
	v_lshl_add_u32 v1, v5, 7, v4
	s_clause 0x2
	s_load_b128 s[12:15], s[0:1], 0x38
	s_load_b128 s[16:19], s[0:1], 0x58
	s_load_b256 s[4:11], s[0:1], 0x8
	s_add_nc_u64 s[24:25], s[0:1], 0x80
	v_lshlrev_b32_e32 v181, 3, v4
	v_lshrrev_b32_e32 v6, 6, v1
	v_cvt_f64_i32_e32 v[0:1], s48
	s_lshl_b32 s34, ttmp9, 7
	v_lshlrev_b32_e32 v179, 3, v63
	s_ashr_i32 s35, s34, 31
	v_lshlrev_b32_e32 v182, 7, v6
	v_lshlrev_b32_e32 v2, 4, v6
	s_delay_alu instid0(VALU_DEP_3) | instskip(NEXT) | instid1(VALU_DEP_3)
	v_lshl_or_b32 v180, v6, 10, v179
	v_add_co_u32 v183, s1, 0x410, v182
	s_delay_alu instid0(VALU_DEP_1)
	v_add_co_ci_u32_e64 v184, null, 0, 0, s1
	v_add_co_u32 v185, s1, 0x418, v182
	s_wait_alu 0xf1ff
	v_add_co_ci_u32_e64 v186, null, 0, 0, s1
	v_add_co_u32 v187, s1, 0x420, v182
	s_wait_alu 0xf1ff
	;; [unrolled: 3-line block ×6, first 2 shown]
	v_add_co_ci_u32_e64 v196, null, 0, 0, s1
	v_add_co_u32 v197, s1, 0x448, v182
	v_max_num_f64_e32 v[65:66], v[0:1], v[0:1]
	s_wait_alu 0xf1ff
	v_add_co_ci_u32_e64 v198, null, 0, 0, s1
	v_add_co_u32 v199, s1, 0x450, v182
	s_wait_alu 0xf1ff
	v_add_co_ci_u32_e64 v200, null, 0, 0, s1
	v_add_co_u32 v201, s1, 0x458, v182
	s_wait_kmcnt 0x0
	s_ashr_i32 s0, s3, 31
	s_wait_alu 0xf1ff
	v_add_co_ci_u32_e64 v202, null, 0, 0, s1
	v_add_co_u32 v203, s1, 0x460, v182
	s_wait_alu 0xfffe
	s_lshr_b32 s0, s0, 25
	v_add_co_ci_u32_e64 v204, null, 0, 0, s1
	v_add_co_u32 v205, s1, 0x468, v182
	s_wait_alu 0xfffe
	s_add_co_i32 s3, s3, s0
	v_mad_co_i64_i32 v[2:3], null, s20, v2, v[63:64]
	v_cmp_eq_u32_e64 s0, 0, v5
	v_mad_co_i64_i32 v[4:5], null, s30, v4, 0
	v_add_co_ci_u32_e64 v206, null, 0, 0, s1
	v_add_co_u32 v207, s1, 0x470, v182
	s_wait_alu 0xf1ff
	v_add_co_ci_u32_e64 v208, null, 0, 0, s1
	v_add_co_u32 v209, s1, 0x478, v182
	s_wait_alu 0xf1ff
	v_add_co_ci_u32_e64 v210, null, 0, 0, s1
	v_add_co_u32 v211, s1, 0x408, v182
	s_ashr_i32 s31, s30, 31
	v_add_co_ci_u32_e64 v212, null, 0, 0, s1
	v_add_co_u32 v213, s1, 0x400, v182
	s_wait_alu 0xfffe
	s_mul_u64 s[44:45], s[30:31], s[34:35]
	s_lshl_b32 s40, s22, 7
	s_lshl_b64 s[10:11], s[10:11], 3
	s_lshl_b64 s[30:31], s[34:35], 3
	v_lshlrev_b64_e32 v[67:68], 3, v[2:3]
	v_lshlrev_b64_e32 v[69:70], 3, v[4:5]
	v_add_co_ci_u32_e64 v214, null, 0, 0, s1
	s_ashr_i32 s21, s20, 31
	s_ashr_i32 s23, s22, 31
	;; [unrolled: 1-line block ×3, first 2 shown]
	s_mov_b32 s3, 0
	s_ashr_i32 s41, s40, 31
	s_wait_alu 0xfffe
	s_add_nc_u64 s[36:37], s[10:11], s[30:31]
	s_lshl_b64 s[28:29], s[20:21], 10
	s_mov_b32 s27, s3
	s_lshl_b64 s[34:35], s[20:21], 3
	s_add_nc_u64 s[38:39], s[36:37], 0x200
	s_lshl_b64 s[14:15], s[14:15], 3
	s_lshl_b64 s[40:41], s[40:41], 3
	;; [unrolled: 1-line block ×5, first 2 shown]
	s_branch .LBB248_4
.LBB248_2:                              ;   in Loop: Header=BB248_4 Depth=1
	s_wait_alu 0xfffe
	s_or_b32 exec_lo, exec_lo, s1
.LBB248_3:                              ;   in Loop: Header=BB248_4 Depth=1
	s_add_co_i32 s2, s2, 0x10000
	s_delay_alu instid0(SALU_CYCLE_1)
	s_cmp_lt_u32 s2, s33
	s_cbranch_scc0 .LBB248_16
.LBB248_4:                              ; =>This Loop Header: Depth=1
                                        ;     Child Loop BB248_8 Depth 2
                                        ;     Child Loop BB248_15 Depth 2
	s_mul_u64 s[46:47], s[6:7], s[2:3]
	s_wait_alu 0xfffe
	s_lshl_b64 s[46:47], s[46:47], 3
	s_wait_alu 0xfffe
	s_add_nc_u64 s[46:47], s[4:5], s[46:47]
	global_load_b64 v[71:72], v64, s[46:47]
	s_wait_loadcnt 0x0
	v_cmp_eq_f64_e32 vcc_lo, 0, v[71:72]
	s_cbranch_vccnz .LBB248_3
; %bb.5:                                ;   in Loop: Header=BB248_4 Depth=1
	s_load_b32 s49, s[24:25], 0x4
	s_mov_b32 s47, s3
	s_wait_kmcnt 0x0
	s_cvt_f32_u32 s1, s49
	s_sub_co_i32 s46, 0, s49
	s_wait_alu 0xfffe
	s_delay_alu instid0(SALU_CYCLE_1) | instskip(NEXT) | instid1(TRANS32_DEP_1)
	v_rcp_iflag_f32_e32 v0, s1
	v_readfirstlane_b32 s1, v0
	s_mul_f32 s1, s1, 0x4f7ffffe
	s_wait_alu 0xfffe
	s_delay_alu instid0(SALU_CYCLE_2) | instskip(SKIP_1) | instid1(SALU_CYCLE_2)
	s_cvt_u32_f32 s1, s1
	s_wait_alu 0xfffe
	s_mul_i32 s46, s46, s1
	s_wait_alu 0xfffe
	s_mul_hi_u32 s46, s1, s46
	s_wait_alu 0xfffe
	s_add_co_i32 s46, s1, s46
	s_wait_alu 0xfffe
	s_mul_u64 s[46:47], s[26:27], s[46:47]
	s_wait_alu 0xfffe
	s_mul_i32 s1, s47, s49
	s_add_co_i32 s46, s47, 1
	s_wait_alu 0xfffe
	s_sub_co_i32 s1, s26, s1
	s_wait_alu 0xfffe
	s_sub_co_i32 s50, s1, s49
	s_cmp_ge_u32 s1, s49
	s_cselect_b32 s46, s46, s47
	s_wait_alu 0xfffe
	s_cselect_b32 s1, s50, s1
	s_add_co_i32 s47, s46, 1
	s_wait_alu 0xfffe
	s_cmp_ge_u32 s1, s49
	s_cselect_b32 s1, s47, s46
	s_wait_alu 0xfffe
	s_mul_i32 s46, s1, s49
	s_wait_alu 0xfffe
	s_sub_co_i32 s50, s26, s46
	s_wait_alu 0xfffe
	s_cmp_lt_u32 s48, s50
	s_cselect_b32 s46, -1, 0
	s_wait_alu 0xfffe
	s_cmp_lg_u32 s46, 0
	s_add_co_ci_u32 s49, s1, 0
	s_wait_alu 0xfffe
	s_cmp_eq_u32 s49, 0
	s_cbranch_scc1 .LBB248_3
; %bb.6:                                ;   in Loop: Header=BB248_4 Depth=1
	s_lshl_b64 s[46:47], s[2:3], 3
	s_cmp_lt_i32 s49, 1
	s_wait_alu 0xfffe
	s_add_nc_u64 s[52:53], s[16:17], s[46:47]
	global_load_b64 v[73:74], v64, s[52:53]
	s_cbranch_scc1 .LBB248_12
; %bb.7:                                ;   in Loop: Header=BB248_4 Depth=1
	s_add_nc_u64 s[52:53], s[8:9], s[46:47]
	v_cvt_f64_u32_e32 v[0:1], s50
	global_load_b64 v[32:33], v64, s[52:53]
	s_mul_i32 s1, s1, s48
	s_add_nc_u64 s[50:51], s[12:13], s[46:47]
	s_wait_alu 0xfffe
	v_cvt_f64_u32_e32 v[2:3], s1
	global_load_b64 v[34:35], v64, s[50:51]
	v_mov_b32_e32 v111, 0
	v_dual_mov_b32 v112, 0 :: v_dual_mov_b32 v113, 0
	v_mov_b32_e32 v114, 0
	v_min_num_f64_e32 v[0:1], v[65:66], v[0:1]
	s_delay_alu instid0(VALU_DEP_1) | instskip(NEXT) | instid1(VALU_DEP_1)
	v_add_f64_e32 v[0:1], v[0:1], v[2:3]
	v_cvt_i32_f64_e32 v0, v[0:1]
	s_delay_alu instid0(VALU_DEP_1)
	v_readfirstlane_b32 s1, v0
	s_lshl_b32 s46, s1, 7
	s_wait_alu 0xfffe
	s_ashr_i32 s47, s46, 31
	s_wait_alu 0xfffe
	s_mul_u64 s[50:51], s[46:47], s[20:21]
	s_lshl_b64 s[46:47], s[46:47], 3
	s_wait_alu 0xfffe
	s_lshl_b64 s[50:51], s[50:51], 3
	s_wait_loadcnt 0x1
	v_add_co_u32 v0, vcc_lo, v32, s10
	s_wait_alu 0xfffd
	v_add_co_ci_u32_e64 v1, null, s11, v33, vcc_lo
	s_delay_alu instid0(VALU_DEP_2) | instskip(SKIP_1) | instid1(VALU_DEP_2)
	v_add_co_u32 v0, vcc_lo, v0, s30
	s_wait_alu 0xfffd
	v_add_co_ci_u32_e64 v1, null, s31, v1, vcc_lo
	s_wait_alu 0xfffe
	s_delay_alu instid0(VALU_DEP_2) | instskip(SKIP_1) | instid1(VALU_DEP_2)
	v_add_co_u32 v0, vcc_lo, v0, s50
	s_wait_alu 0xfffd
	v_add_co_ci_u32_e64 v1, null, s51, v1, vcc_lo
	s_delay_alu instid0(VALU_DEP_2) | instskip(SKIP_1) | instid1(VALU_DEP_2)
	v_add_co_u32 v0, vcc_lo, v0, v67
	s_wait_alu 0xfffd
	v_add_co_ci_u32_e64 v1, null, v1, v68, vcc_lo
	s_delay_alu instid0(VALU_DEP_2) | instskip(SKIP_1) | instid1(VALU_DEP_2)
	v_add_co_u32 v2, vcc_lo, v0, s34
	s_wait_alu 0xfffd
	v_add_co_ci_u32_e64 v3, null, s35, v1, vcc_lo
	s_delay_alu instid0(VALU_DEP_2) | instskip(SKIP_1) | instid1(VALU_DEP_2)
	v_add_co_u32 v4, vcc_lo, v2, s34
	s_wait_alu 0xfffd
	v_add_co_ci_u32_e64 v5, null, s35, v3, vcc_lo
	s_delay_alu instid0(VALU_DEP_2) | instskip(SKIP_1) | instid1(VALU_DEP_2)
	v_add_co_u32 v6, vcc_lo, v4, s34
	s_wait_alu 0xfffd
	v_add_co_ci_u32_e64 v7, null, s35, v5, vcc_lo
	s_delay_alu instid0(VALU_DEP_2) | instskip(SKIP_1) | instid1(VALU_DEP_2)
	v_add_co_u32 v8, vcc_lo, v6, s34
	s_wait_alu 0xfffd
	v_add_co_ci_u32_e64 v9, null, s35, v7, vcc_lo
	s_clause 0x3
	flat_load_b64 v[0:1], v[0:1]
	flat_load_b64 v[2:3], v[2:3]
	;; [unrolled: 1-line block ×4, first 2 shown]
	v_add_co_u32 v10, vcc_lo, v8, s34
	s_wait_alu 0xfffd
	v_add_co_ci_u32_e64 v11, null, s35, v9, vcc_lo
	s_delay_alu instid0(VALU_DEP_2) | instskip(SKIP_1) | instid1(VALU_DEP_2)
	v_add_co_u32 v12, vcc_lo, v10, s34
	s_wait_alu 0xfffd
	v_add_co_ci_u32_e64 v13, null, s35, v11, vcc_lo
	s_delay_alu instid0(VALU_DEP_2) | instskip(SKIP_1) | instid1(VALU_DEP_2)
	v_add_co_u32 v14, vcc_lo, v12, s34
	s_wait_alu 0xfffd
	v_add_co_ci_u32_e64 v15, null, s35, v13, vcc_lo
	s_clause 0x2
	flat_load_b64 v[8:9], v[8:9]
	flat_load_b64 v[10:11], v[10:11]
	;; [unrolled: 1-line block ×3, first 2 shown]
	v_add_co_u32 v16, vcc_lo, v14, s34
	s_wait_alu 0xfffd
	v_add_co_ci_u32_e64 v17, null, s35, v15, vcc_lo
	flat_load_b64 v[14:15], v[14:15]
	v_add_co_u32 v18, vcc_lo, v16, s34
	s_wait_alu 0xfffd
	v_add_co_ci_u32_e64 v19, null, s35, v17, vcc_lo
	flat_load_b64 v[16:17], v[16:17]
	;; [unrolled: 4-line block ×4, first 2 shown]
	v_add_co_u32 v24, vcc_lo, v22, s34
	s_wait_alu 0xfffd
	v_add_co_ci_u32_e64 v25, null, s35, v23, vcc_lo
	s_delay_alu instid0(VALU_DEP_2) | instskip(SKIP_1) | instid1(VALU_DEP_2)
	v_add_co_u32 v26, vcc_lo, v24, s34
	s_wait_alu 0xfffd
	v_add_co_ci_u32_e64 v27, null, s35, v25, vcc_lo
	s_delay_alu instid0(VALU_DEP_2) | instskip(SKIP_1) | instid1(VALU_DEP_2)
	;; [unrolled: 4-line block ×3, first 2 shown]
	v_add_co_u32 v30, vcc_lo, v28, s34
	s_wait_alu 0xfffd
	v_add_co_ci_u32_e64 v31, null, s35, v29, vcc_lo
	flat_load_b64 v[22:23], v[22:23]
	flat_load_b64 v[24:25], v[24:25]
	;; [unrolled: 1-line block ×5, first 2 shown]
	v_add_co_u32 v36, vcc_lo, v32, s36
	s_wait_alu 0xfffd
	v_add_co_ci_u32_e64 v37, null, s37, v33, vcc_lo
	v_add_co_u32 v38, vcc_lo, v183, s46
	s_wait_alu 0xfffd
	v_add_co_ci_u32_e64 v39, null, s47, v184, vcc_lo
	v_add_co_u32 v40, vcc_lo, v185, s46
	s_delay_alu instid0(VALU_DEP_3) | instskip(NEXT) | instid1(VALU_DEP_3)
	v_mul_lo_u32 v42, s21, v38
	v_mul_lo_u32 v39, s20, v39
	v_mad_co_u64_u32 v[75:76], null, s20, v38, v[36:37]
	s_wait_alu 0xfffd
	v_add_co_ci_u32_e64 v41, null, s47, v186, vcc_lo
	v_mad_co_u64_u32 v[77:78], null, s20, v40, v[36:37]
	s_delay_alu instid0(VALU_DEP_2) | instskip(NEXT) | instid1(VALU_DEP_4)
	v_mul_lo_u32 v38, s20, v41
	v_add3_u32 v76, v42, v76, v39
	v_add_co_u32 v39, vcc_lo, v187, s46
	v_mul_lo_u32 v41, s21, v40
	s_wait_alu 0xfffd
	v_add_co_ci_u32_e64 v40, null, s47, v188, vcc_lo
	v_add_co_u32 v42, vcc_lo, v189, s46
	s_wait_alu 0xfffd
	v_add_co_ci_u32_e64 v43, null, s47, v190, vcc_lo
	v_mul_lo_u32 v44, s21, v39
	v_mad_co_u64_u32 v[79:80], null, s20, v39, v[36:37]
	v_add_co_u32 v39, vcc_lo, v191, s46
	s_wait_alu 0xfffd
	v_add_co_ci_u32_e64 v45, null, s47, v192, vcc_lo
	v_mul_lo_u32 v46, s21, v42
	v_mad_co_u64_u32 v[81:82], null, s20, v42, v[36:37]
	s_delay_alu instid0(VALU_DEP_3)
	v_mul_lo_u32 v42, s20, v45
	v_mul_lo_u32 v45, s21, v39
	v_mad_co_u64_u32 v[83:84], null, s20, v39, v[36:37]
	v_add_co_u32 v39, vcc_lo, v193, s46
	s_wait_alu 0xfffd
	v_add_co_ci_u32_e64 v47, null, s47, v194, vcc_lo
	v_add_co_u32 v48, vcc_lo, v195, s46
	s_wait_alu 0xfffd
	v_add_co_ci_u32_e64 v49, null, s47, v196, vcc_lo
	v_mul_lo_u32 v40, s20, v40
	v_mul_lo_u32 v50, s21, v39
	v_mad_co_u64_u32 v[85:86], null, s20, v39, v[36:37]
	s_delay_alu instid0(VALU_DEP_4)
	v_mul_lo_u32 v39, s20, v49
	v_mul_lo_u32 v49, s21, v48
	v_mad_co_u64_u32 v[87:88], null, s20, v48, v[36:37]
	v_add_co_u32 v48, vcc_lo, v197, s46
	s_wait_alu 0xfffd
	v_add_co_ci_u32_e64 v51, null, s47, v198, vcc_lo
	v_add_co_u32 v52, vcc_lo, v199, s46
	s_wait_alu 0xfffd
	v_add_co_ci_u32_e64 v53, null, s47, v200, vcc_lo
	v_add3_u32 v78, v41, v78, v38
	v_add_co_u32 v38, vcc_lo, v201, s46
	v_add3_u32 v80, v44, v80, v40
	v_add3_u32 v88, v49, v88, v39
	s_wait_alu 0xfffd
	v_add_co_ci_u32_e64 v39, null, s47, v202, vcc_lo
	v_add_co_u32 v40, vcc_lo, v203, s46
	v_mul_lo_u32 v43, s20, v43
	s_wait_alu 0xfffd
	v_add_co_ci_u32_e64 v41, null, s47, v204, vcc_lo
	v_add3_u32 v84, v45, v84, v42
	v_mul_lo_u32 v42, s21, v38
	v_mad_co_u64_u32 v[93:94], null, s20, v38, v[36:37]
	s_delay_alu instid0(VALU_DEP_4)
	v_mul_lo_u32 v38, s20, v41
	v_mul_lo_u32 v41, s21, v40
	v_mad_co_u64_u32 v[95:96], null, s20, v40, v[36:37]
	v_add_co_u32 v40, vcc_lo, v205, s46
	v_add3_u32 v82, v46, v82, v43
	s_wait_alu 0xfffd
	v_add_co_ci_u32_e64 v43, null, s47, v206, vcc_lo
	v_add_co_u32 v44, vcc_lo, v207, s46
	s_wait_alu 0xfffd
	v_add_co_ci_u32_e64 v45, null, s47, v208, vcc_lo
	v_mul_lo_u32 v47, s20, v47
	v_mul_lo_u32 v46, s21, v40
	v_mad_co_u64_u32 v[97:98], null, s20, v40, v[36:37]
	s_delay_alu instid0(VALU_DEP_4)
	v_mul_lo_u32 v40, s20, v45
	v_mul_lo_u32 v45, s21, v44
	v_mad_co_u64_u32 v[99:100], null, s20, v44, v[36:37]
	v_mul_lo_u32 v39, s20, v39
	v_mul_lo_u32 v43, s20, v43
	v_add_co_u32 v44, vcc_lo, v209, s46
	v_add3_u32 v86, v50, v86, v47
	s_wait_alu 0xfffd
	v_add_co_ci_u32_e64 v47, null, s47, v210, vcc_lo
	v_add3_u32 v100, v45, v100, v40
	v_add_co_u32 v40, vcc_lo, v211, s46
	v_add3_u32 v94, v42, v94, v39
	v_add3_u32 v96, v41, v96, v38
	s_wait_alu 0xfffd
	v_add_co_ci_u32_e64 v41, null, s47, v212, vcc_lo
	v_add_co_u32 v42, vcc_lo, v213, s46
	v_add3_u32 v98, v46, v98, v43
	s_wait_alu 0xfffd
	v_add_co_ci_u32_e64 v43, null, s47, v214, vcc_lo
	v_add_co_u32 v32, vcc_lo, v32, s38
	v_mad_co_u64_u32 v[89:90], null, s20, v48, v[36:37]
	v_mad_co_u64_u32 v[91:92], null, s20, v52, v[36:37]
	;; [unrolled: 1-line block ×5, first 2 shown]
	v_add_co_u32 v37, s1, v182, s46
	s_wait_alu 0xfffd
	v_add_co_ci_u32_e64 v33, null, s39, v33, vcc_lo
	s_wait_loadcnt 0x10
	v_add_co_u32 v34, vcc_lo, v34, s14
	v_mul_lo_u32 v36, s21, v42
	s_wait_alu 0xf1ff
	v_add_co_ci_u32_e64 v42, null, 0, s47, s1
	s_wait_alu 0xfffd
	v_add_co_ci_u32_e64 v35, null, s15, v35, vcc_lo
	v_mul_lo_u32 v51, s20, v51
	v_mul_lo_u32 v54, s21, v48
	;; [unrolled: 1-line block ×9, first 2 shown]
	v_mad_co_u64_u32 v[107:108], null, s20, v37, v[32:33]
	v_mul_lo_u32 v32, s20, v42
	v_mul_lo_u32 v33, s21, v37
	;; [unrolled: 1-line block ×3, first 2 shown]
	v_mad_co_u64_u32 v[109:110], null, s22, v37, v[34:35]
	v_mul_lo_u32 v116, s23, v37
	v_add3_u32 v90, v54, v90, v51
	v_add3_u32 v92, v53, v92, v48
	;; [unrolled: 1-line block ×6, first 2 shown]
	s_add_co_i32 s46, s49, -1
	v_add3_u32 v110, v116, v110, v115
	s_mov_b32 s47, 0
	s_wait_loadcnt_dscnt 0x0
	v_dual_mov_b32 v63, v31 :: v_dual_mov_b32 v62, v30
	v_dual_mov_b32 v61, v29 :: v_dual_mov_b32 v60, v28
	;; [unrolled: 1-line block ×16, first 2 shown]
.LBB248_8:                              ;   Parent Loop BB248_4 Depth=1
                                        ; =>  This Inner Loop Header: Depth=2
	v_add_co_u32 v115, vcc_lo, v107, v179
	s_wait_alu 0xfffd
	v_add_co_ci_u32_e64 v116, null, 0, v108, vcc_lo
	s_wait_alu 0xfffe
	s_cmp_eq_u32 s46, s47
	v_add_co_u32 v117, vcc_lo, v115, s34
	s_wait_alu 0xfffd
	v_add_co_ci_u32_e64 v118, null, s35, v116, vcc_lo
	flat_load_b64 v[115:116], v[115:116]
	v_add_co_u32 v119, vcc_lo, v117, s34
	s_wait_alu 0xfffd
	v_add_co_ci_u32_e64 v120, null, s35, v118, vcc_lo
	flat_load_b64 v[117:118], v[117:118]
	;; [unrolled: 4-line block ×3, first 2 shown]
	v_add_co_u32 v125, s1, v121, s34
	s_wait_alu 0xf1ff
	v_add_co_ci_u32_e64 v126, null, s35, v122, s1
	flat_load_b64 v[123:124], v[121:122]
	v_add_co_u32 v129, s1, v125, s34
	s_wait_alu 0xf1ff
	v_add_co_ci_u32_e64 v130, null, s35, v126, s1
	flat_load_b64 v[127:128], v[125:126]
	v_add_co_u32 v133, s1, v129, s34
	s_wait_alu 0xf1ff
	v_add_co_ci_u32_e64 v134, null, s35, v130, s1
	flat_load_b64 v[131:132], v[129:130]
	v_add_co_u32 v137, s1, v133, s34
	s_wait_alu 0xf1ff
	v_add_co_ci_u32_e64 v138, null, s35, v134, s1
	v_add_co_u32 v147, vcc_lo, v109, s42
	s_delay_alu instid0(VALU_DEP_3) | instskip(SKIP_1) | instid1(VALU_DEP_3)
	v_add_co_u32 v121, s1, v137, s34
	s_wait_alu 0xf1ff
	v_add_co_ci_u32_e64 v122, null, s35, v138, s1
	s_wait_alu 0xfffd
	v_add_co_ci_u32_e64 v148, null, s43, v110, vcc_lo
	v_add_co_u32 v125, s1, v121, s34
	s_wait_alu 0xf1ff
	v_add_co_ci_u32_e64 v126, null, s35, v122, s1
	s_delay_alu instid0(VALU_DEP_2) | instskip(SKIP_1) | instid1(VALU_DEP_2)
	v_add_co_u32 v139, s1, v125, s34
	s_wait_alu 0xf1ff
	v_add_co_ci_u32_e64 v140, null, s35, v126, s1
	s_clause 0x3
	flat_load_b64 v[135:136], v[133:134]
	flat_load_b64 v[133:134], v[137:138]
	;; [unrolled: 1-line block ×5, first 2 shown]
	v_add_co_u32 v139, vcc_lo, v139, s34
	s_wait_alu 0xfffd
	v_add_co_ci_u32_e64 v140, null, s35, v140, vcc_lo
	v_add_co_u32 v151, vcc_lo, v147, s42
	s_wait_alu 0xfffd
	v_add_co_ci_u32_e64 v152, null, s43, v148, vcc_lo
	flat_load_b64 v[137:138], v[139:140]
	v_add_co_u32 v153, vcc_lo, v151, s42
	s_wait_alu 0xfffd
	v_add_co_ci_u32_e64 v154, null, s43, v152, vcc_lo
	v_add_co_u32 v139, vcc_lo, v139, s34
	s_wait_alu 0xfffd
	v_add_co_ci_u32_e64 v140, null, s35, v140, vcc_lo
	v_add_co_u32 v155, vcc_lo, v153, s42
	s_wait_alu 0xfffd
	v_add_co_ci_u32_e64 v156, null, s43, v154, vcc_lo
	flat_load_b64 v[141:142], v[139:140]
	v_add_co_u32 v159, vcc_lo, v155, s42
	s_wait_alu 0xfffd
	v_add_co_ci_u32_e64 v160, null, s43, v156, vcc_lo
	;; [unrolled: 10-line block ×5, first 2 shown]
	flat_load_b64 v[149:150], v[109:110]
	v_add_co_u32 v215, vcc_lo, v177, s42
	s_wait_alu 0xfffd
	v_add_co_ci_u32_e64 v216, null, s43, v178, vcc_lo
	s_clause 0x3
	flat_load_b64 v[163:164], v[147:148]
	flat_load_b64 v[157:158], v[151:152]
	;; [unrolled: 1-line block ×4, first 2 shown]
	v_add_co_u32 v147, vcc_lo, v215, s42
	s_wait_alu 0xfffd
	v_add_co_ci_u32_e64 v148, null, s43, v216, vcc_lo
	s_clause 0x3
	flat_load_b64 v[167:168], v[159:160]
	flat_load_b64 v[165:166], v[161:162]
	;; [unrolled: 1-line block ×4, first 2 shown]
	v_add_co_u32 v161, vcc_lo, v147, s42
	s_wait_alu 0xfffd
	v_add_co_ci_u32_e64 v162, null, s43, v148, vcc_lo
	s_clause 0x1
	flat_load_b64 v[171:172], v[173:174]
	flat_load_b64 v[169:170], v[175:176]
	v_add_co_u32 v217, vcc_lo, v161, s42
	s_wait_alu 0xfffd
	v_add_co_ci_u32_e64 v218, null, s43, v162, vcc_lo
	flat_load_b64 v[177:178], v[177:178]
	flat_load_b64 v[175:176], v[215:216]
	;; [unrolled: 1-line block ×5, first 2 shown]
	s_cbranch_scc1 .LBB248_10
; %bb.9:                                ;   in Loop: Header=BB248_8 Depth=2
	v_add_co_u32 v32, vcc_lo, v105, v179
	s_wait_alu 0xfffd
	v_add_co_ci_u32_e64 v33, null, 0, v106, vcc_lo
	v_add_co_u32 v34, vcc_lo, v103, v179
	s_wait_alu 0xfffd
	v_add_co_ci_u32_e64 v35, null, 0, v104, vcc_lo
	;; [unrolled: 3-line block ×16, first 2 shown]
	flat_load_b64 v[32:33], v[32:33]
	flat_load_b64 v[34:35], v[34:35]
	;; [unrolled: 1-line block ×16, first 2 shown]
.LBB248_10:                             ;   in Loop: Header=BB248_8 Depth=2
	s_wait_loadcnt_dscnt 0xf0f
	v_fma_f64 v[0:1], v[0:1], v[149:150], v[113:114]
	v_fma_f64 v[111:112], v[115:116], v[149:150], v[111:112]
	v_add_co_u32 v75, vcc_lo, v75, s28
	s_wait_alu 0xfffd
	v_add_co_ci_u32_e64 v76, null, s29, v76, vcc_lo
	v_add_co_u32 v77, vcc_lo, v77, s28
	s_wait_alu 0xfffd
	v_add_co_ci_u32_e64 v78, null, s29, v78, vcc_lo
	;; [unrolled: 3-line block ×9, first 2 shown]
	s_wait_loadcnt_dscnt 0xe0e
	v_fma_f64 v[0:1], v[2:3], v[163:164], v[0:1]
	v_fma_f64 v[2:3], v[117:118], v[163:164], v[111:112]
	v_add_co_u32 v93, vcc_lo, v93, s28
	s_wait_alu 0xfffd
	v_add_co_ci_u32_e64 v94, null, s29, v94, vcc_lo
	v_add_co_u32 v95, vcc_lo, v95, s28
	s_wait_alu 0xfffd
	v_add_co_ci_u32_e64 v96, null, s29, v96, vcc_lo
	;; [unrolled: 3-line block ×9, first 2 shown]
	s_wait_loadcnt_dscnt 0xd0d
	v_fma_f64 v[0:1], v[4:5], v[157:158], v[0:1]
	v_fma_f64 v[2:3], v[119:120], v[157:158], v[2:3]
	s_add_co_i32 s47, s47, 1
	s_wait_alu 0xfffe
	s_cmp_lt_i32 s47, s49
	s_wait_loadcnt_dscnt 0xc0c
	s_delay_alu instid0(VALU_DEP_2) | instskip(NEXT) | instid1(VALU_DEP_2)
	v_fma_f64 v[0:1], v[6:7], v[153:154], v[0:1]
	v_fma_f64 v[2:3], v[123:124], v[153:154], v[2:3]
	s_wait_loadcnt_dscnt 0xb0b
	s_delay_alu instid0(VALU_DEP_2) | instskip(NEXT) | instid1(VALU_DEP_2)
	v_fma_f64 v[0:1], v[8:9], v[151:152], v[0:1]
	v_fma_f64 v[2:3], v[127:128], v[151:152], v[2:3]
	;; [unrolled: 4-line block ×13, first 2 shown]
	s_cbranch_scc0 .LBB248_13
; %bb.11:                               ;   in Loop: Header=BB248_8 Depth=2
	v_dual_mov_b32 v0, v32 :: v_dual_mov_b32 v1, v33
	v_dual_mov_b32 v2, v34 :: v_dual_mov_b32 v3, v35
	;; [unrolled: 1-line block ×16, first 2 shown]
	s_branch .LBB248_8
.LBB248_12:                             ;   in Loop: Header=BB248_4 Depth=1
	v_mov_b32_e32 v111, 0
	v_dual_mov_b32 v112, 0 :: v_dual_mov_b32 v113, 0
	v_mov_b32_e32 v114, 0
.LBB248_13:                             ;   in Loop: Header=BB248_4 Depth=1
	ds_store_2addr_stride64_b64 v180, v[113:114], v[111:112] offset1:1
	s_wait_loadcnt_dscnt 0x0
	s_barrier_signal -1
	s_barrier_wait -1
	global_inv scope:SCOPE_SE
	s_and_saveexec_b32 s1, s0
	s_cbranch_execz .LBB248_2
; %bb.14:                               ;   in Loop: Header=BB248_4 Depth=1
	ds_load_2addr_stride64_b64 v[4:7], v181 offset1:2
	v_add_co_u32 v2, vcc_lo, v73, s18
	s_wait_alu 0xfffd
	v_add_co_ci_u32_e64 v3, null, s19, v74, vcc_lo
	s_mov_b32 s46, 0
	v_add_co_u32 v2, vcc_lo, v2, s44
	s_wait_alu 0xfffd
	v_add_co_ci_u32_e64 v3, null, s45, v3, vcc_lo
	s_wait_dscnt 0x0
	v_add_f64_e32 v[0:1], 0, v[4:5]
	v_add_co_u32 v4, vcc_lo, v2, v69
	s_wait_alu 0xfffd
	v_add_co_ci_u32_e64 v5, null, v3, v70, vcc_lo
	flat_load_b64 v[2:3], v[4:5]
	v_add_f64_e32 v[0:1], v[0:1], v[6:7]
	ds_load_2addr_stride64_b64 v[6:9], v181 offset0:4 offset1:6
	s_wait_dscnt 0x0
	v_add_f64_e32 v[0:1], v[0:1], v[6:7]
	s_delay_alu instid0(VALU_DEP_1) | instskip(SKIP_3) | instid1(VALU_DEP_1)
	v_add_f64_e32 v[0:1], v[0:1], v[8:9]
	ds_load_2addr_stride64_b64 v[6:9], v181 offset0:8 offset1:10
	s_wait_dscnt 0x0
	v_add_f64_e32 v[0:1], v[0:1], v[6:7]
	v_add_f64_e32 v[0:1], v[0:1], v[8:9]
	ds_load_2addr_stride64_b64 v[6:9], v181 offset0:12 offset1:14
	s_wait_dscnt 0x0
	v_add_f64_e32 v[0:1], v[0:1], v[6:7]
	s_delay_alu instid0(VALU_DEP_1) | instskip(NEXT) | instid1(VALU_DEP_1)
	v_add_f64_e32 v[0:1], v[0:1], v[8:9]
	v_mul_f64_e32 v[6:7], v[71:72], v[0:1]
.LBB248_15:                             ;   Parent Loop BB248_4 Depth=1
                                        ; =>  This Inner Loop Header: Depth=2
	s_wait_loadcnt 0x0
	s_delay_alu instid0(VALU_DEP_1)
	v_add_f64_e32 v[0:1], v[2:3], v[6:7]
	flat_atomic_cmpswap_b64 v[0:1], v[4:5], v[0:3] th:TH_ATOMIC_RETURN scope:SCOPE_DEV
	s_wait_loadcnt_dscnt 0x0
	v_cmp_eq_u64_e32 vcc_lo, v[0:1], v[2:3]
	v_dual_mov_b32 v3, v1 :: v_dual_mov_b32 v2, v0
	s_wait_alu 0xfffe
	s_or_b32 s46, vcc_lo, s46
	s_wait_alu 0xfffe
	s_and_not1_b32 exec_lo, exec_lo, s46
	s_cbranch_execnz .LBB248_15
	s_branch .LBB248_2
.LBB248_16:
	s_endpgm
	.section	.rodata,"a",@progbits
	.p2align	6, 0x0
	.amdhsa_kernel _ZL36rocblas_gemvn_double_buffered_kernelILi128ELi4ELi16EPKdS1_KPdEviiT3_lPKT2_lilS7_lilPT4_lili
		.amdhsa_group_segment_fixed_size 8192
		.amdhsa_private_segment_fixed_size 0
		.amdhsa_kernarg_size 384
		.amdhsa_user_sgpr_count 2
		.amdhsa_user_sgpr_dispatch_ptr 0
		.amdhsa_user_sgpr_queue_ptr 0
		.amdhsa_user_sgpr_kernarg_segment_ptr 1
		.amdhsa_user_sgpr_dispatch_id 0
		.amdhsa_user_sgpr_private_segment_size 0
		.amdhsa_wavefront_size32 1
		.amdhsa_uses_dynamic_stack 0
		.amdhsa_enable_private_segment 0
		.amdhsa_system_sgpr_workgroup_id_x 1
		.amdhsa_system_sgpr_workgroup_id_y 1
		.amdhsa_system_sgpr_workgroup_id_z 1
		.amdhsa_system_sgpr_workgroup_info 0
		.amdhsa_system_vgpr_workitem_id 1
		.amdhsa_next_free_vgpr 219
		.amdhsa_next_free_sgpr 54
		.amdhsa_reserve_vcc 1
		.amdhsa_float_round_mode_32 0
		.amdhsa_float_round_mode_16_64 0
		.amdhsa_float_denorm_mode_32 3
		.amdhsa_float_denorm_mode_16_64 3
		.amdhsa_fp16_overflow 0
		.amdhsa_workgroup_processor_mode 1
		.amdhsa_memory_ordered 1
		.amdhsa_forward_progress 1
		.amdhsa_inst_pref_size 45
		.amdhsa_round_robin_scheduling 0
		.amdhsa_exception_fp_ieee_invalid_op 0
		.amdhsa_exception_fp_denorm_src 0
		.amdhsa_exception_fp_ieee_div_zero 0
		.amdhsa_exception_fp_ieee_overflow 0
		.amdhsa_exception_fp_ieee_underflow 0
		.amdhsa_exception_fp_ieee_inexact 0
		.amdhsa_exception_int_div_zero 0
	.end_amdhsa_kernel
	.section	.text._ZL36rocblas_gemvn_double_buffered_kernelILi128ELi4ELi16EPKdS1_KPdEviiT3_lPKT2_lilS7_lilPT4_lili,"axG",@progbits,_ZL36rocblas_gemvn_double_buffered_kernelILi128ELi4ELi16EPKdS1_KPdEviiT3_lPKT2_lilS7_lilPT4_lili,comdat
.Lfunc_end248:
	.size	_ZL36rocblas_gemvn_double_buffered_kernelILi128ELi4ELi16EPKdS1_KPdEviiT3_lPKT2_lilS7_lilPT4_lili, .Lfunc_end248-_ZL36rocblas_gemvn_double_buffered_kernelILi128ELi4ELi16EPKdS1_KPdEviiT3_lPKT2_lilS7_lilPT4_lili
                                        ; -- End function
	.set _ZL36rocblas_gemvn_double_buffered_kernelILi128ELi4ELi16EPKdS1_KPdEviiT3_lPKT2_lilS7_lilPT4_lili.num_vgpr, 219
	.set _ZL36rocblas_gemvn_double_buffered_kernelILi128ELi4ELi16EPKdS1_KPdEviiT3_lPKT2_lilS7_lilPT4_lili.num_agpr, 0
	.set _ZL36rocblas_gemvn_double_buffered_kernelILi128ELi4ELi16EPKdS1_KPdEviiT3_lPKT2_lilS7_lilPT4_lili.numbered_sgpr, 54
	.set _ZL36rocblas_gemvn_double_buffered_kernelILi128ELi4ELi16EPKdS1_KPdEviiT3_lPKT2_lilS7_lilPT4_lili.num_named_barrier, 0
	.set _ZL36rocblas_gemvn_double_buffered_kernelILi128ELi4ELi16EPKdS1_KPdEviiT3_lPKT2_lilS7_lilPT4_lili.private_seg_size, 0
	.set _ZL36rocblas_gemvn_double_buffered_kernelILi128ELi4ELi16EPKdS1_KPdEviiT3_lPKT2_lilS7_lilPT4_lili.uses_vcc, 1
	.set _ZL36rocblas_gemvn_double_buffered_kernelILi128ELi4ELi16EPKdS1_KPdEviiT3_lPKT2_lilS7_lilPT4_lili.uses_flat_scratch, 1
	.set _ZL36rocblas_gemvn_double_buffered_kernelILi128ELi4ELi16EPKdS1_KPdEviiT3_lPKT2_lilS7_lilPT4_lili.has_dyn_sized_stack, 0
	.set _ZL36rocblas_gemvn_double_buffered_kernelILi128ELi4ELi16EPKdS1_KPdEviiT3_lPKT2_lilS7_lilPT4_lili.has_recursion, 0
	.set _ZL36rocblas_gemvn_double_buffered_kernelILi128ELi4ELi16EPKdS1_KPdEviiT3_lPKT2_lilS7_lilPT4_lili.has_indirect_call, 0
	.section	.AMDGPU.csdata,"",@progbits
; Kernel info:
; codeLenInByte = 5636
; TotalNumSgprs: 56
; NumVgprs: 219
; ScratchSize: 0
; MemoryBound: 1
; FloatMode: 240
; IeeeMode: 1
; LDSByteSize: 8192 bytes/workgroup (compile time only)
; SGPRBlocks: 0
; VGPRBlocks: 27
; NumSGPRsForWavesPerEU: 56
; NumVGPRsForWavesPerEU: 219
; Occupancy: 6
; WaveLimiterHint : 1
; COMPUTE_PGM_RSRC2:SCRATCH_EN: 0
; COMPUTE_PGM_RSRC2:USER_SGPR: 2
; COMPUTE_PGM_RSRC2:TRAP_HANDLER: 0
; COMPUTE_PGM_RSRC2:TGID_X_EN: 1
; COMPUTE_PGM_RSRC2:TGID_Y_EN: 1
; COMPUTE_PGM_RSRC2:TGID_Z_EN: 1
; COMPUTE_PGM_RSRC2:TIDIG_COMP_CNT: 1
	.section	.text._ZL36rocblas_gemvn_double_buffered_kernelILi128ELi4ELi16EPKddKPdEviiT3_lPKT2_lilS7_lilPT4_lili,"axG",@progbits,_ZL36rocblas_gemvn_double_buffered_kernelILi128ELi4ELi16EPKddKPdEviiT3_lPKT2_lilS7_lilPT4_lili,comdat
	.globl	_ZL36rocblas_gemvn_double_buffered_kernelILi128ELi4ELi16EPKddKPdEviiT3_lPKT2_lilS7_lilPT4_lili ; -- Begin function _ZL36rocblas_gemvn_double_buffered_kernelILi128ELi4ELi16EPKddKPdEviiT3_lPKT2_lilS7_lilPT4_lili
	.p2align	8
	.type	_ZL36rocblas_gemvn_double_buffered_kernelILi128ELi4ELi16EPKddKPdEviiT3_lPKT2_lilS7_lilPT4_lili,@function
_ZL36rocblas_gemvn_double_buffered_kernelILi128ELi4ELi16EPKddKPdEviiT3_lPKT2_lilS7_lilPT4_lili: ; @_ZL36rocblas_gemvn_double_buffered_kernelILi128ELi4ELi16EPKddKPdEviiT3_lPKT2_lilS7_lilPT4_lili
; %bb.0:
	s_load_b32 s33, s[0:1], 0x78
	s_lshr_b32 s2, ttmp7, 16
	s_wait_kmcnt 0x0
	s_cmp_ge_u32 s2, s33
	s_cbranch_scc1 .LBB249_16
; %bb.1:
	v_and_b32_e32 v4, 0x3ff, v0
	v_bfe_u32 v5, v0, 10, 10
	s_and_b32 s48, ttmp7, 0xffff
	v_dual_mov_b32 v64, 0 :: v_dual_and_b32 v63, 63, v0
	s_load_b64 s[20:21], s[0:1], 0x8
	s_delay_alu instid0(VALU_DEP_2)
	v_lshl_add_u32 v1, v5, 7, v4
	s_clause 0x6
	s_load_b32 s3, s[0:1], 0x4
	s_load_b32 s16, s[0:1], 0x28
	;; [unrolled: 1-line block ×4, first 2 shown]
	s_load_b128 s[4:7], s[0:1], 0x18
	s_load_b128 s[8:11], s[0:1], 0x38
	s_load_b128 s[12:15], s[0:1], 0x58
	s_add_nc_u64 s[22:23], s[0:1], 0x80
	v_lshlrev_b32_e32 v179, 3, v4
	v_lshrrev_b32_e32 v6, 6, v1
	v_cvt_f64_i32_e32 v[0:1], s48
	s_lshl_b32 s30, ttmp9, 7
	v_lshlrev_b32_e32 v177, 3, v63
	s_ashr_i32 s31, s30, 31
	v_lshlrev_b32_e32 v180, 7, v6
	v_lshlrev_b32_e32 v2, 4, v6
	s_delay_alu instid0(VALU_DEP_3) | instskip(NEXT) | instid1(VALU_DEP_3)
	v_lshl_or_b32 v178, v6, 10, v177
	v_add_co_u32 v181, s1, 0x410, v180
	s_delay_alu instid0(VALU_DEP_1)
	v_add_co_ci_u32_e64 v182, null, 0, 0, s1
	s_wait_kmcnt 0x0
	v_cmp_neq_f64_e64 s49, s[20:21], 0
	v_add_co_u32 v183, s1, 0x418, v180
	s_wait_alu 0xf1ff
	v_add_co_ci_u32_e64 v184, null, 0, 0, s1
	v_add_co_u32 v185, s1, 0x420, v180
	s_wait_alu 0xf1ff
	v_add_co_ci_u32_e64 v186, null, 0, 0, s1
	;; [unrolled: 3-line block ×6, first 2 shown]
	v_max_num_f64_e32 v[65:66], v[0:1], v[0:1]
	v_add_co_u32 v195, s1, 0x448, v180
	s_wait_alu 0xf1ff
	v_add_co_ci_u32_e64 v196, null, 0, 0, s1
	v_add_co_u32 v197, s1, 0x450, v180
	s_wait_alu 0xf1ff
	v_add_co_ci_u32_e64 v198, null, 0, 0, s1
	v_add_co_u32 v199, s1, 0x458, v180
	s_ashr_i32 s0, s3, 31
	s_wait_alu 0xf1ff
	v_add_co_ci_u32_e64 v200, null, 0, 0, s1
	v_add_co_u32 v201, s1, 0x460, v180
	s_wait_alu 0xfffe
	s_lshr_b32 s0, s0, 25
	v_add_co_ci_u32_e64 v202, null, 0, 0, s1
	v_add_co_u32 v203, s1, 0x468, v180
	s_wait_alu 0xfffe
	s_add_co_i32 s3, s3, s0
	v_mad_co_i64_i32 v[2:3], null, s16, v2, v[63:64]
	v_cmp_eq_u32_e64 s0, 0, v5
	v_mad_co_i64_i32 v[4:5], null, s26, v4, 0
	v_add_co_ci_u32_e64 v204, null, 0, 0, s1
	v_add_co_u32 v205, s1, 0x470, v180
	s_wait_alu 0xf1ff
	v_add_co_ci_u32_e64 v206, null, 0, 0, s1
	v_add_co_u32 v207, s1, 0x478, v180
	s_wait_alu 0xf1ff
	v_add_co_ci_u32_e64 v208, null, 0, 0, s1
	v_add_co_u32 v209, s1, 0x408, v180
	s_ashr_i32 s27, s26, 31
	v_add_co_ci_u32_e64 v210, null, 0, 0, s1
	v_add_co_u32 v211, s1, 0x400, v180
	s_wait_alu 0xfffe
	s_mul_u64 s[44:45], s[26:27], s[30:31]
	s_lshl_b32 s40, s18, 7
	s_lshl_b64 s[6:7], s[6:7], 3
	s_lshl_b64 s[30:31], s[30:31], 3
	v_lshlrev_b64_e32 v[67:68], 3, v[2:3]
	v_lshlrev_b64_e32 v[69:70], 3, v[4:5]
	v_add_co_ci_u32_e64 v212, null, 0, 0, s1
	s_ashr_i32 s17, s16, 31
	s_ashr_i32 s19, s18, 31
	s_mov_b32 s27, 0
	s_ashr_i32 s41, s40, 31
	s_add_nc_u64 s[36:37], s[6:7], s[30:31]
	s_ashr_i32 s24, s3, 7
	s_wait_alu 0xfffe
	s_lshl_b64 s[28:29], s[16:17], 10
	s_mov_b32 s25, s27
	s_lshl_b64 s[34:35], s[16:17], 3
	s_add_nc_u64 s[38:39], s[36:37], 0x200
	s_lshl_b64 s[10:11], s[10:11], 3
	s_lshl_b64 s[40:41], s[40:41], 3
	;; [unrolled: 1-line block ×5, first 2 shown]
	s_branch .LBB249_4
.LBB249_2:                              ;   in Loop: Header=BB249_4 Depth=1
	s_wait_alu 0xfffe
	s_or_b32 exec_lo, exec_lo, s1
.LBB249_3:                              ;   in Loop: Header=BB249_4 Depth=1
	s_add_co_i32 s2, s2, 0x10000
	s_delay_alu instid0(SALU_CYCLE_1)
	s_cmp_lt_u32 s2, s33
	s_cbranch_scc0 .LBB249_16
.LBB249_4:                              ; =>This Loop Header: Depth=1
                                        ;     Child Loop BB249_8 Depth 2
                                        ;     Child Loop BB249_15 Depth 2
	s_and_not1_b32 vcc_lo, exec_lo, s49
	s_wait_alu 0xfffe
	s_cbranch_vccnz .LBB249_3
; %bb.5:                                ;   in Loop: Header=BB249_4 Depth=1
	s_load_b32 s3, s[22:23], 0x4
	s_wait_kmcnt 0x0
	s_cvt_f32_u32 s1, s3
	s_sub_co_i32 s26, 0, s3
	s_wait_alu 0xfffe
	s_delay_alu instid0(SALU_CYCLE_1) | instskip(NEXT) | instid1(TRANS32_DEP_1)
	v_rcp_iflag_f32_e32 v0, s1
	v_readfirstlane_b32 s1, v0
	s_mul_f32 s1, s1, 0x4f7ffffe
	s_wait_alu 0xfffe
	s_delay_alu instid0(SALU_CYCLE_2) | instskip(SKIP_1) | instid1(SALU_CYCLE_2)
	s_cvt_u32_f32 s1, s1
	s_wait_alu 0xfffe
	s_mul_i32 s26, s26, s1
	s_wait_alu 0xfffe
	s_mul_hi_u32 s26, s1, s26
	s_wait_alu 0xfffe
	s_add_co_i32 s26, s1, s26
	s_wait_alu 0xfffe
	s_mul_u64 s[46:47], s[24:25], s[26:27]
	s_wait_alu 0xfffe
	s_mul_i32 s1, s47, s3
	s_add_co_i32 s26, s47, 1
	s_wait_alu 0xfffe
	s_sub_co_i32 s1, s24, s1
	s_wait_alu 0xfffe
	s_sub_co_i32 s46, s1, s3
	s_cmp_ge_u32 s1, s3
	s_cselect_b32 s26, s26, s47
	s_wait_alu 0xfffe
	s_cselect_b32 s1, s46, s1
	s_add_co_i32 s46, s26, 1
	s_wait_alu 0xfffe
	s_cmp_ge_u32 s1, s3
	s_cselect_b32 s1, s46, s26
	s_wait_alu 0xfffe
	s_mul_i32 s3, s1, s3
	s_delay_alu instid0(SALU_CYCLE_1) | instskip(SKIP_3) | instid1(SALU_CYCLE_1)
	s_sub_co_i32 s50, s24, s3
	s_wait_alu 0xfffe
	s_cmp_lt_u32 s48, s50
	s_cselect_b32 s3, -1, 0
	s_cmp_lg_u32 s3, 0
	s_add_co_ci_u32 s26, s1, 0
	s_wait_alu 0xfffe
	s_cmp_eq_u32 s26, 0
	s_cbranch_scc1 .LBB249_3
; %bb.6:                                ;   in Loop: Header=BB249_4 Depth=1
	s_mov_b32 s3, s27
	s_delay_alu instid0(SALU_CYCLE_1)
	s_lshl_b64 s[46:47], s[2:3], 3
	s_cmp_lt_i32 s26, 1
	s_wait_alu 0xfffe
	s_add_nc_u64 s[52:53], s[12:13], s[46:47]
	global_load_b64 v[71:72], v64, s[52:53]
	s_cbranch_scc1 .LBB249_12
; %bb.7:                                ;   in Loop: Header=BB249_4 Depth=1
	s_add_nc_u64 s[52:53], s[4:5], s[46:47]
	v_cvt_f64_u32_e32 v[0:1], s50
	global_load_b64 v[32:33], v64, s[52:53]
	s_mul_i32 s1, s1, s48
	s_add_nc_u64 s[50:51], s[8:9], s[46:47]
	s_wait_alu 0xfffe
	v_cvt_f64_u32_e32 v[2:3], s1
	global_load_b64 v[34:35], v64, s[50:51]
	v_mov_b32_e32 v109, 0
	v_dual_mov_b32 v110, 0 :: v_dual_mov_b32 v111, 0
	v_mov_b32_e32 v112, 0
	s_add_co_i32 s3, s26, -1
	v_min_num_f64_e32 v[0:1], v[65:66], v[0:1]
	s_delay_alu instid0(VALU_DEP_1) | instskip(NEXT) | instid1(VALU_DEP_1)
	v_add_f64_e32 v[0:1], v[0:1], v[2:3]
	v_cvt_i32_f64_e32 v0, v[0:1]
	s_delay_alu instid0(VALU_DEP_1)
	v_readfirstlane_b32 s1, v0
	s_lshl_b32 s46, s1, 7
	s_wait_alu 0xfffe
	s_ashr_i32 s47, s46, 31
	s_wait_alu 0xfffe
	s_mul_u64 s[50:51], s[46:47], s[16:17]
	s_lshl_b64 s[46:47], s[46:47], 3
	s_wait_alu 0xfffe
	s_lshl_b64 s[50:51], s[50:51], 3
	s_wait_loadcnt 0x1
	v_add_co_u32 v0, vcc_lo, v32, s6
	s_wait_alu 0xfffd
	v_add_co_ci_u32_e64 v1, null, s7, v33, vcc_lo
	s_delay_alu instid0(VALU_DEP_2) | instskip(SKIP_1) | instid1(VALU_DEP_2)
	v_add_co_u32 v0, vcc_lo, v0, s30
	s_wait_alu 0xfffd
	v_add_co_ci_u32_e64 v1, null, s31, v1, vcc_lo
	s_wait_alu 0xfffe
	s_delay_alu instid0(VALU_DEP_2) | instskip(SKIP_1) | instid1(VALU_DEP_2)
	v_add_co_u32 v0, vcc_lo, v0, s50
	s_wait_alu 0xfffd
	v_add_co_ci_u32_e64 v1, null, s51, v1, vcc_lo
	s_delay_alu instid0(VALU_DEP_2) | instskip(SKIP_1) | instid1(VALU_DEP_2)
	v_add_co_u32 v0, vcc_lo, v0, v67
	s_wait_alu 0xfffd
	v_add_co_ci_u32_e64 v1, null, v1, v68, vcc_lo
	;; [unrolled: 4-line block ×6, first 2 shown]
	s_clause 0x3
	flat_load_b64 v[0:1], v[0:1]
	flat_load_b64 v[2:3], v[2:3]
	;; [unrolled: 1-line block ×4, first 2 shown]
	v_add_co_u32 v10, vcc_lo, v8, s34
	s_wait_alu 0xfffd
	v_add_co_ci_u32_e64 v11, null, s35, v9, vcc_lo
	s_delay_alu instid0(VALU_DEP_2) | instskip(SKIP_1) | instid1(VALU_DEP_2)
	v_add_co_u32 v12, vcc_lo, v10, s34
	s_wait_alu 0xfffd
	v_add_co_ci_u32_e64 v13, null, s35, v11, vcc_lo
	s_delay_alu instid0(VALU_DEP_2) | instskip(SKIP_1) | instid1(VALU_DEP_2)
	v_add_co_u32 v14, vcc_lo, v12, s34
	s_wait_alu 0xfffd
	v_add_co_ci_u32_e64 v15, null, s35, v13, vcc_lo
	s_clause 0x2
	flat_load_b64 v[8:9], v[8:9]
	flat_load_b64 v[10:11], v[10:11]
	;; [unrolled: 1-line block ×3, first 2 shown]
	v_add_co_u32 v16, vcc_lo, v14, s34
	s_wait_alu 0xfffd
	v_add_co_ci_u32_e64 v17, null, s35, v15, vcc_lo
	flat_load_b64 v[14:15], v[14:15]
	v_add_co_u32 v18, vcc_lo, v16, s34
	s_wait_alu 0xfffd
	v_add_co_ci_u32_e64 v19, null, s35, v17, vcc_lo
	flat_load_b64 v[16:17], v[16:17]
	;; [unrolled: 4-line block ×4, first 2 shown]
	v_add_co_u32 v24, vcc_lo, v22, s34
	s_wait_alu 0xfffd
	v_add_co_ci_u32_e64 v25, null, s35, v23, vcc_lo
	s_delay_alu instid0(VALU_DEP_2) | instskip(SKIP_1) | instid1(VALU_DEP_2)
	v_add_co_u32 v26, vcc_lo, v24, s34
	s_wait_alu 0xfffd
	v_add_co_ci_u32_e64 v27, null, s35, v25, vcc_lo
	s_delay_alu instid0(VALU_DEP_2) | instskip(SKIP_1) | instid1(VALU_DEP_2)
	;; [unrolled: 4-line block ×3, first 2 shown]
	v_add_co_u32 v30, vcc_lo, v28, s34
	s_wait_alu 0xfffd
	v_add_co_ci_u32_e64 v31, null, s35, v29, vcc_lo
	flat_load_b64 v[22:23], v[22:23]
	flat_load_b64 v[24:25], v[24:25]
	;; [unrolled: 1-line block ×5, first 2 shown]
	v_add_co_u32 v36, vcc_lo, v32, s36
	s_wait_alu 0xfffd
	v_add_co_ci_u32_e64 v37, null, s37, v33, vcc_lo
	v_add_co_u32 v38, vcc_lo, v181, s46
	s_wait_alu 0xfffd
	v_add_co_ci_u32_e64 v39, null, s47, v182, vcc_lo
	v_add_co_u32 v40, vcc_lo, v183, s46
	s_delay_alu instid0(VALU_DEP_3) | instskip(NEXT) | instid1(VALU_DEP_3)
	v_mul_lo_u32 v42, s17, v38
	v_mul_lo_u32 v39, s16, v39
	v_mad_co_u64_u32 v[73:74], null, s16, v38, v[36:37]
	s_wait_alu 0xfffd
	v_add_co_ci_u32_e64 v41, null, s47, v184, vcc_lo
	v_mad_co_u64_u32 v[75:76], null, s16, v40, v[36:37]
	s_delay_alu instid0(VALU_DEP_2) | instskip(NEXT) | instid1(VALU_DEP_4)
	v_mul_lo_u32 v38, s16, v41
	v_add3_u32 v74, v42, v74, v39
	v_add_co_u32 v39, vcc_lo, v185, s46
	v_mul_lo_u32 v41, s17, v40
	s_wait_alu 0xfffd
	v_add_co_ci_u32_e64 v40, null, s47, v186, vcc_lo
	v_add_co_u32 v42, vcc_lo, v187, s46
	s_wait_alu 0xfffd
	v_add_co_ci_u32_e64 v43, null, s47, v188, vcc_lo
	v_mul_lo_u32 v44, s17, v39
	v_mad_co_u64_u32 v[77:78], null, s16, v39, v[36:37]
	v_add_co_u32 v39, vcc_lo, v189, s46
	s_wait_alu 0xfffd
	v_add_co_ci_u32_e64 v45, null, s47, v190, vcc_lo
	v_mul_lo_u32 v46, s17, v42
	v_mad_co_u64_u32 v[79:80], null, s16, v42, v[36:37]
	s_delay_alu instid0(VALU_DEP_3)
	v_mul_lo_u32 v42, s16, v45
	v_mul_lo_u32 v45, s17, v39
	v_mad_co_u64_u32 v[81:82], null, s16, v39, v[36:37]
	v_add_co_u32 v39, vcc_lo, v191, s46
	s_wait_alu 0xfffd
	v_add_co_ci_u32_e64 v47, null, s47, v192, vcc_lo
	v_add_co_u32 v48, vcc_lo, v193, s46
	s_wait_alu 0xfffd
	v_add_co_ci_u32_e64 v49, null, s47, v194, vcc_lo
	v_mul_lo_u32 v40, s16, v40
	v_mul_lo_u32 v50, s17, v39
	v_mad_co_u64_u32 v[83:84], null, s16, v39, v[36:37]
	s_delay_alu instid0(VALU_DEP_4)
	v_mul_lo_u32 v39, s16, v49
	v_mul_lo_u32 v49, s17, v48
	v_mad_co_u64_u32 v[85:86], null, s16, v48, v[36:37]
	v_add_co_u32 v48, vcc_lo, v195, s46
	s_wait_alu 0xfffd
	v_add_co_ci_u32_e64 v51, null, s47, v196, vcc_lo
	v_add_co_u32 v52, vcc_lo, v197, s46
	s_wait_alu 0xfffd
	v_add_co_ci_u32_e64 v53, null, s47, v198, vcc_lo
	v_add3_u32 v76, v41, v76, v38
	v_add_co_u32 v38, vcc_lo, v199, s46
	v_add3_u32 v78, v44, v78, v40
	v_add3_u32 v86, v49, v86, v39
	s_wait_alu 0xfffd
	v_add_co_ci_u32_e64 v39, null, s47, v200, vcc_lo
	v_add_co_u32 v40, vcc_lo, v201, s46
	v_mul_lo_u32 v43, s16, v43
	s_wait_alu 0xfffd
	v_add_co_ci_u32_e64 v41, null, s47, v202, vcc_lo
	v_add3_u32 v82, v45, v82, v42
	v_mul_lo_u32 v42, s17, v38
	v_mad_co_u64_u32 v[91:92], null, s16, v38, v[36:37]
	s_delay_alu instid0(VALU_DEP_4)
	v_mul_lo_u32 v38, s16, v41
	v_mul_lo_u32 v41, s17, v40
	v_mad_co_u64_u32 v[93:94], null, s16, v40, v[36:37]
	v_add_co_u32 v40, vcc_lo, v203, s46
	v_add3_u32 v80, v46, v80, v43
	s_wait_alu 0xfffd
	v_add_co_ci_u32_e64 v43, null, s47, v204, vcc_lo
	v_add_co_u32 v44, vcc_lo, v205, s46
	s_wait_alu 0xfffd
	v_add_co_ci_u32_e64 v45, null, s47, v206, vcc_lo
	v_mul_lo_u32 v47, s16, v47
	v_mul_lo_u32 v46, s17, v40
	v_mad_co_u64_u32 v[95:96], null, s16, v40, v[36:37]
	s_delay_alu instid0(VALU_DEP_4)
	v_mul_lo_u32 v40, s16, v45
	v_mul_lo_u32 v45, s17, v44
	v_mad_co_u64_u32 v[97:98], null, s16, v44, v[36:37]
	v_mul_lo_u32 v39, s16, v39
	v_mul_lo_u32 v43, s16, v43
	v_add_co_u32 v44, vcc_lo, v207, s46
	v_add3_u32 v84, v50, v84, v47
	s_wait_alu 0xfffd
	v_add_co_ci_u32_e64 v47, null, s47, v208, vcc_lo
	v_add3_u32 v98, v45, v98, v40
	v_add_co_u32 v40, vcc_lo, v209, s46
	v_add3_u32 v92, v42, v92, v39
	v_add3_u32 v94, v41, v94, v38
	s_wait_alu 0xfffd
	v_add_co_ci_u32_e64 v41, null, s47, v210, vcc_lo
	v_add_co_u32 v42, vcc_lo, v211, s46
	v_add3_u32 v96, v46, v96, v43
	s_wait_alu 0xfffd
	v_add_co_ci_u32_e64 v43, null, s47, v212, vcc_lo
	v_add_co_u32 v32, vcc_lo, v32, s38
	v_mad_co_u64_u32 v[87:88], null, s16, v48, v[36:37]
	v_mad_co_u64_u32 v[89:90], null, s16, v52, v[36:37]
	;; [unrolled: 1-line block ×5, first 2 shown]
	v_add_co_u32 v37, s1, v180, s46
	s_wait_alu 0xfffd
	v_add_co_ci_u32_e64 v33, null, s39, v33, vcc_lo
	s_wait_loadcnt 0x10
	v_add_co_u32 v34, vcc_lo, v34, s10
	v_mul_lo_u32 v36, s17, v42
	s_wait_alu 0xf1ff
	v_add_co_ci_u32_e64 v42, null, 0, s47, s1
	s_wait_alu 0xfffd
	v_add_co_ci_u32_e64 v35, null, s11, v35, vcc_lo
	v_mul_lo_u32 v51, s16, v51
	v_mul_lo_u32 v54, s17, v48
	;; [unrolled: 1-line block ×9, first 2 shown]
	v_mad_co_u64_u32 v[105:106], null, s16, v37, v[32:33]
	v_mul_lo_u32 v32, s16, v42
	v_mul_lo_u32 v33, s17, v37
	v_mul_lo_u32 v113, s18, v42
	v_mad_co_u64_u32 v[107:108], null, s18, v37, v[34:35]
	v_mul_lo_u32 v114, s19, v37
	v_add3_u32 v88, v54, v88, v51
	v_add3_u32 v90, v53, v90, v48
	;; [unrolled: 1-line block ×6, first 2 shown]
	s_mov_b32 s46, 0
	v_add3_u32 v108, v114, v108, v113
	s_wait_loadcnt_dscnt 0x0
	v_dual_mov_b32 v63, v31 :: v_dual_mov_b32 v62, v30
	v_dual_mov_b32 v61, v29 :: v_dual_mov_b32 v60, v28
	;; [unrolled: 1-line block ×16, first 2 shown]
.LBB249_8:                              ;   Parent Loop BB249_4 Depth=1
                                        ; =>  This Inner Loop Header: Depth=2
	v_add_co_u32 v113, vcc_lo, v105, v177
	s_wait_alu 0xfffd
	v_add_co_ci_u32_e64 v114, null, 0, v106, vcc_lo
	s_wait_alu 0xfffe
	s_cmp_eq_u32 s3, s46
	v_add_co_u32 v115, vcc_lo, v113, s34
	s_wait_alu 0xfffd
	v_add_co_ci_u32_e64 v116, null, s35, v114, vcc_lo
	flat_load_b64 v[113:114], v[113:114]
	v_add_co_u32 v117, vcc_lo, v115, s34
	s_wait_alu 0xfffd
	v_add_co_ci_u32_e64 v118, null, s35, v116, vcc_lo
	flat_load_b64 v[115:116], v[115:116]
	;; [unrolled: 4-line block ×3, first 2 shown]
	v_add_co_u32 v123, s1, v119, s34
	s_wait_alu 0xf1ff
	v_add_co_ci_u32_e64 v124, null, s35, v120, s1
	flat_load_b64 v[121:122], v[119:120]
	v_add_co_u32 v127, s1, v123, s34
	s_wait_alu 0xf1ff
	v_add_co_ci_u32_e64 v128, null, s35, v124, s1
	flat_load_b64 v[125:126], v[123:124]
	;; [unrolled: 4-line block ×3, first 2 shown]
	v_add_co_u32 v135, s1, v131, s34
	s_wait_alu 0xf1ff
	v_add_co_ci_u32_e64 v136, null, s35, v132, s1
	v_add_co_u32 v145, vcc_lo, v107, s42
	s_delay_alu instid0(VALU_DEP_3) | instskip(SKIP_1) | instid1(VALU_DEP_3)
	v_add_co_u32 v119, s1, v135, s34
	s_wait_alu 0xf1ff
	v_add_co_ci_u32_e64 v120, null, s35, v136, s1
	s_wait_alu 0xfffd
	v_add_co_ci_u32_e64 v146, null, s43, v108, vcc_lo
	v_add_co_u32 v123, s1, v119, s34
	s_wait_alu 0xf1ff
	v_add_co_ci_u32_e64 v124, null, s35, v120, s1
	s_delay_alu instid0(VALU_DEP_2) | instskip(SKIP_1) | instid1(VALU_DEP_2)
	v_add_co_u32 v137, s1, v123, s34
	s_wait_alu 0xf1ff
	v_add_co_ci_u32_e64 v138, null, s35, v124, s1
	s_clause 0x3
	flat_load_b64 v[133:134], v[131:132]
	flat_load_b64 v[131:132], v[135:136]
	;; [unrolled: 1-line block ×5, first 2 shown]
	v_add_co_u32 v137, vcc_lo, v137, s34
	s_wait_alu 0xfffd
	v_add_co_ci_u32_e64 v138, null, s35, v138, vcc_lo
	v_add_co_u32 v149, vcc_lo, v145, s42
	s_wait_alu 0xfffd
	v_add_co_ci_u32_e64 v150, null, s43, v146, vcc_lo
	flat_load_b64 v[135:136], v[137:138]
	v_add_co_u32 v151, vcc_lo, v149, s42
	s_wait_alu 0xfffd
	v_add_co_ci_u32_e64 v152, null, s43, v150, vcc_lo
	v_add_co_u32 v137, vcc_lo, v137, s34
	s_wait_alu 0xfffd
	v_add_co_ci_u32_e64 v138, null, s35, v138, vcc_lo
	v_add_co_u32 v153, vcc_lo, v151, s42
	s_wait_alu 0xfffd
	v_add_co_ci_u32_e64 v154, null, s43, v152, vcc_lo
	flat_load_b64 v[139:140], v[137:138]
	v_add_co_u32 v157, vcc_lo, v153, s42
	s_wait_alu 0xfffd
	v_add_co_ci_u32_e64 v158, null, s43, v154, vcc_lo
	;; [unrolled: 10-line block ×5, first 2 shown]
	flat_load_b64 v[147:148], v[107:108]
	v_add_co_u32 v213, vcc_lo, v175, s42
	s_wait_alu 0xfffd
	v_add_co_ci_u32_e64 v214, null, s43, v176, vcc_lo
	s_clause 0x3
	flat_load_b64 v[161:162], v[145:146]
	flat_load_b64 v[155:156], v[149:150]
	;; [unrolled: 1-line block ×4, first 2 shown]
	v_add_co_u32 v145, vcc_lo, v213, s42
	s_wait_alu 0xfffd
	v_add_co_ci_u32_e64 v146, null, s43, v214, vcc_lo
	s_clause 0x3
	flat_load_b64 v[165:166], v[157:158]
	flat_load_b64 v[163:164], v[159:160]
	;; [unrolled: 1-line block ×4, first 2 shown]
	v_add_co_u32 v159, vcc_lo, v145, s42
	s_wait_alu 0xfffd
	v_add_co_ci_u32_e64 v160, null, s43, v146, vcc_lo
	s_clause 0x1
	flat_load_b64 v[169:170], v[171:172]
	flat_load_b64 v[167:168], v[173:174]
	v_add_co_u32 v215, vcc_lo, v159, s42
	s_wait_alu 0xfffd
	v_add_co_ci_u32_e64 v216, null, s43, v160, vcc_lo
	flat_load_b64 v[175:176], v[175:176]
	flat_load_b64 v[173:174], v[213:214]
	;; [unrolled: 1-line block ×5, first 2 shown]
	s_cbranch_scc1 .LBB249_10
; %bb.9:                                ;   in Loop: Header=BB249_8 Depth=2
	v_add_co_u32 v32, vcc_lo, v103, v177
	s_wait_alu 0xfffd
	v_add_co_ci_u32_e64 v33, null, 0, v104, vcc_lo
	v_add_co_u32 v34, vcc_lo, v101, v177
	s_wait_alu 0xfffd
	v_add_co_ci_u32_e64 v35, null, 0, v102, vcc_lo
	;; [unrolled: 3-line block ×16, first 2 shown]
	flat_load_b64 v[32:33], v[32:33]
	flat_load_b64 v[34:35], v[34:35]
	;; [unrolled: 1-line block ×16, first 2 shown]
.LBB249_10:                             ;   in Loop: Header=BB249_8 Depth=2
	s_wait_loadcnt_dscnt 0xf0f
	v_fma_f64 v[0:1], v[0:1], v[147:148], v[111:112]
	v_fma_f64 v[109:110], v[113:114], v[147:148], v[109:110]
	v_add_co_u32 v73, vcc_lo, v73, s28
	s_wait_alu 0xfffd
	v_add_co_ci_u32_e64 v74, null, s29, v74, vcc_lo
	v_add_co_u32 v75, vcc_lo, v75, s28
	s_wait_alu 0xfffd
	v_add_co_ci_u32_e64 v76, null, s29, v76, vcc_lo
	;; [unrolled: 3-line block ×9, first 2 shown]
	s_wait_loadcnt_dscnt 0xe0e
	v_fma_f64 v[0:1], v[2:3], v[161:162], v[0:1]
	v_fma_f64 v[2:3], v[115:116], v[161:162], v[109:110]
	v_add_co_u32 v91, vcc_lo, v91, s28
	s_wait_alu 0xfffd
	v_add_co_ci_u32_e64 v92, null, s29, v92, vcc_lo
	v_add_co_u32 v93, vcc_lo, v93, s28
	s_wait_alu 0xfffd
	v_add_co_ci_u32_e64 v94, null, s29, v94, vcc_lo
	;; [unrolled: 3-line block ×9, first 2 shown]
	s_wait_loadcnt_dscnt 0xd0d
	v_fma_f64 v[0:1], v[4:5], v[155:156], v[0:1]
	v_fma_f64 v[2:3], v[117:118], v[155:156], v[2:3]
	s_add_co_i32 s46, s46, 1
	s_wait_alu 0xfffe
	s_cmp_lt_i32 s46, s26
	s_wait_loadcnt_dscnt 0xc0c
	s_delay_alu instid0(VALU_DEP_2) | instskip(NEXT) | instid1(VALU_DEP_2)
	v_fma_f64 v[0:1], v[6:7], v[151:152], v[0:1]
	v_fma_f64 v[2:3], v[121:122], v[151:152], v[2:3]
	s_wait_loadcnt_dscnt 0xb0b
	s_delay_alu instid0(VALU_DEP_2) | instskip(NEXT) | instid1(VALU_DEP_2)
	v_fma_f64 v[0:1], v[8:9], v[149:150], v[0:1]
	v_fma_f64 v[2:3], v[125:126], v[149:150], v[2:3]
	;; [unrolled: 4-line block ×13, first 2 shown]
	s_cbranch_scc0 .LBB249_13
; %bb.11:                               ;   in Loop: Header=BB249_8 Depth=2
	v_dual_mov_b32 v0, v32 :: v_dual_mov_b32 v1, v33
	v_dual_mov_b32 v2, v34 :: v_dual_mov_b32 v3, v35
	;; [unrolled: 1-line block ×16, first 2 shown]
	s_branch .LBB249_8
.LBB249_12:                             ;   in Loop: Header=BB249_4 Depth=1
	v_mov_b32_e32 v109, 0
	v_dual_mov_b32 v110, 0 :: v_dual_mov_b32 v111, 0
	v_mov_b32_e32 v112, 0
.LBB249_13:                             ;   in Loop: Header=BB249_4 Depth=1
	ds_store_2addr_stride64_b64 v178, v[111:112], v[109:110] offset1:1
	s_wait_loadcnt_dscnt 0x0
	s_barrier_signal -1
	s_barrier_wait -1
	global_inv scope:SCOPE_SE
	s_and_saveexec_b32 s1, s0
	s_cbranch_execz .LBB249_2
; %bb.14:                               ;   in Loop: Header=BB249_4 Depth=1
	ds_load_2addr_stride64_b64 v[4:7], v179 offset1:2
	v_add_co_u32 v2, vcc_lo, v71, s14
	s_wait_alu 0xfffd
	v_add_co_ci_u32_e64 v3, null, s15, v72, vcc_lo
	s_mov_b32 s3, 0
	v_add_co_u32 v2, vcc_lo, v2, s44
	s_wait_alu 0xfffd
	v_add_co_ci_u32_e64 v3, null, s45, v3, vcc_lo
	s_wait_dscnt 0x0
	v_add_f64_e32 v[0:1], 0, v[4:5]
	v_add_co_u32 v4, vcc_lo, v2, v69
	s_wait_alu 0xfffd
	v_add_co_ci_u32_e64 v5, null, v3, v70, vcc_lo
	flat_load_b64 v[2:3], v[4:5]
	v_add_f64_e32 v[0:1], v[0:1], v[6:7]
	ds_load_2addr_stride64_b64 v[6:9], v179 offset0:4 offset1:6
	s_wait_dscnt 0x0
	v_add_f64_e32 v[0:1], v[0:1], v[6:7]
	s_delay_alu instid0(VALU_DEP_1) | instskip(SKIP_3) | instid1(VALU_DEP_1)
	v_add_f64_e32 v[0:1], v[0:1], v[8:9]
	ds_load_2addr_stride64_b64 v[6:9], v179 offset0:8 offset1:10
	s_wait_dscnt 0x0
	v_add_f64_e32 v[0:1], v[0:1], v[6:7]
	v_add_f64_e32 v[0:1], v[0:1], v[8:9]
	ds_load_2addr_stride64_b64 v[6:9], v179 offset0:12 offset1:14
	s_wait_dscnt 0x0
	v_add_f64_e32 v[0:1], v[0:1], v[6:7]
	s_delay_alu instid0(VALU_DEP_1) | instskip(NEXT) | instid1(VALU_DEP_1)
	v_add_f64_e32 v[0:1], v[0:1], v[8:9]
	v_mul_f64_e32 v[6:7], s[20:21], v[0:1]
.LBB249_15:                             ;   Parent Loop BB249_4 Depth=1
                                        ; =>  This Inner Loop Header: Depth=2
	s_wait_loadcnt 0x0
	s_delay_alu instid0(VALU_DEP_1)
	v_add_f64_e32 v[0:1], v[2:3], v[6:7]
	flat_atomic_cmpswap_b64 v[0:1], v[4:5], v[0:3] th:TH_ATOMIC_RETURN scope:SCOPE_DEV
	s_wait_loadcnt_dscnt 0x0
	v_cmp_eq_u64_e32 vcc_lo, v[0:1], v[2:3]
	v_dual_mov_b32 v3, v1 :: v_dual_mov_b32 v2, v0
	s_or_b32 s3, vcc_lo, s3
	s_delay_alu instid0(SALU_CYCLE_1)
	s_and_not1_b32 exec_lo, exec_lo, s3
	s_cbranch_execnz .LBB249_15
	s_branch .LBB249_2
.LBB249_16:
	s_endpgm
	.section	.rodata,"a",@progbits
	.p2align	6, 0x0
	.amdhsa_kernel _ZL36rocblas_gemvn_double_buffered_kernelILi128ELi4ELi16EPKddKPdEviiT3_lPKT2_lilS7_lilPT4_lili
		.amdhsa_group_segment_fixed_size 8192
		.amdhsa_private_segment_fixed_size 0
		.amdhsa_kernarg_size 384
		.amdhsa_user_sgpr_count 2
		.amdhsa_user_sgpr_dispatch_ptr 0
		.amdhsa_user_sgpr_queue_ptr 0
		.amdhsa_user_sgpr_kernarg_segment_ptr 1
		.amdhsa_user_sgpr_dispatch_id 0
		.amdhsa_user_sgpr_private_segment_size 0
		.amdhsa_wavefront_size32 1
		.amdhsa_uses_dynamic_stack 0
		.amdhsa_enable_private_segment 0
		.amdhsa_system_sgpr_workgroup_id_x 1
		.amdhsa_system_sgpr_workgroup_id_y 1
		.amdhsa_system_sgpr_workgroup_id_z 1
		.amdhsa_system_sgpr_workgroup_info 0
		.amdhsa_system_vgpr_workitem_id 1
		.amdhsa_next_free_vgpr 217
		.amdhsa_next_free_sgpr 54
		.amdhsa_reserve_vcc 1
		.amdhsa_float_round_mode_32 0
		.amdhsa_float_round_mode_16_64 0
		.amdhsa_float_denorm_mode_32 3
		.amdhsa_float_denorm_mode_16_64 3
		.amdhsa_fp16_overflow 0
		.amdhsa_workgroup_processor_mode 1
		.amdhsa_memory_ordered 1
		.amdhsa_forward_progress 1
		.amdhsa_inst_pref_size 44
		.amdhsa_round_robin_scheduling 0
		.amdhsa_exception_fp_ieee_invalid_op 0
		.amdhsa_exception_fp_denorm_src 0
		.amdhsa_exception_fp_ieee_div_zero 0
		.amdhsa_exception_fp_ieee_overflow 0
		.amdhsa_exception_fp_ieee_underflow 0
		.amdhsa_exception_fp_ieee_inexact 0
		.amdhsa_exception_int_div_zero 0
	.end_amdhsa_kernel
	.section	.text._ZL36rocblas_gemvn_double_buffered_kernelILi128ELi4ELi16EPKddKPdEviiT3_lPKT2_lilS7_lilPT4_lili,"axG",@progbits,_ZL36rocblas_gemvn_double_buffered_kernelILi128ELi4ELi16EPKddKPdEviiT3_lPKT2_lilS7_lilPT4_lili,comdat
.Lfunc_end249:
	.size	_ZL36rocblas_gemvn_double_buffered_kernelILi128ELi4ELi16EPKddKPdEviiT3_lPKT2_lilS7_lilPT4_lili, .Lfunc_end249-_ZL36rocblas_gemvn_double_buffered_kernelILi128ELi4ELi16EPKddKPdEviiT3_lPKT2_lilS7_lilPT4_lili
                                        ; -- End function
	.set _ZL36rocblas_gemvn_double_buffered_kernelILi128ELi4ELi16EPKddKPdEviiT3_lPKT2_lilS7_lilPT4_lili.num_vgpr, 217
	.set _ZL36rocblas_gemvn_double_buffered_kernelILi128ELi4ELi16EPKddKPdEviiT3_lPKT2_lilS7_lilPT4_lili.num_agpr, 0
	.set _ZL36rocblas_gemvn_double_buffered_kernelILi128ELi4ELi16EPKddKPdEviiT3_lPKT2_lilS7_lilPT4_lili.numbered_sgpr, 54
	.set _ZL36rocblas_gemvn_double_buffered_kernelILi128ELi4ELi16EPKddKPdEviiT3_lPKT2_lilS7_lilPT4_lili.num_named_barrier, 0
	.set _ZL36rocblas_gemvn_double_buffered_kernelILi128ELi4ELi16EPKddKPdEviiT3_lPKT2_lilS7_lilPT4_lili.private_seg_size, 0
	.set _ZL36rocblas_gemvn_double_buffered_kernelILi128ELi4ELi16EPKddKPdEviiT3_lPKT2_lilS7_lilPT4_lili.uses_vcc, 1
	.set _ZL36rocblas_gemvn_double_buffered_kernelILi128ELi4ELi16EPKddKPdEviiT3_lPKT2_lilS7_lilPT4_lili.uses_flat_scratch, 1
	.set _ZL36rocblas_gemvn_double_buffered_kernelILi128ELi4ELi16EPKddKPdEviiT3_lPKT2_lilS7_lilPT4_lili.has_dyn_sized_stack, 0
	.set _ZL36rocblas_gemvn_double_buffered_kernelILi128ELi4ELi16EPKddKPdEviiT3_lPKT2_lilS7_lilPT4_lili.has_recursion, 0
	.set _ZL36rocblas_gemvn_double_buffered_kernelILi128ELi4ELi16EPKddKPdEviiT3_lPKT2_lilS7_lilPT4_lili.has_indirect_call, 0
	.section	.AMDGPU.csdata,"",@progbits
; Kernel info:
; codeLenInByte = 5616
; TotalNumSgprs: 56
; NumVgprs: 217
; ScratchSize: 0
; MemoryBound: 1
; FloatMode: 240
; IeeeMode: 1
; LDSByteSize: 8192 bytes/workgroup (compile time only)
; SGPRBlocks: 0
; VGPRBlocks: 27
; NumSGPRsForWavesPerEU: 56
; NumVGPRsForWavesPerEU: 217
; Occupancy: 6
; WaveLimiterHint : 1
; COMPUTE_PGM_RSRC2:SCRATCH_EN: 0
; COMPUTE_PGM_RSRC2:USER_SGPR: 2
; COMPUTE_PGM_RSRC2:TRAP_HANDLER: 0
; COMPUTE_PGM_RSRC2:TGID_X_EN: 1
; COMPUTE_PGM_RSRC2:TGID_Y_EN: 1
; COMPUTE_PGM_RSRC2:TGID_Z_EN: 1
; COMPUTE_PGM_RSRC2:TIDIG_COMP_CNT: 1
	.section	.text._ZL20rocblas_gemvn_kernelILi32ELi16EiPKdS1_KPdEviiT3_lPKT2_lT1_lS7_lS8_lS4_lPT4_lS8_li,"axG",@progbits,_ZL20rocblas_gemvn_kernelILi32ELi16EiPKdS1_KPdEviiT3_lPKT2_lT1_lS7_lS8_lS4_lPT4_lS8_li,comdat
	.globl	_ZL20rocblas_gemvn_kernelILi32ELi16EiPKdS1_KPdEviiT3_lPKT2_lT1_lS7_lS8_lS4_lPT4_lS8_li ; -- Begin function _ZL20rocblas_gemvn_kernelILi32ELi16EiPKdS1_KPdEviiT3_lPKT2_lT1_lS7_lS8_lS4_lPT4_lS8_li
	.p2align	8
	.type	_ZL20rocblas_gemvn_kernelILi32ELi16EiPKdS1_KPdEviiT3_lPKT2_lT1_lS7_lS8_lS4_lPT4_lS8_li,@function
_ZL20rocblas_gemvn_kernelILi32ELi16EiPKdS1_KPdEviiT3_lPKT2_lT1_lS7_lS8_lS4_lPT4_lS8_li: ; @_ZL20rocblas_gemvn_kernelILi32ELi16EiPKdS1_KPdEviiT3_lPKT2_lT1_lS7_lS8_lS4_lPT4_lS8_li
; %bb.0:
	s_clause 0x1
	s_load_b64 s[2:3], s[0:1], 0x9c
	s_load_b32 s33, s[0:1], 0x88
	s_lshr_b32 s10, ttmp7, 16
	s_wait_kmcnt 0x0
	s_lshr_b32 s4, s2, 16
	s_and_b32 s2, s2, 0xffff
	s_and_b32 s3, s3, 0xffff
	s_mul_i32 s2, s4, s2
	s_delay_alu instid0(SALU_CYCLE_1) | instskip(NEXT) | instid1(SALU_CYCLE_1)
	s_mul_i32 s2, s2, s3
	s_cmp_lg_u32 s2, 0x200
	s_cselect_b32 s2, -1, 0
	s_cmp_ge_u32 s10, s33
	s_cselect_b32 s3, -1, 0
	s_delay_alu instid0(SALU_CYCLE_1) | instskip(NEXT) | instid1(SALU_CYCLE_1)
	s_or_b32 s2, s2, s3
	s_and_b32 vcc_lo, exec_lo, s2
	s_cbranch_vccnz .LBB250_55
; %bb.1:
	s_clause 0x2
	s_load_b32 s6, s[0:1], 0x78
	s_load_b64 s[8:9], s[0:1], 0x0
	s_load_b256 s[12:19], s[0:1], 0x8
	v_and_b32_e32 v9, 0x3ff, v0
	v_bfe_u32 v8, v0, 10, 10
	s_clause 0x3
	s_load_b32 s35, s[0:1], 0x28
	s_load_b128 s[28:31], s[0:1], 0x38
	s_load_b32 s34, s[0:1], 0x48
	s_load_b256 s[20:27], s[0:1], 0x58
	s_lshl_b32 s36, ttmp9, 7
	v_mov_b32_e32 v1, 0
	v_add_nc_u32_e32 v67, s36, v9
	v_lshl_add_u32 v5, v8, 5, v9
	v_lshlrev_b32_e32 v68, 2, v8
	v_lshlrev_b32_e32 v6, 3, v9
	s_mov_b32 s11, 0
	v_add_nc_u32_e32 v7, 64, v67
	v_add_nc_u32_e32 v0, s36, v5
	v_add_nc_u32_e32 v4, 32, v67
	v_or_b32_e32 v11, s36, v5
	v_add_nc_u32_e32 v10, 0x60, v67
	v_or_b32_e32 v12, 3, v68
	v_lshl_add_u32 v69, v8, 8, v6
	s_wait_kmcnt 0x0
	v_mad_co_u64_u32 v[2:3], null, s6, v0, 0
	s_ashr_i32 s3, s6, 31
	v_cmp_gt_i32_e64 s2, s8, v7
	v_mul_lo_u32 v7, s35, v68
	s_ashr_i32 s7, s9, 31
	v_cmp_gt_i32_e64 s1, s8, v4
	s_wait_alu 0xfffe
	s_lshr_b32 s7, s7, 26
	v_mad_co_u64_u32 v[3:4], null, s3, v0, v[3:4]
	v_mul_lo_u32 v4, s6, v11
	v_cmp_gt_i32_e64 s6, s8, v11
	v_mul_lo_u32 v11, v8, s35
	v_cmp_gt_i32_e64 s3, s8, v10
	v_or_b32_e32 v10, 2, v68
	s_wait_alu 0xfffe
	s_add_co_i32 s37, s9, s7
	v_mul_lo_u32 v13, v8, s34
	s_ashr_i32 s5, s8, 31
	s_mov_b32 s4, s8
	s_wait_alu 0xfffe
	s_and_not1_b32 s37, s37, 63
	v_cmp_gt_i64_e32 vcc_lo, s[4:5], v[0:1]
	v_lshl_add_u32 v0, v8, 10, v6
	v_add3_u32 v70, v7, s35, v9
	v_mad_co_u64_u32 v[6:7], null, s35, v10, v[9:10]
	s_wait_alu 0xfffe
	s_sub_co_i32 s5, s9, s37
	v_mad_co_u64_u32 v[7:8], null, s35, v12, v[9:10]
	v_lshl_add_u32 v71, v11, 2, v9
	v_mad_co_u64_u32 v[8:9], null, s34, v68, s[34:35]
	v_mul_lo_u32 v72, s34, v10
	v_mul_lo_u32 v73, s34, v12
	s_wait_alu 0xfffe
	s_cmp_gt_i32 s5, 0
	v_cmp_gt_u32_e64 s5, 0x80, v5
	v_lshlrev_b64_e32 v[9:10], 3, v[2:3]
	v_cmp_gt_i32_e64 s0, s8, v67
	v_cmp_gt_i32_e64 s4, s37, v68
	v_ashrrev_i32_e32 v5, 31, v4
	v_lshlrev_b32_e32 v74, 2, v13
	s_cselect_b32 s38, -1, 0
	s_and_b32 s39, s5, vcc_lo
	s_lshl_b32 s40, s35, 6
	s_lshl_b32 s41, s34, 6
	s_lshl_b64 s[18:19], s[18:19], 3
	s_lshl_b64 s[30:31], s[30:31], 3
	;; [unrolled: 1-line block ×3, first 2 shown]
	s_branch .LBB250_4
.LBB250_2:                              ;   in Loop: Header=BB250_4 Depth=1
	s_wait_alu 0xfffe
	s_or_b32 exec_lo, exec_lo, s7
.LBB250_3:                              ;   in Loop: Header=BB250_4 Depth=1
	s_add_co_i32 s10, s10, 0x10000
	s_delay_alu instid0(SALU_CYCLE_1)
	s_cmp_lt_u32 s10, s33
	s_cbranch_scc0 .LBB250_55
.LBB250_4:                              ; =>This Loop Header: Depth=1
                                        ;     Child Loop BB250_21 Depth 2
	s_mul_u64 s[42:43], s[14:15], s[10:11]
	s_mul_u64 s[44:45], s[22:23], s[10:11]
	s_wait_alu 0xfffe
	s_lshl_b64 s[42:43], s[42:43], 3
	s_lshl_b64 s[44:45], s[44:45], 3
	s_wait_alu 0xfffe
	s_add_nc_u64 s[42:43], s[12:13], s[42:43]
	s_add_nc_u64 s[44:45], s[20:21], s[44:45]
	s_clause 0x1
	global_load_b64 v[13:14], v1, s[42:43]
	global_load_b64 v[11:12], v1, s[44:45]
	s_wait_loadcnt 0x1
	v_cmp_eq_f64_e64 s7, 0, v[13:14]
	s_wait_loadcnt 0x0
	v_cmp_eq_f64_e32 vcc_lo, 1.0, v[11:12]
	s_and_b32 s8, s7, vcc_lo
	s_wait_alu 0xfffe
	s_and_b32 vcc_lo, exec_lo, s8
	s_wait_alu 0xfffe
	s_cbranch_vccnz .LBB250_3
; %bb.5:                                ;   in Loop: Header=BB250_4 Depth=1
	v_cmp_neq_f64_e64 s8, 0, v[13:14]
	v_mov_b32_e32 v25, 0
	v_dual_mov_b32 v26, 0 :: v_dual_mov_b32 v17, 0
	v_mov_b32_e32 v18, 0
	s_and_b32 vcc_lo, exec_lo, s7
	s_wait_alu 0xfffe
	s_cbranch_vccnz .LBB250_7
; %bb.6:                                ;   in Loop: Header=BB250_4 Depth=1
	s_lshl_b64 s[42:43], s[10:11], 3
	s_wait_alu 0xfffe
	s_add_nc_u64 s[42:43], s[16:17], s[42:43]
	global_load_b64 v[15:16], v1, s[42:43]
	s_wait_loadcnt 0x0
	v_add_co_u32 v17, vcc_lo, v15, s18
	s_wait_alu 0xfffd
	v_add_co_ci_u32_e64 v18, null, s19, v16, vcc_lo
.LBB250_7:                              ;   in Loop: Header=BB250_4 Depth=1
	s_and_not1_b32 vcc_lo, exec_lo, s8
	s_wait_alu 0xfffe
	s_cbranch_vccnz .LBB250_9
; %bb.8:                                ;   in Loop: Header=BB250_4 Depth=1
	s_lshl_b64 s[42:43], s[10:11], 3
	s_wait_alu 0xfffe
	s_add_nc_u64 s[42:43], s[28:29], s[42:43]
	global_load_b64 v[15:16], v1, s[42:43]
	s_wait_loadcnt 0x0
	v_add_co_u32 v25, vcc_lo, v15, s30
	s_wait_alu 0xfffd
	v_add_co_ci_u32_e64 v26, null, s31, v16, vcc_lo
.LBB250_9:                              ;   in Loop: Header=BB250_4 Depth=1
	s_lshl_b64 s[42:43], s[10:11], 3
	s_wait_alu 0xfffe
	s_add_nc_u64 s[42:43], s[24:25], s[42:43]
	global_load_b64 v[15:16], v1, s[42:43]
	s_wait_loadcnt 0x0
	v_add_co_u32 v75, vcc_lo, v15, s26
	s_wait_alu 0xfffd
	v_add_co_ci_u32_e64 v76, null, s27, v16, vcc_lo
	s_and_not1_b32 vcc_lo, exec_lo, s7
	s_wait_alu 0xfffe
	s_cbranch_vccnz .LBB250_14
; %bb.10:                               ;   in Loop: Header=BB250_4 Depth=1
	s_mov_b32 s7, 0
	s_mov_b32 s8, 0
                                        ; implicit-def: $vgpr15_vgpr16
	s_and_saveexec_b32 s42, s39
	s_cbranch_execz .LBB250_26
; %bb.11:                               ;   in Loop: Header=BB250_4 Depth=1
	v_cmp_eq_f64_e32 vcc_lo, 0, v[11:12]
	v_mov_b32_e32 v15, 0
	v_mov_b32_e32 v16, 0
	s_cbranch_vccnz .LBB250_13
; %bb.12:                               ;   in Loop: Header=BB250_4 Depth=1
	v_add_co_u32 v15, vcc_lo, v75, v9
	s_wait_alu 0xfffd
	v_add_co_ci_u32_e64 v16, null, v76, v10, vcc_lo
	flat_load_b64 v[15:16], v[15:16]
	s_wait_loadcnt_dscnt 0x0
	v_mul_f64_e32 v[15:16], v[11:12], v[15:16]
.LBB250_13:                             ;   in Loop: Header=BB250_4 Depth=1
	s_mov_b32 s8, exec_lo
	s_wait_alu 0xfffe
	s_or_b32 exec_lo, exec_lo, s42
	s_delay_alu instid0(SALU_CYCLE_1)
	s_and_b32 vcc_lo, exec_lo, s7
	s_wait_alu 0xfffe
	s_cbranch_vccnz .LBB250_15
	s_branch .LBB250_27
.LBB250_14:                             ;   in Loop: Header=BB250_4 Depth=1
	s_mov_b32 s8, 0
                                        ; implicit-def: $vgpr15_vgpr16
	s_cbranch_execz .LBB250_27
.LBB250_15:                             ;   in Loop: Header=BB250_4 Depth=1
	v_mov_b32_e32 v15, 0
	v_dual_mov_b32 v21, 0 :: v_dual_mov_b32 v16, 0
	v_dual_mov_b32 v19, 0 :: v_dual_mov_b32 v22, 0
	;; [unrolled: 1-line block ×4, first 2 shown]
	s_and_saveexec_b32 s7, s4
	s_cbranch_execz .LBB250_29
; %bb.16:                               ;   in Loop: Header=BB250_4 Depth=1
	v_mov_b32_e32 v19, 0
	v_dual_mov_b32 v15, 0 :: v_dual_mov_b32 v78, v71
	v_dual_mov_b32 v20, 0 :: v_dual_mov_b32 v21, 0
	;; [unrolled: 1-line block ×6, first 2 shown]
	s_mov_b32 s42, 0
	s_mov_b32 s43, 0
	s_branch .LBB250_21
.LBB250_17:                             ;   in Loop: Header=BB250_21 Depth=2
	s_or_b32 exec_lo, exec_lo, s47
	s_wait_loadcnt_dscnt 0x303
	v_fma_f64 v[21:22], v[27:28], v[59:60], v[21:22]
	s_wait_loadcnt_dscnt 0x202
	s_delay_alu instid0(VALU_DEP_1) | instskip(SKIP_1) | instid1(VALU_DEP_1)
	v_fma_f64 v[21:22], v[29:30], v[61:62], v[21:22]
	s_wait_loadcnt_dscnt 0x101
	v_fma_f64 v[21:22], v[31:32], v[63:64], v[21:22]
	s_wait_loadcnt_dscnt 0x0
	s_delay_alu instid0(VALU_DEP_1)
	v_fma_f64 v[21:22], v[33:34], v[65:66], v[21:22]
.LBB250_18:                             ;   in Loop: Header=BB250_21 Depth=2
	s_or_b32 exec_lo, exec_lo, s46
	s_wait_loadcnt_dscnt 0x303
	v_fma_f64 v[19:20], v[27:28], v[51:52], v[19:20]
	s_wait_loadcnt_dscnt 0x202
	s_delay_alu instid0(VALU_DEP_1) | instskip(SKIP_1) | instid1(VALU_DEP_1)
	v_fma_f64 v[19:20], v[29:30], v[53:54], v[19:20]
	s_wait_loadcnt_dscnt 0x101
	v_fma_f64 v[19:20], v[31:32], v[55:56], v[19:20]
	s_wait_loadcnt_dscnt 0x0
	s_delay_alu instid0(VALU_DEP_1)
	v_fma_f64 v[19:20], v[33:34], v[57:58], v[19:20]
.LBB250_19:                             ;   in Loop: Header=BB250_21 Depth=2
	s_or_b32 exec_lo, exec_lo, s45
	s_wait_loadcnt_dscnt 0x303
	v_fma_f64 v[15:16], v[27:28], v[35:36], v[15:16]
	s_wait_loadcnt_dscnt 0x202
	s_delay_alu instid0(VALU_DEP_1) | instskip(SKIP_1) | instid1(VALU_DEP_1)
	v_fma_f64 v[15:16], v[29:30], v[37:38], v[15:16]
	s_wait_loadcnt_dscnt 0x101
	v_fma_f64 v[15:16], v[31:32], v[39:40], v[15:16]
	s_wait_loadcnt_dscnt 0x0
	s_delay_alu instid0(VALU_DEP_1)
	v_fma_f64 v[15:16], v[33:34], v[41:42], v[15:16]
.LBB250_20:                             ;   in Loop: Header=BB250_21 Depth=2
	s_or_b32 exec_lo, exec_lo, s44
	v_add_nc_u32_e32 v77, 64, v77
	v_add_nc_u32_e32 v81, s40, v81
	;; [unrolled: 1-line block ×5, first 2 shown]
	v_cmp_le_i32_e32 vcc_lo, s37, v77
	s_wait_alu 0xfffe
	s_add_co_i32 s43, s43, s41
	s_or_b32 s42, vcc_lo, s42
	s_wait_alu 0xfffe
	s_and_not1_b32 exec_lo, exec_lo, s42
	s_cbranch_execz .LBB250_28
.LBB250_21:                             ;   Parent Loop BB250_4 Depth=1
                                        ; =>  This Inner Loop Header: Depth=2
	s_and_saveexec_b32 s44, s0
	s_cbranch_execz .LBB250_20
; %bb.22:                               ;   in Loop: Header=BB250_21 Depth=2
	s_wait_alu 0xfffe
	v_add_nc_u32_e32 v27, s43, v74
	v_add_nc_u32_e32 v29, s43, v8
	;; [unrolled: 1-line block ×5, first 2 shown]
	v_ashrrev_i32_e32 v28, 31, v27
	v_ashrrev_i32_e32 v30, 31, v29
	;; [unrolled: 1-line block ×3, first 2 shown]
	v_add_nc_u32_e32 v37, s36, v81
	v_ashrrev_i32_e32 v34, 31, v33
	v_lshlrev_b64_e32 v[27:28], 3, v[27:28]
	v_lshlrev_b64_e32 v[29:30], 3, v[29:30]
	v_ashrrev_i32_e32 v36, 31, v35
	v_lshlrev_b64_e32 v[31:32], 3, v[31:32]
	v_ashrrev_i32_e32 v38, 31, v37
	v_lshlrev_b64_e32 v[33:34], 3, v[33:34]
	v_add_co_u32 v27, vcc_lo, v25, v27
	v_add_nc_u32_e32 v39, s36, v80
	s_wait_alu 0xfffd
	v_add_co_ci_u32_e64 v28, null, v26, v28, vcc_lo
	v_add_co_u32 v29, vcc_lo, v25, v29
	v_lshlrev_b64_e32 v[35:36], 3, v[35:36]
	v_add_nc_u32_e32 v41, s36, v79
	s_wait_alu 0xfffd
	v_add_co_ci_u32_e64 v30, null, v26, v30, vcc_lo
	v_add_co_u32 v31, vcc_lo, v25, v31
	v_lshlrev_b64_e32 v[37:38], 3, v[37:38]
	v_ashrrev_i32_e32 v40, 31, v39
	s_wait_alu 0xfffd
	v_add_co_ci_u32_e64 v32, null, v26, v32, vcc_lo
	v_add_co_u32 v33, vcc_lo, v25, v33
	v_ashrrev_i32_e32 v42, 31, v41
	s_wait_alu 0xfffd
	v_add_co_ci_u32_e64 v34, null, v26, v34, vcc_lo
	v_add_co_u32 v43, vcc_lo, v17, v35
	s_wait_alu 0xfffd
	v_add_co_ci_u32_e64 v44, null, v18, v36, vcc_lo
	v_lshlrev_b64_e32 v[35:36], 3, v[39:40]
	v_add_co_u32 v45, vcc_lo, v17, v37
	s_wait_alu 0xfffd
	v_add_co_ci_u32_e64 v46, null, v18, v38, vcc_lo
	v_lshlrev_b64_e32 v[37:38], 3, v[41:42]
	s_delay_alu instid0(VALU_DEP_4) | instskip(SKIP_2) | instid1(VALU_DEP_3)
	v_add_co_u32 v47, vcc_lo, v17, v35
	s_wait_alu 0xfffd
	v_add_co_ci_u32_e64 v48, null, v18, v36, vcc_lo
	v_add_co_u32 v49, vcc_lo, v17, v37
	s_wait_alu 0xfffd
	v_add_co_ci_u32_e64 v50, null, v18, v38, vcc_lo
	s_clause 0x3
	flat_load_b64 v[27:28], v[27:28]
	flat_load_b64 v[29:30], v[29:30]
	;; [unrolled: 1-line block ×4, first 2 shown]
	s_clause 0x3
	flat_load_b64 v[35:36], v[43:44]
	flat_load_b64 v[37:38], v[45:46]
	flat_load_b64 v[39:40], v[47:48]
	flat_load_b64 v[41:42], v[49:50]
	s_and_saveexec_b32 s45, s1
	s_cbranch_execz .LBB250_19
; %bb.23:                               ;   in Loop: Header=BB250_21 Depth=2
	s_clause 0x3
	flat_load_b64 v[51:52], v[43:44] offset:256
	flat_load_b64 v[53:54], v[45:46] offset:256
	flat_load_b64 v[55:56], v[47:48] offset:256
	flat_load_b64 v[57:58], v[49:50] offset:256
	s_and_saveexec_b32 s46, s2
	s_cbranch_execz .LBB250_18
; %bb.24:                               ;   in Loop: Header=BB250_21 Depth=2
	s_clause 0x3
	flat_load_b64 v[59:60], v[43:44] offset:512
	flat_load_b64 v[61:62], v[45:46] offset:512
	flat_load_b64 v[63:64], v[47:48] offset:512
	flat_load_b64 v[65:66], v[49:50] offset:512
	;; [unrolled: 8-line block ×3, first 2 shown]
	s_wait_loadcnt_dscnt 0x303
	v_fma_f64 v[23:24], v[27:28], v[43:44], v[23:24]
	s_wait_loadcnt_dscnt 0x202
	s_delay_alu instid0(VALU_DEP_1) | instskip(SKIP_1) | instid1(VALU_DEP_1)
	v_fma_f64 v[23:24], v[29:30], v[45:46], v[23:24]
	s_wait_loadcnt_dscnt 0x101
	v_fma_f64 v[23:24], v[31:32], v[47:48], v[23:24]
	s_wait_loadcnt_dscnt 0x0
	s_delay_alu instid0(VALU_DEP_1)
	v_fma_f64 v[23:24], v[33:34], v[49:50], v[23:24]
	s_branch .LBB250_17
.LBB250_26:                             ;   in Loop: Header=BB250_4 Depth=1
	s_wait_alu 0xfffe
	s_or_b32 exec_lo, exec_lo, s42
	s_delay_alu instid0(SALU_CYCLE_1)
	s_and_b32 vcc_lo, exec_lo, s7
	s_wait_alu 0xfffe
	s_cbranch_vccnz .LBB250_15
.LBB250_27:                             ;   in Loop: Header=BB250_4 Depth=1
	v_dual_mov_b32 v12, v3 :: v_dual_mov_b32 v11, v2
	s_wait_alu 0xfffe
	s_and_saveexec_b32 s7, s8
	s_cbranch_execz .LBB250_2
	s_branch .LBB250_54
.LBB250_28:                             ;   in Loop: Header=BB250_4 Depth=1
	s_or_b32 exec_lo, exec_lo, s42
.LBB250_29:                             ;   in Loop: Header=BB250_4 Depth=1
	s_wait_alu 0xfffe
	s_or_b32 exec_lo, exec_lo, s7
	s_delay_alu instid0(SALU_CYCLE_1)
	s_and_not1_b32 vcc_lo, exec_lo, s38
	s_wait_alu 0xfffe
	s_cbranch_vccnz .LBB250_47
; %bb.30:                               ;   in Loop: Header=BB250_4 Depth=1
	v_mov_b32_e32 v33, 0
	v_dual_mov_b32 v29, 0 :: v_dual_mov_b32 v34, 0
	v_dual_mov_b32 v31, 0 :: v_dual_mov_b32 v30, 0
	v_mov_b32_e32 v27, 0
	v_cmp_gt_i32_e32 vcc_lo, s9, v77
	v_mov_b32_e32 v32, 0
	v_mov_b32_e32 v28, 0
	v_or_b32_e32 v35, 1, v77
	s_and_saveexec_b32 s42, vcc_lo
	s_cbranch_execz .LBB250_38
; %bb.31:                               ;   in Loop: Header=BB250_4 Depth=1
	v_mul_lo_u32 v27, v77, s34
	v_mov_b32_e32 v29, 0
	v_dual_mov_b32 v30, 0 :: v_dual_mov_b32 v31, 0
	v_dual_mov_b32 v33, 0 :: v_dual_mov_b32 v32, 0
	v_mov_b32_e32 v34, 0
	s_mov_b32 s43, exec_lo
	v_ashrrev_i32_e32 v28, 31, v27
	s_delay_alu instid0(VALU_DEP_1) | instskip(NEXT) | instid1(VALU_DEP_1)
	v_lshlrev_b64_e32 v[27:28], 3, v[27:28]
	v_add_co_u32 v27, s7, v25, v27
	s_wait_alu 0xf1ff
	s_delay_alu instid0(VALU_DEP_2)
	v_add_co_ci_u32_e64 v28, null, v26, v28, s7
	flat_load_b64 v[27:28], v[27:28]
	v_cmpx_gt_i32_e64 s9, v35
	s_cbranch_execz .LBB250_37
; %bb.32:                               ;   in Loop: Header=BB250_4 Depth=1
	v_mul_lo_u32 v29, v35, s34
	v_mov_b32_e32 v31, 0
	v_dual_mov_b32 v32, 0 :: v_dual_mov_b32 v33, 0
	v_or_b32_e32 v36, 2, v77
	v_mov_b32_e32 v34, 0
	s_mov_b32 s44, exec_lo
	v_ashrrev_i32_e32 v30, 31, v29
	s_delay_alu instid0(VALU_DEP_1) | instskip(NEXT) | instid1(VALU_DEP_1)
	v_lshlrev_b64_e32 v[29:30], 3, v[29:30]
	v_add_co_u32 v29, s7, v25, v29
	s_wait_alu 0xf1ff
	s_delay_alu instid0(VALU_DEP_2)
	v_add_co_ci_u32_e64 v30, null, v26, v30, s7
	flat_load_b64 v[29:30], v[29:30]
	v_cmpx_gt_i32_e64 s9, v36
	s_cbranch_execz .LBB250_36
; %bb.33:                               ;   in Loop: Header=BB250_4 Depth=1
	v_mul_lo_u32 v31, v36, s34
	v_mov_b32_e32 v33, 0
	v_or_b32_e32 v36, 3, v77
	v_mov_b32_e32 v34, 0
	s_mov_b32 s45, exec_lo
	s_delay_alu instid0(VALU_DEP_4) | instskip(NEXT) | instid1(VALU_DEP_1)
	v_ashrrev_i32_e32 v32, 31, v31
	v_lshlrev_b64_e32 v[31:32], 3, v[31:32]
	s_delay_alu instid0(VALU_DEP_1) | instskip(SKIP_1) | instid1(VALU_DEP_2)
	v_add_co_u32 v31, s7, v25, v31
	s_wait_alu 0xf1ff
	v_add_co_ci_u32_e64 v32, null, v26, v32, s7
	flat_load_b64 v[31:32], v[31:32]
	v_cmpx_gt_i32_e64 s9, v36
	s_cbranch_execz .LBB250_35
; %bb.34:                               ;   in Loop: Header=BB250_4 Depth=1
	v_mul_lo_u32 v33, v36, s34
	s_delay_alu instid0(VALU_DEP_1) | instskip(NEXT) | instid1(VALU_DEP_1)
	v_ashrrev_i32_e32 v34, 31, v33
	v_lshlrev_b64_e32 v[33:34], 3, v[33:34]
	s_delay_alu instid0(VALU_DEP_1) | instskip(SKIP_1) | instid1(VALU_DEP_2)
	v_add_co_u32 v25, s7, v25, v33
	s_wait_alu 0xf1ff
	v_add_co_ci_u32_e64 v26, null, v26, v34, s7
	flat_load_b64 v[33:34], v[25:26]
.LBB250_35:                             ;   in Loop: Header=BB250_4 Depth=1
	s_or_b32 exec_lo, exec_lo, s45
.LBB250_36:                             ;   in Loop: Header=BB250_4 Depth=1
	s_delay_alu instid0(SALU_CYCLE_1)
	s_or_b32 exec_lo, exec_lo, s44
.LBB250_37:                             ;   in Loop: Header=BB250_4 Depth=1
	s_wait_alu 0xfffe
	s_or_b32 exec_lo, exec_lo, s43
.LBB250_38:                             ;   in Loop: Header=BB250_4 Depth=1
	s_wait_alu 0xfffe
	s_or_b32 exec_lo, exec_lo, s42
	s_and_saveexec_b32 s7, s0
	s_cbranch_execz .LBB250_46
; %bb.39:                               ;   in Loop: Header=BB250_4 Depth=1
	v_mul_lo_u32 v26, v77, s35
	v_or_b32_e32 v25, 2, v77
	v_mul_lo_u32 v37, v35, s35
	v_or_b32_e32 v36, 3, v77
	s_delay_alu instid0(VALU_DEP_3) | instskip(NEXT) | instid1(VALU_DEP_2)
	v_mul_lo_u32 v38, v25, s35
	v_mul_lo_u32 v39, v36, s35
	v_cndmask_b32_e32 v26, 0, v26, vcc_lo
	v_cmp_gt_i32_e32 vcc_lo, s9, v35
	s_wait_alu 0xfffd
	v_cndmask_b32_e32 v35, 0, v37, vcc_lo
	v_cmp_gt_i32_e32 vcc_lo, s9, v25
	v_add_nc_u32_e32 v25, v26, v67
	s_delay_alu instid0(VALU_DEP_3)
	v_add_nc_u32_e32 v35, v35, v67
	s_wait_alu 0xfffd
	v_cndmask_b32_e32 v37, 0, v38, vcc_lo
	v_cmp_gt_i32_e32 vcc_lo, s9, v36
	v_ashrrev_i32_e32 v26, 31, v25
	s_wait_alu 0xfffd
	v_cndmask_b32_e32 v36, 0, v39, vcc_lo
	v_add_nc_u32_e32 v37, v37, v67
	s_delay_alu instid0(VALU_DEP_3) | instskip(NEXT) | instid1(VALU_DEP_3)
	v_lshlrev_b64_e32 v[25:26], 3, v[25:26]
	v_add_nc_u32_e32 v39, v36, v67
	v_ashrrev_i32_e32 v36, 31, v35
	s_delay_alu instid0(VALU_DEP_4) | instskip(NEXT) | instid1(VALU_DEP_4)
	v_ashrrev_i32_e32 v38, 31, v37
	v_add_co_u32 v47, vcc_lo, v17, v25
	s_delay_alu instid0(VALU_DEP_4) | instskip(NEXT) | instid1(VALU_DEP_4)
	v_ashrrev_i32_e32 v40, 31, v39
	v_lshlrev_b64_e32 v[35:36], 3, v[35:36]
	s_delay_alu instid0(VALU_DEP_4) | instskip(SKIP_3) | instid1(VALU_DEP_4)
	v_lshlrev_b64_e32 v[37:38], 3, v[37:38]
	s_wait_alu 0xfffd
	v_add_co_ci_u32_e64 v48, null, v18, v26, vcc_lo
	v_lshlrev_b64_e32 v[39:40], 3, v[39:40]
	v_add_co_u32 v49, vcc_lo, v17, v35
	s_wait_alu 0xfffd
	v_add_co_ci_u32_e64 v50, null, v18, v36, vcc_lo
	v_add_co_u32 v51, vcc_lo, v17, v37
	s_wait_alu 0xfffd
	v_add_co_ci_u32_e64 v52, null, v18, v38, vcc_lo
	v_add_co_u32 v53, vcc_lo, v17, v39
	s_wait_alu 0xfffd
	v_add_co_ci_u32_e64 v54, null, v18, v40, vcc_lo
	s_clause 0x3
	flat_load_b64 v[17:18], v[47:48]
	flat_load_b64 v[25:26], v[49:50]
	;; [unrolled: 1-line block ×4, first 2 shown]
	s_and_saveexec_b32 s42, s1
	s_cbranch_execz .LBB250_45
; %bb.40:                               ;   in Loop: Header=BB250_4 Depth=1
	s_clause 0x3
	flat_load_b64 v[39:40], v[47:48] offset:256
	flat_load_b64 v[41:42], v[49:50] offset:256
	flat_load_b64 v[43:44], v[51:52] offset:256
	flat_load_b64 v[45:46], v[53:54] offset:256
	s_and_saveexec_b32 s43, s2
	s_cbranch_execz .LBB250_44
; %bb.41:                               ;   in Loop: Header=BB250_4 Depth=1
	s_clause 0x3
	flat_load_b64 v[55:56], v[47:48] offset:512
	flat_load_b64 v[57:58], v[49:50] offset:512
	flat_load_b64 v[59:60], v[51:52] offset:512
	flat_load_b64 v[61:62], v[53:54] offset:512
	;; [unrolled: 8-line block ×3, first 2 shown]
	s_wait_loadcnt_dscnt 0x303
	v_fma_f64 v[23:24], v[27:28], v[47:48], v[23:24]
	s_wait_loadcnt_dscnt 0x202
	s_delay_alu instid0(VALU_DEP_1) | instskip(SKIP_1) | instid1(VALU_DEP_1)
	v_fma_f64 v[23:24], v[29:30], v[49:50], v[23:24]
	s_wait_loadcnt_dscnt 0x101
	v_fma_f64 v[23:24], v[31:32], v[51:52], v[23:24]
	s_wait_loadcnt_dscnt 0x0
	s_delay_alu instid0(VALU_DEP_1)
	v_fma_f64 v[23:24], v[33:34], v[53:54], v[23:24]
.LBB250_43:                             ;   in Loop: Header=BB250_4 Depth=1
	s_or_b32 exec_lo, exec_lo, s44
	s_wait_loadcnt_dscnt 0x303
	v_fma_f64 v[21:22], v[27:28], v[55:56], v[21:22]
	s_wait_loadcnt_dscnt 0x202
	s_delay_alu instid0(VALU_DEP_1) | instskip(SKIP_1) | instid1(VALU_DEP_1)
	v_fma_f64 v[21:22], v[29:30], v[57:58], v[21:22]
	s_wait_loadcnt_dscnt 0x101
	v_fma_f64 v[21:22], v[31:32], v[59:60], v[21:22]
	s_wait_loadcnt_dscnt 0x0
	s_delay_alu instid0(VALU_DEP_1)
	v_fma_f64 v[21:22], v[33:34], v[61:62], v[21:22]
.LBB250_44:                             ;   in Loop: Header=BB250_4 Depth=1
	s_wait_alu 0xfffe
	s_or_b32 exec_lo, exec_lo, s43
	s_wait_loadcnt_dscnt 0x303
	v_fma_f64 v[19:20], v[27:28], v[39:40], v[19:20]
	s_wait_loadcnt_dscnt 0x202
	s_delay_alu instid0(VALU_DEP_1) | instskip(SKIP_1) | instid1(VALU_DEP_1)
	v_fma_f64 v[19:20], v[29:30], v[41:42], v[19:20]
	s_wait_loadcnt_dscnt 0x101
	v_fma_f64 v[19:20], v[31:32], v[43:44], v[19:20]
	s_wait_loadcnt_dscnt 0x0
	s_delay_alu instid0(VALU_DEP_1)
	v_fma_f64 v[19:20], v[33:34], v[45:46], v[19:20]
.LBB250_45:                             ;   in Loop: Header=BB250_4 Depth=1
	s_wait_alu 0xfffe
	s_or_b32 exec_lo, exec_lo, s42
	s_wait_loadcnt_dscnt 0x303
	v_fma_f64 v[15:16], v[27:28], v[17:18], v[15:16]
	s_wait_loadcnt_dscnt 0x202
	s_delay_alu instid0(VALU_DEP_1) | instskip(SKIP_1) | instid1(VALU_DEP_1)
	v_fma_f64 v[15:16], v[29:30], v[25:26], v[15:16]
	s_wait_loadcnt_dscnt 0x101
	v_fma_f64 v[15:16], v[31:32], v[35:36], v[15:16]
	s_wait_loadcnt_dscnt 0x0
	s_delay_alu instid0(VALU_DEP_1)
	v_fma_f64 v[15:16], v[33:34], v[37:38], v[15:16]
.LBB250_46:                             ;   in Loop: Header=BB250_4 Depth=1
	s_wait_alu 0xfffe
	s_or_b32 exec_lo, exec_lo, s7
.LBB250_47:                             ;   in Loop: Header=BB250_4 Depth=1
	ds_store_2addr_b64 v0, v[15:16], v[19:20] offset1:32
	ds_store_2addr_b64 v0, v[21:22], v[23:24] offset0:64 offset1:96
	s_wait_loadcnt_dscnt 0x0
	s_barrier_signal -1
	s_barrier_wait -1
	global_inv scope:SCOPE_SE
                                        ; implicit-def: $vgpr15_vgpr16
	s_and_saveexec_b32 s7, s5
	s_cbranch_execz .LBB250_53
; %bb.48:                               ;   in Loop: Header=BB250_4 Depth=1
	ds_load_2addr_stride64_b64 v[15:18], v69 offset1:2
	s_mov_b32 s43, s8
	s_wait_dscnt 0x0
	v_add_f64_e32 v[19:20], v[15:16], v[17:18]
	ds_load_2addr_stride64_b64 v[15:18], v69 offset0:4 offset1:6
	s_wait_dscnt 0x0
	v_add_f64_e32 v[15:16], v[15:16], v[19:20]
	s_delay_alu instid0(VALU_DEP_1) | instskip(SKIP_3) | instid1(VALU_DEP_1)
	v_add_f64_e32 v[19:20], v[17:18], v[15:16]
	ds_load_2addr_stride64_b64 v[15:18], v69 offset0:8 offset1:10
	s_wait_dscnt 0x0
	v_add_f64_e32 v[15:16], v[15:16], v[19:20]
	v_add_f64_e32 v[19:20], v[17:18], v[15:16]
	ds_load_2addr_stride64_b64 v[15:18], v69 offset0:12 offset1:14
	s_wait_dscnt 0x0
	v_add_f64_e32 v[15:16], v[15:16], v[19:20]
	s_delay_alu instid0(VALU_DEP_1) | instskip(SKIP_3) | instid1(VALU_DEP_1)
	v_add_f64_e32 v[19:20], v[17:18], v[15:16]
	ds_load_2addr_stride64_b64 v[15:18], v69 offset0:16 offset1:18
	s_wait_dscnt 0x0
	v_add_f64_e32 v[15:16], v[15:16], v[19:20]
	;; [unrolled: 9-line block ×3, first 2 shown]
	v_add_f64_e32 v[19:20], v[17:18], v[15:16]
	ds_load_2addr_stride64_b64 v[15:18], v69 offset0:28 offset1:30
	s_wait_dscnt 0x0
	v_add_f64_e32 v[15:16], v[15:16], v[19:20]
	s_delay_alu instid0(VALU_DEP_1)
	v_add_f64_e32 v[17:18], v[17:18], v[15:16]
                                        ; implicit-def: $vgpr15_vgpr16
	ds_store_b64 v69, v[17:18]
	s_and_saveexec_b32 s42, s6
	s_cbranch_execz .LBB250_52
; %bb.49:                               ;   in Loop: Header=BB250_4 Depth=1
	v_cmp_eq_f64_e32 vcc_lo, 0, v[11:12]
	v_mul_f64_e32 v[15:16], v[13:14], v[17:18]
	s_cbranch_vccnz .LBB250_51
; %bb.50:                               ;   in Loop: Header=BB250_4 Depth=1
	v_lshlrev_b64_e32 v[13:14], 3, v[4:5]
	s_delay_alu instid0(VALU_DEP_1) | instskip(SKIP_1) | instid1(VALU_DEP_2)
	v_add_co_u32 v13, vcc_lo, v75, v13
	s_wait_alu 0xfffd
	v_add_co_ci_u32_e64 v14, null, v76, v14, vcc_lo
	flat_load_b64 v[13:14], v[13:14]
	s_wait_loadcnt_dscnt 0x0
	v_fma_f64 v[15:16], v[11:12], v[13:14], v[15:16]
.LBB250_51:                             ;   in Loop: Header=BB250_4 Depth=1
	s_or_b32 s43, s8, exec_lo
.LBB250_52:                             ;   in Loop: Header=BB250_4 Depth=1
	s_wait_alu 0xfffe
	s_or_b32 exec_lo, exec_lo, s42
	s_delay_alu instid0(SALU_CYCLE_1)
	s_and_not1_b32 s8, s8, exec_lo
	s_and_b32 s42, s43, exec_lo
	s_wait_alu 0xfffe
	s_or_b32 s8, s8, s42
.LBB250_53:                             ;   in Loop: Header=BB250_4 Depth=1
	s_wait_alu 0xfffe
	s_or_b32 exec_lo, exec_lo, s7
	v_dual_mov_b32 v12, v5 :: v_dual_mov_b32 v11, v4
	s_and_saveexec_b32 s7, s8
	s_cbranch_execz .LBB250_2
.LBB250_54:                             ;   in Loop: Header=BB250_4 Depth=1
	s_delay_alu instid0(VALU_DEP_1) | instskip(NEXT) | instid1(VALU_DEP_1)
	v_lshlrev_b64_e32 v[11:12], 3, v[11:12]
	v_add_co_u32 v11, vcc_lo, v75, v11
	s_wait_alu 0xfffd
	s_delay_alu instid0(VALU_DEP_2)
	v_add_co_ci_u32_e64 v12, null, v76, v12, vcc_lo
	flat_store_b64 v[11:12], v[15:16]
	s_branch .LBB250_2
.LBB250_55:
	s_endpgm
	.section	.rodata,"a",@progbits
	.p2align	6, 0x0
	.amdhsa_kernel _ZL20rocblas_gemvn_kernelILi32ELi16EiPKdS1_KPdEviiT3_lPKT2_lT1_lS7_lS8_lS4_lPT4_lS8_li
		.amdhsa_group_segment_fixed_size 16384
		.amdhsa_private_segment_fixed_size 0
		.amdhsa_kernarg_size 400
		.amdhsa_user_sgpr_count 2
		.amdhsa_user_sgpr_dispatch_ptr 0
		.amdhsa_user_sgpr_queue_ptr 0
		.amdhsa_user_sgpr_kernarg_segment_ptr 1
		.amdhsa_user_sgpr_dispatch_id 0
		.amdhsa_user_sgpr_private_segment_size 0
		.amdhsa_wavefront_size32 1
		.amdhsa_uses_dynamic_stack 0
		.amdhsa_enable_private_segment 0
		.amdhsa_system_sgpr_workgroup_id_x 1
		.amdhsa_system_sgpr_workgroup_id_y 0
		.amdhsa_system_sgpr_workgroup_id_z 1
		.amdhsa_system_sgpr_workgroup_info 0
		.amdhsa_system_vgpr_workitem_id 1
		.amdhsa_next_free_vgpr 82
		.amdhsa_next_free_sgpr 48
		.amdhsa_reserve_vcc 1
		.amdhsa_float_round_mode_32 0
		.amdhsa_float_round_mode_16_64 0
		.amdhsa_float_denorm_mode_32 3
		.amdhsa_float_denorm_mode_16_64 3
		.amdhsa_fp16_overflow 0
		.amdhsa_workgroup_processor_mode 1
		.amdhsa_memory_ordered 1
		.amdhsa_forward_progress 1
		.amdhsa_inst_pref_size 28
		.amdhsa_round_robin_scheduling 0
		.amdhsa_exception_fp_ieee_invalid_op 0
		.amdhsa_exception_fp_denorm_src 0
		.amdhsa_exception_fp_ieee_div_zero 0
		.amdhsa_exception_fp_ieee_overflow 0
		.amdhsa_exception_fp_ieee_underflow 0
		.amdhsa_exception_fp_ieee_inexact 0
		.amdhsa_exception_int_div_zero 0
	.end_amdhsa_kernel
	.section	.text._ZL20rocblas_gemvn_kernelILi32ELi16EiPKdS1_KPdEviiT3_lPKT2_lT1_lS7_lS8_lS4_lPT4_lS8_li,"axG",@progbits,_ZL20rocblas_gemvn_kernelILi32ELi16EiPKdS1_KPdEviiT3_lPKT2_lT1_lS7_lS8_lS4_lPT4_lS8_li,comdat
.Lfunc_end250:
	.size	_ZL20rocblas_gemvn_kernelILi32ELi16EiPKdS1_KPdEviiT3_lPKT2_lT1_lS7_lS8_lS4_lPT4_lS8_li, .Lfunc_end250-_ZL20rocblas_gemvn_kernelILi32ELi16EiPKdS1_KPdEviiT3_lPKT2_lT1_lS7_lS8_lS4_lPT4_lS8_li
                                        ; -- End function
	.set _ZL20rocblas_gemvn_kernelILi32ELi16EiPKdS1_KPdEviiT3_lPKT2_lT1_lS7_lS8_lS4_lPT4_lS8_li.num_vgpr, 82
	.set _ZL20rocblas_gemvn_kernelILi32ELi16EiPKdS1_KPdEviiT3_lPKT2_lT1_lS7_lS8_lS4_lPT4_lS8_li.num_agpr, 0
	.set _ZL20rocblas_gemvn_kernelILi32ELi16EiPKdS1_KPdEviiT3_lPKT2_lT1_lS7_lS8_lS4_lPT4_lS8_li.numbered_sgpr, 48
	.set _ZL20rocblas_gemvn_kernelILi32ELi16EiPKdS1_KPdEviiT3_lPKT2_lT1_lS7_lS8_lS4_lPT4_lS8_li.num_named_barrier, 0
	.set _ZL20rocblas_gemvn_kernelILi32ELi16EiPKdS1_KPdEviiT3_lPKT2_lT1_lS7_lS8_lS4_lPT4_lS8_li.private_seg_size, 0
	.set _ZL20rocblas_gemvn_kernelILi32ELi16EiPKdS1_KPdEviiT3_lPKT2_lT1_lS7_lS8_lS4_lPT4_lS8_li.uses_vcc, 1
	.set _ZL20rocblas_gemvn_kernelILi32ELi16EiPKdS1_KPdEviiT3_lPKT2_lT1_lS7_lS8_lS4_lPT4_lS8_li.uses_flat_scratch, 1
	.set _ZL20rocblas_gemvn_kernelILi32ELi16EiPKdS1_KPdEviiT3_lPKT2_lT1_lS7_lS8_lS4_lPT4_lS8_li.has_dyn_sized_stack, 0
	.set _ZL20rocblas_gemvn_kernelILi32ELi16EiPKdS1_KPdEviiT3_lPKT2_lT1_lS7_lS8_lS4_lPT4_lS8_li.has_recursion, 0
	.set _ZL20rocblas_gemvn_kernelILi32ELi16EiPKdS1_KPdEviiT3_lPKT2_lT1_lS7_lS8_lS4_lPT4_lS8_li.has_indirect_call, 0
	.section	.AMDGPU.csdata,"",@progbits
; Kernel info:
; codeLenInByte = 3544
; TotalNumSgprs: 50
; NumVgprs: 82
; ScratchSize: 0
; MemoryBound: 0
; FloatMode: 240
; IeeeMode: 1
; LDSByteSize: 16384 bytes/workgroup (compile time only)
; SGPRBlocks: 0
; VGPRBlocks: 10
; NumSGPRsForWavesPerEU: 50
; NumVGPRsForWavesPerEU: 82
; Occupancy: 16
; WaveLimiterHint : 1
; COMPUTE_PGM_RSRC2:SCRATCH_EN: 0
; COMPUTE_PGM_RSRC2:USER_SGPR: 2
; COMPUTE_PGM_RSRC2:TRAP_HANDLER: 0
; COMPUTE_PGM_RSRC2:TGID_X_EN: 1
; COMPUTE_PGM_RSRC2:TGID_Y_EN: 0
; COMPUTE_PGM_RSRC2:TGID_Z_EN: 1
; COMPUTE_PGM_RSRC2:TIDIG_COMP_CNT: 1
	.section	.text._ZL20rocblas_gemvn_kernelILi32ELi16ElPKdS1_KPdEviiT3_lPKT2_lT1_lS7_lS8_lS4_lPT4_lS8_li,"axG",@progbits,_ZL20rocblas_gemvn_kernelILi32ELi16ElPKdS1_KPdEviiT3_lPKT2_lT1_lS7_lS8_lS4_lPT4_lS8_li,comdat
	.globl	_ZL20rocblas_gemvn_kernelILi32ELi16ElPKdS1_KPdEviiT3_lPKT2_lT1_lS7_lS8_lS4_lPT4_lS8_li ; -- Begin function _ZL20rocblas_gemvn_kernelILi32ELi16ElPKdS1_KPdEviiT3_lPKT2_lT1_lS7_lS8_lS4_lPT4_lS8_li
	.p2align	8
	.type	_ZL20rocblas_gemvn_kernelILi32ELi16ElPKdS1_KPdEviiT3_lPKT2_lT1_lS7_lS8_lS4_lPT4_lS8_li,@function
_ZL20rocblas_gemvn_kernelILi32ELi16ElPKdS1_KPdEviiT3_lPKT2_lT1_lS7_lS8_lS4_lPT4_lS8_li: ; @_ZL20rocblas_gemvn_kernelILi32ELi16ElPKdS1_KPdEviiT3_lPKT2_lT1_lS7_lS8_lS4_lPT4_lS8_li
; %bb.0:
	s_clause 0x1
	s_load_b64 s[2:3], s[0:1], 0x9c
	s_load_b32 s33, s[0:1], 0x88
	s_lshr_b32 s10, ttmp7, 16
	s_wait_kmcnt 0x0
	s_lshr_b32 s4, s2, 16
	s_and_b32 s2, s2, 0xffff
	s_and_b32 s3, s3, 0xffff
	s_mul_i32 s2, s4, s2
	s_delay_alu instid0(SALU_CYCLE_1) | instskip(NEXT) | instid1(SALU_CYCLE_1)
	s_mul_i32 s2, s2, s3
	s_cmp_lg_u32 s2, 0x200
	s_cselect_b32 s2, -1, 0
	s_cmp_ge_u32 s10, s33
	s_cselect_b32 s3, -1, 0
	s_delay_alu instid0(SALU_CYCLE_1) | instskip(NEXT) | instid1(SALU_CYCLE_1)
	s_or_b32 s2, s2, s3
	s_and_b32 vcc_lo, exec_lo, s2
	s_cbranch_vccnz .LBB251_55
; %bb.1:
	s_clause 0x6
	s_load_b64 s[6:7], s[0:1], 0x78
	s_load_b64 s[8:9], s[0:1], 0x0
	s_load_b256 s[12:19], s[0:1], 0x8
	s_load_b64 s[34:35], s[0:1], 0x28
	s_load_b128 s[28:31], s[0:1], 0x38
	s_load_b64 s[36:37], s[0:1], 0x48
	s_load_b256 s[20:27], s[0:1], 0x58
	v_dual_mov_b32 v1, 0 :: v_dual_and_b32 v2, 0x3ff, v0
	s_lshl_b32 s38, ttmp9, 7
	v_bfe_u32 v26, v0, 10, 10
	s_mov_b32 s11, 0
	s_delay_alu instid0(VALU_DEP_2) | instskip(SKIP_1) | instid1(VALU_DEP_3)
	v_add_nc_u32_e32 v8, s38, v2
	v_lshlrev_b32_e32 v16, 3, v2
	v_lshlrev_b32_e32 v84, 2, v26
	v_lshl_add_u32 v5, v26, 5, v2
	s_delay_alu instid0(VALU_DEP_4)
	v_add_nc_u32_e32 v6, 64, v8
	v_add_nc_u32_e32 v7, 0x60, v8
	v_lshl_add_u32 v85, v26, 8, v16
	v_or_b32_e32 v19, 3, v84
	v_add_nc_u32_e32 v0, s38, v5
	v_or_b32_e32 v17, s38, v5
	s_wait_kmcnt 0x0
	s_ashr_i32 s2, s9, 31
	v_mad_co_u64_u32 v[10:11], null, s34, v19, 0
	s_lshr_b32 s3, s2, 26
	v_cmp_gt_i32_e64 s2, s8, v6
	s_add_co_i32 s42, s9, s3
	v_cmp_gt_i32_e64 s3, s8, v7
	v_mad_co_u64_u32 v[6:7], null, s36, v26, 0
	v_mad_co_u64_u32 v[12:13], null, s36, v19, 0
	;; [unrolled: 1-line block ×3, first 2 shown]
	s_ashr_i32 s5, s8, 31
	s_mov_b32 s4, s8
	v_mad_co_u64_u32 v[14:15], null, s37, v26, v[7:8]
	s_and_not1_b32 s42, s42, 63
	v_cmp_gt_i64_e32 vcc_lo, s[4:5], v[0:1]
	s_sub_co_i32 s39, s9, s42
	v_cmp_gt_u32_e64 s5, 0x80, v5
	v_mul_lo_u32 v18, s7, v17
	s_wait_alu 0xfffe
	s_cmp_gt_i32 s39, 0
	v_mov_b32_e32 v7, v14
	v_mad_co_u64_u32 v[14:15], null, s35, v19, v[11:12]
	s_cselect_b32 s43, -1, 0
	s_ashr_i32 s38, s38, 31
	v_ashrrev_i32_e32 v9, 31, v8
	v_cmp_gt_i32_e64 s0, s8, v8
	v_lshlrev_b64_e32 v[6:7], 5, v[6:7]
	s_and_b32 s44, s5, vcc_lo
	v_mov_b32_e32 v11, v14
	v_mad_co_u64_u32 v[22:23], null, s36, v84, s[36:37]
	v_add_nc_u32_e32 v4, 32, v8
	v_or_b32_e32 v29, 2, v84
	v_mad_co_u64_u32 v[24:25], null, s34, v84, s[34:35]
	v_lshlrev_b64_e32 v[8:9], 3, v[8:9]
	s_delay_alu instid0(VALU_DEP_4)
	v_cmp_gt_i32_e64 s1, s8, v4
	v_mad_co_u64_u32 v[3:4], null, s7, v0, v[3:4]
	v_mad_co_u64_u32 v[4:5], null, s6, v17, 0
	s_wait_alu 0xfffe
	s_mul_i32 s7, s6, s38
	v_lshl_add_u32 v0, v26, 10, v16
	v_mad_co_u64_u32 v[15:16], null, s37, v19, v[13:14]
	v_cmp_gt_i32_e64 s6, s8, v17
	v_mad_co_u64_u32 v[16:17], null, s34, v26, 0
	s_wait_alu 0xfffe
	v_add3_u32 v5, v5, s7, v18
	v_mad_co_u64_u32 v[18:19], null, s34, v29, 0
	v_mad_co_u64_u32 v[20:21], null, s36, v29, 0
	s_delay_alu instid0(VALU_DEP_4) | instskip(SKIP_3) | instid1(VALU_DEP_4)
	v_dual_mov_b32 v13, v15 :: v_dual_mov_b32 v14, v17
	v_mov_b32_e32 v17, v25
	v_lshlrev_b64_e32 v[10:11], 3, v[10:11]
	v_mov_b32_e32 v15, v19
	v_lshlrev_b64_e32 v[12:13], 3, v[12:13]
	v_cmp_gt_i32_e64 s4, s42, v84
	s_lshl_b64 s[38:39], s[36:37], 9
	s_lshl_b64 s[40:41], s[34:35], 9
	v_mad_co_u64_u32 v[26:27], null, s35, v26, v[14:15]
	v_mov_b32_e32 v14, v21
	v_mad_co_u64_u32 v[27:28], null, s35, v29, v[15:16]
	v_mov_b32_e32 v15, v23
	s_lshl_b64 s[18:19], s[18:19], 3
	s_lshl_b64 s[30:31], s[30:31], 3
	;; [unrolled: 1-line block ×3, first 2 shown]
	s_delay_alu instid0(VALU_DEP_1)
	v_mad_co_u64_u32 v[28:29], null, s37, v29, v[14:15]
	v_mad_co_u64_u32 v[14:15], null, s37, v84, v[15:16]
	v_mad_co_u64_u32 v[29:30], null, s35, v84, v[17:18]
	v_mov_b32_e32 v17, v26
	v_mov_b32_e32 v19, v27
	;; [unrolled: 1-line block ×4, first 2 shown]
	s_delay_alu instid0(VALU_DEP_4) | instskip(SKIP_4) | instid1(VALU_DEP_4)
	v_lshlrev_b64_e32 v[14:15], 5, v[16:17]
	v_mov_b32_e32 v25, v29
	v_lshlrev_b64_e32 v[16:17], 3, v[18:19]
	v_lshlrev_b64_e32 v[18:19], 3, v[20:21]
	v_lshlrev_b64_e32 v[20:21], 3, v[22:23]
	v_lshlrev_b64_e32 v[22:23], 3, v[24:25]
	v_lshlrev_b64_e32 v[24:25], 3, v[2:3]
	s_branch .LBB251_4
.LBB251_2:                              ;   in Loop: Header=BB251_4 Depth=1
	s_wait_alu 0xfffe
	s_or_b32 exec_lo, exec_lo, s7
.LBB251_3:                              ;   in Loop: Header=BB251_4 Depth=1
	s_add_co_i32 s10, s10, 0x10000
	s_delay_alu instid0(SALU_CYCLE_1)
	s_cmp_lt_u32 s10, s33
	s_cbranch_scc0 .LBB251_55
.LBB251_4:                              ; =>This Loop Header: Depth=1
                                        ;     Child Loop BB251_21 Depth 2
	s_mul_u64 s[46:47], s[14:15], s[10:11]
	s_mul_u64 s[48:49], s[22:23], s[10:11]
	s_lshl_b64 s[46:47], s[46:47], 3
	s_lshl_b64 s[48:49], s[48:49], 3
	s_add_nc_u64 s[46:47], s[12:13], s[46:47]
	s_add_nc_u64 s[48:49], s[20:21], s[48:49]
	s_clause 0x1
	global_load_b64 v[28:29], v1, s[46:47]
	global_load_b64 v[26:27], v1, s[48:49]
	s_wait_loadcnt 0x1
	v_cmp_eq_f64_e64 s7, 0, v[28:29]
	s_wait_loadcnt 0x0
	v_cmp_eq_f64_e32 vcc_lo, 1.0, v[26:27]
	s_and_b32 s8, s7, vcc_lo
	s_wait_alu 0xfffe
	s_and_b32 vcc_lo, exec_lo, s8
	s_wait_alu 0xfffe
	s_cbranch_vccnz .LBB251_3
; %bb.5:                                ;   in Loop: Header=BB251_4 Depth=1
	v_cmp_neq_f64_e64 s8, 0, v[28:29]
	v_mov_b32_e32 v40, 0
	v_dual_mov_b32 v41, 0 :: v_dual_mov_b32 v30, 0
	v_mov_b32_e32 v31, 0
	s_and_b32 vcc_lo, exec_lo, s7
	s_wait_alu 0xfffe
	s_cbranch_vccnz .LBB251_7
; %bb.6:                                ;   in Loop: Header=BB251_4 Depth=1
	s_lshl_b64 s[46:47], s[10:11], 3
	s_delay_alu instid0(SALU_CYCLE_1)
	s_add_nc_u64 s[46:47], s[16:17], s[46:47]
	global_load_b64 v[30:31], v1, s[46:47]
	s_wait_loadcnt 0x0
	v_add_co_u32 v30, vcc_lo, v30, s18
	s_wait_alu 0xfffd
	v_add_co_ci_u32_e64 v31, null, s19, v31, vcc_lo
.LBB251_7:                              ;   in Loop: Header=BB251_4 Depth=1
	s_and_not1_b32 vcc_lo, exec_lo, s8
	s_wait_alu 0xfffe
	s_cbranch_vccnz .LBB251_9
; %bb.8:                                ;   in Loop: Header=BB251_4 Depth=1
	s_lshl_b64 s[46:47], s[10:11], 3
	s_delay_alu instid0(SALU_CYCLE_1)
	s_add_nc_u64 s[46:47], s[28:29], s[46:47]
	global_load_b64 v[32:33], v1, s[46:47]
	s_wait_loadcnt 0x0
	v_add_co_u32 v40, vcc_lo, v32, s30
	s_wait_alu 0xfffd
	v_add_co_ci_u32_e64 v41, null, s31, v33, vcc_lo
.LBB251_9:                              ;   in Loop: Header=BB251_4 Depth=1
	s_lshl_b64 s[46:47], s[10:11], 3
	s_delay_alu instid0(SALU_CYCLE_1)
	s_add_nc_u64 s[46:47], s[24:25], s[46:47]
	global_load_b64 v[32:33], v1, s[46:47]
	s_wait_loadcnt 0x0
	v_add_co_u32 v86, vcc_lo, v32, s26
	s_wait_alu 0xfffd
	v_add_co_ci_u32_e64 v87, null, s27, v33, vcc_lo
	s_and_not1_b32 vcc_lo, exec_lo, s7
	s_wait_alu 0xfffe
	s_cbranch_vccnz .LBB251_14
; %bb.10:                               ;   in Loop: Header=BB251_4 Depth=1
	s_mov_b32 s7, 0
	s_mov_b32 s8, 0
                                        ; implicit-def: $vgpr32_vgpr33
	s_and_saveexec_b32 s45, s44
	s_cbranch_execz .LBB251_26
; %bb.11:                               ;   in Loop: Header=BB251_4 Depth=1
	v_cmp_eq_f64_e32 vcc_lo, 0, v[26:27]
	v_mov_b32_e32 v32, 0
	v_mov_b32_e32 v33, 0
	s_cbranch_vccnz .LBB251_13
; %bb.12:                               ;   in Loop: Header=BB251_4 Depth=1
	v_add_co_u32 v32, vcc_lo, v86, v24
	s_wait_alu 0xfffd
	v_add_co_ci_u32_e64 v33, null, v87, v25, vcc_lo
	flat_load_b64 v[32:33], v[32:33]
	s_wait_loadcnt_dscnt 0x0
	v_mul_f64_e32 v[32:33], v[26:27], v[32:33]
.LBB251_13:                             ;   in Loop: Header=BB251_4 Depth=1
	s_mov_b32 s8, exec_lo
	s_or_b32 exec_lo, exec_lo, s45
	s_wait_alu 0xfffe
	s_and_b32 vcc_lo, exec_lo, s7
	s_wait_alu 0xfffe
	s_cbranch_vccnz .LBB251_15
	s_branch .LBB251_27
.LBB251_14:                             ;   in Loop: Header=BB251_4 Depth=1
	s_mov_b32 s8, 0
                                        ; implicit-def: $vgpr32_vgpr33
	s_cbranch_execz .LBB251_27
.LBB251_15:                             ;   in Loop: Header=BB251_4 Depth=1
	v_mov_b32_e32 v32, 0
	v_dual_mov_b32 v36, 0 :: v_dual_mov_b32 v33, 0
	v_dual_mov_b32 v34, 0 :: v_dual_mov_b32 v37, 0
	;; [unrolled: 1-line block ×4, first 2 shown]
	s_and_saveexec_b32 s45, s4
	s_cbranch_execz .LBB251_29
; %bb.16:                               ;   in Loop: Header=BB251_4 Depth=1
	v_add_co_u32 v89, vcc_lo, v30, v10
	s_wait_alu 0xfffd
	v_add_co_ci_u32_e64 v90, null, v31, v11, vcc_lo
	v_add_co_u32 v91, vcc_lo, v30, v14
	s_wait_alu 0xfffd
	v_add_co_ci_u32_e64 v92, null, v31, v15, vcc_lo
	;; [unrolled: 3-line block ×3, first 2 shown]
	v_add_co_u32 v95, vcc_lo, v30, v22
	v_mov_b32_e32 v34, 0
	v_dual_mov_b32 v32, 0 :: v_dual_mov_b32 v43, v41
	v_dual_mov_b32 v35, 0 :: v_dual_mov_b32 v36, 0
	v_mov_b32_e32 v38, 0
	s_wait_alu 0xfffd
	v_add_co_ci_u32_e64 v96, null, v31, v23, vcc_lo
	v_dual_mov_b32 v33, 0 :: v_dual_mov_b32 v42, v40
	v_mov_b32_e32 v37, 0
	v_dual_mov_b32 v39, 0 :: v_dual_mov_b32 v88, v84
	s_mov_b32 s46, 0
	s_branch .LBB251_21
.LBB251_17:                             ;   in Loop: Header=BB251_21 Depth=2
	s_or_b32 exec_lo, exec_lo, s49
	s_wait_loadcnt_dscnt 0x303
	v_fma_f64 v[36:37], v[44:45], v[76:77], v[36:37]
	s_wait_loadcnt_dscnt 0x202
	s_delay_alu instid0(VALU_DEP_1) | instskip(SKIP_1) | instid1(VALU_DEP_1)
	v_fma_f64 v[36:37], v[46:47], v[78:79], v[36:37]
	s_wait_loadcnt_dscnt 0x101
	v_fma_f64 v[36:37], v[48:49], v[80:81], v[36:37]
	s_wait_loadcnt_dscnt 0x0
	s_delay_alu instid0(VALU_DEP_1)
	v_fma_f64 v[36:37], v[50:51], v[82:83], v[36:37]
.LBB251_18:                             ;   in Loop: Header=BB251_21 Depth=2
	s_or_b32 exec_lo, exec_lo, s48
	s_wait_loadcnt_dscnt 0x303
	v_fma_f64 v[34:35], v[44:45], v[68:69], v[34:35]
	s_wait_loadcnt_dscnt 0x202
	s_delay_alu instid0(VALU_DEP_1) | instskip(SKIP_1) | instid1(VALU_DEP_1)
	v_fma_f64 v[34:35], v[46:47], v[70:71], v[34:35]
	s_wait_loadcnt_dscnt 0x101
	v_fma_f64 v[34:35], v[48:49], v[72:73], v[34:35]
	s_wait_loadcnt_dscnt 0x0
	s_delay_alu instid0(VALU_DEP_1)
	v_fma_f64 v[34:35], v[50:51], v[74:75], v[34:35]
.LBB251_19:                             ;   in Loop: Header=BB251_21 Depth=2
	s_or_b32 exec_lo, exec_lo, s47
	s_wait_loadcnt_dscnt 0x303
	v_fma_f64 v[32:33], v[44:45], v[52:53], v[32:33]
	s_wait_loadcnt_dscnt 0x202
	s_delay_alu instid0(VALU_DEP_1) | instskip(SKIP_1) | instid1(VALU_DEP_1)
	v_fma_f64 v[32:33], v[46:47], v[54:55], v[32:33]
	s_wait_loadcnt_dscnt 0x101
	v_fma_f64 v[32:33], v[48:49], v[56:57], v[32:33]
	s_wait_loadcnt_dscnt 0x0
	s_delay_alu instid0(VALU_DEP_1)
	v_fma_f64 v[32:33], v[50:51], v[58:59], v[32:33]
.LBB251_20:                             ;   in Loop: Header=BB251_21 Depth=2
	s_wait_alu 0xfffe
	s_or_b32 exec_lo, exec_lo, s7
	v_add_co_u32 v42, vcc_lo, v42, s38
	s_wait_alu 0xfffd
	v_add_co_ci_u32_e64 v43, null, s39, v43, vcc_lo
	v_add_co_u32 v89, vcc_lo, v89, s40
	v_add_nc_u32_e32 v88, 64, v88
	s_wait_alu 0xfffd
	v_add_co_ci_u32_e64 v90, null, s41, v90, vcc_lo
	v_add_co_u32 v91, vcc_lo, v91, s40
	s_wait_alu 0xfffd
	v_add_co_ci_u32_e64 v92, null, s41, v92, vcc_lo
	v_add_co_u32 v93, vcc_lo, v93, s40
	s_wait_alu 0xfffd
	v_add_co_ci_u32_e64 v94, null, s41, v94, vcc_lo
	v_cmp_le_i32_e32 vcc_lo, s42, v88
	v_add_co_u32 v95, s7, v95, s40
	s_wait_alu 0xf1ff
	v_add_co_ci_u32_e64 v96, null, s41, v96, s7
	s_or_b32 s46, vcc_lo, s46
	s_delay_alu instid0(SALU_CYCLE_1)
	s_and_not1_b32 exec_lo, exec_lo, s46
	s_cbranch_execz .LBB251_28
.LBB251_21:                             ;   Parent Loop BB251_4 Depth=1
                                        ; =>  This Inner Loop Header: Depth=2
	s_and_saveexec_b32 s7, s0
	s_cbranch_execz .LBB251_20
; %bb.22:                               ;   in Loop: Header=BB251_21 Depth=2
	v_add_co_u32 v44, vcc_lo, v42, v6
	s_wait_alu 0xfffd
	v_add_co_ci_u32_e64 v45, null, v43, v7, vcc_lo
	v_add_co_u32 v46, vcc_lo, v42, v20
	s_wait_alu 0xfffd
	v_add_co_ci_u32_e64 v47, null, v43, v21, vcc_lo
	;; [unrolled: 3-line block ×8, first 2 shown]
	s_clause 0x3
	flat_load_b64 v[44:45], v[44:45]
	flat_load_b64 v[46:47], v[46:47]
	flat_load_b64 v[48:49], v[48:49]
	flat_load_b64 v[50:51], v[50:51]
	flat_load_b64 v[52:53], v[60:61]
	flat_load_b64 v[54:55], v[62:63]
	flat_load_b64 v[56:57], v[64:65]
	flat_load_b64 v[58:59], v[66:67]
	s_and_saveexec_b32 s47, s1
	s_cbranch_execz .LBB251_19
; %bb.23:                               ;   in Loop: Header=BB251_21 Depth=2
	flat_load_b64 v[68:69], v[60:61] offset:256
	flat_load_b64 v[70:71], v[62:63] offset:256
	flat_load_b64 v[72:73], v[64:65] offset:256
	flat_load_b64 v[74:75], v[66:67] offset:256
	s_and_saveexec_b32 s48, s2
	s_cbranch_execz .LBB251_18
; %bb.24:                               ;   in Loop: Header=BB251_21 Depth=2
	flat_load_b64 v[76:77], v[60:61] offset:512
	flat_load_b64 v[78:79], v[62:63] offset:512
	flat_load_b64 v[80:81], v[64:65] offset:512
	flat_load_b64 v[82:83], v[66:67] offset:512
	s_and_saveexec_b32 s49, s3
	s_cbranch_execz .LBB251_17
; %bb.25:                               ;   in Loop: Header=BB251_21 Depth=2
	flat_load_b64 v[60:61], v[60:61] offset:768
	flat_load_b64 v[62:63], v[62:63] offset:768
	flat_load_b64 v[64:65], v[64:65] offset:768
	flat_load_b64 v[66:67], v[66:67] offset:768
	s_wait_loadcnt_dscnt 0x303
	v_fma_f64 v[38:39], v[44:45], v[60:61], v[38:39]
	s_wait_loadcnt_dscnt 0x202
	s_delay_alu instid0(VALU_DEP_1) | instskip(SKIP_1) | instid1(VALU_DEP_1)
	v_fma_f64 v[38:39], v[46:47], v[62:63], v[38:39]
	s_wait_loadcnt_dscnt 0x101
	v_fma_f64 v[38:39], v[48:49], v[64:65], v[38:39]
	s_wait_loadcnt_dscnt 0x0
	s_delay_alu instid0(VALU_DEP_1)
	v_fma_f64 v[38:39], v[50:51], v[66:67], v[38:39]
	s_branch .LBB251_17
.LBB251_26:                             ;   in Loop: Header=BB251_4 Depth=1
	s_or_b32 exec_lo, exec_lo, s45
	s_wait_alu 0xfffe
	s_and_b32 vcc_lo, exec_lo, s7
	s_wait_alu 0xfffe
	s_cbranch_vccnz .LBB251_15
.LBB251_27:                             ;   in Loop: Header=BB251_4 Depth=1
	v_dual_mov_b32 v27, v3 :: v_dual_mov_b32 v26, v2
	s_wait_alu 0xfffe
	s_and_saveexec_b32 s7, s8
	s_cbranch_execz .LBB251_2
	s_branch .LBB251_54
.LBB251_28:                             ;   in Loop: Header=BB251_4 Depth=1
	s_or_b32 exec_lo, exec_lo, s46
.LBB251_29:                             ;   in Loop: Header=BB251_4 Depth=1
	s_delay_alu instid0(SALU_CYCLE_1) | instskip(NEXT) | instid1(SALU_CYCLE_1)
	s_or_b32 exec_lo, exec_lo, s45
	s_and_not1_b32 vcc_lo, exec_lo, s43
	s_wait_alu 0xfffe
	s_cbranch_vccnz .LBB251_47
; %bb.30:                               ;   in Loop: Header=BB251_4 Depth=1
	v_mov_b32_e32 v48, 0
	v_dual_mov_b32 v44, 0 :: v_dual_mov_b32 v49, 0
	v_dual_mov_b32 v46, 0 :: v_dual_mov_b32 v45, 0
	v_mov_b32_e32 v42, 0
	v_cmp_gt_i32_e32 vcc_lo, s9, v88
	v_mov_b32_e32 v47, 0
	v_mov_b32_e32 v43, 0
	v_or_b32_e32 v50, 1, v88
	s_and_saveexec_b32 s45, vcc_lo
	s_cbranch_execz .LBB251_38
; %bb.31:                               ;   in Loop: Header=BB251_4 Depth=1
	v_mad_co_u64_u32 v[42:43], null, s36, v88, 0
	v_mov_b32_e32 v48, 0
	v_mov_b32_e32 v49, 0
	s_mov_b32 s46, exec_lo
	v_mov_b32_e32 v46, 0
	v_mov_b32_e32 v47, 0
	v_mad_co_u64_u32 v[43:44], null, s37, v88, v[43:44]
	v_mov_b32_e32 v44, 0
	v_mov_b32_e32 v45, 0
	s_delay_alu instid0(VALU_DEP_3) | instskip(NEXT) | instid1(VALU_DEP_1)
	v_lshlrev_b64_e32 v[42:43], 3, v[42:43]
	v_add_co_u32 v42, s7, v40, v42
	s_wait_alu 0xf1ff
	s_delay_alu instid0(VALU_DEP_2)
	v_add_co_ci_u32_e64 v43, null, v41, v43, s7
	flat_load_b64 v[42:43], v[42:43]
	v_cmpx_gt_i32_e64 s9, v50
	s_cbranch_execz .LBB251_37
; %bb.32:                               ;   in Loop: Header=BB251_4 Depth=1
	v_mad_co_u64_u32 v[44:45], null, s36, v50, 0
	v_or_b32_e32 v51, 2, v88
	s_mov_b32 s47, exec_lo
	v_mov_b32_e32 v48, 0
	v_mov_b32_e32 v49, 0
	s_delay_alu instid0(VALU_DEP_4) | instskip(SKIP_2) | instid1(VALU_DEP_3)
	v_mad_co_u64_u32 v[45:46], null, s37, v50, v[45:46]
	v_mov_b32_e32 v46, 0
	v_mov_b32_e32 v47, 0
	v_lshlrev_b64_e32 v[44:45], 3, v[44:45]
	s_delay_alu instid0(VALU_DEP_1) | instskip(SKIP_1) | instid1(VALU_DEP_2)
	v_add_co_u32 v44, s7, v40, v44
	s_wait_alu 0xf1ff
	v_add_co_ci_u32_e64 v45, null, v41, v45, s7
	flat_load_b64 v[44:45], v[44:45]
	v_cmpx_gt_i32_e64 s9, v51
	s_cbranch_execz .LBB251_36
; %bb.33:                               ;   in Loop: Header=BB251_4 Depth=1
	v_mad_co_u64_u32 v[46:47], null, s36, v51, 0
	s_mov_b32 s48, exec_lo
	v_mad_co_u64_u32 v[47:48], null, s37, v51, v[47:48]
	v_mov_b32_e32 v48, 0
	v_or_b32_e32 v51, 3, v88
	v_mov_b32_e32 v49, 0
	s_delay_alu instid0(VALU_DEP_4) | instskip(NEXT) | instid1(VALU_DEP_1)
	v_lshlrev_b64_e32 v[46:47], 3, v[46:47]
	v_add_co_u32 v46, s7, v40, v46
	s_wait_alu 0xf1ff
	s_delay_alu instid0(VALU_DEP_2)
	v_add_co_ci_u32_e64 v47, null, v41, v47, s7
	flat_load_b64 v[46:47], v[46:47]
	v_cmpx_gt_i32_e64 s9, v51
	s_cbranch_execz .LBB251_35
; %bb.34:                               ;   in Loop: Header=BB251_4 Depth=1
	v_mad_co_u64_u32 v[48:49], null, s36, v51, 0
	s_delay_alu instid0(VALU_DEP_1) | instskip(NEXT) | instid1(VALU_DEP_1)
	v_mad_co_u64_u32 v[51:52], null, s37, v51, v[49:50]
	v_mov_b32_e32 v49, v51
	s_delay_alu instid0(VALU_DEP_1) | instskip(NEXT) | instid1(VALU_DEP_1)
	v_lshlrev_b64_e32 v[48:49], 3, v[48:49]
	v_add_co_u32 v40, s7, v40, v48
	s_wait_alu 0xf1ff
	s_delay_alu instid0(VALU_DEP_2)
	v_add_co_ci_u32_e64 v41, null, v41, v49, s7
	flat_load_b64 v[48:49], v[40:41]
.LBB251_35:                             ;   in Loop: Header=BB251_4 Depth=1
	s_or_b32 exec_lo, exec_lo, s48
.LBB251_36:                             ;   in Loop: Header=BB251_4 Depth=1
	s_delay_alu instid0(SALU_CYCLE_1)
	s_or_b32 exec_lo, exec_lo, s47
.LBB251_37:                             ;   in Loop: Header=BB251_4 Depth=1
	s_delay_alu instid0(SALU_CYCLE_1)
	s_or_b32 exec_lo, exec_lo, s46
.LBB251_38:                             ;   in Loop: Header=BB251_4 Depth=1
	s_delay_alu instid0(SALU_CYCLE_1)
	s_or_b32 exec_lo, exec_lo, s45
	s_and_saveexec_b32 s45, s0
	s_cbranch_execz .LBB251_46
; %bb.39:                               ;   in Loop: Header=BB251_4 Depth=1
	v_or_b32_e32 v59, 2, v88
	v_mad_co_u64_u32 v[40:41], null, s34, v88, 0
	v_mad_co_u64_u32 v[51:52], null, s34, v50, 0
	s_delay_alu instid0(VALU_DEP_3) | instskip(SKIP_4) | instid1(VALU_DEP_4)
	v_mad_co_u64_u32 v[53:54], null, s34, v59, 0
	v_cmp_gt_i32_e64 s7, s9, v50
	v_or_b32_e32 v61, 3, v88
	s_wait_loadcnt_dscnt 0x0
	v_mad_co_u64_u32 v[55:56], null, s35, v88, v[41:42]
	v_dual_mov_b32 v41, v54 :: v_dual_cndmask_b32 v54, 0, v40
	v_mad_co_u64_u32 v[56:57], null, s35, v50, v[52:53]
	s_wait_alu 0xf1ff
	v_cndmask_b32_e64 v40, 0, v51, s7
	s_delay_alu instid0(VALU_DEP_3)
	v_mad_co_u64_u32 v[50:51], null, s35, v59, v[41:42]
	v_cndmask_b32_e32 v55, 0, v55, vcc_lo
	v_cmp_gt_i32_e32 vcc_lo, s9, v59
	v_mad_co_u64_u32 v[57:58], null, s34, v61, 0
	v_cndmask_b32_e64 v41, 0, v56, s7
	s_wait_alu 0xfffd
	v_dual_cndmask_b32 v59, 0, v53 :: v_dual_cndmask_b32 v60, 0, v50
	v_lshlrev_b64_e32 v[51:52], 3, v[54:55]
	s_delay_alu instid0(VALU_DEP_3) | instskip(SKIP_1) | instid1(VALU_DEP_3)
	v_lshlrev_b64_e32 v[40:41], 3, v[40:41]
	v_mov_b32_e32 v53, v58
	v_add_co_u32 v51, s7, v30, v51
	s_wait_alu 0xf1ff
	s_delay_alu instid0(VALU_DEP_4) | instskip(NEXT) | instid1(VALU_DEP_2)
	v_add_co_ci_u32_e64 v52, null, v31, v52, s7
	v_add_co_u32 v54, vcc_lo, v51, v8
	s_wait_alu 0xfffd
	s_delay_alu instid0(VALU_DEP_2) | instskip(SKIP_1) | instid1(VALU_DEP_3)
	v_add_co_ci_u32_e64 v55, null, v52, v9, vcc_lo
	v_cmp_gt_i32_e32 vcc_lo, s9, v61
	v_mad_co_u64_u32 v[50:51], null, s35, v61, v[53:54]
	v_add_co_u32 v53, s7, v30, v40
	s_wait_alu 0xfffd
	v_cndmask_b32_e32 v51, 0, v57, vcc_lo
	s_wait_alu 0xf1ff
	v_add_co_ci_u32_e64 v58, null, v31, v41, s7
	s_delay_alu instid0(VALU_DEP_4)
	v_cndmask_b32_e32 v52, 0, v50, vcc_lo
	v_lshlrev_b64_e32 v[40:41], 3, v[59:60]
	v_add_co_u32 v56, vcc_lo, v53, v8
	s_wait_alu 0xfffd
	v_add_co_ci_u32_e64 v57, null, v58, v9, vcc_lo
	v_lshlrev_b64_e32 v[50:51], 3, v[51:52]
	s_delay_alu instid0(VALU_DEP_4) | instskip(SKIP_2) | instid1(VALU_DEP_3)
	v_add_co_u32 v40, vcc_lo, v30, v40
	s_wait_alu 0xfffd
	v_add_co_ci_u32_e64 v41, null, v31, v41, vcc_lo
	v_add_co_u32 v30, vcc_lo, v30, v50
	s_wait_alu 0xfffd
	v_add_co_ci_u32_e64 v31, null, v31, v51, vcc_lo
	;; [unrolled: 3-line block ×4, first 2 shown]
	s_clause 0x3
	flat_load_b64 v[30:31], v[54:55]
	flat_load_b64 v[40:41], v[56:57]
	;; [unrolled: 1-line block ×4, first 2 shown]
	s_and_saveexec_b32 s7, s1
	s_cbranch_execz .LBB251_45
; %bb.40:                               ;   in Loop: Header=BB251_4 Depth=1
	s_clause 0x3
	flat_load_b64 v[58:59], v[54:55] offset:256
	flat_load_b64 v[60:61], v[56:57] offset:256
	flat_load_b64 v[62:63], v[66:67] offset:256
	flat_load_b64 v[64:65], v[68:69] offset:256
	s_and_saveexec_b32 s46, s2
	s_cbranch_execz .LBB251_44
; %bb.41:                               ;   in Loop: Header=BB251_4 Depth=1
	s_clause 0x3
	flat_load_b64 v[70:71], v[54:55] offset:512
	flat_load_b64 v[72:73], v[56:57] offset:512
	flat_load_b64 v[74:75], v[66:67] offset:512
	flat_load_b64 v[76:77], v[68:69] offset:512
	;; [unrolled: 8-line block ×3, first 2 shown]
	s_wait_loadcnt_dscnt 0x303
	v_fma_f64 v[38:39], v[42:43], v[54:55], v[38:39]
	s_wait_loadcnt_dscnt 0x202
	s_delay_alu instid0(VALU_DEP_1) | instskip(SKIP_1) | instid1(VALU_DEP_1)
	v_fma_f64 v[38:39], v[44:45], v[56:57], v[38:39]
	s_wait_loadcnt_dscnt 0x101
	v_fma_f64 v[38:39], v[46:47], v[66:67], v[38:39]
	s_wait_loadcnt_dscnt 0x0
	s_delay_alu instid0(VALU_DEP_1)
	v_fma_f64 v[38:39], v[48:49], v[68:69], v[38:39]
.LBB251_43:                             ;   in Loop: Header=BB251_4 Depth=1
	s_or_b32 exec_lo, exec_lo, s47
	s_wait_loadcnt_dscnt 0x303
	v_fma_f64 v[36:37], v[42:43], v[70:71], v[36:37]
	s_wait_loadcnt_dscnt 0x202
	s_delay_alu instid0(VALU_DEP_1) | instskip(SKIP_1) | instid1(VALU_DEP_1)
	v_fma_f64 v[36:37], v[44:45], v[72:73], v[36:37]
	s_wait_loadcnt_dscnt 0x101
	v_fma_f64 v[36:37], v[46:47], v[74:75], v[36:37]
	s_wait_loadcnt_dscnt 0x0
	s_delay_alu instid0(VALU_DEP_1)
	v_fma_f64 v[36:37], v[48:49], v[76:77], v[36:37]
.LBB251_44:                             ;   in Loop: Header=BB251_4 Depth=1
	s_or_b32 exec_lo, exec_lo, s46
	s_wait_loadcnt_dscnt 0x303
	v_fma_f64 v[34:35], v[42:43], v[58:59], v[34:35]
	s_wait_loadcnt_dscnt 0x202
	s_delay_alu instid0(VALU_DEP_1) | instskip(SKIP_1) | instid1(VALU_DEP_1)
	v_fma_f64 v[34:35], v[44:45], v[60:61], v[34:35]
	s_wait_loadcnt_dscnt 0x101
	v_fma_f64 v[34:35], v[46:47], v[62:63], v[34:35]
	s_wait_loadcnt_dscnt 0x0
	s_delay_alu instid0(VALU_DEP_1)
	v_fma_f64 v[34:35], v[48:49], v[64:65], v[34:35]
.LBB251_45:                             ;   in Loop: Header=BB251_4 Depth=1
	s_wait_alu 0xfffe
	s_or_b32 exec_lo, exec_lo, s7
	s_wait_loadcnt_dscnt 0x303
	v_fma_f64 v[30:31], v[42:43], v[30:31], v[32:33]
	s_wait_loadcnt_dscnt 0x202
	s_delay_alu instid0(VALU_DEP_1) | instskip(SKIP_1) | instid1(VALU_DEP_1)
	v_fma_f64 v[30:31], v[44:45], v[40:41], v[30:31]
	s_wait_loadcnt_dscnt 0x101
	v_fma_f64 v[30:31], v[46:47], v[50:51], v[30:31]
	s_wait_loadcnt_dscnt 0x0
	s_delay_alu instid0(VALU_DEP_1)
	v_fma_f64 v[32:33], v[48:49], v[52:53], v[30:31]
.LBB251_46:                             ;   in Loop: Header=BB251_4 Depth=1
	s_or_b32 exec_lo, exec_lo, s45
.LBB251_47:                             ;   in Loop: Header=BB251_4 Depth=1
	ds_store_2addr_b64 v0, v[32:33], v[34:35] offset1:32
	ds_store_2addr_b64 v0, v[36:37], v[38:39] offset0:64 offset1:96
	s_wait_loadcnt_dscnt 0x0
	s_barrier_signal -1
	s_barrier_wait -1
	global_inv scope:SCOPE_SE
                                        ; implicit-def: $vgpr32_vgpr33
	s_and_saveexec_b32 s7, s5
	s_cbranch_execz .LBB251_53
; %bb.48:                               ;   in Loop: Header=BB251_4 Depth=1
	ds_load_2addr_stride64_b64 v[30:33], v85 offset1:2
	s_mov_b32 s46, s8
	s_wait_dscnt 0x0
	v_add_f64_e32 v[34:35], v[30:31], v[32:33]
	ds_load_2addr_stride64_b64 v[30:33], v85 offset0:4 offset1:6
	s_wait_dscnt 0x0
	v_add_f64_e32 v[30:31], v[30:31], v[34:35]
	s_delay_alu instid0(VALU_DEP_1) | instskip(SKIP_3) | instid1(VALU_DEP_1)
	v_add_f64_e32 v[34:35], v[32:33], v[30:31]
	ds_load_2addr_stride64_b64 v[30:33], v85 offset0:8 offset1:10
	s_wait_dscnt 0x0
	v_add_f64_e32 v[30:31], v[30:31], v[34:35]
	v_add_f64_e32 v[34:35], v[32:33], v[30:31]
	ds_load_2addr_stride64_b64 v[30:33], v85 offset0:12 offset1:14
	s_wait_dscnt 0x0
	v_add_f64_e32 v[30:31], v[30:31], v[34:35]
	s_delay_alu instid0(VALU_DEP_1) | instskip(SKIP_3) | instid1(VALU_DEP_1)
	v_add_f64_e32 v[34:35], v[32:33], v[30:31]
	ds_load_2addr_stride64_b64 v[30:33], v85 offset0:16 offset1:18
	s_wait_dscnt 0x0
	v_add_f64_e32 v[30:31], v[30:31], v[34:35]
	;; [unrolled: 9-line block ×3, first 2 shown]
	v_add_f64_e32 v[34:35], v[32:33], v[30:31]
	ds_load_2addr_stride64_b64 v[30:33], v85 offset0:28 offset1:30
	s_wait_dscnt 0x0
	v_add_f64_e32 v[30:31], v[30:31], v[34:35]
	s_delay_alu instid0(VALU_DEP_1)
	v_add_f64_e32 v[30:31], v[32:33], v[30:31]
                                        ; implicit-def: $vgpr32_vgpr33
	ds_store_b64 v85, v[30:31]
	s_and_saveexec_b32 s45, s6
	s_cbranch_execz .LBB251_52
; %bb.49:                               ;   in Loop: Header=BB251_4 Depth=1
	v_cmp_eq_f64_e32 vcc_lo, 0, v[26:27]
	v_mul_f64_e32 v[32:33], v[28:29], v[30:31]
	s_cbranch_vccnz .LBB251_51
; %bb.50:                               ;   in Loop: Header=BB251_4 Depth=1
	v_lshlrev_b64_e32 v[28:29], 3, v[4:5]
	s_delay_alu instid0(VALU_DEP_1) | instskip(SKIP_1) | instid1(VALU_DEP_2)
	v_add_co_u32 v28, vcc_lo, v86, v28
	s_wait_alu 0xfffd
	v_add_co_ci_u32_e64 v29, null, v87, v29, vcc_lo
	flat_load_b64 v[28:29], v[28:29]
	s_wait_loadcnt_dscnt 0x0
	v_fma_f64 v[32:33], v[26:27], v[28:29], v[32:33]
.LBB251_51:                             ;   in Loop: Header=BB251_4 Depth=1
	s_or_b32 s46, s8, exec_lo
.LBB251_52:                             ;   in Loop: Header=BB251_4 Depth=1
	s_or_b32 exec_lo, exec_lo, s45
	s_delay_alu instid0(SALU_CYCLE_1)
	s_and_not1_b32 s8, s8, exec_lo
	s_and_b32 s45, s46, exec_lo
	s_wait_alu 0xfffe
	s_or_b32 s8, s8, s45
.LBB251_53:                             ;   in Loop: Header=BB251_4 Depth=1
	s_wait_alu 0xfffe
	s_or_b32 exec_lo, exec_lo, s7
	v_dual_mov_b32 v27, v5 :: v_dual_mov_b32 v26, v4
	s_and_saveexec_b32 s7, s8
	s_cbranch_execz .LBB251_2
.LBB251_54:                             ;   in Loop: Header=BB251_4 Depth=1
	s_delay_alu instid0(VALU_DEP_1) | instskip(NEXT) | instid1(VALU_DEP_1)
	v_lshlrev_b64_e32 v[26:27], 3, v[26:27]
	v_add_co_u32 v26, vcc_lo, v86, v26
	s_wait_alu 0xfffd
	s_delay_alu instid0(VALU_DEP_2)
	v_add_co_ci_u32_e64 v27, null, v87, v27, vcc_lo
	flat_store_b64 v[26:27], v[32:33]
	s_branch .LBB251_2
.LBB251_55:
	s_nop 0
	s_sendmsg sendmsg(MSG_DEALLOC_VGPRS)
	s_endpgm
	.section	.rodata,"a",@progbits
	.p2align	6, 0x0
	.amdhsa_kernel _ZL20rocblas_gemvn_kernelILi32ELi16ElPKdS1_KPdEviiT3_lPKT2_lT1_lS7_lS8_lS4_lPT4_lS8_li
		.amdhsa_group_segment_fixed_size 16384
		.amdhsa_private_segment_fixed_size 0
		.amdhsa_kernarg_size 400
		.amdhsa_user_sgpr_count 2
		.amdhsa_user_sgpr_dispatch_ptr 0
		.amdhsa_user_sgpr_queue_ptr 0
		.amdhsa_user_sgpr_kernarg_segment_ptr 1
		.amdhsa_user_sgpr_dispatch_id 0
		.amdhsa_user_sgpr_private_segment_size 0
		.amdhsa_wavefront_size32 1
		.amdhsa_uses_dynamic_stack 0
		.amdhsa_enable_private_segment 0
		.amdhsa_system_sgpr_workgroup_id_x 1
		.amdhsa_system_sgpr_workgroup_id_y 0
		.amdhsa_system_sgpr_workgroup_id_z 1
		.amdhsa_system_sgpr_workgroup_info 0
		.amdhsa_system_vgpr_workitem_id 1
		.amdhsa_next_free_vgpr 97
		.amdhsa_next_free_sgpr 50
		.amdhsa_reserve_vcc 1
		.amdhsa_float_round_mode_32 0
		.amdhsa_float_round_mode_16_64 0
		.amdhsa_float_denorm_mode_32 3
		.amdhsa_float_denorm_mode_16_64 3
		.amdhsa_fp16_overflow 0
		.amdhsa_workgroup_processor_mode 1
		.amdhsa_memory_ordered 1
		.amdhsa_forward_progress 1
		.amdhsa_inst_pref_size 31
		.amdhsa_round_robin_scheduling 0
		.amdhsa_exception_fp_ieee_invalid_op 0
		.amdhsa_exception_fp_denorm_src 0
		.amdhsa_exception_fp_ieee_div_zero 0
		.amdhsa_exception_fp_ieee_overflow 0
		.amdhsa_exception_fp_ieee_underflow 0
		.amdhsa_exception_fp_ieee_inexact 0
		.amdhsa_exception_int_div_zero 0
	.end_amdhsa_kernel
	.section	.text._ZL20rocblas_gemvn_kernelILi32ELi16ElPKdS1_KPdEviiT3_lPKT2_lT1_lS7_lS8_lS4_lPT4_lS8_li,"axG",@progbits,_ZL20rocblas_gemvn_kernelILi32ELi16ElPKdS1_KPdEviiT3_lPKT2_lT1_lS7_lS8_lS4_lPT4_lS8_li,comdat
.Lfunc_end251:
	.size	_ZL20rocblas_gemvn_kernelILi32ELi16ElPKdS1_KPdEviiT3_lPKT2_lT1_lS7_lS8_lS4_lPT4_lS8_li, .Lfunc_end251-_ZL20rocblas_gemvn_kernelILi32ELi16ElPKdS1_KPdEviiT3_lPKT2_lT1_lS7_lS8_lS4_lPT4_lS8_li
                                        ; -- End function
	.set _ZL20rocblas_gemvn_kernelILi32ELi16ElPKdS1_KPdEviiT3_lPKT2_lT1_lS7_lS8_lS4_lPT4_lS8_li.num_vgpr, 97
	.set _ZL20rocblas_gemvn_kernelILi32ELi16ElPKdS1_KPdEviiT3_lPKT2_lT1_lS7_lS8_lS4_lPT4_lS8_li.num_agpr, 0
	.set _ZL20rocblas_gemvn_kernelILi32ELi16ElPKdS1_KPdEviiT3_lPKT2_lT1_lS7_lS8_lS4_lPT4_lS8_li.numbered_sgpr, 50
	.set _ZL20rocblas_gemvn_kernelILi32ELi16ElPKdS1_KPdEviiT3_lPKT2_lT1_lS7_lS8_lS4_lPT4_lS8_li.num_named_barrier, 0
	.set _ZL20rocblas_gemvn_kernelILi32ELi16ElPKdS1_KPdEviiT3_lPKT2_lT1_lS7_lS8_lS4_lPT4_lS8_li.private_seg_size, 0
	.set _ZL20rocblas_gemvn_kernelILi32ELi16ElPKdS1_KPdEviiT3_lPKT2_lT1_lS7_lS8_lS4_lPT4_lS8_li.uses_vcc, 1
	.set _ZL20rocblas_gemvn_kernelILi32ELi16ElPKdS1_KPdEviiT3_lPKT2_lT1_lS7_lS8_lS4_lPT4_lS8_li.uses_flat_scratch, 1
	.set _ZL20rocblas_gemvn_kernelILi32ELi16ElPKdS1_KPdEviiT3_lPKT2_lT1_lS7_lS8_lS4_lPT4_lS8_li.has_dyn_sized_stack, 0
	.set _ZL20rocblas_gemvn_kernelILi32ELi16ElPKdS1_KPdEviiT3_lPKT2_lT1_lS7_lS8_lS4_lPT4_lS8_li.has_recursion, 0
	.set _ZL20rocblas_gemvn_kernelILi32ELi16ElPKdS1_KPdEviiT3_lPKT2_lT1_lS7_lS8_lS4_lPT4_lS8_li.has_indirect_call, 0
	.section	.AMDGPU.csdata,"",@progbits
; Kernel info:
; codeLenInByte = 3860
; TotalNumSgprs: 52
; NumVgprs: 97
; ScratchSize: 0
; MemoryBound: 1
; FloatMode: 240
; IeeeMode: 1
; LDSByteSize: 16384 bytes/workgroup (compile time only)
; SGPRBlocks: 0
; VGPRBlocks: 12
; NumSGPRsForWavesPerEU: 52
; NumVGPRsForWavesPerEU: 97
; Occupancy: 12
; WaveLimiterHint : 1
; COMPUTE_PGM_RSRC2:SCRATCH_EN: 0
; COMPUTE_PGM_RSRC2:USER_SGPR: 2
; COMPUTE_PGM_RSRC2:TRAP_HANDLER: 0
; COMPUTE_PGM_RSRC2:TGID_X_EN: 1
; COMPUTE_PGM_RSRC2:TGID_Y_EN: 0
; COMPUTE_PGM_RSRC2:TGID_Z_EN: 1
; COMPUTE_PGM_RSRC2:TIDIG_COMP_CNT: 1
	.section	.text._ZL20rocblas_gemvn_kernelILi32ELi16EiPKddKPdEviiT3_lPKT2_lT1_lS7_lS8_lS4_lPT4_lS8_li,"axG",@progbits,_ZL20rocblas_gemvn_kernelILi32ELi16EiPKddKPdEviiT3_lPKT2_lT1_lS7_lS8_lS4_lPT4_lS8_li,comdat
	.globl	_ZL20rocblas_gemvn_kernelILi32ELi16EiPKddKPdEviiT3_lPKT2_lT1_lS7_lS8_lS4_lPT4_lS8_li ; -- Begin function _ZL20rocblas_gemvn_kernelILi32ELi16EiPKddKPdEviiT3_lPKT2_lT1_lS7_lS8_lS4_lPT4_lS8_li
	.p2align	8
	.type	_ZL20rocblas_gemvn_kernelILi32ELi16EiPKddKPdEviiT3_lPKT2_lT1_lS7_lS8_lS4_lPT4_lS8_li,@function
_ZL20rocblas_gemvn_kernelILi32ELi16EiPKddKPdEviiT3_lPKT2_lT1_lS7_lS8_lS4_lPT4_lS8_li: ; @_ZL20rocblas_gemvn_kernelILi32ELi16EiPKddKPdEviiT3_lPKT2_lT1_lS7_lS8_lS4_lPT4_lS8_li
; %bb.0:
	s_clause 0x1
	s_load_b64 s[2:3], s[0:1], 0x9c
	s_load_b32 s29, s[0:1], 0x88
	s_lshr_b32 s24, ttmp7, 16
	s_wait_kmcnt 0x0
	s_lshr_b32 s4, s2, 16
	s_and_b32 s2, s2, 0xffff
	s_and_b32 s3, s3, 0xffff
	s_mul_i32 s2, s4, s2
	s_delay_alu instid0(SALU_CYCLE_1) | instskip(NEXT) | instid1(SALU_CYCLE_1)
	s_mul_i32 s2, s2, s3
	s_cmp_lg_u32 s2, 0x200
	s_cselect_b32 s2, -1, 0
	s_cmp_ge_u32 s24, s29
	s_cselect_b32 s3, -1, 0
	s_delay_alu instid0(SALU_CYCLE_1) | instskip(NEXT) | instid1(SALU_CYCLE_1)
	s_or_b32 s2, s2, s3
	s_and_b32 vcc_lo, exec_lo, s2
	s_cbranch_vccnz .LBB252_59
; %bb.1:
	s_clause 0x7
	s_load_b64 s[26:27], s[0:1], 0x58
	s_load_b128 s[8:11], s[0:1], 0x0
	s_load_b32 s30, s[0:1], 0x28
	s_load_b128 s[12:15], s[0:1], 0x38
	s_load_b32 s28, s[0:1], 0x48
	s_load_b128 s[16:19], s[0:1], 0x18
	s_load_b128 s[20:23], s[0:1], 0x68
	s_load_b32 s33, s[0:1], 0x78
	v_and_b32_e32 v9, 0x3ff, v0
	v_bfe_u32 v8, v0, 10, 10
	s_lshl_b32 s31, ttmp9, 7
	v_mov_b32_e32 v1, 0
	s_mov_b32 s25, 0
	v_add_nc_u32_e32 v63, s31, v9
	v_lshl_add_u32 v2, v8, 5, v9
	v_lshlrev_b32_e32 v3, 3, v9
	v_lshlrev_b32_e32 v64, 2, v8
	s_delay_alu instid0(VALU_DEP_4) | instskip(NEXT) | instid1(VALU_DEP_4)
	v_add_nc_u32_e32 v4, 32, v63
	v_add_nc_u32_e32 v0, s31, v2
	v_or_b32_e32 v7, s31, v2
	s_wait_kmcnt 0x0
	v_cmp_neq_f64_e64 s34, s[26:27], 1.0
	v_cmp_neq_f64_e64 s35, s[10:11], 0
	v_cmp_eq_f64_e64 s38, s[10:11], 0
	v_cmp_neq_f64_e64 s39, s[26:27], 0
	v_lshl_add_u32 v65, v8, 10, v3
	v_cmp_gt_u32_e64 s0, 0x80, v2
	v_lshl_add_u32 v66, v8, 8, v3
	v_mad_co_u64_u32 v[2:3], null, s33, v0, 0
	v_cmp_gt_i32_e64 s2, s8, v4
	v_mul_lo_u32 v4, s33, v7
	v_add_nc_u32_e32 v6, 0x60, v63
	s_ashr_i32 s36, s33, 31
	v_cmp_gt_i32_e64 s5, s8, v7
	v_mul_lo_u32 v12, s30, v64
	v_add_nc_u32_e32 v5, 64, v63
	v_cmp_gt_i32_e64 s4, s8, v6
	v_mul_lo_u32 v13, v8, s30
	v_mad_co_u64_u32 v[6:7], null, s36, v0, v[3:4]
	v_or_b32_e32 v10, 2, v64
	s_ashr_i32 s7, s8, 31
	s_mov_b32 s6, s8
	v_or_b32_e32 v11, 3, v64
	s_ashr_i32 s37, s9, 31
	v_cmp_gt_i32_e64 s1, s8, v63
	s_delay_alu instid0(VALU_DEP_4)
	v_mov_b32_e32 v3, v6
	v_cmp_gt_i64_e32 vcc_lo, s[6:7], v[0:1]
	v_add3_u32 v0, v12, s30, v9
	v_mul_lo_u32 v12, v8, s28
	v_cmp_gt_i32_e64 s3, s8, v5
	s_wait_alu 0xfffe
	s_lshr_b32 s8, s37, 26
	v_mad_co_u64_u32 v[6:7], null, s30, v10, v[9:10]
	s_wait_alu 0xfffe
	s_add_co_i32 s8, s9, s8
	v_mad_co_u64_u32 v[7:8], null, s30, v11, v[9:10]
	s_wait_alu 0xfffe
	s_and_not1_b32 s8, s8, 63
	v_lshl_add_u32 v68, v13, 2, v9
	v_mad_co_u64_u32 v[8:9], null, s28, v64, s[28:29]
	v_mul_lo_u32 v69, s28, v10
	v_mul_lo_u32 v70, s28, v11
	s_wait_alu 0xfffe
	s_sub_co_i32 s7, s9, s8
	v_lshlrev_b64_e32 v[9:10], 3, v[2:3]
	v_cndmask_b32_e64 v67, 0, 1, s35
	v_cmp_gt_i32_e64 s6, s8, v64
	v_ashrrev_i32_e32 v5, 31, v4
	s_or_b32 s33, s35, s34
	v_lshlrev_b32_e32 v71, 2, v12
	s_wait_alu 0xfffe
	s_cmp_gt_i32 s7, 0
	s_cselect_b32 s34, -1, 0
	s_and_b32 s35, s0, vcc_lo
	s_lshl_b32 s36, s30, 6
	s_lshl_b32 s37, s28, 6
	s_lshl_b64 s[18:19], s[18:19], 3
	s_lshl_b64 s[14:15], s[14:15], 3
	;; [unrolled: 1-line block ×3, first 2 shown]
	s_branch .LBB252_4
.LBB252_2:                              ;   in Loop: Header=BB252_4 Depth=1
	s_wait_alu 0xfffe
	s_or_b32 exec_lo, exec_lo, s7
.LBB252_3:                              ;   in Loop: Header=BB252_4 Depth=1
	s_add_co_i32 s24, s24, 0x10000
	s_delay_alu instid0(SALU_CYCLE_1)
	s_cmp_lt_u32 s24, s29
	s_cbranch_scc0 .LBB252_59
.LBB252_4:                              ; =>This Loop Header: Depth=1
                                        ;     Child Loop BB252_27 Depth 2
	s_and_not1_b32 vcc_lo, exec_lo, s33
	s_wait_alu 0xfffe
	s_cbranch_vccnz .LBB252_3
; %bb.5:                                ;   in Loop: Header=BB252_4 Depth=1
	s_and_not1_b32 vcc_lo, exec_lo, s38
	s_wait_alu 0xfffe
	s_cbranch_vccnz .LBB252_7
; %bb.6:                                ;   in Loop: Header=BB252_4 Depth=1
	s_mov_b32 s7, 0
	s_branch .LBB252_8
.LBB252_7:                              ;   in Loop: Header=BB252_4 Depth=1
	s_mov_b32 s7, -1
.LBB252_8:                              ;   in Loop: Header=BB252_4 Depth=1
	v_mov_b32_e32 v21, 0
	v_dual_mov_b32 v22, 0 :: v_dual_mov_b32 v13, 0
	v_mov_b32_e32 v14, 0
	s_wait_alu 0xfffe
	s_and_not1_b32 vcc_lo, exec_lo, s7
	s_wait_alu 0xfffe
	s_cbranch_vccnz .LBB252_10
; %bb.9:                                ;   in Loop: Header=BB252_4 Depth=1
	s_lshl_b64 s[40:41], s[24:25], 3
	s_delay_alu instid0(SALU_CYCLE_1)
	s_add_nc_u64 s[40:41], s[16:17], s[40:41]
	global_load_b64 v[11:12], v1, s[40:41]
	s_wait_loadcnt 0x0
	v_add_co_u32 v13, vcc_lo, v11, s18
	s_wait_alu 0xfffd
	v_add_co_ci_u32_e64 v14, null, s19, v12, vcc_lo
.LBB252_10:                             ;   in Loop: Header=BB252_4 Depth=1
	v_cmp_ne_u32_e32 vcc_lo, 1, v67
	s_cbranch_vccnz .LBB252_12
; %bb.11:                               ;   in Loop: Header=BB252_4 Depth=1
	s_lshl_b64 s[40:41], s[24:25], 3
	s_delay_alu instid0(SALU_CYCLE_1)
	s_add_nc_u64 s[40:41], s[12:13], s[40:41]
	global_load_b64 v[11:12], v1, s[40:41]
	s_wait_loadcnt 0x0
	v_add_co_u32 v21, vcc_lo, v11, s14
	s_wait_alu 0xfffd
	v_add_co_ci_u32_e64 v22, null, s15, v12, vcc_lo
.LBB252_12:                             ;   in Loop: Header=BB252_4 Depth=1
	s_lshl_b64 s[40:41], s[24:25], 3
	s_delay_alu instid0(SALU_CYCLE_1)
	s_add_nc_u64 s[40:41], s[20:21], s[40:41]
	global_load_b64 v[11:12], v1, s[40:41]
	s_wait_loadcnt 0x0
	v_add_co_u32 v72, vcc_lo, v11, s22
	s_wait_alu 0xfffd
	v_add_co_ci_u32_e64 v73, null, s23, v12, vcc_lo
	s_and_not1_b32 vcc_lo, exec_lo, s38
	s_wait_alu 0xfffe
	s_cbranch_vccnz .LBB252_16
; %bb.13:                               ;   in Loop: Header=BB252_4 Depth=1
	s_mov_b32 s7, 0
	s_mov_b32 s40, 0
                                        ; implicit-def: $vgpr11_vgpr12
	s_and_saveexec_b32 s41, s35
	s_cbranch_execz .LBB252_17
; %bb.14:                               ;   in Loop: Header=BB252_4 Depth=1
	s_and_not1_b32 vcc_lo, exec_lo, s39
	s_wait_alu 0xfffe
	s_cbranch_vccnz .LBB252_19
; %bb.15:                               ;   in Loop: Header=BB252_4 Depth=1
	v_add_co_u32 v11, vcc_lo, v72, v9
	s_wait_alu 0xfffd
	v_add_co_ci_u32_e64 v12, null, v73, v10, vcc_lo
	flat_load_b64 v[11:12], v[11:12]
	s_wait_loadcnt_dscnt 0x0
	v_mul_f64_e32 v[11:12], s[26:27], v[11:12]
	s_branch .LBB252_20
.LBB252_16:                             ;   in Loop: Header=BB252_4 Depth=1
	s_mov_b32 s40, 0
                                        ; implicit-def: $vgpr11_vgpr12
	s_cbranch_execz .LBB252_18
	s_branch .LBB252_21
.LBB252_17:                             ;   in Loop: Header=BB252_4 Depth=1
	s_or_b32 exec_lo, exec_lo, s41
	s_wait_alu 0xfffe
	s_and_b32 vcc_lo, exec_lo, s7
	s_wait_alu 0xfffe
	s_cbranch_vccnz .LBB252_21
.LBB252_18:                             ;   in Loop: Header=BB252_4 Depth=1
	v_dual_mov_b32 v14, v3 :: v_dual_mov_b32 v13, v2
	s_and_saveexec_b32 s7, s40
	s_cbranch_execz .LBB252_2
	s_branch .LBB252_58
.LBB252_19:                             ;   in Loop: Header=BB252_4 Depth=1
	v_mov_b32_e32 v11, 0
	v_mov_b32_e32 v12, 0
.LBB252_20:                             ;   in Loop: Header=BB252_4 Depth=1
	s_mov_b32 s40, exec_lo
	s_or_b32 exec_lo, exec_lo, s41
	s_delay_alu instid0(SALU_CYCLE_1)
	s_and_b32 vcc_lo, exec_lo, s7
	s_wait_alu 0xfffe
	s_cbranch_vccz .LBB252_18
.LBB252_21:                             ;   in Loop: Header=BB252_4 Depth=1
	v_mov_b32_e32 v11, 0
	v_dual_mov_b32 v17, 0 :: v_dual_mov_b32 v12, 0
	v_dual_mov_b32 v15, 0 :: v_dual_mov_b32 v18, 0
	;; [unrolled: 1-line block ×3, first 2 shown]
	v_mov_b32_e32 v20, 0
	v_mov_b32_e32 v74, v64
	s_and_saveexec_b32 s7, s6
	s_cbranch_execz .LBB252_33
; %bb.22:                               ;   in Loop: Header=BB252_4 Depth=1
	v_mov_b32_e32 v15, 0
	v_dual_mov_b32 v11, 0 :: v_dual_mov_b32 v76, v7
	v_dual_mov_b32 v16, 0 :: v_dual_mov_b32 v17, 0
	v_dual_mov_b32 v19, 0 :: v_dual_mov_b32 v74, v64
	v_dual_mov_b32 v12, 0 :: v_dual_mov_b32 v75, v68
	v_dual_mov_b32 v77, v6 :: v_dual_mov_b32 v78, v0
	v_mov_b32_e32 v18, 0
	v_mov_b32_e32 v20, 0
	s_mov_b32 s41, 0
	s_mov_b32 s42, 0
	s_branch .LBB252_27
.LBB252_23:                             ;   in Loop: Header=BB252_27 Depth=2
	s_or_b32 exec_lo, exec_lo, s46
	s_wait_loadcnt_dscnt 0x303
	v_fma_f64 v[17:18], v[23:24], v[55:56], v[17:18]
	s_wait_loadcnt_dscnt 0x202
	s_delay_alu instid0(VALU_DEP_1) | instskip(SKIP_1) | instid1(VALU_DEP_1)
	v_fma_f64 v[17:18], v[25:26], v[57:58], v[17:18]
	s_wait_loadcnt_dscnt 0x101
	v_fma_f64 v[17:18], v[27:28], v[59:60], v[17:18]
	s_wait_loadcnt_dscnt 0x0
	s_delay_alu instid0(VALU_DEP_1)
	v_fma_f64 v[17:18], v[29:30], v[61:62], v[17:18]
.LBB252_24:                             ;   in Loop: Header=BB252_27 Depth=2
	s_or_b32 exec_lo, exec_lo, s45
	s_wait_loadcnt_dscnt 0x303
	v_fma_f64 v[15:16], v[23:24], v[47:48], v[15:16]
	s_wait_loadcnt_dscnt 0x202
	s_delay_alu instid0(VALU_DEP_1) | instskip(SKIP_1) | instid1(VALU_DEP_1)
	v_fma_f64 v[15:16], v[25:26], v[49:50], v[15:16]
	s_wait_loadcnt_dscnt 0x101
	v_fma_f64 v[15:16], v[27:28], v[51:52], v[15:16]
	s_wait_loadcnt_dscnt 0x0
	s_delay_alu instid0(VALU_DEP_1)
	v_fma_f64 v[15:16], v[29:30], v[53:54], v[15:16]
.LBB252_25:                             ;   in Loop: Header=BB252_27 Depth=2
	s_or_b32 exec_lo, exec_lo, s44
	s_wait_loadcnt_dscnt 0x303
	v_fma_f64 v[11:12], v[23:24], v[31:32], v[11:12]
	s_wait_loadcnt_dscnt 0x202
	s_delay_alu instid0(VALU_DEP_1) | instskip(SKIP_1) | instid1(VALU_DEP_1)
	v_fma_f64 v[11:12], v[25:26], v[33:34], v[11:12]
	s_wait_loadcnt_dscnt 0x101
	v_fma_f64 v[11:12], v[27:28], v[35:36], v[11:12]
	s_wait_loadcnt_dscnt 0x0
	s_delay_alu instid0(VALU_DEP_1)
	v_fma_f64 v[11:12], v[29:30], v[37:38], v[11:12]
.LBB252_26:                             ;   in Loop: Header=BB252_27 Depth=2
	s_wait_alu 0xfffe
	s_or_b32 exec_lo, exec_lo, s43
	v_add_nc_u32_e32 v74, 64, v74
	v_add_nc_u32_e32 v78, s36, v78
	;; [unrolled: 1-line block ×5, first 2 shown]
	v_cmp_le_i32_e32 vcc_lo, s8, v74
	s_add_co_i32 s42, s42, s37
	s_or_b32 s41, vcc_lo, s41
	s_delay_alu instid0(SALU_CYCLE_1)
	s_and_not1_b32 exec_lo, exec_lo, s41
	s_cbranch_execz .LBB252_32
.LBB252_27:                             ;   Parent Loop BB252_4 Depth=1
                                        ; =>  This Inner Loop Header: Depth=2
	s_and_saveexec_b32 s43, s1
	s_cbranch_execz .LBB252_26
; %bb.28:                               ;   in Loop: Header=BB252_27 Depth=2
	s_wait_alu 0xfffe
	v_add_nc_u32_e32 v23, s42, v71
	v_add_nc_u32_e32 v25, s42, v8
	;; [unrolled: 1-line block ×5, first 2 shown]
	v_ashrrev_i32_e32 v24, 31, v23
	v_ashrrev_i32_e32 v26, 31, v25
	;; [unrolled: 1-line block ×3, first 2 shown]
	v_add_nc_u32_e32 v33, s31, v78
	v_ashrrev_i32_e32 v30, 31, v29
	v_lshlrev_b64_e32 v[23:24], 3, v[23:24]
	v_lshlrev_b64_e32 v[25:26], 3, v[25:26]
	v_ashrrev_i32_e32 v32, 31, v31
	v_lshlrev_b64_e32 v[27:28], 3, v[27:28]
	v_ashrrev_i32_e32 v34, 31, v33
	v_lshlrev_b64_e32 v[29:30], 3, v[29:30]
	v_add_co_u32 v23, vcc_lo, v21, v23
	v_add_nc_u32_e32 v35, s31, v77
	s_wait_alu 0xfffd
	v_add_co_ci_u32_e64 v24, null, v22, v24, vcc_lo
	v_add_co_u32 v25, vcc_lo, v21, v25
	v_lshlrev_b64_e32 v[31:32], 3, v[31:32]
	v_add_nc_u32_e32 v37, s31, v76
	s_wait_alu 0xfffd
	v_add_co_ci_u32_e64 v26, null, v22, v26, vcc_lo
	v_add_co_u32 v27, vcc_lo, v21, v27
	v_lshlrev_b64_e32 v[33:34], 3, v[33:34]
	v_ashrrev_i32_e32 v36, 31, v35
	s_wait_alu 0xfffd
	v_add_co_ci_u32_e64 v28, null, v22, v28, vcc_lo
	v_add_co_u32 v29, vcc_lo, v21, v29
	v_ashrrev_i32_e32 v38, 31, v37
	s_wait_alu 0xfffd
	v_add_co_ci_u32_e64 v30, null, v22, v30, vcc_lo
	v_add_co_u32 v39, vcc_lo, v13, v31
	s_wait_alu 0xfffd
	v_add_co_ci_u32_e64 v40, null, v14, v32, vcc_lo
	v_lshlrev_b64_e32 v[31:32], 3, v[35:36]
	v_add_co_u32 v41, vcc_lo, v13, v33
	s_wait_alu 0xfffd
	v_add_co_ci_u32_e64 v42, null, v14, v34, vcc_lo
	v_lshlrev_b64_e32 v[33:34], 3, v[37:38]
	s_delay_alu instid0(VALU_DEP_4) | instskip(SKIP_2) | instid1(VALU_DEP_3)
	v_add_co_u32 v43, vcc_lo, v13, v31
	s_wait_alu 0xfffd
	v_add_co_ci_u32_e64 v44, null, v14, v32, vcc_lo
	v_add_co_u32 v45, vcc_lo, v13, v33
	s_wait_alu 0xfffd
	v_add_co_ci_u32_e64 v46, null, v14, v34, vcc_lo
	s_clause 0x3
	flat_load_b64 v[23:24], v[23:24]
	flat_load_b64 v[25:26], v[25:26]
	;; [unrolled: 1-line block ×4, first 2 shown]
	s_clause 0x3
	flat_load_b64 v[31:32], v[39:40]
	flat_load_b64 v[33:34], v[41:42]
	;; [unrolled: 1-line block ×4, first 2 shown]
	s_and_saveexec_b32 s44, s2
	s_cbranch_execz .LBB252_25
; %bb.29:                               ;   in Loop: Header=BB252_27 Depth=2
	s_clause 0x3
	flat_load_b64 v[47:48], v[39:40] offset:256
	flat_load_b64 v[49:50], v[41:42] offset:256
	flat_load_b64 v[51:52], v[43:44] offset:256
	flat_load_b64 v[53:54], v[45:46] offset:256
	s_and_saveexec_b32 s45, s3
	s_cbranch_execz .LBB252_24
; %bb.30:                               ;   in Loop: Header=BB252_27 Depth=2
	s_clause 0x3
	flat_load_b64 v[55:56], v[39:40] offset:512
	flat_load_b64 v[57:58], v[41:42] offset:512
	flat_load_b64 v[59:60], v[43:44] offset:512
	flat_load_b64 v[61:62], v[45:46] offset:512
	;; [unrolled: 8-line block ×3, first 2 shown]
	s_wait_loadcnt_dscnt 0x303
	v_fma_f64 v[19:20], v[23:24], v[39:40], v[19:20]
	s_wait_loadcnt_dscnt 0x202
	s_delay_alu instid0(VALU_DEP_1) | instskip(SKIP_1) | instid1(VALU_DEP_1)
	v_fma_f64 v[19:20], v[25:26], v[41:42], v[19:20]
	s_wait_loadcnt_dscnt 0x101
	v_fma_f64 v[19:20], v[27:28], v[43:44], v[19:20]
	s_wait_loadcnt_dscnt 0x0
	s_delay_alu instid0(VALU_DEP_1)
	v_fma_f64 v[19:20], v[29:30], v[45:46], v[19:20]
	s_branch .LBB252_23
.LBB252_32:                             ;   in Loop: Header=BB252_4 Depth=1
	s_or_b32 exec_lo, exec_lo, s41
.LBB252_33:                             ;   in Loop: Header=BB252_4 Depth=1
	s_wait_alu 0xfffe
	s_or_b32 exec_lo, exec_lo, s7
	s_delay_alu instid0(SALU_CYCLE_1)
	s_and_not1_b32 vcc_lo, exec_lo, s34
	s_wait_alu 0xfffe
	s_cbranch_vccnz .LBB252_51
; %bb.34:                               ;   in Loop: Header=BB252_4 Depth=1
	v_mov_b32_e32 v29, 0
	v_dual_mov_b32 v25, 0 :: v_dual_mov_b32 v30, 0
	v_dual_mov_b32 v27, 0 :: v_dual_mov_b32 v26, 0
	v_mov_b32_e32 v23, 0
	v_cmp_gt_i32_e32 vcc_lo, s9, v74
	v_mov_b32_e32 v28, 0
	v_mov_b32_e32 v24, 0
	v_or_b32_e32 v31, 1, v74
	s_and_saveexec_b32 s41, vcc_lo
	s_cbranch_execz .LBB252_42
; %bb.35:                               ;   in Loop: Header=BB252_4 Depth=1
	v_mul_lo_u32 v23, v74, s28
	v_mov_b32_e32 v25, 0
	v_dual_mov_b32 v26, 0 :: v_dual_mov_b32 v27, 0
	v_dual_mov_b32 v29, 0 :: v_dual_mov_b32 v28, 0
	v_mov_b32_e32 v30, 0
	s_mov_b32 s42, exec_lo
	v_ashrrev_i32_e32 v24, 31, v23
	s_delay_alu instid0(VALU_DEP_1) | instskip(NEXT) | instid1(VALU_DEP_1)
	v_lshlrev_b64_e32 v[23:24], 3, v[23:24]
	v_add_co_u32 v23, s7, v21, v23
	s_wait_alu 0xf1ff
	s_delay_alu instid0(VALU_DEP_2)
	v_add_co_ci_u32_e64 v24, null, v22, v24, s7
	flat_load_b64 v[23:24], v[23:24]
	v_cmpx_gt_i32_e64 s9, v31
	s_cbranch_execz .LBB252_41
; %bb.36:                               ;   in Loop: Header=BB252_4 Depth=1
	v_mul_lo_u32 v25, v31, s28
	v_mov_b32_e32 v27, 0
	v_dual_mov_b32 v28, 0 :: v_dual_mov_b32 v29, 0
	v_or_b32_e32 v32, 2, v74
	v_mov_b32_e32 v30, 0
	s_mov_b32 s43, exec_lo
	v_ashrrev_i32_e32 v26, 31, v25
	s_delay_alu instid0(VALU_DEP_1) | instskip(NEXT) | instid1(VALU_DEP_1)
	v_lshlrev_b64_e32 v[25:26], 3, v[25:26]
	v_add_co_u32 v25, s7, v21, v25
	s_wait_alu 0xf1ff
	s_delay_alu instid0(VALU_DEP_2)
	v_add_co_ci_u32_e64 v26, null, v22, v26, s7
	flat_load_b64 v[25:26], v[25:26]
	v_cmpx_gt_i32_e64 s9, v32
	s_cbranch_execz .LBB252_40
; %bb.37:                               ;   in Loop: Header=BB252_4 Depth=1
	v_mul_lo_u32 v27, v32, s28
	v_mov_b32_e32 v29, 0
	v_or_b32_e32 v32, 3, v74
	v_mov_b32_e32 v30, 0
	s_mov_b32 s44, exec_lo
	s_delay_alu instid0(VALU_DEP_4) | instskip(NEXT) | instid1(VALU_DEP_1)
	v_ashrrev_i32_e32 v28, 31, v27
	v_lshlrev_b64_e32 v[27:28], 3, v[27:28]
	s_delay_alu instid0(VALU_DEP_1) | instskip(SKIP_1) | instid1(VALU_DEP_2)
	v_add_co_u32 v27, s7, v21, v27
	s_wait_alu 0xf1ff
	v_add_co_ci_u32_e64 v28, null, v22, v28, s7
	flat_load_b64 v[27:28], v[27:28]
	v_cmpx_gt_i32_e64 s9, v32
	s_cbranch_execz .LBB252_39
; %bb.38:                               ;   in Loop: Header=BB252_4 Depth=1
	v_mul_lo_u32 v29, v32, s28
	s_delay_alu instid0(VALU_DEP_1) | instskip(NEXT) | instid1(VALU_DEP_1)
	v_ashrrev_i32_e32 v30, 31, v29
	v_lshlrev_b64_e32 v[29:30], 3, v[29:30]
	s_delay_alu instid0(VALU_DEP_1) | instskip(SKIP_1) | instid1(VALU_DEP_2)
	v_add_co_u32 v21, s7, v21, v29
	s_wait_alu 0xf1ff
	v_add_co_ci_u32_e64 v22, null, v22, v30, s7
	flat_load_b64 v[29:30], v[21:22]
.LBB252_39:                             ;   in Loop: Header=BB252_4 Depth=1
	s_or_b32 exec_lo, exec_lo, s44
.LBB252_40:                             ;   in Loop: Header=BB252_4 Depth=1
	s_wait_alu 0xfffe
	s_or_b32 exec_lo, exec_lo, s43
.LBB252_41:                             ;   in Loop: Header=BB252_4 Depth=1
	s_wait_alu 0xfffe
	s_or_b32 exec_lo, exec_lo, s42
.LBB252_42:                             ;   in Loop: Header=BB252_4 Depth=1
	s_delay_alu instid0(SALU_CYCLE_1)
	s_or_b32 exec_lo, exec_lo, s41
	s_and_saveexec_b32 s7, s1
	s_cbranch_execz .LBB252_50
; %bb.43:                               ;   in Loop: Header=BB252_4 Depth=1
	v_mul_lo_u32 v22, v74, s30
	v_or_b32_e32 v21, 2, v74
	v_mul_lo_u32 v33, v31, s30
	v_or_b32_e32 v32, 3, v74
	s_delay_alu instid0(VALU_DEP_3) | instskip(NEXT) | instid1(VALU_DEP_2)
	v_mul_lo_u32 v34, v21, s30
	v_mul_lo_u32 v35, v32, s30
	v_cndmask_b32_e32 v22, 0, v22, vcc_lo
	v_cmp_gt_i32_e32 vcc_lo, s9, v31
	s_wait_alu 0xfffd
	v_cndmask_b32_e32 v31, 0, v33, vcc_lo
	v_cmp_gt_i32_e32 vcc_lo, s9, v21
	v_add_nc_u32_e32 v21, v22, v63
	s_delay_alu instid0(VALU_DEP_3)
	v_add_nc_u32_e32 v31, v31, v63
	s_wait_alu 0xfffd
	v_cndmask_b32_e32 v33, 0, v34, vcc_lo
	v_cmp_gt_i32_e32 vcc_lo, s9, v32
	v_ashrrev_i32_e32 v22, 31, v21
	s_wait_alu 0xfffd
	v_cndmask_b32_e32 v32, 0, v35, vcc_lo
	v_add_nc_u32_e32 v33, v33, v63
	s_delay_alu instid0(VALU_DEP_3) | instskip(NEXT) | instid1(VALU_DEP_3)
	v_lshlrev_b64_e32 v[21:22], 3, v[21:22]
	v_add_nc_u32_e32 v35, v32, v63
	v_ashrrev_i32_e32 v32, 31, v31
	s_delay_alu instid0(VALU_DEP_4) | instskip(NEXT) | instid1(VALU_DEP_4)
	v_ashrrev_i32_e32 v34, 31, v33
	v_add_co_u32 v43, vcc_lo, v13, v21
	s_delay_alu instid0(VALU_DEP_4) | instskip(NEXT) | instid1(VALU_DEP_4)
	v_ashrrev_i32_e32 v36, 31, v35
	v_lshlrev_b64_e32 v[31:32], 3, v[31:32]
	s_delay_alu instid0(VALU_DEP_4) | instskip(SKIP_3) | instid1(VALU_DEP_4)
	v_lshlrev_b64_e32 v[33:34], 3, v[33:34]
	s_wait_alu 0xfffd
	v_add_co_ci_u32_e64 v44, null, v14, v22, vcc_lo
	v_lshlrev_b64_e32 v[35:36], 3, v[35:36]
	v_add_co_u32 v45, vcc_lo, v13, v31
	s_wait_alu 0xfffd
	v_add_co_ci_u32_e64 v46, null, v14, v32, vcc_lo
	v_add_co_u32 v47, vcc_lo, v13, v33
	s_wait_alu 0xfffd
	v_add_co_ci_u32_e64 v48, null, v14, v34, vcc_lo
	;; [unrolled: 3-line block ×3, first 2 shown]
	s_clause 0x3
	flat_load_b64 v[13:14], v[43:44]
	flat_load_b64 v[21:22], v[45:46]
	;; [unrolled: 1-line block ×4, first 2 shown]
	s_and_saveexec_b32 s41, s2
	s_cbranch_execz .LBB252_49
; %bb.44:                               ;   in Loop: Header=BB252_4 Depth=1
	s_clause 0x3
	flat_load_b64 v[35:36], v[43:44] offset:256
	flat_load_b64 v[37:38], v[45:46] offset:256
	flat_load_b64 v[39:40], v[47:48] offset:256
	flat_load_b64 v[41:42], v[49:50] offset:256
	s_and_saveexec_b32 s42, s3
	s_cbranch_execz .LBB252_48
; %bb.45:                               ;   in Loop: Header=BB252_4 Depth=1
	s_clause 0x3
	flat_load_b64 v[51:52], v[43:44] offset:512
	flat_load_b64 v[53:54], v[45:46] offset:512
	flat_load_b64 v[55:56], v[47:48] offset:512
	flat_load_b64 v[57:58], v[49:50] offset:512
	;; [unrolled: 8-line block ×3, first 2 shown]
	s_wait_loadcnt_dscnt 0x303
	v_fma_f64 v[19:20], v[23:24], v[43:44], v[19:20]
	s_wait_loadcnt_dscnt 0x202
	s_delay_alu instid0(VALU_DEP_1) | instskip(SKIP_1) | instid1(VALU_DEP_1)
	v_fma_f64 v[19:20], v[25:26], v[45:46], v[19:20]
	s_wait_loadcnt_dscnt 0x101
	v_fma_f64 v[19:20], v[27:28], v[47:48], v[19:20]
	s_wait_loadcnt_dscnt 0x0
	s_delay_alu instid0(VALU_DEP_1)
	v_fma_f64 v[19:20], v[29:30], v[49:50], v[19:20]
.LBB252_47:                             ;   in Loop: Header=BB252_4 Depth=1
	s_wait_alu 0xfffe
	s_or_b32 exec_lo, exec_lo, s43
	s_wait_loadcnt_dscnt 0x303
	v_fma_f64 v[17:18], v[23:24], v[51:52], v[17:18]
	s_wait_loadcnt_dscnt 0x202
	s_delay_alu instid0(VALU_DEP_1) | instskip(SKIP_1) | instid1(VALU_DEP_1)
	v_fma_f64 v[17:18], v[25:26], v[53:54], v[17:18]
	s_wait_loadcnt_dscnt 0x101
	v_fma_f64 v[17:18], v[27:28], v[55:56], v[17:18]
	s_wait_loadcnt_dscnt 0x0
	s_delay_alu instid0(VALU_DEP_1)
	v_fma_f64 v[17:18], v[29:30], v[57:58], v[17:18]
.LBB252_48:                             ;   in Loop: Header=BB252_4 Depth=1
	s_wait_alu 0xfffe
	s_or_b32 exec_lo, exec_lo, s42
	s_wait_loadcnt_dscnt 0x303
	v_fma_f64 v[15:16], v[23:24], v[35:36], v[15:16]
	s_wait_loadcnt_dscnt 0x202
	s_delay_alu instid0(VALU_DEP_1) | instskip(SKIP_1) | instid1(VALU_DEP_1)
	v_fma_f64 v[15:16], v[25:26], v[37:38], v[15:16]
	s_wait_loadcnt_dscnt 0x101
	v_fma_f64 v[15:16], v[27:28], v[39:40], v[15:16]
	s_wait_loadcnt_dscnt 0x0
	s_delay_alu instid0(VALU_DEP_1)
	v_fma_f64 v[15:16], v[29:30], v[41:42], v[15:16]
.LBB252_49:                             ;   in Loop: Header=BB252_4 Depth=1
	s_or_b32 exec_lo, exec_lo, s41
	s_wait_loadcnt_dscnt 0x303
	v_fma_f64 v[11:12], v[23:24], v[13:14], v[11:12]
	s_wait_loadcnt_dscnt 0x202
	s_delay_alu instid0(VALU_DEP_1) | instskip(SKIP_1) | instid1(VALU_DEP_1)
	v_fma_f64 v[11:12], v[25:26], v[21:22], v[11:12]
	s_wait_loadcnt_dscnt 0x101
	v_fma_f64 v[11:12], v[27:28], v[31:32], v[11:12]
	s_wait_loadcnt_dscnt 0x0
	s_delay_alu instid0(VALU_DEP_1)
	v_fma_f64 v[11:12], v[29:30], v[33:34], v[11:12]
.LBB252_50:                             ;   in Loop: Header=BB252_4 Depth=1
	s_wait_alu 0xfffe
	s_or_b32 exec_lo, exec_lo, s7
.LBB252_51:                             ;   in Loop: Header=BB252_4 Depth=1
	ds_store_2addr_b64 v65, v[11:12], v[15:16] offset1:32
	ds_store_2addr_b64 v65, v[17:18], v[19:20] offset0:64 offset1:96
	s_wait_loadcnt_dscnt 0x0
	s_barrier_signal -1
	s_barrier_wait -1
	global_inv scope:SCOPE_SE
                                        ; implicit-def: $vgpr11_vgpr12
	s_and_saveexec_b32 s7, s0
	s_cbranch_execz .LBB252_57
; %bb.52:                               ;   in Loop: Header=BB252_4 Depth=1
	ds_load_2addr_stride64_b64 v[11:14], v66 offset1:2
	s_mov_b32 s42, s40
	s_wait_dscnt 0x0
	v_add_f64_e32 v[15:16], v[11:12], v[13:14]
	ds_load_2addr_stride64_b64 v[11:14], v66 offset0:4 offset1:6
	s_wait_dscnt 0x0
	v_add_f64_e32 v[11:12], v[11:12], v[15:16]
	s_delay_alu instid0(VALU_DEP_1) | instskip(SKIP_3) | instid1(VALU_DEP_1)
	v_add_f64_e32 v[15:16], v[13:14], v[11:12]
	ds_load_2addr_stride64_b64 v[11:14], v66 offset0:8 offset1:10
	s_wait_dscnt 0x0
	v_add_f64_e32 v[11:12], v[11:12], v[15:16]
	v_add_f64_e32 v[15:16], v[13:14], v[11:12]
	ds_load_2addr_stride64_b64 v[11:14], v66 offset0:12 offset1:14
	s_wait_dscnt 0x0
	v_add_f64_e32 v[11:12], v[11:12], v[15:16]
	s_delay_alu instid0(VALU_DEP_1) | instskip(SKIP_3) | instid1(VALU_DEP_1)
	v_add_f64_e32 v[15:16], v[13:14], v[11:12]
	ds_load_2addr_stride64_b64 v[11:14], v66 offset0:16 offset1:18
	s_wait_dscnt 0x0
	v_add_f64_e32 v[11:12], v[11:12], v[15:16]
	;; [unrolled: 9-line block ×3, first 2 shown]
	v_add_f64_e32 v[15:16], v[13:14], v[11:12]
	ds_load_2addr_stride64_b64 v[11:14], v66 offset0:28 offset1:30
	s_wait_dscnt 0x0
	v_add_f64_e32 v[11:12], v[11:12], v[15:16]
	s_delay_alu instid0(VALU_DEP_1)
	v_add_f64_e32 v[13:14], v[13:14], v[11:12]
                                        ; implicit-def: $vgpr11_vgpr12
	ds_store_b64 v66, v[13:14]
	s_and_saveexec_b32 s41, s5
	s_cbranch_execz .LBB252_56
; %bb.53:                               ;   in Loop: Header=BB252_4 Depth=1
	v_mul_f64_e32 v[11:12], s[10:11], v[13:14]
	s_and_not1_b32 vcc_lo, exec_lo, s39
	s_wait_alu 0xfffe
	s_cbranch_vccnz .LBB252_55
; %bb.54:                               ;   in Loop: Header=BB252_4 Depth=1
	v_lshlrev_b64_e32 v[13:14], 3, v[4:5]
	s_delay_alu instid0(VALU_DEP_1) | instskip(SKIP_1) | instid1(VALU_DEP_2)
	v_add_co_u32 v13, vcc_lo, v72, v13
	s_wait_alu 0xfffd
	v_add_co_ci_u32_e64 v14, null, v73, v14, vcc_lo
	flat_load_b64 v[13:14], v[13:14]
	s_wait_loadcnt_dscnt 0x0
	v_fma_f64 v[11:12], s[26:27], v[13:14], v[11:12]
.LBB252_55:                             ;   in Loop: Header=BB252_4 Depth=1
	s_or_b32 s42, s40, exec_lo
.LBB252_56:                             ;   in Loop: Header=BB252_4 Depth=1
	s_or_b32 exec_lo, exec_lo, s41
	s_delay_alu instid0(SALU_CYCLE_1) | instskip(SKIP_2) | instid1(SALU_CYCLE_1)
	s_and_not1_b32 s40, s40, exec_lo
	s_wait_alu 0xfffe
	s_and_b32 s41, s42, exec_lo
	s_or_b32 s40, s40, s41
.LBB252_57:                             ;   in Loop: Header=BB252_4 Depth=1
	s_wait_alu 0xfffe
	s_or_b32 exec_lo, exec_lo, s7
	v_dual_mov_b32 v14, v5 :: v_dual_mov_b32 v13, v4
	s_and_saveexec_b32 s7, s40
	s_cbranch_execz .LBB252_2
.LBB252_58:                             ;   in Loop: Header=BB252_4 Depth=1
	s_delay_alu instid0(VALU_DEP_1) | instskip(NEXT) | instid1(VALU_DEP_1)
	v_lshlrev_b64_e32 v[13:14], 3, v[13:14]
	v_add_co_u32 v13, vcc_lo, v72, v13
	s_wait_alu 0xfffd
	s_delay_alu instid0(VALU_DEP_2)
	v_add_co_ci_u32_e64 v14, null, v73, v14, vcc_lo
	flat_store_b64 v[13:14], v[11:12]
	s_branch .LBB252_2
.LBB252_59:
	s_endpgm
	.section	.rodata,"a",@progbits
	.p2align	6, 0x0
	.amdhsa_kernel _ZL20rocblas_gemvn_kernelILi32ELi16EiPKddKPdEviiT3_lPKT2_lT1_lS7_lS8_lS4_lPT4_lS8_li
		.amdhsa_group_segment_fixed_size 16384
		.amdhsa_private_segment_fixed_size 0
		.amdhsa_kernarg_size 400
		.amdhsa_user_sgpr_count 2
		.amdhsa_user_sgpr_dispatch_ptr 0
		.amdhsa_user_sgpr_queue_ptr 0
		.amdhsa_user_sgpr_kernarg_segment_ptr 1
		.amdhsa_user_sgpr_dispatch_id 0
		.amdhsa_user_sgpr_private_segment_size 0
		.amdhsa_wavefront_size32 1
		.amdhsa_uses_dynamic_stack 0
		.amdhsa_enable_private_segment 0
		.amdhsa_system_sgpr_workgroup_id_x 1
		.amdhsa_system_sgpr_workgroup_id_y 0
		.amdhsa_system_sgpr_workgroup_id_z 1
		.amdhsa_system_sgpr_workgroup_info 0
		.amdhsa_system_vgpr_workitem_id 1
		.amdhsa_next_free_vgpr 79
		.amdhsa_next_free_sgpr 47
		.amdhsa_reserve_vcc 1
		.amdhsa_float_round_mode_32 0
		.amdhsa_float_round_mode_16_64 0
		.amdhsa_float_denorm_mode_32 3
		.amdhsa_float_denorm_mode_16_64 3
		.amdhsa_fp16_overflow 0
		.amdhsa_workgroup_processor_mode 1
		.amdhsa_memory_ordered 1
		.amdhsa_forward_progress 1
		.amdhsa_inst_pref_size 28
		.amdhsa_round_robin_scheduling 0
		.amdhsa_exception_fp_ieee_invalid_op 0
		.amdhsa_exception_fp_denorm_src 0
		.amdhsa_exception_fp_ieee_div_zero 0
		.amdhsa_exception_fp_ieee_overflow 0
		.amdhsa_exception_fp_ieee_underflow 0
		.amdhsa_exception_fp_ieee_inexact 0
		.amdhsa_exception_int_div_zero 0
	.end_amdhsa_kernel
	.section	.text._ZL20rocblas_gemvn_kernelILi32ELi16EiPKddKPdEviiT3_lPKT2_lT1_lS7_lS8_lS4_lPT4_lS8_li,"axG",@progbits,_ZL20rocblas_gemvn_kernelILi32ELi16EiPKddKPdEviiT3_lPKT2_lT1_lS7_lS8_lS4_lPT4_lS8_li,comdat
.Lfunc_end252:
	.size	_ZL20rocblas_gemvn_kernelILi32ELi16EiPKddKPdEviiT3_lPKT2_lT1_lS7_lS8_lS4_lPT4_lS8_li, .Lfunc_end252-_ZL20rocblas_gemvn_kernelILi32ELi16EiPKddKPdEviiT3_lPKT2_lT1_lS7_lS8_lS4_lPT4_lS8_li
                                        ; -- End function
	.set _ZL20rocblas_gemvn_kernelILi32ELi16EiPKddKPdEviiT3_lPKT2_lT1_lS7_lS8_lS4_lPT4_lS8_li.num_vgpr, 79
	.set _ZL20rocblas_gemvn_kernelILi32ELi16EiPKddKPdEviiT3_lPKT2_lT1_lS7_lS8_lS4_lPT4_lS8_li.num_agpr, 0
	.set _ZL20rocblas_gemvn_kernelILi32ELi16EiPKddKPdEviiT3_lPKT2_lT1_lS7_lS8_lS4_lPT4_lS8_li.numbered_sgpr, 47
	.set _ZL20rocblas_gemvn_kernelILi32ELi16EiPKddKPdEviiT3_lPKT2_lT1_lS7_lS8_lS4_lPT4_lS8_li.num_named_barrier, 0
	.set _ZL20rocblas_gemvn_kernelILi32ELi16EiPKddKPdEviiT3_lPKT2_lT1_lS7_lS8_lS4_lPT4_lS8_li.private_seg_size, 0
	.set _ZL20rocblas_gemvn_kernelILi32ELi16EiPKddKPdEviiT3_lPKT2_lT1_lS7_lS8_lS4_lPT4_lS8_li.uses_vcc, 1
	.set _ZL20rocblas_gemvn_kernelILi32ELi16EiPKddKPdEviiT3_lPKT2_lT1_lS7_lS8_lS4_lPT4_lS8_li.uses_flat_scratch, 1
	.set _ZL20rocblas_gemvn_kernelILi32ELi16EiPKddKPdEviiT3_lPKT2_lT1_lS7_lS8_lS4_lPT4_lS8_li.has_dyn_sized_stack, 0
	.set _ZL20rocblas_gemvn_kernelILi32ELi16EiPKddKPdEviiT3_lPKT2_lT1_lS7_lS8_lS4_lPT4_lS8_li.has_recursion, 0
	.set _ZL20rocblas_gemvn_kernelILi32ELi16EiPKddKPdEviiT3_lPKT2_lT1_lS7_lS8_lS4_lPT4_lS8_li.has_indirect_call, 0
	.section	.AMDGPU.csdata,"",@progbits
; Kernel info:
; codeLenInByte = 3528
; TotalNumSgprs: 49
; NumVgprs: 79
; ScratchSize: 0
; MemoryBound: 0
; FloatMode: 240
; IeeeMode: 1
; LDSByteSize: 16384 bytes/workgroup (compile time only)
; SGPRBlocks: 0
; VGPRBlocks: 9
; NumSGPRsForWavesPerEU: 49
; NumVGPRsForWavesPerEU: 79
; Occupancy: 16
; WaveLimiterHint : 1
; COMPUTE_PGM_RSRC2:SCRATCH_EN: 0
; COMPUTE_PGM_RSRC2:USER_SGPR: 2
; COMPUTE_PGM_RSRC2:TRAP_HANDLER: 0
; COMPUTE_PGM_RSRC2:TGID_X_EN: 1
; COMPUTE_PGM_RSRC2:TGID_Y_EN: 0
; COMPUTE_PGM_RSRC2:TGID_Z_EN: 1
; COMPUTE_PGM_RSRC2:TIDIG_COMP_CNT: 1
	.section	.text._ZL20rocblas_gemvn_kernelILi32ELi16ElPKddKPdEviiT3_lPKT2_lT1_lS7_lS8_lS4_lPT4_lS8_li,"axG",@progbits,_ZL20rocblas_gemvn_kernelILi32ELi16ElPKddKPdEviiT3_lPKT2_lT1_lS7_lS8_lS4_lPT4_lS8_li,comdat
	.globl	_ZL20rocblas_gemvn_kernelILi32ELi16ElPKddKPdEviiT3_lPKT2_lT1_lS7_lS8_lS4_lPT4_lS8_li ; -- Begin function _ZL20rocblas_gemvn_kernelILi32ELi16ElPKddKPdEviiT3_lPKT2_lT1_lS7_lS8_lS4_lPT4_lS8_li
	.p2align	8
	.type	_ZL20rocblas_gemvn_kernelILi32ELi16ElPKddKPdEviiT3_lPKT2_lT1_lS7_lS8_lS4_lPT4_lS8_li,@function
_ZL20rocblas_gemvn_kernelILi32ELi16ElPKddKPdEviiT3_lPKT2_lT1_lS7_lS8_lS4_lPT4_lS8_li: ; @_ZL20rocblas_gemvn_kernelILi32ELi16ElPKddKPdEviiT3_lPKT2_lT1_lS7_lS8_lS4_lPT4_lS8_li
; %bb.0:
	s_clause 0x1
	s_load_b64 s[2:3], s[0:1], 0x9c
	s_load_b32 s33, s[0:1], 0x88
	s_lshr_b32 s24, ttmp7, 16
	s_wait_kmcnt 0x0
	s_lshr_b32 s4, s2, 16
	s_and_b32 s2, s2, 0xffff
	s_and_b32 s3, s3, 0xffff
	s_mul_i32 s2, s4, s2
	s_delay_alu instid0(SALU_CYCLE_1) | instskip(NEXT) | instid1(SALU_CYCLE_1)
	s_mul_i32 s2, s2, s3
	s_cmp_lg_u32 s2, 0x200
	s_cselect_b32 s2, -1, 0
	s_cmp_ge_u32 s24, s33
	s_cselect_b32 s3, -1, 0
	s_delay_alu instid0(SALU_CYCLE_1) | instskip(NEXT) | instid1(SALU_CYCLE_1)
	s_or_b32 s2, s2, s3
	s_and_b32 vcc_lo, exec_lo, s2
	s_cbranch_vccnz .LBB253_59
; %bb.1:
	s_clause 0x7
	s_load_b64 s[26:27], s[0:1], 0x58
	s_load_b128 s[8:11], s[0:1], 0x0
	s_load_b64 s[28:29], s[0:1], 0x48
	s_load_b128 s[12:15], s[0:1], 0x18
	;; [unrolled: 2-line block ×4, first 2 shown]
	v_dual_mov_b32 v1, 0 :: v_dual_and_b32 v2, 0x3ff, v0
	v_bfe_u32 v26, v0, 10, 10
	s_lshl_b32 s36, ttmp9, 7
	s_mov_b32 s25, 0
	s_delay_alu instid0(VALU_DEP_2) | instskip(SKIP_2) | instid1(VALU_DEP_3)
	v_add_nc_u32_e32 v8, s36, v2
	v_lshlrev_b32_e32 v16, 3, v2
	v_lshl_add_u32 v3, v26, 5, v2
	v_add_nc_u32_e32 v4, 32, v8
	v_add_nc_u32_e32 v5, 64, v8
	s_delay_alu instid0(VALU_DEP_3)
	v_add_nc_u32_e32 v0, s36, v3
	v_or_b32_e32 v17, s36, v3
	v_cmp_gt_u32_e64 s0, 0x80, v3
	s_wait_kmcnt 0x0
	v_cmp_gt_i32_e64 s2, s8, v4
	v_cmp_gt_i32_e64 s3, s8, v5
	v_cmp_neq_f64_e64 s37, s[26:27], 1.0
	v_mad_co_u64_u32 v[2:3], null, s6, v0, 0
	v_mad_co_u64_u32 v[4:5], null, s6, v17, 0
	v_cmp_neq_f64_e64 s39, s[10:11], 0
	s_ashr_i32 s35, s8, 31
	s_mov_b32 s34, s8
	s_ashr_i32 s5, s9, 31
	v_cmp_gt_i64_e32 vcc_lo, s[34:35], v[0:1]
	s_lshr_b32 s5, s5, 26
	v_mad_co_u64_u32 v[14:15], null, s7, v0, v[3:4]
	s_add_co_i32 s38, s9, s5
	v_mul_lo_u32 v19, s7, v17
	s_and_not1_b32 s38, s38, 63
	v_cmp_eq_f64_e64 s41, s[10:11], 0
	s_sub_co_i32 s7, s9, s38
	v_cmp_neq_f64_e64 s42, s[26:27], 0
	v_dual_mov_b32 v3, v14 :: v_dual_add_nc_u32 v6, 0x60, v8
	v_ashrrev_i32_e32 v9, 31, v8
	v_cmp_gt_i32_e64 s1, s8, v8
	s_delay_alu instid0(VALU_DEP_3) | instskip(SKIP_1) | instid1(VALU_DEP_4)
	v_cmp_gt_i32_e64 s4, s8, v6
	v_mad_co_u64_u32 v[6:7], null, s28, v26, 0
	v_lshlrev_b64_e32 v[8:9], 3, v[8:9]
	s_delay_alu instid0(VALU_DEP_2) | instskip(NEXT) | instid1(VALU_DEP_1)
	v_mov_b32_e32 v0, v7
	v_mad_co_u64_u32 v[14:15], null, s29, v26, v[0:1]
	v_lshlrev_b32_e32 v80, 2, v26
	v_cndmask_b32_e64 v82, 0, 1, s39
	s_or_b32 s39, s39, s37
	s_wait_alu 0xfffe
	s_cmp_gt_i32 s7, 0
	s_delay_alu instid0(VALU_DEP_3)
	v_mov_b32_e32 v7, v14
	v_or_b32_e32 v18, 3, v80
	v_or_b32_e32 v29, 2, v80
	s_cselect_b32 s40, -1, 0
	s_ashr_i32 s7, s36, 31
	v_mad_co_u64_u32 v[24:25], null, s30, v80, s[30:31]
	v_mad_co_u64_u32 v[10:11], null, s30, v18, 0
	;; [unrolled: 1-line block ×3, first 2 shown]
	s_wait_alu 0xfffe
	s_mul_i32 s7, s6, s7
	v_cmp_gt_i32_e64 s6, s8, v17
	s_wait_alu 0xfffe
	v_add3_u32 v5, v5, s7, v19
	v_mad_co_u64_u32 v[20:21], null, s28, v29, 0
	v_mad_co_u64_u32 v[22:23], null, s28, v80, s[28:29]
	;; [unrolled: 1-line block ×3, first 2 shown]
	v_lshlrev_b64_e32 v[6:7], 5, v[6:7]
	v_cmp_gt_i32_e64 s5, s38, v80
	s_and_b32 s8, s0, vcc_lo
	s_lshl_b64 s[34:35], s[28:29], 9
	s_lshl_b64 s[36:37], s[30:31], 9
	;; [unrolled: 1-line block ×3, first 2 shown]
	v_mov_b32_e32 v11, v14
	v_lshl_add_u32 v81, v26, 10, v16
	v_lshl_add_u32 v0, v26, 8, v16
	v_mad_co_u64_u32 v[15:16], null, s29, v18, v[13:14]
	v_mad_co_u64_u32 v[16:17], null, s30, v26, 0
	;; [unrolled: 1-line block ×3, first 2 shown]
	v_lshlrev_b64_e32 v[10:11], 3, v[10:11]
	s_lshl_b64 s[18:19], s[18:19], 3
	s_delay_alu instid0(VALU_DEP_4) | instskip(SKIP_1) | instid1(VALU_DEP_4)
	v_mov_b32_e32 v13, v15
	s_lshl_b64 s[22:23], s[22:23], 3
	v_dual_mov_b32 v14, v17 :: v_dual_mov_b32 v17, v25
	s_delay_alu instid0(VALU_DEP_4) | instskip(NEXT) | instid1(VALU_DEP_3)
	v_mov_b32_e32 v15, v19
	v_lshlrev_b64_e32 v[12:13], 3, v[12:13]
	s_delay_alu instid0(VALU_DEP_2) | instskip(SKIP_3) | instid1(VALU_DEP_1)
	v_mad_co_u64_u32 v[26:27], null, s31, v26, v[14:15]
	v_mov_b32_e32 v14, v21
	v_mad_co_u64_u32 v[27:28], null, s31, v29, v[15:16]
	v_mov_b32_e32 v15, v23
	v_mad_co_u64_u32 v[28:29], null, s29, v29, v[14:15]
	v_mad_co_u64_u32 v[14:15], null, s29, v80, v[15:16]
	;; [unrolled: 1-line block ×3, first 2 shown]
	v_mov_b32_e32 v17, v26
	v_mov_b32_e32 v19, v27
	;; [unrolled: 1-line block ×4, first 2 shown]
	s_delay_alu instid0(VALU_DEP_4) | instskip(SKIP_4) | instid1(VALU_DEP_4)
	v_lshlrev_b64_e32 v[14:15], 5, v[16:17]
	v_mov_b32_e32 v25, v29
	v_lshlrev_b64_e32 v[16:17], 3, v[18:19]
	v_lshlrev_b64_e32 v[18:19], 3, v[20:21]
	;; [unrolled: 1-line block ×5, first 2 shown]
	s_branch .LBB253_4
.LBB253_2:                              ;   in Loop: Header=BB253_4 Depth=1
	s_wait_alu 0xfffe
	s_or_b32 exec_lo, exec_lo, s7
.LBB253_3:                              ;   in Loop: Header=BB253_4 Depth=1
	s_add_co_i32 s24, s24, 0x10000
	s_delay_alu instid0(SALU_CYCLE_1)
	s_cmp_lt_u32 s24, s33
	s_cbranch_scc0 .LBB253_59
.LBB253_4:                              ; =>This Loop Header: Depth=1
                                        ;     Child Loop BB253_27 Depth 2
	s_and_not1_b32 vcc_lo, exec_lo, s39
	s_wait_alu 0xfffe
	s_cbranch_vccnz .LBB253_3
; %bb.5:                                ;   in Loop: Header=BB253_4 Depth=1
	s_and_not1_b32 vcc_lo, exec_lo, s41
	s_wait_alu 0xfffe
	s_cbranch_vccnz .LBB253_7
; %bb.6:                                ;   in Loop: Header=BB253_4 Depth=1
	s_mov_b32 s7, 0
	s_branch .LBB253_8
.LBB253_7:                              ;   in Loop: Header=BB253_4 Depth=1
	s_mov_b32 s7, -1
.LBB253_8:                              ;   in Loop: Header=BB253_4 Depth=1
	v_mov_b32_e32 v36, 0
	v_dual_mov_b32 v37, 0 :: v_dual_mov_b32 v26, 0
	v_mov_b32_e32 v27, 0
	s_wait_alu 0xfffe
	s_and_not1_b32 vcc_lo, exec_lo, s7
	s_wait_alu 0xfffe
	s_cbranch_vccnz .LBB253_10
; %bb.9:                                ;   in Loop: Header=BB253_4 Depth=1
	s_lshl_b64 s[44:45], s[24:25], 3
	s_delay_alu instid0(SALU_CYCLE_1)
	s_add_nc_u64 s[44:45], s[12:13], s[44:45]
	global_load_b64 v[26:27], v1, s[44:45]
	s_wait_loadcnt 0x0
	v_add_co_u32 v26, vcc_lo, v26, s14
	s_wait_alu 0xfffd
	v_add_co_ci_u32_e64 v27, null, s15, v27, vcc_lo
.LBB253_10:                             ;   in Loop: Header=BB253_4 Depth=1
	v_cmp_ne_u32_e32 vcc_lo, 1, v82
	s_cbranch_vccnz .LBB253_12
; %bb.11:                               ;   in Loop: Header=BB253_4 Depth=1
	s_lshl_b64 s[44:45], s[24:25], 3
	s_delay_alu instid0(SALU_CYCLE_1)
	s_add_nc_u64 s[44:45], s[16:17], s[44:45]
	global_load_b64 v[28:29], v1, s[44:45]
	s_wait_loadcnt 0x0
	v_add_co_u32 v36, vcc_lo, v28, s18
	s_wait_alu 0xfffd
	v_add_co_ci_u32_e64 v37, null, s19, v29, vcc_lo
.LBB253_12:                             ;   in Loop: Header=BB253_4 Depth=1
	s_lshl_b64 s[44:45], s[24:25], 3
	s_delay_alu instid0(SALU_CYCLE_1)
	s_add_nc_u64 s[44:45], s[20:21], s[44:45]
	global_load_b64 v[28:29], v1, s[44:45]
	s_wait_loadcnt 0x0
	v_add_co_u32 v83, vcc_lo, v28, s22
	s_wait_alu 0xfffd
	v_add_co_ci_u32_e64 v84, null, s23, v29, vcc_lo
	s_and_not1_b32 vcc_lo, exec_lo, s41
	s_wait_alu 0xfffe
	s_cbranch_vccnz .LBB253_16
; %bb.13:                               ;   in Loop: Header=BB253_4 Depth=1
	s_mov_b32 s7, 0
	s_mov_b32 s43, 0
                                        ; implicit-def: $vgpr28_vgpr29
	s_and_saveexec_b32 s44, s8
	s_cbranch_execz .LBB253_17
; %bb.14:                               ;   in Loop: Header=BB253_4 Depth=1
	s_and_not1_b32 vcc_lo, exec_lo, s42
	s_wait_alu 0xfffe
	s_cbranch_vccnz .LBB253_19
; %bb.15:                               ;   in Loop: Header=BB253_4 Depth=1
	v_add_co_u32 v28, vcc_lo, v83, v24
	s_wait_alu 0xfffd
	v_add_co_ci_u32_e64 v29, null, v84, v25, vcc_lo
	flat_load_b64 v[28:29], v[28:29]
	s_wait_loadcnt_dscnt 0x0
	v_mul_f64_e32 v[28:29], s[26:27], v[28:29]
	s_branch .LBB253_20
.LBB253_16:                             ;   in Loop: Header=BB253_4 Depth=1
	s_mov_b32 s43, 0
                                        ; implicit-def: $vgpr28_vgpr29
	s_cbranch_execz .LBB253_18
	s_branch .LBB253_21
.LBB253_17:                             ;   in Loop: Header=BB253_4 Depth=1
	s_or_b32 exec_lo, exec_lo, s44
	s_wait_alu 0xfffe
	s_and_b32 vcc_lo, exec_lo, s7
	s_wait_alu 0xfffe
	s_cbranch_vccnz .LBB253_21
.LBB253_18:                             ;   in Loop: Header=BB253_4 Depth=1
	v_dual_mov_b32 v27, v3 :: v_dual_mov_b32 v26, v2
	s_and_saveexec_b32 s7, s43
	s_cbranch_execz .LBB253_2
	s_branch .LBB253_58
.LBB253_19:                             ;   in Loop: Header=BB253_4 Depth=1
	v_mov_b32_e32 v28, 0
	v_mov_b32_e32 v29, 0
.LBB253_20:                             ;   in Loop: Header=BB253_4 Depth=1
	s_mov_b32 s43, exec_lo
	s_or_b32 exec_lo, exec_lo, s44
	s_delay_alu instid0(SALU_CYCLE_1)
	s_and_b32 vcc_lo, exec_lo, s7
	s_wait_alu 0xfffe
	s_cbranch_vccz .LBB253_18
.LBB253_21:                             ;   in Loop: Header=BB253_4 Depth=1
	v_mov_b32_e32 v28, 0
	v_dual_mov_b32 v32, 0 :: v_dual_mov_b32 v29, 0
	v_dual_mov_b32 v30, 0 :: v_dual_mov_b32 v33, 0
	;; [unrolled: 1-line block ×3, first 2 shown]
	v_mov_b32_e32 v35, 0
	v_mov_b32_e32 v85, v80
	s_and_saveexec_b32 s44, s5
	s_cbranch_execz .LBB253_33
; %bb.22:                               ;   in Loop: Header=BB253_4 Depth=1
	v_add_co_u32 v86, vcc_lo, v26, v10
	s_wait_alu 0xfffd
	v_add_co_ci_u32_e64 v87, null, v27, v11, vcc_lo
	v_add_co_u32 v88, vcc_lo, v26, v14
	s_wait_alu 0xfffd
	v_add_co_ci_u32_e64 v89, null, v27, v15, vcc_lo
	;; [unrolled: 3-line block ×3, first 2 shown]
	v_add_co_u32 v92, vcc_lo, v26, v22
	v_mov_b32_e32 v30, 0
	v_dual_mov_b32 v28, 0 :: v_dual_mov_b32 v39, v37
	v_dual_mov_b32 v31, 0 :: v_dual_mov_b32 v32, 0
	;; [unrolled: 1-line block ×3, first 2 shown]
	s_wait_alu 0xfffd
	v_add_co_ci_u32_e64 v93, null, v27, v23, vcc_lo
	v_dual_mov_b32 v29, 0 :: v_dual_mov_b32 v38, v36
	v_mov_b32_e32 v33, 0
	v_mov_b32_e32 v35, 0
	s_mov_b32 s45, 0
	s_branch .LBB253_27
.LBB253_23:                             ;   in Loop: Header=BB253_27 Depth=2
	s_or_b32 exec_lo, exec_lo, s48
	s_wait_loadcnt_dscnt 0x303
	v_fma_f64 v[32:33], v[40:41], v[72:73], v[32:33]
	s_wait_loadcnt_dscnt 0x202
	s_delay_alu instid0(VALU_DEP_1) | instskip(SKIP_1) | instid1(VALU_DEP_1)
	v_fma_f64 v[32:33], v[42:43], v[74:75], v[32:33]
	s_wait_loadcnt_dscnt 0x101
	v_fma_f64 v[32:33], v[44:45], v[76:77], v[32:33]
	s_wait_loadcnt_dscnt 0x0
	s_delay_alu instid0(VALU_DEP_1)
	v_fma_f64 v[32:33], v[46:47], v[78:79], v[32:33]
.LBB253_24:                             ;   in Loop: Header=BB253_27 Depth=2
	s_or_b32 exec_lo, exec_lo, s47
	s_wait_loadcnt_dscnt 0x303
	v_fma_f64 v[30:31], v[40:41], v[64:65], v[30:31]
	s_wait_loadcnt_dscnt 0x202
	s_delay_alu instid0(VALU_DEP_1) | instskip(SKIP_1) | instid1(VALU_DEP_1)
	v_fma_f64 v[30:31], v[42:43], v[66:67], v[30:31]
	s_wait_loadcnt_dscnt 0x101
	v_fma_f64 v[30:31], v[44:45], v[68:69], v[30:31]
	s_wait_loadcnt_dscnt 0x0
	s_delay_alu instid0(VALU_DEP_1)
	v_fma_f64 v[30:31], v[46:47], v[70:71], v[30:31]
.LBB253_25:                             ;   in Loop: Header=BB253_27 Depth=2
	s_or_b32 exec_lo, exec_lo, s46
	s_wait_loadcnt_dscnt 0x303
	v_fma_f64 v[28:29], v[40:41], v[48:49], v[28:29]
	s_wait_loadcnt_dscnt 0x202
	s_delay_alu instid0(VALU_DEP_1) | instskip(SKIP_1) | instid1(VALU_DEP_1)
	v_fma_f64 v[28:29], v[42:43], v[50:51], v[28:29]
	s_wait_loadcnt_dscnt 0x101
	v_fma_f64 v[28:29], v[44:45], v[52:53], v[28:29]
	s_wait_loadcnt_dscnt 0x0
	s_delay_alu instid0(VALU_DEP_1)
	v_fma_f64 v[28:29], v[46:47], v[54:55], v[28:29]
.LBB253_26:                             ;   in Loop: Header=BB253_27 Depth=2
	s_wait_alu 0xfffe
	s_or_b32 exec_lo, exec_lo, s7
	v_add_co_u32 v38, vcc_lo, v38, s34
	s_wait_alu 0xfffd
	v_add_co_ci_u32_e64 v39, null, s35, v39, vcc_lo
	v_add_co_u32 v86, vcc_lo, v86, s36
	v_add_nc_u32_e32 v85, 64, v85
	s_wait_alu 0xfffd
	v_add_co_ci_u32_e64 v87, null, s37, v87, vcc_lo
	v_add_co_u32 v88, vcc_lo, v88, s36
	s_wait_alu 0xfffd
	v_add_co_ci_u32_e64 v89, null, s37, v89, vcc_lo
	v_add_co_u32 v90, vcc_lo, v90, s36
	s_wait_alu 0xfffd
	v_add_co_ci_u32_e64 v91, null, s37, v91, vcc_lo
	v_cmp_le_i32_e32 vcc_lo, s38, v85
	v_add_co_u32 v92, s7, v92, s36
	s_wait_alu 0xf1ff
	v_add_co_ci_u32_e64 v93, null, s37, v93, s7
	s_or_b32 s45, vcc_lo, s45
	s_delay_alu instid0(SALU_CYCLE_1)
	s_and_not1_b32 exec_lo, exec_lo, s45
	s_cbranch_execz .LBB253_32
.LBB253_27:                             ;   Parent Loop BB253_4 Depth=1
                                        ; =>  This Inner Loop Header: Depth=2
	s_and_saveexec_b32 s7, s1
	s_cbranch_execz .LBB253_26
; %bb.28:                               ;   in Loop: Header=BB253_27 Depth=2
	v_add_co_u32 v40, vcc_lo, v38, v6
	s_wait_alu 0xfffd
	v_add_co_ci_u32_e64 v41, null, v39, v7, vcc_lo
	v_add_co_u32 v42, vcc_lo, v38, v20
	s_wait_alu 0xfffd
	v_add_co_ci_u32_e64 v43, null, v39, v21, vcc_lo
	;; [unrolled: 3-line block ×8, first 2 shown]
	s_clause 0x3
	flat_load_b64 v[40:41], v[40:41]
	flat_load_b64 v[42:43], v[42:43]
	;; [unrolled: 1-line block ×8, first 2 shown]
	s_and_saveexec_b32 s46, s2
	s_cbranch_execz .LBB253_25
; %bb.29:                               ;   in Loop: Header=BB253_27 Depth=2
	flat_load_b64 v[64:65], v[56:57] offset:256
	flat_load_b64 v[66:67], v[58:59] offset:256
	flat_load_b64 v[68:69], v[60:61] offset:256
	flat_load_b64 v[70:71], v[62:63] offset:256
	s_and_saveexec_b32 s47, s3
	s_cbranch_execz .LBB253_24
; %bb.30:                               ;   in Loop: Header=BB253_27 Depth=2
	flat_load_b64 v[72:73], v[56:57] offset:512
	flat_load_b64 v[74:75], v[58:59] offset:512
	flat_load_b64 v[76:77], v[60:61] offset:512
	flat_load_b64 v[78:79], v[62:63] offset:512
	;; [unrolled: 7-line block ×3, first 2 shown]
	s_wait_loadcnt_dscnt 0x303
	v_fma_f64 v[34:35], v[40:41], v[56:57], v[34:35]
	s_wait_loadcnt_dscnt 0x202
	s_delay_alu instid0(VALU_DEP_1) | instskip(SKIP_1) | instid1(VALU_DEP_1)
	v_fma_f64 v[34:35], v[42:43], v[58:59], v[34:35]
	s_wait_loadcnt_dscnt 0x101
	v_fma_f64 v[34:35], v[44:45], v[60:61], v[34:35]
	s_wait_loadcnt_dscnt 0x0
	s_delay_alu instid0(VALU_DEP_1)
	v_fma_f64 v[34:35], v[46:47], v[62:63], v[34:35]
	s_branch .LBB253_23
.LBB253_32:                             ;   in Loop: Header=BB253_4 Depth=1
	s_or_b32 exec_lo, exec_lo, s45
.LBB253_33:                             ;   in Loop: Header=BB253_4 Depth=1
	s_delay_alu instid0(SALU_CYCLE_1) | instskip(NEXT) | instid1(SALU_CYCLE_1)
	s_or_b32 exec_lo, exec_lo, s44
	s_and_not1_b32 vcc_lo, exec_lo, s40
	s_wait_alu 0xfffe
	s_cbranch_vccnz .LBB253_51
; %bb.34:                               ;   in Loop: Header=BB253_4 Depth=1
	v_mov_b32_e32 v44, 0
	v_dual_mov_b32 v40, 0 :: v_dual_mov_b32 v45, 0
	v_dual_mov_b32 v42, 0 :: v_dual_mov_b32 v41, 0
	v_mov_b32_e32 v38, 0
	v_cmp_gt_i32_e32 vcc_lo, s9, v85
	v_mov_b32_e32 v43, 0
	v_mov_b32_e32 v39, 0
	v_or_b32_e32 v46, 1, v85
	s_and_saveexec_b32 s44, vcc_lo
	s_cbranch_execz .LBB253_42
; %bb.35:                               ;   in Loop: Header=BB253_4 Depth=1
	v_mad_co_u64_u32 v[38:39], null, s28, v85, 0
	v_mov_b32_e32 v44, 0
	v_mov_b32_e32 v45, 0
	s_mov_b32 s45, exec_lo
	v_mov_b32_e32 v42, 0
	v_mov_b32_e32 v43, 0
	v_mad_co_u64_u32 v[39:40], null, s29, v85, v[39:40]
	v_mov_b32_e32 v40, 0
	v_mov_b32_e32 v41, 0
	s_delay_alu instid0(VALU_DEP_3) | instskip(NEXT) | instid1(VALU_DEP_1)
	v_lshlrev_b64_e32 v[38:39], 3, v[38:39]
	v_add_co_u32 v38, s7, v36, v38
	s_wait_alu 0xf1ff
	s_delay_alu instid0(VALU_DEP_2)
	v_add_co_ci_u32_e64 v39, null, v37, v39, s7
	flat_load_b64 v[38:39], v[38:39]
	v_cmpx_gt_i32_e64 s9, v46
	s_cbranch_execz .LBB253_41
; %bb.36:                               ;   in Loop: Header=BB253_4 Depth=1
	v_mad_co_u64_u32 v[40:41], null, s28, v46, 0
	v_or_b32_e32 v47, 2, v85
	s_mov_b32 s46, exec_lo
	v_mov_b32_e32 v44, 0
	v_mov_b32_e32 v45, 0
	s_delay_alu instid0(VALU_DEP_4) | instskip(SKIP_2) | instid1(VALU_DEP_3)
	v_mad_co_u64_u32 v[41:42], null, s29, v46, v[41:42]
	v_mov_b32_e32 v42, 0
	v_mov_b32_e32 v43, 0
	v_lshlrev_b64_e32 v[40:41], 3, v[40:41]
	s_delay_alu instid0(VALU_DEP_1) | instskip(SKIP_1) | instid1(VALU_DEP_2)
	v_add_co_u32 v40, s7, v36, v40
	s_wait_alu 0xf1ff
	v_add_co_ci_u32_e64 v41, null, v37, v41, s7
	flat_load_b64 v[40:41], v[40:41]
	v_cmpx_gt_i32_e64 s9, v47
	s_cbranch_execz .LBB253_40
; %bb.37:                               ;   in Loop: Header=BB253_4 Depth=1
	v_mad_co_u64_u32 v[42:43], null, s28, v47, 0
	s_mov_b32 s47, exec_lo
	v_mad_co_u64_u32 v[43:44], null, s29, v47, v[43:44]
	v_mov_b32_e32 v44, 0
	v_or_b32_e32 v47, 3, v85
	v_mov_b32_e32 v45, 0
	s_delay_alu instid0(VALU_DEP_4) | instskip(NEXT) | instid1(VALU_DEP_1)
	v_lshlrev_b64_e32 v[42:43], 3, v[42:43]
	v_add_co_u32 v42, s7, v36, v42
	s_wait_alu 0xf1ff
	s_delay_alu instid0(VALU_DEP_2)
	v_add_co_ci_u32_e64 v43, null, v37, v43, s7
	flat_load_b64 v[42:43], v[42:43]
	v_cmpx_gt_i32_e64 s9, v47
	s_cbranch_execz .LBB253_39
; %bb.38:                               ;   in Loop: Header=BB253_4 Depth=1
	v_mad_co_u64_u32 v[44:45], null, s28, v47, 0
	s_delay_alu instid0(VALU_DEP_1) | instskip(NEXT) | instid1(VALU_DEP_1)
	v_mad_co_u64_u32 v[47:48], null, s29, v47, v[45:46]
	v_mov_b32_e32 v45, v47
	s_delay_alu instid0(VALU_DEP_1) | instskip(NEXT) | instid1(VALU_DEP_1)
	v_lshlrev_b64_e32 v[44:45], 3, v[44:45]
	v_add_co_u32 v36, s7, v36, v44
	s_wait_alu 0xf1ff
	s_delay_alu instid0(VALU_DEP_2)
	v_add_co_ci_u32_e64 v37, null, v37, v45, s7
	flat_load_b64 v[44:45], v[36:37]
.LBB253_39:                             ;   in Loop: Header=BB253_4 Depth=1
	s_or_b32 exec_lo, exec_lo, s47
.LBB253_40:                             ;   in Loop: Header=BB253_4 Depth=1
	s_delay_alu instid0(SALU_CYCLE_1)
	s_or_b32 exec_lo, exec_lo, s46
.LBB253_41:                             ;   in Loop: Header=BB253_4 Depth=1
	s_delay_alu instid0(SALU_CYCLE_1)
	s_or_b32 exec_lo, exec_lo, s45
.LBB253_42:                             ;   in Loop: Header=BB253_4 Depth=1
	s_delay_alu instid0(SALU_CYCLE_1)
	s_or_b32 exec_lo, exec_lo, s44
	s_and_saveexec_b32 s44, s1
	s_cbranch_execz .LBB253_50
; %bb.43:                               ;   in Loop: Header=BB253_4 Depth=1
	v_or_b32_e32 v55, 2, v85
	v_mad_co_u64_u32 v[36:37], null, s30, v85, 0
	v_mad_co_u64_u32 v[47:48], null, s30, v46, 0
	s_delay_alu instid0(VALU_DEP_3) | instskip(SKIP_4) | instid1(VALU_DEP_4)
	v_mad_co_u64_u32 v[49:50], null, s30, v55, 0
	v_cmp_gt_i32_e64 s7, s9, v46
	v_or_b32_e32 v57, 3, v85
	s_wait_loadcnt_dscnt 0x0
	v_mad_co_u64_u32 v[51:52], null, s31, v85, v[37:38]
	v_dual_mov_b32 v37, v50 :: v_dual_cndmask_b32 v50, 0, v36
	v_mad_co_u64_u32 v[52:53], null, s31, v46, v[48:49]
	s_wait_alu 0xf1ff
	v_cndmask_b32_e64 v36, 0, v47, s7
	s_delay_alu instid0(VALU_DEP_3)
	v_mad_co_u64_u32 v[46:47], null, s31, v55, v[37:38]
	v_cndmask_b32_e32 v51, 0, v51, vcc_lo
	v_cmp_gt_i32_e32 vcc_lo, s9, v55
	v_mad_co_u64_u32 v[53:54], null, s30, v57, 0
	v_cndmask_b32_e64 v37, 0, v52, s7
	s_wait_alu 0xfffd
	v_dual_cndmask_b32 v55, 0, v49 :: v_dual_cndmask_b32 v56, 0, v46
	v_lshlrev_b64_e32 v[47:48], 3, v[50:51]
	s_delay_alu instid0(VALU_DEP_3) | instskip(SKIP_1) | instid1(VALU_DEP_3)
	v_lshlrev_b64_e32 v[36:37], 3, v[36:37]
	v_mov_b32_e32 v49, v54
	v_add_co_u32 v47, s7, v26, v47
	s_wait_alu 0xf1ff
	s_delay_alu instid0(VALU_DEP_4) | instskip(NEXT) | instid1(VALU_DEP_2)
	v_add_co_ci_u32_e64 v48, null, v27, v48, s7
	v_add_co_u32 v50, vcc_lo, v47, v8
	s_wait_alu 0xfffd
	s_delay_alu instid0(VALU_DEP_2) | instskip(SKIP_1) | instid1(VALU_DEP_3)
	v_add_co_ci_u32_e64 v51, null, v48, v9, vcc_lo
	v_cmp_gt_i32_e32 vcc_lo, s9, v57
	v_mad_co_u64_u32 v[46:47], null, s31, v57, v[49:50]
	v_add_co_u32 v49, s7, v26, v36
	s_wait_alu 0xfffd
	v_cndmask_b32_e32 v47, 0, v53, vcc_lo
	s_wait_alu 0xf1ff
	v_add_co_ci_u32_e64 v54, null, v27, v37, s7
	s_delay_alu instid0(VALU_DEP_4)
	v_cndmask_b32_e32 v48, 0, v46, vcc_lo
	v_lshlrev_b64_e32 v[36:37], 3, v[55:56]
	v_add_co_u32 v52, vcc_lo, v49, v8
	s_wait_alu 0xfffd
	v_add_co_ci_u32_e64 v53, null, v54, v9, vcc_lo
	v_lshlrev_b64_e32 v[46:47], 3, v[47:48]
	s_delay_alu instid0(VALU_DEP_4) | instskip(SKIP_2) | instid1(VALU_DEP_3)
	v_add_co_u32 v36, vcc_lo, v26, v36
	s_wait_alu 0xfffd
	v_add_co_ci_u32_e64 v37, null, v27, v37, vcc_lo
	v_add_co_u32 v26, vcc_lo, v26, v46
	s_wait_alu 0xfffd
	v_add_co_ci_u32_e64 v27, null, v27, v47, vcc_lo
	v_add_co_u32 v62, vcc_lo, v36, v8
	s_wait_alu 0xfffd
	v_add_co_ci_u32_e64 v63, null, v37, v9, vcc_lo
	v_add_co_u32 v64, vcc_lo, v26, v8
	s_wait_alu 0xfffd
	v_add_co_ci_u32_e64 v65, null, v27, v9, vcc_lo
	s_clause 0x3
	flat_load_b64 v[26:27], v[50:51]
	flat_load_b64 v[36:37], v[52:53]
	;; [unrolled: 1-line block ×4, first 2 shown]
	s_and_saveexec_b32 s7, s2
	s_cbranch_execz .LBB253_49
; %bb.44:                               ;   in Loop: Header=BB253_4 Depth=1
	s_clause 0x3
	flat_load_b64 v[54:55], v[50:51] offset:256
	flat_load_b64 v[56:57], v[52:53] offset:256
	flat_load_b64 v[58:59], v[62:63] offset:256
	flat_load_b64 v[60:61], v[64:65] offset:256
	s_and_saveexec_b32 s45, s3
	s_cbranch_execz .LBB253_48
; %bb.45:                               ;   in Loop: Header=BB253_4 Depth=1
	s_clause 0x3
	flat_load_b64 v[66:67], v[50:51] offset:512
	flat_load_b64 v[68:69], v[52:53] offset:512
	flat_load_b64 v[70:71], v[62:63] offset:512
	flat_load_b64 v[72:73], v[64:65] offset:512
	;; [unrolled: 8-line block ×3, first 2 shown]
	s_wait_loadcnt_dscnt 0x303
	v_fma_f64 v[34:35], v[38:39], v[50:51], v[34:35]
	s_wait_loadcnt_dscnt 0x202
	s_delay_alu instid0(VALU_DEP_1) | instskip(SKIP_1) | instid1(VALU_DEP_1)
	v_fma_f64 v[34:35], v[40:41], v[52:53], v[34:35]
	s_wait_loadcnt_dscnt 0x101
	v_fma_f64 v[34:35], v[42:43], v[62:63], v[34:35]
	s_wait_loadcnt_dscnt 0x0
	s_delay_alu instid0(VALU_DEP_1)
	v_fma_f64 v[34:35], v[44:45], v[64:65], v[34:35]
.LBB253_47:                             ;   in Loop: Header=BB253_4 Depth=1
	s_or_b32 exec_lo, exec_lo, s46
	s_wait_loadcnt_dscnt 0x303
	v_fma_f64 v[32:33], v[38:39], v[66:67], v[32:33]
	s_wait_loadcnt_dscnt 0x202
	s_delay_alu instid0(VALU_DEP_1) | instskip(SKIP_1) | instid1(VALU_DEP_1)
	v_fma_f64 v[32:33], v[40:41], v[68:69], v[32:33]
	s_wait_loadcnt_dscnt 0x101
	v_fma_f64 v[32:33], v[42:43], v[70:71], v[32:33]
	s_wait_loadcnt_dscnt 0x0
	s_delay_alu instid0(VALU_DEP_1)
	v_fma_f64 v[32:33], v[44:45], v[72:73], v[32:33]
.LBB253_48:                             ;   in Loop: Header=BB253_4 Depth=1
	s_or_b32 exec_lo, exec_lo, s45
	s_wait_loadcnt_dscnt 0x303
	v_fma_f64 v[30:31], v[38:39], v[54:55], v[30:31]
	s_wait_loadcnt_dscnt 0x202
	s_delay_alu instid0(VALU_DEP_1) | instskip(SKIP_1) | instid1(VALU_DEP_1)
	v_fma_f64 v[30:31], v[40:41], v[56:57], v[30:31]
	s_wait_loadcnt_dscnt 0x101
	v_fma_f64 v[30:31], v[42:43], v[58:59], v[30:31]
	s_wait_loadcnt_dscnt 0x0
	s_delay_alu instid0(VALU_DEP_1)
	v_fma_f64 v[30:31], v[44:45], v[60:61], v[30:31]
.LBB253_49:                             ;   in Loop: Header=BB253_4 Depth=1
	s_wait_alu 0xfffe
	s_or_b32 exec_lo, exec_lo, s7
	s_wait_loadcnt_dscnt 0x303
	v_fma_f64 v[26:27], v[38:39], v[26:27], v[28:29]
	s_wait_loadcnt_dscnt 0x202
	s_delay_alu instid0(VALU_DEP_1) | instskip(SKIP_1) | instid1(VALU_DEP_1)
	v_fma_f64 v[26:27], v[40:41], v[36:37], v[26:27]
	s_wait_loadcnt_dscnt 0x101
	v_fma_f64 v[26:27], v[42:43], v[46:47], v[26:27]
	s_wait_loadcnt_dscnt 0x0
	s_delay_alu instid0(VALU_DEP_1)
	v_fma_f64 v[28:29], v[44:45], v[48:49], v[26:27]
.LBB253_50:                             ;   in Loop: Header=BB253_4 Depth=1
	s_or_b32 exec_lo, exec_lo, s44
.LBB253_51:                             ;   in Loop: Header=BB253_4 Depth=1
	ds_store_2addr_b64 v81, v[28:29], v[30:31] offset1:32
	ds_store_2addr_b64 v81, v[32:33], v[34:35] offset0:64 offset1:96
	s_wait_loadcnt_dscnt 0x0
	s_barrier_signal -1
	s_barrier_wait -1
	global_inv scope:SCOPE_SE
                                        ; implicit-def: $vgpr28_vgpr29
	s_and_saveexec_b32 s7, s0
	s_cbranch_execz .LBB253_57
; %bb.52:                               ;   in Loop: Header=BB253_4 Depth=1
	ds_load_2addr_stride64_b64 v[26:29], v0 offset1:2
	s_mov_b32 s45, s43
	s_wait_dscnt 0x0
	v_add_f64_e32 v[30:31], v[26:27], v[28:29]
	ds_load_2addr_stride64_b64 v[26:29], v0 offset0:4 offset1:6
	s_wait_dscnt 0x0
	v_add_f64_e32 v[26:27], v[26:27], v[30:31]
	s_delay_alu instid0(VALU_DEP_1) | instskip(SKIP_3) | instid1(VALU_DEP_1)
	v_add_f64_e32 v[30:31], v[28:29], v[26:27]
	ds_load_2addr_stride64_b64 v[26:29], v0 offset0:8 offset1:10
	s_wait_dscnt 0x0
	v_add_f64_e32 v[26:27], v[26:27], v[30:31]
	v_add_f64_e32 v[30:31], v[28:29], v[26:27]
	ds_load_2addr_stride64_b64 v[26:29], v0 offset0:12 offset1:14
	s_wait_dscnt 0x0
	v_add_f64_e32 v[26:27], v[26:27], v[30:31]
	s_delay_alu instid0(VALU_DEP_1) | instskip(SKIP_3) | instid1(VALU_DEP_1)
	v_add_f64_e32 v[30:31], v[28:29], v[26:27]
	ds_load_2addr_stride64_b64 v[26:29], v0 offset0:16 offset1:18
	s_wait_dscnt 0x0
	v_add_f64_e32 v[26:27], v[26:27], v[30:31]
	;; [unrolled: 9-line block ×3, first 2 shown]
	v_add_f64_e32 v[30:31], v[28:29], v[26:27]
	ds_load_2addr_stride64_b64 v[26:29], v0 offset0:28 offset1:30
	s_wait_dscnt 0x0
	v_add_f64_e32 v[26:27], v[26:27], v[30:31]
	s_delay_alu instid0(VALU_DEP_1)
	v_add_f64_e32 v[26:27], v[28:29], v[26:27]
                                        ; implicit-def: $vgpr28_vgpr29
	ds_store_b64 v0, v[26:27]
	s_and_saveexec_b32 s44, s6
	s_cbranch_execz .LBB253_56
; %bb.53:                               ;   in Loop: Header=BB253_4 Depth=1
	v_mul_f64_e32 v[28:29], s[10:11], v[26:27]
	s_and_not1_b32 vcc_lo, exec_lo, s42
	s_wait_alu 0xfffe
	s_cbranch_vccnz .LBB253_55
; %bb.54:                               ;   in Loop: Header=BB253_4 Depth=1
	v_lshlrev_b64_e32 v[26:27], 3, v[4:5]
	s_delay_alu instid0(VALU_DEP_1) | instskip(SKIP_1) | instid1(VALU_DEP_2)
	v_add_co_u32 v26, vcc_lo, v83, v26
	s_wait_alu 0xfffd
	v_add_co_ci_u32_e64 v27, null, v84, v27, vcc_lo
	flat_load_b64 v[26:27], v[26:27]
	s_wait_loadcnt_dscnt 0x0
	v_fma_f64 v[28:29], s[26:27], v[26:27], v[28:29]
.LBB253_55:                             ;   in Loop: Header=BB253_4 Depth=1
	s_or_b32 s45, s43, exec_lo
.LBB253_56:                             ;   in Loop: Header=BB253_4 Depth=1
	s_or_b32 exec_lo, exec_lo, s44
	s_delay_alu instid0(SALU_CYCLE_1) | instskip(SKIP_1) | instid1(SALU_CYCLE_1)
	s_and_not1_b32 s43, s43, exec_lo
	s_and_b32 s44, s45, exec_lo
	s_or_b32 s43, s43, s44
.LBB253_57:                             ;   in Loop: Header=BB253_4 Depth=1
	s_wait_alu 0xfffe
	s_or_b32 exec_lo, exec_lo, s7
	v_dual_mov_b32 v27, v5 :: v_dual_mov_b32 v26, v4
	s_and_saveexec_b32 s7, s43
	s_cbranch_execz .LBB253_2
.LBB253_58:                             ;   in Loop: Header=BB253_4 Depth=1
	s_delay_alu instid0(VALU_DEP_1) | instskip(NEXT) | instid1(VALU_DEP_1)
	v_lshlrev_b64_e32 v[26:27], 3, v[26:27]
	v_add_co_u32 v26, vcc_lo, v83, v26
	s_wait_alu 0xfffd
	s_delay_alu instid0(VALU_DEP_2)
	v_add_co_ci_u32_e64 v27, null, v84, v27, vcc_lo
	flat_store_b64 v[26:27], v[28:29]
	s_branch .LBB253_2
.LBB253_59:
	s_endpgm
	.section	.rodata,"a",@progbits
	.p2align	6, 0x0
	.amdhsa_kernel _ZL20rocblas_gemvn_kernelILi32ELi16ElPKddKPdEviiT3_lPKT2_lT1_lS7_lS8_lS4_lPT4_lS8_li
		.amdhsa_group_segment_fixed_size 16384
		.amdhsa_private_segment_fixed_size 0
		.amdhsa_kernarg_size 400
		.amdhsa_user_sgpr_count 2
		.amdhsa_user_sgpr_dispatch_ptr 0
		.amdhsa_user_sgpr_queue_ptr 0
		.amdhsa_user_sgpr_kernarg_segment_ptr 1
		.amdhsa_user_sgpr_dispatch_id 0
		.amdhsa_user_sgpr_private_segment_size 0
		.amdhsa_wavefront_size32 1
		.amdhsa_uses_dynamic_stack 0
		.amdhsa_enable_private_segment 0
		.amdhsa_system_sgpr_workgroup_id_x 1
		.amdhsa_system_sgpr_workgroup_id_y 0
		.amdhsa_system_sgpr_workgroup_id_z 1
		.amdhsa_system_sgpr_workgroup_info 0
		.amdhsa_system_vgpr_workitem_id 1
		.amdhsa_next_free_vgpr 94
		.amdhsa_next_free_sgpr 49
		.amdhsa_reserve_vcc 1
		.amdhsa_float_round_mode_32 0
		.amdhsa_float_round_mode_16_64 0
		.amdhsa_float_denorm_mode_32 3
		.amdhsa_float_denorm_mode_16_64 3
		.amdhsa_fp16_overflow 0
		.amdhsa_workgroup_processor_mode 1
		.amdhsa_memory_ordered 1
		.amdhsa_forward_progress 1
		.amdhsa_inst_pref_size 31
		.amdhsa_round_robin_scheduling 0
		.amdhsa_exception_fp_ieee_invalid_op 0
		.amdhsa_exception_fp_denorm_src 0
		.amdhsa_exception_fp_ieee_div_zero 0
		.amdhsa_exception_fp_ieee_overflow 0
		.amdhsa_exception_fp_ieee_underflow 0
		.amdhsa_exception_fp_ieee_inexact 0
		.amdhsa_exception_int_div_zero 0
	.end_amdhsa_kernel
	.section	.text._ZL20rocblas_gemvn_kernelILi32ELi16ElPKddKPdEviiT3_lPKT2_lT1_lS7_lS8_lS4_lPT4_lS8_li,"axG",@progbits,_ZL20rocblas_gemvn_kernelILi32ELi16ElPKddKPdEviiT3_lPKT2_lT1_lS7_lS8_lS4_lPT4_lS8_li,comdat
.Lfunc_end253:
	.size	_ZL20rocblas_gemvn_kernelILi32ELi16ElPKddKPdEviiT3_lPKT2_lT1_lS7_lS8_lS4_lPT4_lS8_li, .Lfunc_end253-_ZL20rocblas_gemvn_kernelILi32ELi16ElPKddKPdEviiT3_lPKT2_lT1_lS7_lS8_lS4_lPT4_lS8_li
                                        ; -- End function
	.set _ZL20rocblas_gemvn_kernelILi32ELi16ElPKddKPdEviiT3_lPKT2_lT1_lS7_lS8_lS4_lPT4_lS8_li.num_vgpr, 94
	.set _ZL20rocblas_gemvn_kernelILi32ELi16ElPKddKPdEviiT3_lPKT2_lT1_lS7_lS8_lS4_lPT4_lS8_li.num_agpr, 0
	.set _ZL20rocblas_gemvn_kernelILi32ELi16ElPKddKPdEviiT3_lPKT2_lT1_lS7_lS8_lS4_lPT4_lS8_li.numbered_sgpr, 49
	.set _ZL20rocblas_gemvn_kernelILi32ELi16ElPKddKPdEviiT3_lPKT2_lT1_lS7_lS8_lS4_lPT4_lS8_li.num_named_barrier, 0
	.set _ZL20rocblas_gemvn_kernelILi32ELi16ElPKddKPdEviiT3_lPKT2_lT1_lS7_lS8_lS4_lPT4_lS8_li.private_seg_size, 0
	.set _ZL20rocblas_gemvn_kernelILi32ELi16ElPKddKPdEviiT3_lPKT2_lT1_lS7_lS8_lS4_lPT4_lS8_li.uses_vcc, 1
	.set _ZL20rocblas_gemvn_kernelILi32ELi16ElPKddKPdEviiT3_lPKT2_lT1_lS7_lS8_lS4_lPT4_lS8_li.uses_flat_scratch, 1
	.set _ZL20rocblas_gemvn_kernelILi32ELi16ElPKddKPdEviiT3_lPKT2_lT1_lS7_lS8_lS4_lPT4_lS8_li.has_dyn_sized_stack, 0
	.set _ZL20rocblas_gemvn_kernelILi32ELi16ElPKddKPdEviiT3_lPKT2_lT1_lS7_lS8_lS4_lPT4_lS8_li.has_recursion, 0
	.set _ZL20rocblas_gemvn_kernelILi32ELi16ElPKddKPdEviiT3_lPKT2_lT1_lS7_lS8_lS4_lPT4_lS8_li.has_indirect_call, 0
	.section	.AMDGPU.csdata,"",@progbits
; Kernel info:
; codeLenInByte = 3864
; TotalNumSgprs: 51
; NumVgprs: 94
; ScratchSize: 0
; MemoryBound: 1
; FloatMode: 240
; IeeeMode: 1
; LDSByteSize: 16384 bytes/workgroup (compile time only)
; SGPRBlocks: 0
; VGPRBlocks: 11
; NumSGPRsForWavesPerEU: 51
; NumVGPRsForWavesPerEU: 94
; Occupancy: 16
; WaveLimiterHint : 1
; COMPUTE_PGM_RSRC2:SCRATCH_EN: 0
; COMPUTE_PGM_RSRC2:USER_SGPR: 2
; COMPUTE_PGM_RSRC2:TRAP_HANDLER: 0
; COMPUTE_PGM_RSRC2:TGID_X_EN: 1
; COMPUTE_PGM_RSRC2:TGID_Y_EN: 0
; COMPUTE_PGM_RSRC2:TGID_Z_EN: 1
; COMPUTE_PGM_RSRC2:TIDIG_COMP_CNT: 1
	.section	.text._ZL20rocblas_gemvn_kernelILi64ELi16EiPKdS1_KPdEviiT3_lPKT2_lT1_lS7_lS8_lS4_lPT4_lS8_li,"axG",@progbits,_ZL20rocblas_gemvn_kernelILi64ELi16EiPKdS1_KPdEviiT3_lPKT2_lT1_lS7_lS8_lS4_lPT4_lS8_li,comdat
	.globl	_ZL20rocblas_gemvn_kernelILi64ELi16EiPKdS1_KPdEviiT3_lPKT2_lT1_lS7_lS8_lS4_lPT4_lS8_li ; -- Begin function _ZL20rocblas_gemvn_kernelILi64ELi16EiPKdS1_KPdEviiT3_lPKT2_lT1_lS7_lS8_lS4_lPT4_lS8_li
	.p2align	8
	.type	_ZL20rocblas_gemvn_kernelILi64ELi16EiPKdS1_KPdEviiT3_lPKT2_lT1_lS7_lS8_lS4_lPT4_lS8_li,@function
_ZL20rocblas_gemvn_kernelILi64ELi16EiPKdS1_KPdEviiT3_lPKT2_lT1_lS7_lS8_lS4_lPT4_lS8_li: ; @_ZL20rocblas_gemvn_kernelILi64ELi16EiPKdS1_KPdEviiT3_lPKT2_lT1_lS7_lS8_lS4_lPT4_lS8_li
; %bb.0:
	s_clause 0x1
	s_load_b64 s[2:3], s[0:1], 0x9c
	s_load_b32 s33, s[0:1], 0x88
	s_lshr_b32 s10, ttmp7, 16
	s_wait_kmcnt 0x0
	s_lshr_b32 s4, s2, 16
	s_and_b32 s2, s2, 0xffff
	s_and_b32 s3, s3, 0xffff
	s_mul_i32 s2, s4, s2
	s_delay_alu instid0(SALU_CYCLE_1) | instskip(NEXT) | instid1(SALU_CYCLE_1)
	s_mul_i32 s2, s2, s3
	s_cmp_lg_u32 s2, 0x400
	s_cselect_b32 s2, -1, 0
	s_cmp_ge_u32 s10, s33
	s_cselect_b32 s3, -1, 0
	s_delay_alu instid0(SALU_CYCLE_1) | instskip(NEXT) | instid1(SALU_CYCLE_1)
	s_or_b32 s2, s2, s3
	s_and_b32 vcc_lo, exec_lo, s2
	s_cbranch_vccnz .LBB254_55
; %bb.1:
	s_clause 0x2
	s_load_b32 s6, s[0:1], 0x78
	s_load_b64 s[8:9], s[0:1], 0x0
	s_load_b256 s[12:19], s[0:1], 0x8
	v_and_b32_e32 v9, 0x3ff, v0
	v_bfe_u32 v10, v0, 10, 10
	s_clause 0x3
	s_load_b32 s35, s[0:1], 0x28
	s_load_b128 s[28:31], s[0:1], 0x38
	s_load_b32 s34, s[0:1], 0x48
	s_load_b256 s[20:27], s[0:1], 0x58
	s_lshl_b32 s36, ttmp9, 8
	v_mov_b32_e32 v1, 0
	v_add_nc_u32_e32 v67, s36, v9
	v_lshl_add_u32 v5, v10, 6, v9
	v_lshlrev_b32_e32 v68, 2, v10
	v_lshlrev_b32_e32 v6, 3, v9
	s_mov_b32 s11, 0
	v_add_nc_u32_e32 v7, 0x80, v67
	v_add_nc_u32_e32 v0, s36, v5
	;; [unrolled: 1-line block ×3, first 2 shown]
	v_or_b32_e32 v11, s36, v5
	v_add_nc_u32_e32 v8, 0xc0, v67
	v_or_b32_e32 v13, 3, v68
	v_lshl_add_u32 v69, v10, 9, v6
	s_wait_kmcnt 0x0
	v_mad_co_u64_u32 v[2:3], null, s6, v0, 0
	s_ashr_i32 s3, s6, 31
	v_cmp_gt_i32_e64 s2, s8, v7
	v_mul_lo_u32 v7, s35, v68
	s_ashr_i32 s7, s9, 31
	v_cmp_gt_i32_e64 s1, s8, v4
	v_mul_lo_u32 v12, v10, s35
	v_mad_co_u64_u32 v[3:4], null, s3, v0, v[3:4]
	s_wait_alu 0xfffe
	s_lshr_b32 s7, s7, 26
	v_mul_lo_u32 v4, s6, v11
	v_cmp_gt_i32_e64 s6, s8, v11
	v_or_b32_e32 v11, 2, v68
	s_wait_alu 0xfffe
	s_add_co_i32 s37, s9, s7
	v_mul_lo_u32 v14, v10, s34
	s_ashr_i32 s5, s8, 31
	s_mov_b32 s4, s8
	s_wait_alu 0xfffe
	s_and_not1_b32 s37, s37, 63
	v_cmp_gt_i64_e32 vcc_lo, s[4:5], v[0:1]
	v_lshl_add_u32 v0, v10, 11, v6
	v_add3_u32 v70, v7, s35, v9
	v_mad_co_u64_u32 v[6:7], null, s35, v11, v[9:10]
	v_cmp_gt_i32_e64 s3, s8, v8
	s_wait_alu 0xfffe
	s_sub_co_i32 s5, s9, s37
	v_mad_co_u64_u32 v[7:8], null, s35, v13, v[9:10]
	v_lshl_add_u32 v71, v12, 2, v9
	v_mad_co_u64_u32 v[8:9], null, s34, v68, s[34:35]
	v_mul_lo_u32 v72, s34, v11
	v_mul_lo_u32 v73, s34, v13
	s_wait_alu 0xfffe
	s_cmp_gt_i32 s5, 0
	v_cmp_gt_u32_e64 s5, 0x100, v5
	v_lshlrev_b64_e32 v[9:10], 3, v[2:3]
	v_cmp_gt_i32_e64 s0, s8, v67
	v_cmp_gt_i32_e64 s4, s37, v68
	v_ashrrev_i32_e32 v5, 31, v4
	v_lshlrev_b32_e32 v74, 2, v14
	s_cselect_b32 s38, -1, 0
	s_and_b32 s39, s5, vcc_lo
	s_lshl_b32 s40, s35, 6
	s_lshl_b32 s41, s34, 6
	s_lshl_b64 s[18:19], s[18:19], 3
	s_lshl_b64 s[30:31], s[30:31], 3
	;; [unrolled: 1-line block ×3, first 2 shown]
	s_branch .LBB254_4
.LBB254_2:                              ;   in Loop: Header=BB254_4 Depth=1
	s_wait_alu 0xfffe
	s_or_b32 exec_lo, exec_lo, s7
.LBB254_3:                              ;   in Loop: Header=BB254_4 Depth=1
	s_add_co_i32 s10, s10, 0x10000
	s_delay_alu instid0(SALU_CYCLE_1)
	s_cmp_lt_u32 s10, s33
	s_cbranch_scc0 .LBB254_55
.LBB254_4:                              ; =>This Loop Header: Depth=1
                                        ;     Child Loop BB254_21 Depth 2
	s_mul_u64 s[42:43], s[14:15], s[10:11]
	s_mul_u64 s[44:45], s[22:23], s[10:11]
	s_wait_alu 0xfffe
	s_lshl_b64 s[42:43], s[42:43], 3
	s_lshl_b64 s[44:45], s[44:45], 3
	s_wait_alu 0xfffe
	s_add_nc_u64 s[42:43], s[12:13], s[42:43]
	s_add_nc_u64 s[44:45], s[20:21], s[44:45]
	s_clause 0x1
	global_load_b64 v[13:14], v1, s[42:43]
	global_load_b64 v[11:12], v1, s[44:45]
	s_wait_loadcnt 0x1
	v_cmp_eq_f64_e64 s7, 0, v[13:14]
	s_wait_loadcnt 0x0
	v_cmp_eq_f64_e32 vcc_lo, 1.0, v[11:12]
	s_and_b32 s8, s7, vcc_lo
	s_wait_alu 0xfffe
	s_and_b32 vcc_lo, exec_lo, s8
	s_wait_alu 0xfffe
	s_cbranch_vccnz .LBB254_3
; %bb.5:                                ;   in Loop: Header=BB254_4 Depth=1
	v_cmp_neq_f64_e64 s8, 0, v[13:14]
	v_mov_b32_e32 v25, 0
	v_dual_mov_b32 v26, 0 :: v_dual_mov_b32 v17, 0
	v_mov_b32_e32 v18, 0
	s_and_b32 vcc_lo, exec_lo, s7
	s_wait_alu 0xfffe
	s_cbranch_vccnz .LBB254_7
; %bb.6:                                ;   in Loop: Header=BB254_4 Depth=1
	s_lshl_b64 s[42:43], s[10:11], 3
	s_wait_alu 0xfffe
	s_add_nc_u64 s[42:43], s[16:17], s[42:43]
	global_load_b64 v[15:16], v1, s[42:43]
	s_wait_loadcnt 0x0
	v_add_co_u32 v17, vcc_lo, v15, s18
	s_wait_alu 0xfffd
	v_add_co_ci_u32_e64 v18, null, s19, v16, vcc_lo
.LBB254_7:                              ;   in Loop: Header=BB254_4 Depth=1
	s_and_not1_b32 vcc_lo, exec_lo, s8
	s_wait_alu 0xfffe
	s_cbranch_vccnz .LBB254_9
; %bb.8:                                ;   in Loop: Header=BB254_4 Depth=1
	s_lshl_b64 s[42:43], s[10:11], 3
	s_wait_alu 0xfffe
	s_add_nc_u64 s[42:43], s[28:29], s[42:43]
	global_load_b64 v[15:16], v1, s[42:43]
	s_wait_loadcnt 0x0
	v_add_co_u32 v25, vcc_lo, v15, s30
	s_wait_alu 0xfffd
	v_add_co_ci_u32_e64 v26, null, s31, v16, vcc_lo
.LBB254_9:                              ;   in Loop: Header=BB254_4 Depth=1
	s_lshl_b64 s[42:43], s[10:11], 3
	s_wait_alu 0xfffe
	s_add_nc_u64 s[42:43], s[24:25], s[42:43]
	global_load_b64 v[15:16], v1, s[42:43]
	s_wait_loadcnt 0x0
	v_add_co_u32 v75, vcc_lo, v15, s26
	s_wait_alu 0xfffd
	v_add_co_ci_u32_e64 v76, null, s27, v16, vcc_lo
	s_and_not1_b32 vcc_lo, exec_lo, s7
	s_wait_alu 0xfffe
	s_cbranch_vccnz .LBB254_14
; %bb.10:                               ;   in Loop: Header=BB254_4 Depth=1
	s_mov_b32 s7, 0
	s_mov_b32 s8, 0
                                        ; implicit-def: $vgpr15_vgpr16
	s_and_saveexec_b32 s42, s39
	s_cbranch_execz .LBB254_26
; %bb.11:                               ;   in Loop: Header=BB254_4 Depth=1
	v_cmp_eq_f64_e32 vcc_lo, 0, v[11:12]
	v_mov_b32_e32 v15, 0
	v_mov_b32_e32 v16, 0
	s_cbranch_vccnz .LBB254_13
; %bb.12:                               ;   in Loop: Header=BB254_4 Depth=1
	v_add_co_u32 v15, vcc_lo, v75, v9
	s_wait_alu 0xfffd
	v_add_co_ci_u32_e64 v16, null, v76, v10, vcc_lo
	flat_load_b64 v[15:16], v[15:16]
	s_wait_loadcnt_dscnt 0x0
	v_mul_f64_e32 v[15:16], v[11:12], v[15:16]
.LBB254_13:                             ;   in Loop: Header=BB254_4 Depth=1
	s_mov_b32 s8, exec_lo
	s_wait_alu 0xfffe
	s_or_b32 exec_lo, exec_lo, s42
	s_delay_alu instid0(SALU_CYCLE_1)
	s_and_b32 vcc_lo, exec_lo, s7
	s_wait_alu 0xfffe
	s_cbranch_vccnz .LBB254_15
	s_branch .LBB254_27
.LBB254_14:                             ;   in Loop: Header=BB254_4 Depth=1
	s_mov_b32 s8, 0
                                        ; implicit-def: $vgpr15_vgpr16
	s_cbranch_execz .LBB254_27
.LBB254_15:                             ;   in Loop: Header=BB254_4 Depth=1
	v_mov_b32_e32 v15, 0
	v_dual_mov_b32 v21, 0 :: v_dual_mov_b32 v16, 0
	v_dual_mov_b32 v19, 0 :: v_dual_mov_b32 v22, 0
	;; [unrolled: 1-line block ×4, first 2 shown]
	s_and_saveexec_b32 s7, s4
	s_cbranch_execz .LBB254_29
; %bb.16:                               ;   in Loop: Header=BB254_4 Depth=1
	v_mov_b32_e32 v19, 0
	v_dual_mov_b32 v15, 0 :: v_dual_mov_b32 v78, v71
	v_dual_mov_b32 v20, 0 :: v_dual_mov_b32 v21, 0
	;; [unrolled: 1-line block ×6, first 2 shown]
	s_mov_b32 s42, 0
	s_mov_b32 s43, 0
	s_branch .LBB254_21
.LBB254_17:                             ;   in Loop: Header=BB254_21 Depth=2
	s_or_b32 exec_lo, exec_lo, s47
	s_wait_loadcnt_dscnt 0x303
	v_fma_f64 v[21:22], v[27:28], v[59:60], v[21:22]
	s_wait_loadcnt_dscnt 0x202
	s_delay_alu instid0(VALU_DEP_1) | instskip(SKIP_1) | instid1(VALU_DEP_1)
	v_fma_f64 v[21:22], v[29:30], v[61:62], v[21:22]
	s_wait_loadcnt_dscnt 0x101
	v_fma_f64 v[21:22], v[31:32], v[63:64], v[21:22]
	s_wait_loadcnt_dscnt 0x0
	s_delay_alu instid0(VALU_DEP_1)
	v_fma_f64 v[21:22], v[33:34], v[65:66], v[21:22]
.LBB254_18:                             ;   in Loop: Header=BB254_21 Depth=2
	s_or_b32 exec_lo, exec_lo, s46
	s_wait_loadcnt_dscnt 0x303
	v_fma_f64 v[19:20], v[27:28], v[51:52], v[19:20]
	s_wait_loadcnt_dscnt 0x202
	s_delay_alu instid0(VALU_DEP_1) | instskip(SKIP_1) | instid1(VALU_DEP_1)
	v_fma_f64 v[19:20], v[29:30], v[53:54], v[19:20]
	s_wait_loadcnt_dscnt 0x101
	v_fma_f64 v[19:20], v[31:32], v[55:56], v[19:20]
	s_wait_loadcnt_dscnt 0x0
	s_delay_alu instid0(VALU_DEP_1)
	v_fma_f64 v[19:20], v[33:34], v[57:58], v[19:20]
.LBB254_19:                             ;   in Loop: Header=BB254_21 Depth=2
	s_or_b32 exec_lo, exec_lo, s45
	s_wait_loadcnt_dscnt 0x303
	v_fma_f64 v[15:16], v[27:28], v[35:36], v[15:16]
	s_wait_loadcnt_dscnt 0x202
	s_delay_alu instid0(VALU_DEP_1) | instskip(SKIP_1) | instid1(VALU_DEP_1)
	v_fma_f64 v[15:16], v[29:30], v[37:38], v[15:16]
	s_wait_loadcnt_dscnt 0x101
	v_fma_f64 v[15:16], v[31:32], v[39:40], v[15:16]
	s_wait_loadcnt_dscnt 0x0
	s_delay_alu instid0(VALU_DEP_1)
	v_fma_f64 v[15:16], v[33:34], v[41:42], v[15:16]
.LBB254_20:                             ;   in Loop: Header=BB254_21 Depth=2
	s_or_b32 exec_lo, exec_lo, s44
	v_add_nc_u32_e32 v77, 64, v77
	v_add_nc_u32_e32 v81, s40, v81
	;; [unrolled: 1-line block ×5, first 2 shown]
	v_cmp_le_i32_e32 vcc_lo, s37, v77
	s_wait_alu 0xfffe
	s_add_co_i32 s43, s43, s41
	s_or_b32 s42, vcc_lo, s42
	s_wait_alu 0xfffe
	s_and_not1_b32 exec_lo, exec_lo, s42
	s_cbranch_execz .LBB254_28
.LBB254_21:                             ;   Parent Loop BB254_4 Depth=1
                                        ; =>  This Inner Loop Header: Depth=2
	s_and_saveexec_b32 s44, s0
	s_cbranch_execz .LBB254_20
; %bb.22:                               ;   in Loop: Header=BB254_21 Depth=2
	s_wait_alu 0xfffe
	v_add_nc_u32_e32 v27, s43, v74
	v_add_nc_u32_e32 v29, s43, v8
	;; [unrolled: 1-line block ×5, first 2 shown]
	v_ashrrev_i32_e32 v28, 31, v27
	v_ashrrev_i32_e32 v30, 31, v29
	;; [unrolled: 1-line block ×3, first 2 shown]
	v_add_nc_u32_e32 v37, s36, v81
	v_ashrrev_i32_e32 v34, 31, v33
	v_lshlrev_b64_e32 v[27:28], 3, v[27:28]
	v_lshlrev_b64_e32 v[29:30], 3, v[29:30]
	v_ashrrev_i32_e32 v36, 31, v35
	v_lshlrev_b64_e32 v[31:32], 3, v[31:32]
	v_ashrrev_i32_e32 v38, 31, v37
	v_lshlrev_b64_e32 v[33:34], 3, v[33:34]
	v_add_co_u32 v27, vcc_lo, v25, v27
	v_add_nc_u32_e32 v39, s36, v80
	s_wait_alu 0xfffd
	v_add_co_ci_u32_e64 v28, null, v26, v28, vcc_lo
	v_add_co_u32 v29, vcc_lo, v25, v29
	v_lshlrev_b64_e32 v[35:36], 3, v[35:36]
	v_add_nc_u32_e32 v41, s36, v79
	s_wait_alu 0xfffd
	v_add_co_ci_u32_e64 v30, null, v26, v30, vcc_lo
	v_add_co_u32 v31, vcc_lo, v25, v31
	v_lshlrev_b64_e32 v[37:38], 3, v[37:38]
	v_ashrrev_i32_e32 v40, 31, v39
	s_wait_alu 0xfffd
	v_add_co_ci_u32_e64 v32, null, v26, v32, vcc_lo
	v_add_co_u32 v33, vcc_lo, v25, v33
	v_ashrrev_i32_e32 v42, 31, v41
	s_wait_alu 0xfffd
	v_add_co_ci_u32_e64 v34, null, v26, v34, vcc_lo
	v_add_co_u32 v43, vcc_lo, v17, v35
	s_wait_alu 0xfffd
	v_add_co_ci_u32_e64 v44, null, v18, v36, vcc_lo
	v_lshlrev_b64_e32 v[35:36], 3, v[39:40]
	v_add_co_u32 v45, vcc_lo, v17, v37
	s_wait_alu 0xfffd
	v_add_co_ci_u32_e64 v46, null, v18, v38, vcc_lo
	v_lshlrev_b64_e32 v[37:38], 3, v[41:42]
	s_delay_alu instid0(VALU_DEP_4) | instskip(SKIP_2) | instid1(VALU_DEP_3)
	v_add_co_u32 v47, vcc_lo, v17, v35
	s_wait_alu 0xfffd
	v_add_co_ci_u32_e64 v48, null, v18, v36, vcc_lo
	v_add_co_u32 v49, vcc_lo, v17, v37
	s_wait_alu 0xfffd
	v_add_co_ci_u32_e64 v50, null, v18, v38, vcc_lo
	s_clause 0x3
	flat_load_b64 v[27:28], v[27:28]
	flat_load_b64 v[29:30], v[29:30]
	;; [unrolled: 1-line block ×4, first 2 shown]
	s_clause 0x3
	flat_load_b64 v[35:36], v[43:44]
	flat_load_b64 v[37:38], v[45:46]
	;; [unrolled: 1-line block ×4, first 2 shown]
	s_and_saveexec_b32 s45, s1
	s_cbranch_execz .LBB254_19
; %bb.23:                               ;   in Loop: Header=BB254_21 Depth=2
	s_clause 0x3
	flat_load_b64 v[51:52], v[43:44] offset:512
	flat_load_b64 v[53:54], v[45:46] offset:512
	flat_load_b64 v[55:56], v[47:48] offset:512
	flat_load_b64 v[57:58], v[49:50] offset:512
	s_and_saveexec_b32 s46, s2
	s_cbranch_execz .LBB254_18
; %bb.24:                               ;   in Loop: Header=BB254_21 Depth=2
	s_clause 0x3
	flat_load_b64 v[59:60], v[43:44] offset:1024
	flat_load_b64 v[61:62], v[45:46] offset:1024
	flat_load_b64 v[63:64], v[47:48] offset:1024
	flat_load_b64 v[65:66], v[49:50] offset:1024
	;; [unrolled: 8-line block ×3, first 2 shown]
	s_wait_loadcnt_dscnt 0x303
	v_fma_f64 v[23:24], v[27:28], v[43:44], v[23:24]
	s_wait_loadcnt_dscnt 0x202
	s_delay_alu instid0(VALU_DEP_1) | instskip(SKIP_1) | instid1(VALU_DEP_1)
	v_fma_f64 v[23:24], v[29:30], v[45:46], v[23:24]
	s_wait_loadcnt_dscnt 0x101
	v_fma_f64 v[23:24], v[31:32], v[47:48], v[23:24]
	s_wait_loadcnt_dscnt 0x0
	s_delay_alu instid0(VALU_DEP_1)
	v_fma_f64 v[23:24], v[33:34], v[49:50], v[23:24]
	s_branch .LBB254_17
.LBB254_26:                             ;   in Loop: Header=BB254_4 Depth=1
	s_wait_alu 0xfffe
	s_or_b32 exec_lo, exec_lo, s42
	s_delay_alu instid0(SALU_CYCLE_1)
	s_and_b32 vcc_lo, exec_lo, s7
	s_wait_alu 0xfffe
	s_cbranch_vccnz .LBB254_15
.LBB254_27:                             ;   in Loop: Header=BB254_4 Depth=1
	v_dual_mov_b32 v12, v3 :: v_dual_mov_b32 v11, v2
	s_wait_alu 0xfffe
	s_and_saveexec_b32 s7, s8
	s_cbranch_execz .LBB254_2
	s_branch .LBB254_54
.LBB254_28:                             ;   in Loop: Header=BB254_4 Depth=1
	s_or_b32 exec_lo, exec_lo, s42
.LBB254_29:                             ;   in Loop: Header=BB254_4 Depth=1
	s_wait_alu 0xfffe
	s_or_b32 exec_lo, exec_lo, s7
	s_delay_alu instid0(SALU_CYCLE_1)
	s_and_not1_b32 vcc_lo, exec_lo, s38
	s_wait_alu 0xfffe
	s_cbranch_vccnz .LBB254_47
; %bb.30:                               ;   in Loop: Header=BB254_4 Depth=1
	v_mov_b32_e32 v33, 0
	v_dual_mov_b32 v29, 0 :: v_dual_mov_b32 v34, 0
	v_dual_mov_b32 v31, 0 :: v_dual_mov_b32 v30, 0
	v_mov_b32_e32 v27, 0
	v_cmp_gt_i32_e32 vcc_lo, s9, v77
	v_mov_b32_e32 v32, 0
	v_mov_b32_e32 v28, 0
	v_or_b32_e32 v35, 1, v77
	s_and_saveexec_b32 s42, vcc_lo
	s_cbranch_execz .LBB254_38
; %bb.31:                               ;   in Loop: Header=BB254_4 Depth=1
	v_mul_lo_u32 v27, v77, s34
	v_mov_b32_e32 v29, 0
	v_dual_mov_b32 v30, 0 :: v_dual_mov_b32 v31, 0
	v_dual_mov_b32 v33, 0 :: v_dual_mov_b32 v32, 0
	v_mov_b32_e32 v34, 0
	s_mov_b32 s43, exec_lo
	v_ashrrev_i32_e32 v28, 31, v27
	s_delay_alu instid0(VALU_DEP_1) | instskip(NEXT) | instid1(VALU_DEP_1)
	v_lshlrev_b64_e32 v[27:28], 3, v[27:28]
	v_add_co_u32 v27, s7, v25, v27
	s_wait_alu 0xf1ff
	s_delay_alu instid0(VALU_DEP_2)
	v_add_co_ci_u32_e64 v28, null, v26, v28, s7
	flat_load_b64 v[27:28], v[27:28]
	v_cmpx_gt_i32_e64 s9, v35
	s_cbranch_execz .LBB254_37
; %bb.32:                               ;   in Loop: Header=BB254_4 Depth=1
	v_mul_lo_u32 v29, v35, s34
	v_mov_b32_e32 v31, 0
	v_dual_mov_b32 v32, 0 :: v_dual_mov_b32 v33, 0
	v_or_b32_e32 v36, 2, v77
	v_mov_b32_e32 v34, 0
	s_mov_b32 s44, exec_lo
	v_ashrrev_i32_e32 v30, 31, v29
	s_delay_alu instid0(VALU_DEP_1) | instskip(NEXT) | instid1(VALU_DEP_1)
	v_lshlrev_b64_e32 v[29:30], 3, v[29:30]
	v_add_co_u32 v29, s7, v25, v29
	s_wait_alu 0xf1ff
	s_delay_alu instid0(VALU_DEP_2)
	v_add_co_ci_u32_e64 v30, null, v26, v30, s7
	flat_load_b64 v[29:30], v[29:30]
	v_cmpx_gt_i32_e64 s9, v36
	s_cbranch_execz .LBB254_36
; %bb.33:                               ;   in Loop: Header=BB254_4 Depth=1
	v_mul_lo_u32 v31, v36, s34
	v_mov_b32_e32 v33, 0
	v_or_b32_e32 v36, 3, v77
	v_mov_b32_e32 v34, 0
	s_mov_b32 s45, exec_lo
	s_delay_alu instid0(VALU_DEP_4) | instskip(NEXT) | instid1(VALU_DEP_1)
	v_ashrrev_i32_e32 v32, 31, v31
	v_lshlrev_b64_e32 v[31:32], 3, v[31:32]
	s_delay_alu instid0(VALU_DEP_1) | instskip(SKIP_1) | instid1(VALU_DEP_2)
	v_add_co_u32 v31, s7, v25, v31
	s_wait_alu 0xf1ff
	v_add_co_ci_u32_e64 v32, null, v26, v32, s7
	flat_load_b64 v[31:32], v[31:32]
	v_cmpx_gt_i32_e64 s9, v36
	s_cbranch_execz .LBB254_35
; %bb.34:                               ;   in Loop: Header=BB254_4 Depth=1
	v_mul_lo_u32 v33, v36, s34
	s_delay_alu instid0(VALU_DEP_1) | instskip(NEXT) | instid1(VALU_DEP_1)
	v_ashrrev_i32_e32 v34, 31, v33
	v_lshlrev_b64_e32 v[33:34], 3, v[33:34]
	s_delay_alu instid0(VALU_DEP_1) | instskip(SKIP_1) | instid1(VALU_DEP_2)
	v_add_co_u32 v25, s7, v25, v33
	s_wait_alu 0xf1ff
	v_add_co_ci_u32_e64 v26, null, v26, v34, s7
	flat_load_b64 v[33:34], v[25:26]
.LBB254_35:                             ;   in Loop: Header=BB254_4 Depth=1
	s_or_b32 exec_lo, exec_lo, s45
.LBB254_36:                             ;   in Loop: Header=BB254_4 Depth=1
	s_delay_alu instid0(SALU_CYCLE_1)
	s_or_b32 exec_lo, exec_lo, s44
.LBB254_37:                             ;   in Loop: Header=BB254_4 Depth=1
	s_wait_alu 0xfffe
	s_or_b32 exec_lo, exec_lo, s43
.LBB254_38:                             ;   in Loop: Header=BB254_4 Depth=1
	s_wait_alu 0xfffe
	s_or_b32 exec_lo, exec_lo, s42
	s_and_saveexec_b32 s7, s0
	s_cbranch_execz .LBB254_46
; %bb.39:                               ;   in Loop: Header=BB254_4 Depth=1
	v_mul_lo_u32 v26, v77, s35
	v_or_b32_e32 v25, 2, v77
	v_mul_lo_u32 v37, v35, s35
	v_or_b32_e32 v36, 3, v77
	s_delay_alu instid0(VALU_DEP_3) | instskip(NEXT) | instid1(VALU_DEP_2)
	v_mul_lo_u32 v38, v25, s35
	v_mul_lo_u32 v39, v36, s35
	v_cndmask_b32_e32 v26, 0, v26, vcc_lo
	v_cmp_gt_i32_e32 vcc_lo, s9, v35
	s_wait_alu 0xfffd
	v_cndmask_b32_e32 v35, 0, v37, vcc_lo
	v_cmp_gt_i32_e32 vcc_lo, s9, v25
	v_add_nc_u32_e32 v25, v26, v67
	s_delay_alu instid0(VALU_DEP_3)
	v_add_nc_u32_e32 v35, v35, v67
	s_wait_alu 0xfffd
	v_cndmask_b32_e32 v37, 0, v38, vcc_lo
	v_cmp_gt_i32_e32 vcc_lo, s9, v36
	v_ashrrev_i32_e32 v26, 31, v25
	s_wait_alu 0xfffd
	v_cndmask_b32_e32 v36, 0, v39, vcc_lo
	v_add_nc_u32_e32 v37, v37, v67
	s_delay_alu instid0(VALU_DEP_3) | instskip(NEXT) | instid1(VALU_DEP_3)
	v_lshlrev_b64_e32 v[25:26], 3, v[25:26]
	v_add_nc_u32_e32 v39, v36, v67
	v_ashrrev_i32_e32 v36, 31, v35
	s_delay_alu instid0(VALU_DEP_4) | instskip(NEXT) | instid1(VALU_DEP_4)
	v_ashrrev_i32_e32 v38, 31, v37
	v_add_co_u32 v47, vcc_lo, v17, v25
	s_delay_alu instid0(VALU_DEP_4) | instskip(NEXT) | instid1(VALU_DEP_4)
	v_ashrrev_i32_e32 v40, 31, v39
	v_lshlrev_b64_e32 v[35:36], 3, v[35:36]
	s_delay_alu instid0(VALU_DEP_4) | instskip(SKIP_3) | instid1(VALU_DEP_4)
	v_lshlrev_b64_e32 v[37:38], 3, v[37:38]
	s_wait_alu 0xfffd
	v_add_co_ci_u32_e64 v48, null, v18, v26, vcc_lo
	v_lshlrev_b64_e32 v[39:40], 3, v[39:40]
	v_add_co_u32 v49, vcc_lo, v17, v35
	s_wait_alu 0xfffd
	v_add_co_ci_u32_e64 v50, null, v18, v36, vcc_lo
	v_add_co_u32 v51, vcc_lo, v17, v37
	s_wait_alu 0xfffd
	v_add_co_ci_u32_e64 v52, null, v18, v38, vcc_lo
	;; [unrolled: 3-line block ×3, first 2 shown]
	s_clause 0x3
	flat_load_b64 v[17:18], v[47:48]
	flat_load_b64 v[25:26], v[49:50]
	;; [unrolled: 1-line block ×4, first 2 shown]
	s_and_saveexec_b32 s42, s1
	s_cbranch_execz .LBB254_45
; %bb.40:                               ;   in Loop: Header=BB254_4 Depth=1
	s_clause 0x3
	flat_load_b64 v[39:40], v[47:48] offset:512
	flat_load_b64 v[41:42], v[49:50] offset:512
	flat_load_b64 v[43:44], v[51:52] offset:512
	flat_load_b64 v[45:46], v[53:54] offset:512
	s_and_saveexec_b32 s43, s2
	s_cbranch_execz .LBB254_44
; %bb.41:                               ;   in Loop: Header=BB254_4 Depth=1
	s_clause 0x3
	flat_load_b64 v[55:56], v[47:48] offset:1024
	flat_load_b64 v[57:58], v[49:50] offset:1024
	flat_load_b64 v[59:60], v[51:52] offset:1024
	flat_load_b64 v[61:62], v[53:54] offset:1024
	;; [unrolled: 8-line block ×3, first 2 shown]
	s_wait_loadcnt_dscnt 0x303
	v_fma_f64 v[23:24], v[27:28], v[47:48], v[23:24]
	s_wait_loadcnt_dscnt 0x202
	s_delay_alu instid0(VALU_DEP_1) | instskip(SKIP_1) | instid1(VALU_DEP_1)
	v_fma_f64 v[23:24], v[29:30], v[49:50], v[23:24]
	s_wait_loadcnt_dscnt 0x101
	v_fma_f64 v[23:24], v[31:32], v[51:52], v[23:24]
	s_wait_loadcnt_dscnt 0x0
	s_delay_alu instid0(VALU_DEP_1)
	v_fma_f64 v[23:24], v[33:34], v[53:54], v[23:24]
.LBB254_43:                             ;   in Loop: Header=BB254_4 Depth=1
	s_or_b32 exec_lo, exec_lo, s44
	s_wait_loadcnt_dscnt 0x303
	v_fma_f64 v[21:22], v[27:28], v[55:56], v[21:22]
	s_wait_loadcnt_dscnt 0x202
	s_delay_alu instid0(VALU_DEP_1) | instskip(SKIP_1) | instid1(VALU_DEP_1)
	v_fma_f64 v[21:22], v[29:30], v[57:58], v[21:22]
	s_wait_loadcnt_dscnt 0x101
	v_fma_f64 v[21:22], v[31:32], v[59:60], v[21:22]
	s_wait_loadcnt_dscnt 0x0
	s_delay_alu instid0(VALU_DEP_1)
	v_fma_f64 v[21:22], v[33:34], v[61:62], v[21:22]
.LBB254_44:                             ;   in Loop: Header=BB254_4 Depth=1
	s_wait_alu 0xfffe
	s_or_b32 exec_lo, exec_lo, s43
	s_wait_loadcnt_dscnt 0x303
	v_fma_f64 v[19:20], v[27:28], v[39:40], v[19:20]
	s_wait_loadcnt_dscnt 0x202
	s_delay_alu instid0(VALU_DEP_1) | instskip(SKIP_1) | instid1(VALU_DEP_1)
	v_fma_f64 v[19:20], v[29:30], v[41:42], v[19:20]
	s_wait_loadcnt_dscnt 0x101
	v_fma_f64 v[19:20], v[31:32], v[43:44], v[19:20]
	s_wait_loadcnt_dscnt 0x0
	s_delay_alu instid0(VALU_DEP_1)
	v_fma_f64 v[19:20], v[33:34], v[45:46], v[19:20]
.LBB254_45:                             ;   in Loop: Header=BB254_4 Depth=1
	s_wait_alu 0xfffe
	s_or_b32 exec_lo, exec_lo, s42
	s_wait_loadcnt_dscnt 0x303
	v_fma_f64 v[15:16], v[27:28], v[17:18], v[15:16]
	s_wait_loadcnt_dscnt 0x202
	s_delay_alu instid0(VALU_DEP_1) | instskip(SKIP_1) | instid1(VALU_DEP_1)
	v_fma_f64 v[15:16], v[29:30], v[25:26], v[15:16]
	s_wait_loadcnt_dscnt 0x101
	v_fma_f64 v[15:16], v[31:32], v[35:36], v[15:16]
	s_wait_loadcnt_dscnt 0x0
	s_delay_alu instid0(VALU_DEP_1)
	v_fma_f64 v[15:16], v[33:34], v[37:38], v[15:16]
.LBB254_46:                             ;   in Loop: Header=BB254_4 Depth=1
	s_wait_alu 0xfffe
	s_or_b32 exec_lo, exec_lo, s7
.LBB254_47:                             ;   in Loop: Header=BB254_4 Depth=1
	ds_store_2addr_stride64_b64 v0, v[15:16], v[19:20] offset1:1
	ds_store_2addr_stride64_b64 v0, v[21:22], v[23:24] offset0:2 offset1:3
	s_wait_loadcnt_dscnt 0x0
	s_barrier_signal -1
	s_barrier_wait -1
	global_inv scope:SCOPE_SE
                                        ; implicit-def: $vgpr15_vgpr16
	s_and_saveexec_b32 s7, s5
	s_cbranch_execz .LBB254_53
; %bb.48:                               ;   in Loop: Header=BB254_4 Depth=1
	ds_load_2addr_stride64_b64 v[15:18], v69 offset1:4
	s_mov_b32 s43, s8
	s_wait_dscnt 0x0
	v_add_f64_e32 v[19:20], v[15:16], v[17:18]
	ds_load_2addr_stride64_b64 v[15:18], v69 offset0:8 offset1:12
	s_wait_dscnt 0x0
	v_add_f64_e32 v[15:16], v[15:16], v[19:20]
	s_delay_alu instid0(VALU_DEP_1) | instskip(SKIP_3) | instid1(VALU_DEP_1)
	v_add_f64_e32 v[19:20], v[17:18], v[15:16]
	ds_load_2addr_stride64_b64 v[15:18], v69 offset0:16 offset1:20
	s_wait_dscnt 0x0
	v_add_f64_e32 v[15:16], v[15:16], v[19:20]
	v_add_f64_e32 v[19:20], v[17:18], v[15:16]
	ds_load_2addr_stride64_b64 v[15:18], v69 offset0:24 offset1:28
	s_wait_dscnt 0x0
	v_add_f64_e32 v[15:16], v[15:16], v[19:20]
	s_delay_alu instid0(VALU_DEP_1) | instskip(SKIP_3) | instid1(VALU_DEP_1)
	v_add_f64_e32 v[19:20], v[17:18], v[15:16]
	ds_load_2addr_stride64_b64 v[15:18], v69 offset0:32 offset1:36
	s_wait_dscnt 0x0
	v_add_f64_e32 v[15:16], v[15:16], v[19:20]
	;; [unrolled: 9-line block ×3, first 2 shown]
	v_add_f64_e32 v[19:20], v[17:18], v[15:16]
	ds_load_2addr_stride64_b64 v[15:18], v69 offset0:56 offset1:60
	s_wait_dscnt 0x0
	v_add_f64_e32 v[15:16], v[15:16], v[19:20]
	s_delay_alu instid0(VALU_DEP_1)
	v_add_f64_e32 v[17:18], v[17:18], v[15:16]
                                        ; implicit-def: $vgpr15_vgpr16
	ds_store_b64 v69, v[17:18]
	s_and_saveexec_b32 s42, s6
	s_cbranch_execz .LBB254_52
; %bb.49:                               ;   in Loop: Header=BB254_4 Depth=1
	v_cmp_eq_f64_e32 vcc_lo, 0, v[11:12]
	v_mul_f64_e32 v[15:16], v[13:14], v[17:18]
	s_cbranch_vccnz .LBB254_51
; %bb.50:                               ;   in Loop: Header=BB254_4 Depth=1
	v_lshlrev_b64_e32 v[13:14], 3, v[4:5]
	s_delay_alu instid0(VALU_DEP_1) | instskip(SKIP_1) | instid1(VALU_DEP_2)
	v_add_co_u32 v13, vcc_lo, v75, v13
	s_wait_alu 0xfffd
	v_add_co_ci_u32_e64 v14, null, v76, v14, vcc_lo
	flat_load_b64 v[13:14], v[13:14]
	s_wait_loadcnt_dscnt 0x0
	v_fma_f64 v[15:16], v[11:12], v[13:14], v[15:16]
.LBB254_51:                             ;   in Loop: Header=BB254_4 Depth=1
	s_or_b32 s43, s8, exec_lo
.LBB254_52:                             ;   in Loop: Header=BB254_4 Depth=1
	s_wait_alu 0xfffe
	s_or_b32 exec_lo, exec_lo, s42
	s_delay_alu instid0(SALU_CYCLE_1)
	s_and_not1_b32 s8, s8, exec_lo
	s_and_b32 s42, s43, exec_lo
	s_wait_alu 0xfffe
	s_or_b32 s8, s8, s42
.LBB254_53:                             ;   in Loop: Header=BB254_4 Depth=1
	s_wait_alu 0xfffe
	s_or_b32 exec_lo, exec_lo, s7
	v_dual_mov_b32 v12, v5 :: v_dual_mov_b32 v11, v4
	s_and_saveexec_b32 s7, s8
	s_cbranch_execz .LBB254_2
.LBB254_54:                             ;   in Loop: Header=BB254_4 Depth=1
	s_delay_alu instid0(VALU_DEP_1) | instskip(NEXT) | instid1(VALU_DEP_1)
	v_lshlrev_b64_e32 v[11:12], 3, v[11:12]
	v_add_co_u32 v11, vcc_lo, v75, v11
	s_wait_alu 0xfffd
	s_delay_alu instid0(VALU_DEP_2)
	v_add_co_ci_u32_e64 v12, null, v76, v12, vcc_lo
	flat_store_b64 v[11:12], v[15:16]
	s_branch .LBB254_2
.LBB254_55:
	s_endpgm
	.section	.rodata,"a",@progbits
	.p2align	6, 0x0
	.amdhsa_kernel _ZL20rocblas_gemvn_kernelILi64ELi16EiPKdS1_KPdEviiT3_lPKT2_lT1_lS7_lS8_lS4_lPT4_lS8_li
		.amdhsa_group_segment_fixed_size 32768
		.amdhsa_private_segment_fixed_size 0
		.amdhsa_kernarg_size 400
		.amdhsa_user_sgpr_count 2
		.amdhsa_user_sgpr_dispatch_ptr 0
		.amdhsa_user_sgpr_queue_ptr 0
		.amdhsa_user_sgpr_kernarg_segment_ptr 1
		.amdhsa_user_sgpr_dispatch_id 0
		.amdhsa_user_sgpr_private_segment_size 0
		.amdhsa_wavefront_size32 1
		.amdhsa_uses_dynamic_stack 0
		.amdhsa_enable_private_segment 0
		.amdhsa_system_sgpr_workgroup_id_x 1
		.amdhsa_system_sgpr_workgroup_id_y 0
		.amdhsa_system_sgpr_workgroup_id_z 1
		.amdhsa_system_sgpr_workgroup_info 0
		.amdhsa_system_vgpr_workitem_id 1
		.amdhsa_next_free_vgpr 82
		.amdhsa_next_free_sgpr 48
		.amdhsa_reserve_vcc 1
		.amdhsa_float_round_mode_32 0
		.amdhsa_float_round_mode_16_64 0
		.amdhsa_float_denorm_mode_32 3
		.amdhsa_float_denorm_mode_16_64 3
		.amdhsa_fp16_overflow 0
		.amdhsa_workgroup_processor_mode 1
		.amdhsa_memory_ordered 1
		.amdhsa_forward_progress 1
		.amdhsa_inst_pref_size 28
		.amdhsa_round_robin_scheduling 0
		.amdhsa_exception_fp_ieee_invalid_op 0
		.amdhsa_exception_fp_denorm_src 0
		.amdhsa_exception_fp_ieee_div_zero 0
		.amdhsa_exception_fp_ieee_overflow 0
		.amdhsa_exception_fp_ieee_underflow 0
		.amdhsa_exception_fp_ieee_inexact 0
		.amdhsa_exception_int_div_zero 0
	.end_amdhsa_kernel
	.section	.text._ZL20rocblas_gemvn_kernelILi64ELi16EiPKdS1_KPdEviiT3_lPKT2_lT1_lS7_lS8_lS4_lPT4_lS8_li,"axG",@progbits,_ZL20rocblas_gemvn_kernelILi64ELi16EiPKdS1_KPdEviiT3_lPKT2_lT1_lS7_lS8_lS4_lPT4_lS8_li,comdat
.Lfunc_end254:
	.size	_ZL20rocblas_gemvn_kernelILi64ELi16EiPKdS1_KPdEviiT3_lPKT2_lT1_lS7_lS8_lS4_lPT4_lS8_li, .Lfunc_end254-_ZL20rocblas_gemvn_kernelILi64ELi16EiPKdS1_KPdEviiT3_lPKT2_lT1_lS7_lS8_lS4_lPT4_lS8_li
                                        ; -- End function
	.set _ZL20rocblas_gemvn_kernelILi64ELi16EiPKdS1_KPdEviiT3_lPKT2_lT1_lS7_lS8_lS4_lPT4_lS8_li.num_vgpr, 82
	.set _ZL20rocblas_gemvn_kernelILi64ELi16EiPKdS1_KPdEviiT3_lPKT2_lT1_lS7_lS8_lS4_lPT4_lS8_li.num_agpr, 0
	.set _ZL20rocblas_gemvn_kernelILi64ELi16EiPKdS1_KPdEviiT3_lPKT2_lT1_lS7_lS8_lS4_lPT4_lS8_li.numbered_sgpr, 48
	.set _ZL20rocblas_gemvn_kernelILi64ELi16EiPKdS1_KPdEviiT3_lPKT2_lT1_lS7_lS8_lS4_lPT4_lS8_li.num_named_barrier, 0
	.set _ZL20rocblas_gemvn_kernelILi64ELi16EiPKdS1_KPdEviiT3_lPKT2_lT1_lS7_lS8_lS4_lPT4_lS8_li.private_seg_size, 0
	.set _ZL20rocblas_gemvn_kernelILi64ELi16EiPKdS1_KPdEviiT3_lPKT2_lT1_lS7_lS8_lS4_lPT4_lS8_li.uses_vcc, 1
	.set _ZL20rocblas_gemvn_kernelILi64ELi16EiPKdS1_KPdEviiT3_lPKT2_lT1_lS7_lS8_lS4_lPT4_lS8_li.uses_flat_scratch, 1
	.set _ZL20rocblas_gemvn_kernelILi64ELi16EiPKdS1_KPdEviiT3_lPKT2_lT1_lS7_lS8_lS4_lPT4_lS8_li.has_dyn_sized_stack, 0
	.set _ZL20rocblas_gemvn_kernelILi64ELi16EiPKdS1_KPdEviiT3_lPKT2_lT1_lS7_lS8_lS4_lPT4_lS8_li.has_recursion, 0
	.set _ZL20rocblas_gemvn_kernelILi64ELi16EiPKdS1_KPdEviiT3_lPKT2_lT1_lS7_lS8_lS4_lPT4_lS8_li.has_indirect_call, 0
	.section	.AMDGPU.csdata,"",@progbits
; Kernel info:
; codeLenInByte = 3548
; TotalNumSgprs: 50
; NumVgprs: 82
; ScratchSize: 0
; MemoryBound: 0
; FloatMode: 240
; IeeeMode: 1
; LDSByteSize: 32768 bytes/workgroup (compile time only)
; SGPRBlocks: 0
; VGPRBlocks: 10
; NumSGPRsForWavesPerEU: 50
; NumVGPRsForWavesPerEU: 82
; Occupancy: 16
; WaveLimiterHint : 1
; COMPUTE_PGM_RSRC2:SCRATCH_EN: 0
; COMPUTE_PGM_RSRC2:USER_SGPR: 2
; COMPUTE_PGM_RSRC2:TRAP_HANDLER: 0
; COMPUTE_PGM_RSRC2:TGID_X_EN: 1
; COMPUTE_PGM_RSRC2:TGID_Y_EN: 0
; COMPUTE_PGM_RSRC2:TGID_Z_EN: 1
; COMPUTE_PGM_RSRC2:TIDIG_COMP_CNT: 1
	.section	.text._ZL20rocblas_gemvn_kernelILi64ELi16ElPKdS1_KPdEviiT3_lPKT2_lT1_lS7_lS8_lS4_lPT4_lS8_li,"axG",@progbits,_ZL20rocblas_gemvn_kernelILi64ELi16ElPKdS1_KPdEviiT3_lPKT2_lT1_lS7_lS8_lS4_lPT4_lS8_li,comdat
	.globl	_ZL20rocblas_gemvn_kernelILi64ELi16ElPKdS1_KPdEviiT3_lPKT2_lT1_lS7_lS8_lS4_lPT4_lS8_li ; -- Begin function _ZL20rocblas_gemvn_kernelILi64ELi16ElPKdS1_KPdEviiT3_lPKT2_lT1_lS7_lS8_lS4_lPT4_lS8_li
	.p2align	8
	.type	_ZL20rocblas_gemvn_kernelILi64ELi16ElPKdS1_KPdEviiT3_lPKT2_lT1_lS7_lS8_lS4_lPT4_lS8_li,@function
_ZL20rocblas_gemvn_kernelILi64ELi16ElPKdS1_KPdEviiT3_lPKT2_lT1_lS7_lS8_lS4_lPT4_lS8_li: ; @_ZL20rocblas_gemvn_kernelILi64ELi16ElPKdS1_KPdEviiT3_lPKT2_lT1_lS7_lS8_lS4_lPT4_lS8_li
; %bb.0:
	s_clause 0x1
	s_load_b64 s[2:3], s[0:1], 0x9c
	s_load_b32 s33, s[0:1], 0x88
	s_lshr_b32 s10, ttmp7, 16
	s_wait_kmcnt 0x0
	s_lshr_b32 s4, s2, 16
	s_and_b32 s2, s2, 0xffff
	s_and_b32 s3, s3, 0xffff
	s_mul_i32 s2, s4, s2
	s_delay_alu instid0(SALU_CYCLE_1) | instskip(NEXT) | instid1(SALU_CYCLE_1)
	s_mul_i32 s2, s2, s3
	s_cmp_lg_u32 s2, 0x400
	s_cselect_b32 s2, -1, 0
	s_cmp_ge_u32 s10, s33
	s_cselect_b32 s3, -1, 0
	s_delay_alu instid0(SALU_CYCLE_1) | instskip(NEXT) | instid1(SALU_CYCLE_1)
	s_or_b32 s2, s2, s3
	s_and_b32 vcc_lo, exec_lo, s2
	s_cbranch_vccnz .LBB255_55
; %bb.1:
	s_clause 0x6
	s_load_b64 s[38:39], s[0:1], 0x78
	s_load_b64 s[8:9], s[0:1], 0x0
	s_load_b256 s[12:19], s[0:1], 0x8
	s_load_b64 s[34:35], s[0:1], 0x28
	s_load_b128 s[28:31], s[0:1], 0x38
	s_load_b64 s[36:37], s[0:1], 0x48
	s_load_b256 s[20:27], s[0:1], 0x58
	v_dual_mov_b32 v1, 0 :: v_dual_and_b32 v2, 0x3ff, v0
	s_lshl_b32 s6, ttmp9, 8
	v_bfe_u32 v26, v0, 10, 10
	s_mov_b32 s11, 0
	s_delay_alu instid0(VALU_DEP_2) | instskip(SKIP_1) | instid1(VALU_DEP_3)
	v_add_nc_u32_e32 v8, s6, v2
	v_lshlrev_b32_e32 v16, 3, v2
	v_lshlrev_b32_e32 v84, 2, v26
	v_lshl_add_u32 v5, v26, 6, v2
	s_delay_alu instid0(VALU_DEP_4)
	v_add_nc_u32_e32 v6, 0x80, v8
	v_add_nc_u32_e32 v7, 0xc0, v8
	v_lshl_add_u32 v85, v26, 9, v16
	v_or_b32_e32 v19, 3, v84
	v_add_nc_u32_e32 v0, s6, v5
	v_or_b32_e32 v17, s6, v5
	s_wait_kmcnt 0x0
	s_ashr_i32 s3, s9, 31
	v_cmp_gt_i32_e64 s2, s8, v6
	s_lshr_b32 s3, s3, 26
	v_mad_co_u64_u32 v[10:11], null, s34, v19, 0
	s_add_co_i32 s42, s9, s3
	v_cmp_gt_i32_e64 s3, s8, v7
	v_mad_co_u64_u32 v[6:7], null, s36, v26, 0
	v_mad_co_u64_u32 v[12:13], null, s36, v19, 0
	;; [unrolled: 1-line block ×3, first 2 shown]
	s_ashr_i32 s5, s8, 31
	s_mov_b32 s4, s8
	v_mad_co_u64_u32 v[14:15], null, s37, v26, v[7:8]
	s_and_not1_b32 s42, s42, 63
	v_cmp_gt_i64_e32 vcc_lo, s[4:5], v[0:1]
	s_sub_co_i32 s5, s9, s42
	v_mul_lo_u32 v18, s39, v17
	s_wait_alu 0xfffe
	s_cmp_gt_i32 s5, 0
	v_cmp_gt_u32_e64 s5, 0x100, v5
	v_mov_b32_e32 v7, v14
	v_mad_co_u64_u32 v[14:15], null, s35, v19, v[11:12]
	s_cselect_b32 s43, -1, 0
	s_ashr_i32 s7, s6, 31
	v_cmp_gt_i32_e64 s6, s8, v17
	s_wait_alu 0xfffe
	s_mul_i32 s7, s38, s7
	v_ashrrev_i32_e32 v9, 31, v8
	v_cmp_gt_i32_e64 s0, s8, v8
	v_mov_b32_e32 v11, v14
	v_mad_co_u64_u32 v[22:23], null, s36, v84, s[36:37]
	v_add_nc_u32_e32 v4, 64, v8
	v_or_b32_e32 v29, 2, v84
	v_mad_co_u64_u32 v[24:25], null, s34, v84, s[34:35]
	v_lshlrev_b64_e32 v[6:7], 5, v[6:7]
	s_delay_alu instid0(VALU_DEP_4)
	v_cmp_gt_i32_e64 s1, s8, v4
	v_mad_co_u64_u32 v[3:4], null, s39, v0, v[3:4]
	v_mad_co_u64_u32 v[4:5], null, s38, v17, 0
	v_lshl_add_u32 v0, v26, 11, v16
	v_mad_co_u64_u32 v[15:16], null, s37, v19, v[13:14]
	v_mad_co_u64_u32 v[16:17], null, s34, v26, 0
	v_mad_co_u64_u32 v[20:21], null, s36, v29, 0
	s_wait_alu 0xfffe
	v_add3_u32 v5, v5, s7, v18
	v_mad_co_u64_u32 v[18:19], null, s34, v29, 0
	s_delay_alu instid0(VALU_DEP_4) | instskip(SKIP_3) | instid1(VALU_DEP_4)
	v_dual_mov_b32 v13, v15 :: v_dual_mov_b32 v14, v17
	v_mov_b32_e32 v17, v25
	v_lshlrev_b64_e32 v[8:9], 3, v[8:9]
	v_lshlrev_b64_e32 v[10:11], 3, v[10:11]
	v_lshlrev_b64_e32 v[12:13], 3, v[12:13]
	v_mov_b32_e32 v15, v19
	v_cmp_gt_i32_e64 s4, s42, v84
	s_and_b32 s44, s5, vcc_lo
	s_lshl_b64 s[38:39], s[36:37], 9
	s_lshl_b64 s[40:41], s[34:35], 9
	v_mad_co_u64_u32 v[26:27], null, s35, v26, v[14:15]
	v_mov_b32_e32 v14, v21
	v_mad_co_u64_u32 v[27:28], null, s35, v29, v[15:16]
	v_mov_b32_e32 v15, v23
	s_lshl_b64 s[18:19], s[18:19], 3
	s_lshl_b64 s[30:31], s[30:31], 3
	;; [unrolled: 1-line block ×3, first 2 shown]
	s_delay_alu instid0(VALU_DEP_1)
	v_mad_co_u64_u32 v[28:29], null, s37, v29, v[14:15]
	v_mad_co_u64_u32 v[14:15], null, s37, v84, v[15:16]
	v_mad_co_u64_u32 v[29:30], null, s35, v84, v[17:18]
	v_mov_b32_e32 v17, v26
	v_mov_b32_e32 v19, v27
	v_mov_b32_e32 v21, v28
	v_mov_b32_e32 v23, v14
	s_delay_alu instid0(VALU_DEP_4) | instskip(SKIP_4) | instid1(VALU_DEP_4)
	v_lshlrev_b64_e32 v[14:15], 5, v[16:17]
	v_mov_b32_e32 v25, v29
	v_lshlrev_b64_e32 v[16:17], 3, v[18:19]
	v_lshlrev_b64_e32 v[18:19], 3, v[20:21]
	;; [unrolled: 1-line block ×5, first 2 shown]
	s_branch .LBB255_4
.LBB255_2:                              ;   in Loop: Header=BB255_4 Depth=1
	s_wait_alu 0xfffe
	s_or_b32 exec_lo, exec_lo, s7
.LBB255_3:                              ;   in Loop: Header=BB255_4 Depth=1
	s_add_co_i32 s10, s10, 0x10000
	s_delay_alu instid0(SALU_CYCLE_1)
	s_cmp_lt_u32 s10, s33
	s_cbranch_scc0 .LBB255_55
.LBB255_4:                              ; =>This Loop Header: Depth=1
                                        ;     Child Loop BB255_21 Depth 2
	s_mul_u64 s[46:47], s[14:15], s[10:11]
	s_mul_u64 s[48:49], s[22:23], s[10:11]
	s_lshl_b64 s[46:47], s[46:47], 3
	s_lshl_b64 s[48:49], s[48:49], 3
	s_add_nc_u64 s[46:47], s[12:13], s[46:47]
	s_add_nc_u64 s[48:49], s[20:21], s[48:49]
	s_clause 0x1
	global_load_b64 v[28:29], v1, s[46:47]
	global_load_b64 v[26:27], v1, s[48:49]
	s_wait_loadcnt 0x1
	v_cmp_eq_f64_e64 s7, 0, v[28:29]
	s_wait_loadcnt 0x0
	v_cmp_eq_f64_e32 vcc_lo, 1.0, v[26:27]
	s_and_b32 s8, s7, vcc_lo
	s_wait_alu 0xfffe
	s_and_b32 vcc_lo, exec_lo, s8
	s_wait_alu 0xfffe
	s_cbranch_vccnz .LBB255_3
; %bb.5:                                ;   in Loop: Header=BB255_4 Depth=1
	v_cmp_neq_f64_e64 s8, 0, v[28:29]
	v_mov_b32_e32 v40, 0
	v_dual_mov_b32 v41, 0 :: v_dual_mov_b32 v30, 0
	v_mov_b32_e32 v31, 0
	s_and_b32 vcc_lo, exec_lo, s7
	s_wait_alu 0xfffe
	s_cbranch_vccnz .LBB255_7
; %bb.6:                                ;   in Loop: Header=BB255_4 Depth=1
	s_lshl_b64 s[46:47], s[10:11], 3
	s_delay_alu instid0(SALU_CYCLE_1)
	s_add_nc_u64 s[46:47], s[16:17], s[46:47]
	global_load_b64 v[30:31], v1, s[46:47]
	s_wait_loadcnt 0x0
	v_add_co_u32 v30, vcc_lo, v30, s18
	s_wait_alu 0xfffd
	v_add_co_ci_u32_e64 v31, null, s19, v31, vcc_lo
.LBB255_7:                              ;   in Loop: Header=BB255_4 Depth=1
	s_and_not1_b32 vcc_lo, exec_lo, s8
	s_wait_alu 0xfffe
	s_cbranch_vccnz .LBB255_9
; %bb.8:                                ;   in Loop: Header=BB255_4 Depth=1
	s_lshl_b64 s[46:47], s[10:11], 3
	s_delay_alu instid0(SALU_CYCLE_1)
	s_add_nc_u64 s[46:47], s[28:29], s[46:47]
	global_load_b64 v[32:33], v1, s[46:47]
	s_wait_loadcnt 0x0
	v_add_co_u32 v40, vcc_lo, v32, s30
	s_wait_alu 0xfffd
	v_add_co_ci_u32_e64 v41, null, s31, v33, vcc_lo
.LBB255_9:                              ;   in Loop: Header=BB255_4 Depth=1
	s_lshl_b64 s[46:47], s[10:11], 3
	s_delay_alu instid0(SALU_CYCLE_1)
	s_add_nc_u64 s[46:47], s[24:25], s[46:47]
	global_load_b64 v[32:33], v1, s[46:47]
	s_wait_loadcnt 0x0
	v_add_co_u32 v86, vcc_lo, v32, s26
	s_wait_alu 0xfffd
	v_add_co_ci_u32_e64 v87, null, s27, v33, vcc_lo
	s_and_not1_b32 vcc_lo, exec_lo, s7
	s_wait_alu 0xfffe
	s_cbranch_vccnz .LBB255_14
; %bb.10:                               ;   in Loop: Header=BB255_4 Depth=1
	s_mov_b32 s7, 0
	s_mov_b32 s8, 0
                                        ; implicit-def: $vgpr32_vgpr33
	s_and_saveexec_b32 s45, s44
	s_cbranch_execz .LBB255_26
; %bb.11:                               ;   in Loop: Header=BB255_4 Depth=1
	v_cmp_eq_f64_e32 vcc_lo, 0, v[26:27]
	v_mov_b32_e32 v32, 0
	v_mov_b32_e32 v33, 0
	s_cbranch_vccnz .LBB255_13
; %bb.12:                               ;   in Loop: Header=BB255_4 Depth=1
	v_add_co_u32 v32, vcc_lo, v86, v24
	s_wait_alu 0xfffd
	v_add_co_ci_u32_e64 v33, null, v87, v25, vcc_lo
	flat_load_b64 v[32:33], v[32:33]
	s_wait_loadcnt_dscnt 0x0
	v_mul_f64_e32 v[32:33], v[26:27], v[32:33]
.LBB255_13:                             ;   in Loop: Header=BB255_4 Depth=1
	s_mov_b32 s8, exec_lo
	s_or_b32 exec_lo, exec_lo, s45
	s_wait_alu 0xfffe
	s_and_b32 vcc_lo, exec_lo, s7
	s_wait_alu 0xfffe
	s_cbranch_vccnz .LBB255_15
	s_branch .LBB255_27
.LBB255_14:                             ;   in Loop: Header=BB255_4 Depth=1
	s_mov_b32 s8, 0
                                        ; implicit-def: $vgpr32_vgpr33
	s_cbranch_execz .LBB255_27
.LBB255_15:                             ;   in Loop: Header=BB255_4 Depth=1
	v_mov_b32_e32 v32, 0
	v_dual_mov_b32 v36, 0 :: v_dual_mov_b32 v33, 0
	v_dual_mov_b32 v34, 0 :: v_dual_mov_b32 v37, 0
	v_dual_mov_b32 v38, 0 :: v_dual_mov_b32 v35, 0
	v_dual_mov_b32 v39, 0 :: v_dual_mov_b32 v88, v84
	s_and_saveexec_b32 s45, s4
	s_cbranch_execz .LBB255_29
; %bb.16:                               ;   in Loop: Header=BB255_4 Depth=1
	v_add_co_u32 v89, vcc_lo, v30, v10
	s_wait_alu 0xfffd
	v_add_co_ci_u32_e64 v90, null, v31, v11, vcc_lo
	v_add_co_u32 v91, vcc_lo, v30, v14
	s_wait_alu 0xfffd
	v_add_co_ci_u32_e64 v92, null, v31, v15, vcc_lo
	;; [unrolled: 3-line block ×3, first 2 shown]
	v_add_co_u32 v95, vcc_lo, v30, v22
	v_mov_b32_e32 v34, 0
	v_dual_mov_b32 v32, 0 :: v_dual_mov_b32 v43, v41
	v_dual_mov_b32 v35, 0 :: v_dual_mov_b32 v36, 0
	v_mov_b32_e32 v38, 0
	s_wait_alu 0xfffd
	v_add_co_ci_u32_e64 v96, null, v31, v23, vcc_lo
	v_dual_mov_b32 v33, 0 :: v_dual_mov_b32 v42, v40
	v_mov_b32_e32 v37, 0
	v_dual_mov_b32 v39, 0 :: v_dual_mov_b32 v88, v84
	s_mov_b32 s46, 0
	s_branch .LBB255_21
.LBB255_17:                             ;   in Loop: Header=BB255_21 Depth=2
	s_or_b32 exec_lo, exec_lo, s49
	s_wait_loadcnt_dscnt 0x303
	v_fma_f64 v[36:37], v[44:45], v[76:77], v[36:37]
	s_wait_loadcnt_dscnt 0x202
	s_delay_alu instid0(VALU_DEP_1) | instskip(SKIP_1) | instid1(VALU_DEP_1)
	v_fma_f64 v[36:37], v[46:47], v[78:79], v[36:37]
	s_wait_loadcnt_dscnt 0x101
	v_fma_f64 v[36:37], v[48:49], v[80:81], v[36:37]
	s_wait_loadcnt_dscnt 0x0
	s_delay_alu instid0(VALU_DEP_1)
	v_fma_f64 v[36:37], v[50:51], v[82:83], v[36:37]
.LBB255_18:                             ;   in Loop: Header=BB255_21 Depth=2
	s_or_b32 exec_lo, exec_lo, s48
	s_wait_loadcnt_dscnt 0x303
	v_fma_f64 v[34:35], v[44:45], v[68:69], v[34:35]
	s_wait_loadcnt_dscnt 0x202
	s_delay_alu instid0(VALU_DEP_1) | instskip(SKIP_1) | instid1(VALU_DEP_1)
	v_fma_f64 v[34:35], v[46:47], v[70:71], v[34:35]
	s_wait_loadcnt_dscnt 0x101
	v_fma_f64 v[34:35], v[48:49], v[72:73], v[34:35]
	s_wait_loadcnt_dscnt 0x0
	s_delay_alu instid0(VALU_DEP_1)
	v_fma_f64 v[34:35], v[50:51], v[74:75], v[34:35]
.LBB255_19:                             ;   in Loop: Header=BB255_21 Depth=2
	s_or_b32 exec_lo, exec_lo, s47
	s_wait_loadcnt_dscnt 0x303
	v_fma_f64 v[32:33], v[44:45], v[52:53], v[32:33]
	s_wait_loadcnt_dscnt 0x202
	s_delay_alu instid0(VALU_DEP_1) | instskip(SKIP_1) | instid1(VALU_DEP_1)
	v_fma_f64 v[32:33], v[46:47], v[54:55], v[32:33]
	s_wait_loadcnt_dscnt 0x101
	v_fma_f64 v[32:33], v[48:49], v[56:57], v[32:33]
	s_wait_loadcnt_dscnt 0x0
	s_delay_alu instid0(VALU_DEP_1)
	v_fma_f64 v[32:33], v[50:51], v[58:59], v[32:33]
.LBB255_20:                             ;   in Loop: Header=BB255_21 Depth=2
	s_wait_alu 0xfffe
	s_or_b32 exec_lo, exec_lo, s7
	v_add_co_u32 v42, vcc_lo, v42, s38
	s_wait_alu 0xfffd
	v_add_co_ci_u32_e64 v43, null, s39, v43, vcc_lo
	v_add_co_u32 v89, vcc_lo, v89, s40
	v_add_nc_u32_e32 v88, 64, v88
	s_wait_alu 0xfffd
	v_add_co_ci_u32_e64 v90, null, s41, v90, vcc_lo
	v_add_co_u32 v91, vcc_lo, v91, s40
	s_wait_alu 0xfffd
	v_add_co_ci_u32_e64 v92, null, s41, v92, vcc_lo
	v_add_co_u32 v93, vcc_lo, v93, s40
	s_wait_alu 0xfffd
	v_add_co_ci_u32_e64 v94, null, s41, v94, vcc_lo
	v_cmp_le_i32_e32 vcc_lo, s42, v88
	v_add_co_u32 v95, s7, v95, s40
	s_wait_alu 0xf1ff
	v_add_co_ci_u32_e64 v96, null, s41, v96, s7
	s_or_b32 s46, vcc_lo, s46
	s_delay_alu instid0(SALU_CYCLE_1)
	s_and_not1_b32 exec_lo, exec_lo, s46
	s_cbranch_execz .LBB255_28
.LBB255_21:                             ;   Parent Loop BB255_4 Depth=1
                                        ; =>  This Inner Loop Header: Depth=2
	s_and_saveexec_b32 s7, s0
	s_cbranch_execz .LBB255_20
; %bb.22:                               ;   in Loop: Header=BB255_21 Depth=2
	v_add_co_u32 v44, vcc_lo, v42, v6
	s_wait_alu 0xfffd
	v_add_co_ci_u32_e64 v45, null, v43, v7, vcc_lo
	v_add_co_u32 v46, vcc_lo, v42, v20
	s_wait_alu 0xfffd
	v_add_co_ci_u32_e64 v47, null, v43, v21, vcc_lo
	;; [unrolled: 3-line block ×8, first 2 shown]
	s_clause 0x3
	flat_load_b64 v[44:45], v[44:45]
	flat_load_b64 v[46:47], v[46:47]
	;; [unrolled: 1-line block ×8, first 2 shown]
	s_and_saveexec_b32 s47, s1
	s_cbranch_execz .LBB255_19
; %bb.23:                               ;   in Loop: Header=BB255_21 Depth=2
	flat_load_b64 v[68:69], v[60:61] offset:512
	flat_load_b64 v[70:71], v[62:63] offset:512
	flat_load_b64 v[72:73], v[64:65] offset:512
	flat_load_b64 v[74:75], v[66:67] offset:512
	s_and_saveexec_b32 s48, s2
	s_cbranch_execz .LBB255_18
; %bb.24:                               ;   in Loop: Header=BB255_21 Depth=2
	flat_load_b64 v[76:77], v[60:61] offset:1024
	flat_load_b64 v[78:79], v[62:63] offset:1024
	flat_load_b64 v[80:81], v[64:65] offset:1024
	flat_load_b64 v[82:83], v[66:67] offset:1024
	;; [unrolled: 7-line block ×3, first 2 shown]
	s_wait_loadcnt_dscnt 0x303
	v_fma_f64 v[38:39], v[44:45], v[60:61], v[38:39]
	s_wait_loadcnt_dscnt 0x202
	s_delay_alu instid0(VALU_DEP_1) | instskip(SKIP_1) | instid1(VALU_DEP_1)
	v_fma_f64 v[38:39], v[46:47], v[62:63], v[38:39]
	s_wait_loadcnt_dscnt 0x101
	v_fma_f64 v[38:39], v[48:49], v[64:65], v[38:39]
	s_wait_loadcnt_dscnt 0x0
	s_delay_alu instid0(VALU_DEP_1)
	v_fma_f64 v[38:39], v[50:51], v[66:67], v[38:39]
	s_branch .LBB255_17
.LBB255_26:                             ;   in Loop: Header=BB255_4 Depth=1
	s_or_b32 exec_lo, exec_lo, s45
	s_wait_alu 0xfffe
	s_and_b32 vcc_lo, exec_lo, s7
	s_wait_alu 0xfffe
	s_cbranch_vccnz .LBB255_15
.LBB255_27:                             ;   in Loop: Header=BB255_4 Depth=1
	v_dual_mov_b32 v27, v3 :: v_dual_mov_b32 v26, v2
	s_wait_alu 0xfffe
	s_and_saveexec_b32 s7, s8
	s_cbranch_execz .LBB255_2
	s_branch .LBB255_54
.LBB255_28:                             ;   in Loop: Header=BB255_4 Depth=1
	s_or_b32 exec_lo, exec_lo, s46
.LBB255_29:                             ;   in Loop: Header=BB255_4 Depth=1
	s_delay_alu instid0(SALU_CYCLE_1) | instskip(NEXT) | instid1(SALU_CYCLE_1)
	s_or_b32 exec_lo, exec_lo, s45
	s_and_not1_b32 vcc_lo, exec_lo, s43
	s_wait_alu 0xfffe
	s_cbranch_vccnz .LBB255_47
; %bb.30:                               ;   in Loop: Header=BB255_4 Depth=1
	v_mov_b32_e32 v48, 0
	v_dual_mov_b32 v44, 0 :: v_dual_mov_b32 v49, 0
	v_dual_mov_b32 v46, 0 :: v_dual_mov_b32 v45, 0
	v_mov_b32_e32 v42, 0
	v_cmp_gt_i32_e32 vcc_lo, s9, v88
	v_mov_b32_e32 v47, 0
	v_mov_b32_e32 v43, 0
	v_or_b32_e32 v50, 1, v88
	s_and_saveexec_b32 s45, vcc_lo
	s_cbranch_execz .LBB255_38
; %bb.31:                               ;   in Loop: Header=BB255_4 Depth=1
	v_mad_co_u64_u32 v[42:43], null, s36, v88, 0
	v_mov_b32_e32 v48, 0
	v_mov_b32_e32 v49, 0
	s_mov_b32 s46, exec_lo
	v_mov_b32_e32 v46, 0
	v_mov_b32_e32 v47, 0
	v_mad_co_u64_u32 v[43:44], null, s37, v88, v[43:44]
	v_mov_b32_e32 v44, 0
	v_mov_b32_e32 v45, 0
	s_delay_alu instid0(VALU_DEP_3) | instskip(NEXT) | instid1(VALU_DEP_1)
	v_lshlrev_b64_e32 v[42:43], 3, v[42:43]
	v_add_co_u32 v42, s7, v40, v42
	s_wait_alu 0xf1ff
	s_delay_alu instid0(VALU_DEP_2)
	v_add_co_ci_u32_e64 v43, null, v41, v43, s7
	flat_load_b64 v[42:43], v[42:43]
	v_cmpx_gt_i32_e64 s9, v50
	s_cbranch_execz .LBB255_37
; %bb.32:                               ;   in Loop: Header=BB255_4 Depth=1
	v_mad_co_u64_u32 v[44:45], null, s36, v50, 0
	v_or_b32_e32 v51, 2, v88
	s_mov_b32 s47, exec_lo
	v_mov_b32_e32 v48, 0
	v_mov_b32_e32 v49, 0
	s_delay_alu instid0(VALU_DEP_4) | instskip(SKIP_2) | instid1(VALU_DEP_3)
	v_mad_co_u64_u32 v[45:46], null, s37, v50, v[45:46]
	v_mov_b32_e32 v46, 0
	v_mov_b32_e32 v47, 0
	v_lshlrev_b64_e32 v[44:45], 3, v[44:45]
	s_delay_alu instid0(VALU_DEP_1) | instskip(SKIP_1) | instid1(VALU_DEP_2)
	v_add_co_u32 v44, s7, v40, v44
	s_wait_alu 0xf1ff
	v_add_co_ci_u32_e64 v45, null, v41, v45, s7
	flat_load_b64 v[44:45], v[44:45]
	v_cmpx_gt_i32_e64 s9, v51
	s_cbranch_execz .LBB255_36
; %bb.33:                               ;   in Loop: Header=BB255_4 Depth=1
	v_mad_co_u64_u32 v[46:47], null, s36, v51, 0
	s_mov_b32 s48, exec_lo
	v_mad_co_u64_u32 v[47:48], null, s37, v51, v[47:48]
	v_mov_b32_e32 v48, 0
	v_or_b32_e32 v51, 3, v88
	v_mov_b32_e32 v49, 0
	s_delay_alu instid0(VALU_DEP_4) | instskip(NEXT) | instid1(VALU_DEP_1)
	v_lshlrev_b64_e32 v[46:47], 3, v[46:47]
	v_add_co_u32 v46, s7, v40, v46
	s_wait_alu 0xf1ff
	s_delay_alu instid0(VALU_DEP_2)
	v_add_co_ci_u32_e64 v47, null, v41, v47, s7
	flat_load_b64 v[46:47], v[46:47]
	v_cmpx_gt_i32_e64 s9, v51
	s_cbranch_execz .LBB255_35
; %bb.34:                               ;   in Loop: Header=BB255_4 Depth=1
	v_mad_co_u64_u32 v[48:49], null, s36, v51, 0
	s_delay_alu instid0(VALU_DEP_1) | instskip(NEXT) | instid1(VALU_DEP_1)
	v_mad_co_u64_u32 v[51:52], null, s37, v51, v[49:50]
	v_mov_b32_e32 v49, v51
	s_delay_alu instid0(VALU_DEP_1) | instskip(NEXT) | instid1(VALU_DEP_1)
	v_lshlrev_b64_e32 v[48:49], 3, v[48:49]
	v_add_co_u32 v40, s7, v40, v48
	s_wait_alu 0xf1ff
	s_delay_alu instid0(VALU_DEP_2)
	v_add_co_ci_u32_e64 v41, null, v41, v49, s7
	flat_load_b64 v[48:49], v[40:41]
.LBB255_35:                             ;   in Loop: Header=BB255_4 Depth=1
	s_or_b32 exec_lo, exec_lo, s48
.LBB255_36:                             ;   in Loop: Header=BB255_4 Depth=1
	s_delay_alu instid0(SALU_CYCLE_1)
	s_or_b32 exec_lo, exec_lo, s47
.LBB255_37:                             ;   in Loop: Header=BB255_4 Depth=1
	s_delay_alu instid0(SALU_CYCLE_1)
	s_or_b32 exec_lo, exec_lo, s46
.LBB255_38:                             ;   in Loop: Header=BB255_4 Depth=1
	s_delay_alu instid0(SALU_CYCLE_1)
	s_or_b32 exec_lo, exec_lo, s45
	s_and_saveexec_b32 s45, s0
	s_cbranch_execz .LBB255_46
; %bb.39:                               ;   in Loop: Header=BB255_4 Depth=1
	v_or_b32_e32 v59, 2, v88
	v_mad_co_u64_u32 v[40:41], null, s34, v88, 0
	v_mad_co_u64_u32 v[51:52], null, s34, v50, 0
	s_delay_alu instid0(VALU_DEP_3) | instskip(SKIP_4) | instid1(VALU_DEP_4)
	v_mad_co_u64_u32 v[53:54], null, s34, v59, 0
	v_cmp_gt_i32_e64 s7, s9, v50
	v_or_b32_e32 v61, 3, v88
	s_wait_loadcnt_dscnt 0x0
	v_mad_co_u64_u32 v[55:56], null, s35, v88, v[41:42]
	v_dual_mov_b32 v41, v54 :: v_dual_cndmask_b32 v54, 0, v40
	v_mad_co_u64_u32 v[56:57], null, s35, v50, v[52:53]
	s_wait_alu 0xf1ff
	v_cndmask_b32_e64 v40, 0, v51, s7
	s_delay_alu instid0(VALU_DEP_3)
	v_mad_co_u64_u32 v[50:51], null, s35, v59, v[41:42]
	v_cndmask_b32_e32 v55, 0, v55, vcc_lo
	v_cmp_gt_i32_e32 vcc_lo, s9, v59
	v_mad_co_u64_u32 v[57:58], null, s34, v61, 0
	v_cndmask_b32_e64 v41, 0, v56, s7
	s_wait_alu 0xfffd
	v_dual_cndmask_b32 v59, 0, v53 :: v_dual_cndmask_b32 v60, 0, v50
	v_lshlrev_b64_e32 v[51:52], 3, v[54:55]
	s_delay_alu instid0(VALU_DEP_3) | instskip(SKIP_1) | instid1(VALU_DEP_3)
	v_lshlrev_b64_e32 v[40:41], 3, v[40:41]
	v_mov_b32_e32 v53, v58
	v_add_co_u32 v51, s7, v30, v51
	s_wait_alu 0xf1ff
	s_delay_alu instid0(VALU_DEP_4) | instskip(NEXT) | instid1(VALU_DEP_2)
	v_add_co_ci_u32_e64 v52, null, v31, v52, s7
	v_add_co_u32 v54, vcc_lo, v51, v8
	s_wait_alu 0xfffd
	s_delay_alu instid0(VALU_DEP_2) | instskip(SKIP_1) | instid1(VALU_DEP_3)
	v_add_co_ci_u32_e64 v55, null, v52, v9, vcc_lo
	v_cmp_gt_i32_e32 vcc_lo, s9, v61
	v_mad_co_u64_u32 v[50:51], null, s35, v61, v[53:54]
	v_add_co_u32 v53, s7, v30, v40
	s_wait_alu 0xfffd
	v_cndmask_b32_e32 v51, 0, v57, vcc_lo
	s_wait_alu 0xf1ff
	v_add_co_ci_u32_e64 v58, null, v31, v41, s7
	s_delay_alu instid0(VALU_DEP_4)
	v_cndmask_b32_e32 v52, 0, v50, vcc_lo
	v_lshlrev_b64_e32 v[40:41], 3, v[59:60]
	v_add_co_u32 v56, vcc_lo, v53, v8
	s_wait_alu 0xfffd
	v_add_co_ci_u32_e64 v57, null, v58, v9, vcc_lo
	v_lshlrev_b64_e32 v[50:51], 3, v[51:52]
	s_delay_alu instid0(VALU_DEP_4) | instskip(SKIP_2) | instid1(VALU_DEP_3)
	v_add_co_u32 v40, vcc_lo, v30, v40
	s_wait_alu 0xfffd
	v_add_co_ci_u32_e64 v41, null, v31, v41, vcc_lo
	v_add_co_u32 v30, vcc_lo, v30, v50
	s_wait_alu 0xfffd
	v_add_co_ci_u32_e64 v31, null, v31, v51, vcc_lo
	;; [unrolled: 3-line block ×4, first 2 shown]
	s_clause 0x3
	flat_load_b64 v[30:31], v[54:55]
	flat_load_b64 v[40:41], v[56:57]
	;; [unrolled: 1-line block ×4, first 2 shown]
	s_and_saveexec_b32 s7, s1
	s_cbranch_execz .LBB255_45
; %bb.40:                               ;   in Loop: Header=BB255_4 Depth=1
	s_clause 0x3
	flat_load_b64 v[58:59], v[54:55] offset:512
	flat_load_b64 v[60:61], v[56:57] offset:512
	flat_load_b64 v[62:63], v[66:67] offset:512
	flat_load_b64 v[64:65], v[68:69] offset:512
	s_and_saveexec_b32 s46, s2
	s_cbranch_execz .LBB255_44
; %bb.41:                               ;   in Loop: Header=BB255_4 Depth=1
	s_clause 0x3
	flat_load_b64 v[70:71], v[54:55] offset:1024
	flat_load_b64 v[72:73], v[56:57] offset:1024
	flat_load_b64 v[74:75], v[66:67] offset:1024
	flat_load_b64 v[76:77], v[68:69] offset:1024
	;; [unrolled: 8-line block ×3, first 2 shown]
	s_wait_loadcnt_dscnt 0x303
	v_fma_f64 v[38:39], v[42:43], v[54:55], v[38:39]
	s_wait_loadcnt_dscnt 0x202
	s_delay_alu instid0(VALU_DEP_1) | instskip(SKIP_1) | instid1(VALU_DEP_1)
	v_fma_f64 v[38:39], v[44:45], v[56:57], v[38:39]
	s_wait_loadcnt_dscnt 0x101
	v_fma_f64 v[38:39], v[46:47], v[66:67], v[38:39]
	s_wait_loadcnt_dscnt 0x0
	s_delay_alu instid0(VALU_DEP_1)
	v_fma_f64 v[38:39], v[48:49], v[68:69], v[38:39]
.LBB255_43:                             ;   in Loop: Header=BB255_4 Depth=1
	s_or_b32 exec_lo, exec_lo, s47
	s_wait_loadcnt_dscnt 0x303
	v_fma_f64 v[36:37], v[42:43], v[70:71], v[36:37]
	s_wait_loadcnt_dscnt 0x202
	s_delay_alu instid0(VALU_DEP_1) | instskip(SKIP_1) | instid1(VALU_DEP_1)
	v_fma_f64 v[36:37], v[44:45], v[72:73], v[36:37]
	s_wait_loadcnt_dscnt 0x101
	v_fma_f64 v[36:37], v[46:47], v[74:75], v[36:37]
	s_wait_loadcnt_dscnt 0x0
	s_delay_alu instid0(VALU_DEP_1)
	v_fma_f64 v[36:37], v[48:49], v[76:77], v[36:37]
.LBB255_44:                             ;   in Loop: Header=BB255_4 Depth=1
	s_or_b32 exec_lo, exec_lo, s46
	s_wait_loadcnt_dscnt 0x303
	v_fma_f64 v[34:35], v[42:43], v[58:59], v[34:35]
	s_wait_loadcnt_dscnt 0x202
	s_delay_alu instid0(VALU_DEP_1) | instskip(SKIP_1) | instid1(VALU_DEP_1)
	v_fma_f64 v[34:35], v[44:45], v[60:61], v[34:35]
	s_wait_loadcnt_dscnt 0x101
	v_fma_f64 v[34:35], v[46:47], v[62:63], v[34:35]
	s_wait_loadcnt_dscnt 0x0
	s_delay_alu instid0(VALU_DEP_1)
	v_fma_f64 v[34:35], v[48:49], v[64:65], v[34:35]
.LBB255_45:                             ;   in Loop: Header=BB255_4 Depth=1
	s_wait_alu 0xfffe
	s_or_b32 exec_lo, exec_lo, s7
	s_wait_loadcnt_dscnt 0x303
	v_fma_f64 v[30:31], v[42:43], v[30:31], v[32:33]
	s_wait_loadcnt_dscnt 0x202
	s_delay_alu instid0(VALU_DEP_1) | instskip(SKIP_1) | instid1(VALU_DEP_1)
	v_fma_f64 v[30:31], v[44:45], v[40:41], v[30:31]
	s_wait_loadcnt_dscnt 0x101
	v_fma_f64 v[30:31], v[46:47], v[50:51], v[30:31]
	s_wait_loadcnt_dscnt 0x0
	s_delay_alu instid0(VALU_DEP_1)
	v_fma_f64 v[32:33], v[48:49], v[52:53], v[30:31]
.LBB255_46:                             ;   in Loop: Header=BB255_4 Depth=1
	s_or_b32 exec_lo, exec_lo, s45
.LBB255_47:                             ;   in Loop: Header=BB255_4 Depth=1
	ds_store_2addr_stride64_b64 v0, v[32:33], v[34:35] offset1:1
	ds_store_2addr_stride64_b64 v0, v[36:37], v[38:39] offset0:2 offset1:3
	s_wait_loadcnt_dscnt 0x0
	s_barrier_signal -1
	s_barrier_wait -1
	global_inv scope:SCOPE_SE
                                        ; implicit-def: $vgpr32_vgpr33
	s_and_saveexec_b32 s7, s5
	s_cbranch_execz .LBB255_53
; %bb.48:                               ;   in Loop: Header=BB255_4 Depth=1
	ds_load_2addr_stride64_b64 v[30:33], v85 offset1:4
	s_mov_b32 s46, s8
	s_wait_dscnt 0x0
	v_add_f64_e32 v[34:35], v[30:31], v[32:33]
	ds_load_2addr_stride64_b64 v[30:33], v85 offset0:8 offset1:12
	s_wait_dscnt 0x0
	v_add_f64_e32 v[30:31], v[30:31], v[34:35]
	s_delay_alu instid0(VALU_DEP_1) | instskip(SKIP_3) | instid1(VALU_DEP_1)
	v_add_f64_e32 v[34:35], v[32:33], v[30:31]
	ds_load_2addr_stride64_b64 v[30:33], v85 offset0:16 offset1:20
	s_wait_dscnt 0x0
	v_add_f64_e32 v[30:31], v[30:31], v[34:35]
	v_add_f64_e32 v[34:35], v[32:33], v[30:31]
	ds_load_2addr_stride64_b64 v[30:33], v85 offset0:24 offset1:28
	s_wait_dscnt 0x0
	v_add_f64_e32 v[30:31], v[30:31], v[34:35]
	s_delay_alu instid0(VALU_DEP_1) | instskip(SKIP_3) | instid1(VALU_DEP_1)
	v_add_f64_e32 v[34:35], v[32:33], v[30:31]
	ds_load_2addr_stride64_b64 v[30:33], v85 offset0:32 offset1:36
	s_wait_dscnt 0x0
	v_add_f64_e32 v[30:31], v[30:31], v[34:35]
	;; [unrolled: 9-line block ×3, first 2 shown]
	v_add_f64_e32 v[34:35], v[32:33], v[30:31]
	ds_load_2addr_stride64_b64 v[30:33], v85 offset0:56 offset1:60
	s_wait_dscnt 0x0
	v_add_f64_e32 v[30:31], v[30:31], v[34:35]
	s_delay_alu instid0(VALU_DEP_1)
	v_add_f64_e32 v[30:31], v[32:33], v[30:31]
                                        ; implicit-def: $vgpr32_vgpr33
	ds_store_b64 v85, v[30:31]
	s_and_saveexec_b32 s45, s6
	s_cbranch_execz .LBB255_52
; %bb.49:                               ;   in Loop: Header=BB255_4 Depth=1
	v_cmp_eq_f64_e32 vcc_lo, 0, v[26:27]
	v_mul_f64_e32 v[32:33], v[28:29], v[30:31]
	s_cbranch_vccnz .LBB255_51
; %bb.50:                               ;   in Loop: Header=BB255_4 Depth=1
	v_lshlrev_b64_e32 v[28:29], 3, v[4:5]
	s_delay_alu instid0(VALU_DEP_1) | instskip(SKIP_1) | instid1(VALU_DEP_2)
	v_add_co_u32 v28, vcc_lo, v86, v28
	s_wait_alu 0xfffd
	v_add_co_ci_u32_e64 v29, null, v87, v29, vcc_lo
	flat_load_b64 v[28:29], v[28:29]
	s_wait_loadcnt_dscnt 0x0
	v_fma_f64 v[32:33], v[26:27], v[28:29], v[32:33]
.LBB255_51:                             ;   in Loop: Header=BB255_4 Depth=1
	s_or_b32 s46, s8, exec_lo
.LBB255_52:                             ;   in Loop: Header=BB255_4 Depth=1
	s_or_b32 exec_lo, exec_lo, s45
	s_delay_alu instid0(SALU_CYCLE_1)
	s_and_not1_b32 s8, s8, exec_lo
	s_and_b32 s45, s46, exec_lo
	s_wait_alu 0xfffe
	s_or_b32 s8, s8, s45
.LBB255_53:                             ;   in Loop: Header=BB255_4 Depth=1
	s_wait_alu 0xfffe
	s_or_b32 exec_lo, exec_lo, s7
	v_dual_mov_b32 v27, v5 :: v_dual_mov_b32 v26, v4
	s_and_saveexec_b32 s7, s8
	s_cbranch_execz .LBB255_2
.LBB255_54:                             ;   in Loop: Header=BB255_4 Depth=1
	s_delay_alu instid0(VALU_DEP_1) | instskip(NEXT) | instid1(VALU_DEP_1)
	v_lshlrev_b64_e32 v[26:27], 3, v[26:27]
	v_add_co_u32 v26, vcc_lo, v86, v26
	s_wait_alu 0xfffd
	s_delay_alu instid0(VALU_DEP_2)
	v_add_co_ci_u32_e64 v27, null, v87, v27, vcc_lo
	flat_store_b64 v[26:27], v[32:33]
	s_branch .LBB255_2
.LBB255_55:
	s_nop 0
	s_sendmsg sendmsg(MSG_DEALLOC_VGPRS)
	s_endpgm
	.section	.rodata,"a",@progbits
	.p2align	6, 0x0
	.amdhsa_kernel _ZL20rocblas_gemvn_kernelILi64ELi16ElPKdS1_KPdEviiT3_lPKT2_lT1_lS7_lS8_lS4_lPT4_lS8_li
		.amdhsa_group_segment_fixed_size 32768
		.amdhsa_private_segment_fixed_size 0
		.amdhsa_kernarg_size 400
		.amdhsa_user_sgpr_count 2
		.amdhsa_user_sgpr_dispatch_ptr 0
		.amdhsa_user_sgpr_queue_ptr 0
		.amdhsa_user_sgpr_kernarg_segment_ptr 1
		.amdhsa_user_sgpr_dispatch_id 0
		.amdhsa_user_sgpr_private_segment_size 0
		.amdhsa_wavefront_size32 1
		.amdhsa_uses_dynamic_stack 0
		.amdhsa_enable_private_segment 0
		.amdhsa_system_sgpr_workgroup_id_x 1
		.amdhsa_system_sgpr_workgroup_id_y 0
		.amdhsa_system_sgpr_workgroup_id_z 1
		.amdhsa_system_sgpr_workgroup_info 0
		.amdhsa_system_vgpr_workitem_id 1
		.amdhsa_next_free_vgpr 97
		.amdhsa_next_free_sgpr 50
		.amdhsa_reserve_vcc 1
		.amdhsa_float_round_mode_32 0
		.amdhsa_float_round_mode_16_64 0
		.amdhsa_float_denorm_mode_32 3
		.amdhsa_float_denorm_mode_16_64 3
		.amdhsa_fp16_overflow 0
		.amdhsa_workgroup_processor_mode 1
		.amdhsa_memory_ordered 1
		.amdhsa_forward_progress 1
		.amdhsa_inst_pref_size 31
		.amdhsa_round_robin_scheduling 0
		.amdhsa_exception_fp_ieee_invalid_op 0
		.amdhsa_exception_fp_denorm_src 0
		.amdhsa_exception_fp_ieee_div_zero 0
		.amdhsa_exception_fp_ieee_overflow 0
		.amdhsa_exception_fp_ieee_underflow 0
		.amdhsa_exception_fp_ieee_inexact 0
		.amdhsa_exception_int_div_zero 0
	.end_amdhsa_kernel
	.section	.text._ZL20rocblas_gemvn_kernelILi64ELi16ElPKdS1_KPdEviiT3_lPKT2_lT1_lS7_lS8_lS4_lPT4_lS8_li,"axG",@progbits,_ZL20rocblas_gemvn_kernelILi64ELi16ElPKdS1_KPdEviiT3_lPKT2_lT1_lS7_lS8_lS4_lPT4_lS8_li,comdat
.Lfunc_end255:
	.size	_ZL20rocblas_gemvn_kernelILi64ELi16ElPKdS1_KPdEviiT3_lPKT2_lT1_lS7_lS8_lS4_lPT4_lS8_li, .Lfunc_end255-_ZL20rocblas_gemvn_kernelILi64ELi16ElPKdS1_KPdEviiT3_lPKT2_lT1_lS7_lS8_lS4_lPT4_lS8_li
                                        ; -- End function
	.set _ZL20rocblas_gemvn_kernelILi64ELi16ElPKdS1_KPdEviiT3_lPKT2_lT1_lS7_lS8_lS4_lPT4_lS8_li.num_vgpr, 97
	.set _ZL20rocblas_gemvn_kernelILi64ELi16ElPKdS1_KPdEviiT3_lPKT2_lT1_lS7_lS8_lS4_lPT4_lS8_li.num_agpr, 0
	.set _ZL20rocblas_gemvn_kernelILi64ELi16ElPKdS1_KPdEviiT3_lPKT2_lT1_lS7_lS8_lS4_lPT4_lS8_li.numbered_sgpr, 50
	.set _ZL20rocblas_gemvn_kernelILi64ELi16ElPKdS1_KPdEviiT3_lPKT2_lT1_lS7_lS8_lS4_lPT4_lS8_li.num_named_barrier, 0
	.set _ZL20rocblas_gemvn_kernelILi64ELi16ElPKdS1_KPdEviiT3_lPKT2_lT1_lS7_lS8_lS4_lPT4_lS8_li.private_seg_size, 0
	.set _ZL20rocblas_gemvn_kernelILi64ELi16ElPKdS1_KPdEviiT3_lPKT2_lT1_lS7_lS8_lS4_lPT4_lS8_li.uses_vcc, 1
	.set _ZL20rocblas_gemvn_kernelILi64ELi16ElPKdS1_KPdEviiT3_lPKT2_lT1_lS7_lS8_lS4_lPT4_lS8_li.uses_flat_scratch, 1
	.set _ZL20rocblas_gemvn_kernelILi64ELi16ElPKdS1_KPdEviiT3_lPKT2_lT1_lS7_lS8_lS4_lPT4_lS8_li.has_dyn_sized_stack, 0
	.set _ZL20rocblas_gemvn_kernelILi64ELi16ElPKdS1_KPdEviiT3_lPKT2_lT1_lS7_lS8_lS4_lPT4_lS8_li.has_recursion, 0
	.set _ZL20rocblas_gemvn_kernelILi64ELi16ElPKdS1_KPdEviiT3_lPKT2_lT1_lS7_lS8_lS4_lPT4_lS8_li.has_indirect_call, 0
	.section	.AMDGPU.csdata,"",@progbits
; Kernel info:
; codeLenInByte = 3864
; TotalNumSgprs: 52
; NumVgprs: 97
; ScratchSize: 0
; MemoryBound: 1
; FloatMode: 240
; IeeeMode: 1
; LDSByteSize: 32768 bytes/workgroup (compile time only)
; SGPRBlocks: 0
; VGPRBlocks: 12
; NumSGPRsForWavesPerEU: 52
; NumVGPRsForWavesPerEU: 97
; Occupancy: 12
; WaveLimiterHint : 1
; COMPUTE_PGM_RSRC2:SCRATCH_EN: 0
; COMPUTE_PGM_RSRC2:USER_SGPR: 2
; COMPUTE_PGM_RSRC2:TRAP_HANDLER: 0
; COMPUTE_PGM_RSRC2:TGID_X_EN: 1
; COMPUTE_PGM_RSRC2:TGID_Y_EN: 0
; COMPUTE_PGM_RSRC2:TGID_Z_EN: 1
; COMPUTE_PGM_RSRC2:TIDIG_COMP_CNT: 1
	.section	.text._ZL20rocblas_gemvn_kernelILi64ELi16EiPKddKPdEviiT3_lPKT2_lT1_lS7_lS8_lS4_lPT4_lS8_li,"axG",@progbits,_ZL20rocblas_gemvn_kernelILi64ELi16EiPKddKPdEviiT3_lPKT2_lT1_lS7_lS8_lS4_lPT4_lS8_li,comdat
	.globl	_ZL20rocblas_gemvn_kernelILi64ELi16EiPKddKPdEviiT3_lPKT2_lT1_lS7_lS8_lS4_lPT4_lS8_li ; -- Begin function _ZL20rocblas_gemvn_kernelILi64ELi16EiPKddKPdEviiT3_lPKT2_lT1_lS7_lS8_lS4_lPT4_lS8_li
	.p2align	8
	.type	_ZL20rocblas_gemvn_kernelILi64ELi16EiPKddKPdEviiT3_lPKT2_lT1_lS7_lS8_lS4_lPT4_lS8_li,@function
_ZL20rocblas_gemvn_kernelILi64ELi16EiPKddKPdEviiT3_lPKT2_lT1_lS7_lS8_lS4_lPT4_lS8_li: ; @_ZL20rocblas_gemvn_kernelILi64ELi16EiPKddKPdEviiT3_lPKT2_lT1_lS7_lS8_lS4_lPT4_lS8_li
; %bb.0:
	s_clause 0x1
	s_load_b64 s[2:3], s[0:1], 0x9c
	s_load_b32 s29, s[0:1], 0x88
	s_lshr_b32 s24, ttmp7, 16
	s_wait_kmcnt 0x0
	s_lshr_b32 s4, s2, 16
	s_and_b32 s2, s2, 0xffff
	s_and_b32 s3, s3, 0xffff
	s_mul_i32 s2, s4, s2
	s_delay_alu instid0(SALU_CYCLE_1) | instskip(NEXT) | instid1(SALU_CYCLE_1)
	s_mul_i32 s2, s2, s3
	s_cmp_lg_u32 s2, 0x400
	s_cselect_b32 s2, -1, 0
	s_cmp_ge_u32 s24, s29
	s_cselect_b32 s3, -1, 0
	s_delay_alu instid0(SALU_CYCLE_1) | instskip(NEXT) | instid1(SALU_CYCLE_1)
	s_or_b32 s2, s2, s3
	s_and_b32 vcc_lo, exec_lo, s2
	s_cbranch_vccnz .LBB256_59
; %bb.1:
	s_clause 0x7
	s_load_b64 s[26:27], s[0:1], 0x58
	s_load_b128 s[8:11], s[0:1], 0x0
	s_load_b32 s30, s[0:1], 0x28
	s_load_b128 s[12:15], s[0:1], 0x38
	s_load_b32 s28, s[0:1], 0x48
	s_load_b128 s[16:19], s[0:1], 0x18
	s_load_b128 s[20:23], s[0:1], 0x68
	s_load_b32 s33, s[0:1], 0x78
	v_and_b32_e32 v9, 0x3ff, v0
	v_bfe_u32 v8, v0, 10, 10
	s_lshl_b32 s31, ttmp9, 8
	v_mov_b32_e32 v1, 0
	s_mov_b32 s25, 0
	v_add_nc_u32_e32 v63, s31, v9
	v_lshl_add_u32 v2, v8, 6, v9
	v_lshlrev_b32_e32 v3, 3, v9
	v_lshlrev_b32_e32 v64, 2, v8
	s_delay_alu instid0(VALU_DEP_4) | instskip(NEXT) | instid1(VALU_DEP_4)
	v_add_nc_u32_e32 v4, 64, v63
	v_add_nc_u32_e32 v0, s31, v2
	v_or_b32_e32 v7, s31, v2
	s_wait_kmcnt 0x0
	v_cmp_neq_f64_e64 s34, s[26:27], 1.0
	v_cmp_neq_f64_e64 s35, s[10:11], 0
	v_cmp_eq_f64_e64 s38, s[10:11], 0
	v_cmp_neq_f64_e64 s39, s[26:27], 0
	v_lshl_add_u32 v65, v8, 11, v3
	v_cmp_gt_u32_e64 s0, 0x100, v2
	v_lshl_add_u32 v66, v8, 9, v3
	v_mad_co_u64_u32 v[2:3], null, s33, v0, 0
	v_cmp_gt_i32_e64 s2, s8, v4
	v_mul_lo_u32 v4, s33, v7
	v_add_nc_u32_e32 v6, 0xc0, v63
	s_ashr_i32 s36, s33, 31
	v_cmp_gt_i32_e64 s5, s8, v7
	v_mul_lo_u32 v12, s30, v64
	v_add_nc_u32_e32 v5, 0x80, v63
	v_cmp_gt_i32_e64 s4, s8, v6
	v_mul_lo_u32 v13, v8, s30
	v_mad_co_u64_u32 v[6:7], null, s36, v0, v[3:4]
	v_or_b32_e32 v10, 2, v64
	s_ashr_i32 s7, s8, 31
	s_mov_b32 s6, s8
	v_or_b32_e32 v11, 3, v64
	s_ashr_i32 s37, s9, 31
	v_cmp_gt_i32_e64 s1, s8, v63
	s_delay_alu instid0(VALU_DEP_4)
	v_mov_b32_e32 v3, v6
	v_cmp_gt_i64_e32 vcc_lo, s[6:7], v[0:1]
	v_add3_u32 v0, v12, s30, v9
	v_mul_lo_u32 v12, v8, s28
	v_cmp_gt_i32_e64 s3, s8, v5
	s_wait_alu 0xfffe
	s_lshr_b32 s8, s37, 26
	v_mad_co_u64_u32 v[6:7], null, s30, v10, v[9:10]
	s_wait_alu 0xfffe
	s_add_co_i32 s8, s9, s8
	v_mad_co_u64_u32 v[7:8], null, s30, v11, v[9:10]
	s_wait_alu 0xfffe
	s_and_not1_b32 s8, s8, 63
	v_lshl_add_u32 v68, v13, 2, v9
	v_mad_co_u64_u32 v[8:9], null, s28, v64, s[28:29]
	v_mul_lo_u32 v69, s28, v10
	v_mul_lo_u32 v70, s28, v11
	s_wait_alu 0xfffe
	s_sub_co_i32 s7, s9, s8
	v_lshlrev_b64_e32 v[9:10], 3, v[2:3]
	v_cndmask_b32_e64 v67, 0, 1, s35
	v_cmp_gt_i32_e64 s6, s8, v64
	v_ashrrev_i32_e32 v5, 31, v4
	s_or_b32 s33, s35, s34
	v_lshlrev_b32_e32 v71, 2, v12
	s_wait_alu 0xfffe
	s_cmp_gt_i32 s7, 0
	s_cselect_b32 s34, -1, 0
	s_and_b32 s35, s0, vcc_lo
	s_lshl_b32 s36, s30, 6
	s_lshl_b32 s37, s28, 6
	s_lshl_b64 s[18:19], s[18:19], 3
	s_lshl_b64 s[14:15], s[14:15], 3
	;; [unrolled: 1-line block ×3, first 2 shown]
	s_branch .LBB256_4
.LBB256_2:                              ;   in Loop: Header=BB256_4 Depth=1
	s_wait_alu 0xfffe
	s_or_b32 exec_lo, exec_lo, s7
.LBB256_3:                              ;   in Loop: Header=BB256_4 Depth=1
	s_add_co_i32 s24, s24, 0x10000
	s_delay_alu instid0(SALU_CYCLE_1)
	s_cmp_lt_u32 s24, s29
	s_cbranch_scc0 .LBB256_59
.LBB256_4:                              ; =>This Loop Header: Depth=1
                                        ;     Child Loop BB256_27 Depth 2
	s_and_not1_b32 vcc_lo, exec_lo, s33
	s_wait_alu 0xfffe
	s_cbranch_vccnz .LBB256_3
; %bb.5:                                ;   in Loop: Header=BB256_4 Depth=1
	s_and_not1_b32 vcc_lo, exec_lo, s38
	s_wait_alu 0xfffe
	s_cbranch_vccnz .LBB256_7
; %bb.6:                                ;   in Loop: Header=BB256_4 Depth=1
	s_mov_b32 s7, 0
	s_branch .LBB256_8
.LBB256_7:                              ;   in Loop: Header=BB256_4 Depth=1
	s_mov_b32 s7, -1
.LBB256_8:                              ;   in Loop: Header=BB256_4 Depth=1
	v_mov_b32_e32 v21, 0
	v_dual_mov_b32 v22, 0 :: v_dual_mov_b32 v13, 0
	v_mov_b32_e32 v14, 0
	s_wait_alu 0xfffe
	s_and_not1_b32 vcc_lo, exec_lo, s7
	s_wait_alu 0xfffe
	s_cbranch_vccnz .LBB256_10
; %bb.9:                                ;   in Loop: Header=BB256_4 Depth=1
	s_lshl_b64 s[40:41], s[24:25], 3
	s_delay_alu instid0(SALU_CYCLE_1)
	s_add_nc_u64 s[40:41], s[16:17], s[40:41]
	global_load_b64 v[11:12], v1, s[40:41]
	s_wait_loadcnt 0x0
	v_add_co_u32 v13, vcc_lo, v11, s18
	s_wait_alu 0xfffd
	v_add_co_ci_u32_e64 v14, null, s19, v12, vcc_lo
.LBB256_10:                             ;   in Loop: Header=BB256_4 Depth=1
	v_cmp_ne_u32_e32 vcc_lo, 1, v67
	s_cbranch_vccnz .LBB256_12
; %bb.11:                               ;   in Loop: Header=BB256_4 Depth=1
	s_lshl_b64 s[40:41], s[24:25], 3
	s_delay_alu instid0(SALU_CYCLE_1)
	s_add_nc_u64 s[40:41], s[12:13], s[40:41]
	global_load_b64 v[11:12], v1, s[40:41]
	s_wait_loadcnt 0x0
	v_add_co_u32 v21, vcc_lo, v11, s14
	s_wait_alu 0xfffd
	v_add_co_ci_u32_e64 v22, null, s15, v12, vcc_lo
.LBB256_12:                             ;   in Loop: Header=BB256_4 Depth=1
	s_lshl_b64 s[40:41], s[24:25], 3
	s_delay_alu instid0(SALU_CYCLE_1)
	s_add_nc_u64 s[40:41], s[20:21], s[40:41]
	global_load_b64 v[11:12], v1, s[40:41]
	s_wait_loadcnt 0x0
	v_add_co_u32 v72, vcc_lo, v11, s22
	s_wait_alu 0xfffd
	v_add_co_ci_u32_e64 v73, null, s23, v12, vcc_lo
	s_and_not1_b32 vcc_lo, exec_lo, s38
	s_wait_alu 0xfffe
	s_cbranch_vccnz .LBB256_16
; %bb.13:                               ;   in Loop: Header=BB256_4 Depth=1
	s_mov_b32 s7, 0
	s_mov_b32 s40, 0
                                        ; implicit-def: $vgpr11_vgpr12
	s_and_saveexec_b32 s41, s35
	s_cbranch_execz .LBB256_17
; %bb.14:                               ;   in Loop: Header=BB256_4 Depth=1
	s_and_not1_b32 vcc_lo, exec_lo, s39
	s_wait_alu 0xfffe
	s_cbranch_vccnz .LBB256_19
; %bb.15:                               ;   in Loop: Header=BB256_4 Depth=1
	v_add_co_u32 v11, vcc_lo, v72, v9
	s_wait_alu 0xfffd
	v_add_co_ci_u32_e64 v12, null, v73, v10, vcc_lo
	flat_load_b64 v[11:12], v[11:12]
	s_wait_loadcnt_dscnt 0x0
	v_mul_f64_e32 v[11:12], s[26:27], v[11:12]
	s_branch .LBB256_20
.LBB256_16:                             ;   in Loop: Header=BB256_4 Depth=1
	s_mov_b32 s40, 0
                                        ; implicit-def: $vgpr11_vgpr12
	s_cbranch_execz .LBB256_18
	s_branch .LBB256_21
.LBB256_17:                             ;   in Loop: Header=BB256_4 Depth=1
	s_or_b32 exec_lo, exec_lo, s41
	s_wait_alu 0xfffe
	s_and_b32 vcc_lo, exec_lo, s7
	s_wait_alu 0xfffe
	s_cbranch_vccnz .LBB256_21
.LBB256_18:                             ;   in Loop: Header=BB256_4 Depth=1
	v_dual_mov_b32 v14, v3 :: v_dual_mov_b32 v13, v2
	s_and_saveexec_b32 s7, s40
	s_cbranch_execz .LBB256_2
	s_branch .LBB256_58
.LBB256_19:                             ;   in Loop: Header=BB256_4 Depth=1
	v_mov_b32_e32 v11, 0
	v_mov_b32_e32 v12, 0
.LBB256_20:                             ;   in Loop: Header=BB256_4 Depth=1
	s_mov_b32 s40, exec_lo
	s_or_b32 exec_lo, exec_lo, s41
	s_delay_alu instid0(SALU_CYCLE_1)
	s_and_b32 vcc_lo, exec_lo, s7
	s_wait_alu 0xfffe
	s_cbranch_vccz .LBB256_18
.LBB256_21:                             ;   in Loop: Header=BB256_4 Depth=1
	v_mov_b32_e32 v11, 0
	v_dual_mov_b32 v17, 0 :: v_dual_mov_b32 v12, 0
	v_dual_mov_b32 v15, 0 :: v_dual_mov_b32 v18, 0
	;; [unrolled: 1-line block ×3, first 2 shown]
	v_mov_b32_e32 v20, 0
	v_mov_b32_e32 v74, v64
	s_and_saveexec_b32 s7, s6
	s_cbranch_execz .LBB256_33
; %bb.22:                               ;   in Loop: Header=BB256_4 Depth=1
	v_mov_b32_e32 v15, 0
	v_dual_mov_b32 v11, 0 :: v_dual_mov_b32 v76, v7
	v_dual_mov_b32 v16, 0 :: v_dual_mov_b32 v17, 0
	;; [unrolled: 1-line block ×5, first 2 shown]
	v_mov_b32_e32 v18, 0
	v_mov_b32_e32 v20, 0
	s_mov_b32 s41, 0
	s_mov_b32 s42, 0
	s_branch .LBB256_27
.LBB256_23:                             ;   in Loop: Header=BB256_27 Depth=2
	s_or_b32 exec_lo, exec_lo, s46
	s_wait_loadcnt_dscnt 0x303
	v_fma_f64 v[17:18], v[23:24], v[55:56], v[17:18]
	s_wait_loadcnt_dscnt 0x202
	s_delay_alu instid0(VALU_DEP_1) | instskip(SKIP_1) | instid1(VALU_DEP_1)
	v_fma_f64 v[17:18], v[25:26], v[57:58], v[17:18]
	s_wait_loadcnt_dscnt 0x101
	v_fma_f64 v[17:18], v[27:28], v[59:60], v[17:18]
	s_wait_loadcnt_dscnt 0x0
	s_delay_alu instid0(VALU_DEP_1)
	v_fma_f64 v[17:18], v[29:30], v[61:62], v[17:18]
.LBB256_24:                             ;   in Loop: Header=BB256_27 Depth=2
	s_or_b32 exec_lo, exec_lo, s45
	s_wait_loadcnt_dscnt 0x303
	v_fma_f64 v[15:16], v[23:24], v[47:48], v[15:16]
	s_wait_loadcnt_dscnt 0x202
	s_delay_alu instid0(VALU_DEP_1) | instskip(SKIP_1) | instid1(VALU_DEP_1)
	v_fma_f64 v[15:16], v[25:26], v[49:50], v[15:16]
	s_wait_loadcnt_dscnt 0x101
	v_fma_f64 v[15:16], v[27:28], v[51:52], v[15:16]
	s_wait_loadcnt_dscnt 0x0
	s_delay_alu instid0(VALU_DEP_1)
	v_fma_f64 v[15:16], v[29:30], v[53:54], v[15:16]
.LBB256_25:                             ;   in Loop: Header=BB256_27 Depth=2
	s_or_b32 exec_lo, exec_lo, s44
	s_wait_loadcnt_dscnt 0x303
	v_fma_f64 v[11:12], v[23:24], v[31:32], v[11:12]
	s_wait_loadcnt_dscnt 0x202
	s_delay_alu instid0(VALU_DEP_1) | instskip(SKIP_1) | instid1(VALU_DEP_1)
	v_fma_f64 v[11:12], v[25:26], v[33:34], v[11:12]
	s_wait_loadcnt_dscnt 0x101
	v_fma_f64 v[11:12], v[27:28], v[35:36], v[11:12]
	s_wait_loadcnt_dscnt 0x0
	s_delay_alu instid0(VALU_DEP_1)
	v_fma_f64 v[11:12], v[29:30], v[37:38], v[11:12]
.LBB256_26:                             ;   in Loop: Header=BB256_27 Depth=2
	s_wait_alu 0xfffe
	s_or_b32 exec_lo, exec_lo, s43
	v_add_nc_u32_e32 v74, 64, v74
	v_add_nc_u32_e32 v78, s36, v78
	;; [unrolled: 1-line block ×5, first 2 shown]
	v_cmp_le_i32_e32 vcc_lo, s8, v74
	s_add_co_i32 s42, s42, s37
	s_or_b32 s41, vcc_lo, s41
	s_delay_alu instid0(SALU_CYCLE_1)
	s_and_not1_b32 exec_lo, exec_lo, s41
	s_cbranch_execz .LBB256_32
.LBB256_27:                             ;   Parent Loop BB256_4 Depth=1
                                        ; =>  This Inner Loop Header: Depth=2
	s_and_saveexec_b32 s43, s1
	s_cbranch_execz .LBB256_26
; %bb.28:                               ;   in Loop: Header=BB256_27 Depth=2
	s_wait_alu 0xfffe
	v_add_nc_u32_e32 v23, s42, v71
	v_add_nc_u32_e32 v25, s42, v8
	v_add_nc_u32_e32 v27, s42, v69
	v_add_nc_u32_e32 v29, s42, v70
	v_add_nc_u32_e32 v31, s31, v75
	v_ashrrev_i32_e32 v24, 31, v23
	v_ashrrev_i32_e32 v26, 31, v25
	;; [unrolled: 1-line block ×3, first 2 shown]
	v_add_nc_u32_e32 v33, s31, v78
	v_ashrrev_i32_e32 v30, 31, v29
	v_lshlrev_b64_e32 v[23:24], 3, v[23:24]
	v_lshlrev_b64_e32 v[25:26], 3, v[25:26]
	v_ashrrev_i32_e32 v32, 31, v31
	v_lshlrev_b64_e32 v[27:28], 3, v[27:28]
	v_ashrrev_i32_e32 v34, 31, v33
	v_lshlrev_b64_e32 v[29:30], 3, v[29:30]
	v_add_co_u32 v23, vcc_lo, v21, v23
	v_add_nc_u32_e32 v35, s31, v77
	s_wait_alu 0xfffd
	v_add_co_ci_u32_e64 v24, null, v22, v24, vcc_lo
	v_add_co_u32 v25, vcc_lo, v21, v25
	v_lshlrev_b64_e32 v[31:32], 3, v[31:32]
	v_add_nc_u32_e32 v37, s31, v76
	s_wait_alu 0xfffd
	v_add_co_ci_u32_e64 v26, null, v22, v26, vcc_lo
	v_add_co_u32 v27, vcc_lo, v21, v27
	v_lshlrev_b64_e32 v[33:34], 3, v[33:34]
	v_ashrrev_i32_e32 v36, 31, v35
	s_wait_alu 0xfffd
	v_add_co_ci_u32_e64 v28, null, v22, v28, vcc_lo
	v_add_co_u32 v29, vcc_lo, v21, v29
	v_ashrrev_i32_e32 v38, 31, v37
	s_wait_alu 0xfffd
	v_add_co_ci_u32_e64 v30, null, v22, v30, vcc_lo
	v_add_co_u32 v39, vcc_lo, v13, v31
	s_wait_alu 0xfffd
	v_add_co_ci_u32_e64 v40, null, v14, v32, vcc_lo
	v_lshlrev_b64_e32 v[31:32], 3, v[35:36]
	v_add_co_u32 v41, vcc_lo, v13, v33
	s_wait_alu 0xfffd
	v_add_co_ci_u32_e64 v42, null, v14, v34, vcc_lo
	v_lshlrev_b64_e32 v[33:34], 3, v[37:38]
	s_delay_alu instid0(VALU_DEP_4) | instskip(SKIP_2) | instid1(VALU_DEP_3)
	v_add_co_u32 v43, vcc_lo, v13, v31
	s_wait_alu 0xfffd
	v_add_co_ci_u32_e64 v44, null, v14, v32, vcc_lo
	v_add_co_u32 v45, vcc_lo, v13, v33
	s_wait_alu 0xfffd
	v_add_co_ci_u32_e64 v46, null, v14, v34, vcc_lo
	s_clause 0x3
	flat_load_b64 v[23:24], v[23:24]
	flat_load_b64 v[25:26], v[25:26]
	;; [unrolled: 1-line block ×4, first 2 shown]
	s_clause 0x3
	flat_load_b64 v[31:32], v[39:40]
	flat_load_b64 v[33:34], v[41:42]
	;; [unrolled: 1-line block ×4, first 2 shown]
	s_and_saveexec_b32 s44, s2
	s_cbranch_execz .LBB256_25
; %bb.29:                               ;   in Loop: Header=BB256_27 Depth=2
	s_clause 0x3
	flat_load_b64 v[47:48], v[39:40] offset:512
	flat_load_b64 v[49:50], v[41:42] offset:512
	flat_load_b64 v[51:52], v[43:44] offset:512
	flat_load_b64 v[53:54], v[45:46] offset:512
	s_and_saveexec_b32 s45, s3
	s_cbranch_execz .LBB256_24
; %bb.30:                               ;   in Loop: Header=BB256_27 Depth=2
	s_clause 0x3
	flat_load_b64 v[55:56], v[39:40] offset:1024
	flat_load_b64 v[57:58], v[41:42] offset:1024
	flat_load_b64 v[59:60], v[43:44] offset:1024
	flat_load_b64 v[61:62], v[45:46] offset:1024
	;; [unrolled: 8-line block ×3, first 2 shown]
	s_wait_loadcnt_dscnt 0x303
	v_fma_f64 v[19:20], v[23:24], v[39:40], v[19:20]
	s_wait_loadcnt_dscnt 0x202
	s_delay_alu instid0(VALU_DEP_1) | instskip(SKIP_1) | instid1(VALU_DEP_1)
	v_fma_f64 v[19:20], v[25:26], v[41:42], v[19:20]
	s_wait_loadcnt_dscnt 0x101
	v_fma_f64 v[19:20], v[27:28], v[43:44], v[19:20]
	s_wait_loadcnt_dscnt 0x0
	s_delay_alu instid0(VALU_DEP_1)
	v_fma_f64 v[19:20], v[29:30], v[45:46], v[19:20]
	s_branch .LBB256_23
.LBB256_32:                             ;   in Loop: Header=BB256_4 Depth=1
	s_or_b32 exec_lo, exec_lo, s41
.LBB256_33:                             ;   in Loop: Header=BB256_4 Depth=1
	s_wait_alu 0xfffe
	s_or_b32 exec_lo, exec_lo, s7
	s_delay_alu instid0(SALU_CYCLE_1)
	s_and_not1_b32 vcc_lo, exec_lo, s34
	s_wait_alu 0xfffe
	s_cbranch_vccnz .LBB256_51
; %bb.34:                               ;   in Loop: Header=BB256_4 Depth=1
	v_mov_b32_e32 v29, 0
	v_dual_mov_b32 v25, 0 :: v_dual_mov_b32 v30, 0
	v_dual_mov_b32 v27, 0 :: v_dual_mov_b32 v26, 0
	v_mov_b32_e32 v23, 0
	v_cmp_gt_i32_e32 vcc_lo, s9, v74
	v_mov_b32_e32 v28, 0
	v_mov_b32_e32 v24, 0
	v_or_b32_e32 v31, 1, v74
	s_and_saveexec_b32 s41, vcc_lo
	s_cbranch_execz .LBB256_42
; %bb.35:                               ;   in Loop: Header=BB256_4 Depth=1
	v_mul_lo_u32 v23, v74, s28
	v_mov_b32_e32 v25, 0
	v_dual_mov_b32 v26, 0 :: v_dual_mov_b32 v27, 0
	v_dual_mov_b32 v29, 0 :: v_dual_mov_b32 v28, 0
	v_mov_b32_e32 v30, 0
	s_mov_b32 s42, exec_lo
	v_ashrrev_i32_e32 v24, 31, v23
	s_delay_alu instid0(VALU_DEP_1) | instskip(NEXT) | instid1(VALU_DEP_1)
	v_lshlrev_b64_e32 v[23:24], 3, v[23:24]
	v_add_co_u32 v23, s7, v21, v23
	s_wait_alu 0xf1ff
	s_delay_alu instid0(VALU_DEP_2)
	v_add_co_ci_u32_e64 v24, null, v22, v24, s7
	flat_load_b64 v[23:24], v[23:24]
	v_cmpx_gt_i32_e64 s9, v31
	s_cbranch_execz .LBB256_41
; %bb.36:                               ;   in Loop: Header=BB256_4 Depth=1
	v_mul_lo_u32 v25, v31, s28
	v_mov_b32_e32 v27, 0
	v_dual_mov_b32 v28, 0 :: v_dual_mov_b32 v29, 0
	v_or_b32_e32 v32, 2, v74
	v_mov_b32_e32 v30, 0
	s_mov_b32 s43, exec_lo
	v_ashrrev_i32_e32 v26, 31, v25
	s_delay_alu instid0(VALU_DEP_1) | instskip(NEXT) | instid1(VALU_DEP_1)
	v_lshlrev_b64_e32 v[25:26], 3, v[25:26]
	v_add_co_u32 v25, s7, v21, v25
	s_wait_alu 0xf1ff
	s_delay_alu instid0(VALU_DEP_2)
	v_add_co_ci_u32_e64 v26, null, v22, v26, s7
	flat_load_b64 v[25:26], v[25:26]
	v_cmpx_gt_i32_e64 s9, v32
	s_cbranch_execz .LBB256_40
; %bb.37:                               ;   in Loop: Header=BB256_4 Depth=1
	v_mul_lo_u32 v27, v32, s28
	v_mov_b32_e32 v29, 0
	v_or_b32_e32 v32, 3, v74
	v_mov_b32_e32 v30, 0
	s_mov_b32 s44, exec_lo
	s_delay_alu instid0(VALU_DEP_4) | instskip(NEXT) | instid1(VALU_DEP_1)
	v_ashrrev_i32_e32 v28, 31, v27
	v_lshlrev_b64_e32 v[27:28], 3, v[27:28]
	s_delay_alu instid0(VALU_DEP_1) | instskip(SKIP_1) | instid1(VALU_DEP_2)
	v_add_co_u32 v27, s7, v21, v27
	s_wait_alu 0xf1ff
	v_add_co_ci_u32_e64 v28, null, v22, v28, s7
	flat_load_b64 v[27:28], v[27:28]
	v_cmpx_gt_i32_e64 s9, v32
	s_cbranch_execz .LBB256_39
; %bb.38:                               ;   in Loop: Header=BB256_4 Depth=1
	v_mul_lo_u32 v29, v32, s28
	s_delay_alu instid0(VALU_DEP_1) | instskip(NEXT) | instid1(VALU_DEP_1)
	v_ashrrev_i32_e32 v30, 31, v29
	v_lshlrev_b64_e32 v[29:30], 3, v[29:30]
	s_delay_alu instid0(VALU_DEP_1) | instskip(SKIP_1) | instid1(VALU_DEP_2)
	v_add_co_u32 v21, s7, v21, v29
	s_wait_alu 0xf1ff
	v_add_co_ci_u32_e64 v22, null, v22, v30, s7
	flat_load_b64 v[29:30], v[21:22]
.LBB256_39:                             ;   in Loop: Header=BB256_4 Depth=1
	s_or_b32 exec_lo, exec_lo, s44
.LBB256_40:                             ;   in Loop: Header=BB256_4 Depth=1
	s_wait_alu 0xfffe
	s_or_b32 exec_lo, exec_lo, s43
.LBB256_41:                             ;   in Loop: Header=BB256_4 Depth=1
	s_wait_alu 0xfffe
	s_or_b32 exec_lo, exec_lo, s42
.LBB256_42:                             ;   in Loop: Header=BB256_4 Depth=1
	s_delay_alu instid0(SALU_CYCLE_1)
	s_or_b32 exec_lo, exec_lo, s41
	s_and_saveexec_b32 s7, s1
	s_cbranch_execz .LBB256_50
; %bb.43:                               ;   in Loop: Header=BB256_4 Depth=1
	v_mul_lo_u32 v22, v74, s30
	v_or_b32_e32 v21, 2, v74
	v_mul_lo_u32 v33, v31, s30
	v_or_b32_e32 v32, 3, v74
	s_delay_alu instid0(VALU_DEP_3) | instskip(NEXT) | instid1(VALU_DEP_2)
	v_mul_lo_u32 v34, v21, s30
	v_mul_lo_u32 v35, v32, s30
	v_cndmask_b32_e32 v22, 0, v22, vcc_lo
	v_cmp_gt_i32_e32 vcc_lo, s9, v31
	s_wait_alu 0xfffd
	v_cndmask_b32_e32 v31, 0, v33, vcc_lo
	v_cmp_gt_i32_e32 vcc_lo, s9, v21
	v_add_nc_u32_e32 v21, v22, v63
	s_delay_alu instid0(VALU_DEP_3)
	v_add_nc_u32_e32 v31, v31, v63
	s_wait_alu 0xfffd
	v_cndmask_b32_e32 v33, 0, v34, vcc_lo
	v_cmp_gt_i32_e32 vcc_lo, s9, v32
	v_ashrrev_i32_e32 v22, 31, v21
	s_wait_alu 0xfffd
	v_cndmask_b32_e32 v32, 0, v35, vcc_lo
	v_add_nc_u32_e32 v33, v33, v63
	s_delay_alu instid0(VALU_DEP_3) | instskip(NEXT) | instid1(VALU_DEP_3)
	v_lshlrev_b64_e32 v[21:22], 3, v[21:22]
	v_add_nc_u32_e32 v35, v32, v63
	v_ashrrev_i32_e32 v32, 31, v31
	s_delay_alu instid0(VALU_DEP_4) | instskip(NEXT) | instid1(VALU_DEP_4)
	v_ashrrev_i32_e32 v34, 31, v33
	v_add_co_u32 v43, vcc_lo, v13, v21
	s_delay_alu instid0(VALU_DEP_4) | instskip(NEXT) | instid1(VALU_DEP_4)
	v_ashrrev_i32_e32 v36, 31, v35
	v_lshlrev_b64_e32 v[31:32], 3, v[31:32]
	s_delay_alu instid0(VALU_DEP_4) | instskip(SKIP_3) | instid1(VALU_DEP_4)
	v_lshlrev_b64_e32 v[33:34], 3, v[33:34]
	s_wait_alu 0xfffd
	v_add_co_ci_u32_e64 v44, null, v14, v22, vcc_lo
	v_lshlrev_b64_e32 v[35:36], 3, v[35:36]
	v_add_co_u32 v45, vcc_lo, v13, v31
	s_wait_alu 0xfffd
	v_add_co_ci_u32_e64 v46, null, v14, v32, vcc_lo
	v_add_co_u32 v47, vcc_lo, v13, v33
	s_wait_alu 0xfffd
	v_add_co_ci_u32_e64 v48, null, v14, v34, vcc_lo
	;; [unrolled: 3-line block ×3, first 2 shown]
	s_clause 0x3
	flat_load_b64 v[13:14], v[43:44]
	flat_load_b64 v[21:22], v[45:46]
	;; [unrolled: 1-line block ×4, first 2 shown]
	s_and_saveexec_b32 s41, s2
	s_cbranch_execz .LBB256_49
; %bb.44:                               ;   in Loop: Header=BB256_4 Depth=1
	s_clause 0x3
	flat_load_b64 v[35:36], v[43:44] offset:512
	flat_load_b64 v[37:38], v[45:46] offset:512
	flat_load_b64 v[39:40], v[47:48] offset:512
	flat_load_b64 v[41:42], v[49:50] offset:512
	s_and_saveexec_b32 s42, s3
	s_cbranch_execz .LBB256_48
; %bb.45:                               ;   in Loop: Header=BB256_4 Depth=1
	s_clause 0x3
	flat_load_b64 v[51:52], v[43:44] offset:1024
	flat_load_b64 v[53:54], v[45:46] offset:1024
	flat_load_b64 v[55:56], v[47:48] offset:1024
	flat_load_b64 v[57:58], v[49:50] offset:1024
	;; [unrolled: 8-line block ×3, first 2 shown]
	s_wait_loadcnt_dscnt 0x303
	v_fma_f64 v[19:20], v[23:24], v[43:44], v[19:20]
	s_wait_loadcnt_dscnt 0x202
	s_delay_alu instid0(VALU_DEP_1) | instskip(SKIP_1) | instid1(VALU_DEP_1)
	v_fma_f64 v[19:20], v[25:26], v[45:46], v[19:20]
	s_wait_loadcnt_dscnt 0x101
	v_fma_f64 v[19:20], v[27:28], v[47:48], v[19:20]
	s_wait_loadcnt_dscnt 0x0
	s_delay_alu instid0(VALU_DEP_1)
	v_fma_f64 v[19:20], v[29:30], v[49:50], v[19:20]
.LBB256_47:                             ;   in Loop: Header=BB256_4 Depth=1
	s_wait_alu 0xfffe
	s_or_b32 exec_lo, exec_lo, s43
	s_wait_loadcnt_dscnt 0x303
	v_fma_f64 v[17:18], v[23:24], v[51:52], v[17:18]
	s_wait_loadcnt_dscnt 0x202
	s_delay_alu instid0(VALU_DEP_1) | instskip(SKIP_1) | instid1(VALU_DEP_1)
	v_fma_f64 v[17:18], v[25:26], v[53:54], v[17:18]
	s_wait_loadcnt_dscnt 0x101
	v_fma_f64 v[17:18], v[27:28], v[55:56], v[17:18]
	s_wait_loadcnt_dscnt 0x0
	s_delay_alu instid0(VALU_DEP_1)
	v_fma_f64 v[17:18], v[29:30], v[57:58], v[17:18]
.LBB256_48:                             ;   in Loop: Header=BB256_4 Depth=1
	s_wait_alu 0xfffe
	s_or_b32 exec_lo, exec_lo, s42
	s_wait_loadcnt_dscnt 0x303
	v_fma_f64 v[15:16], v[23:24], v[35:36], v[15:16]
	s_wait_loadcnt_dscnt 0x202
	s_delay_alu instid0(VALU_DEP_1) | instskip(SKIP_1) | instid1(VALU_DEP_1)
	v_fma_f64 v[15:16], v[25:26], v[37:38], v[15:16]
	s_wait_loadcnt_dscnt 0x101
	v_fma_f64 v[15:16], v[27:28], v[39:40], v[15:16]
	s_wait_loadcnt_dscnt 0x0
	s_delay_alu instid0(VALU_DEP_1)
	v_fma_f64 v[15:16], v[29:30], v[41:42], v[15:16]
.LBB256_49:                             ;   in Loop: Header=BB256_4 Depth=1
	s_or_b32 exec_lo, exec_lo, s41
	s_wait_loadcnt_dscnt 0x303
	v_fma_f64 v[11:12], v[23:24], v[13:14], v[11:12]
	s_wait_loadcnt_dscnt 0x202
	s_delay_alu instid0(VALU_DEP_1) | instskip(SKIP_1) | instid1(VALU_DEP_1)
	v_fma_f64 v[11:12], v[25:26], v[21:22], v[11:12]
	s_wait_loadcnt_dscnt 0x101
	v_fma_f64 v[11:12], v[27:28], v[31:32], v[11:12]
	s_wait_loadcnt_dscnt 0x0
	s_delay_alu instid0(VALU_DEP_1)
	v_fma_f64 v[11:12], v[29:30], v[33:34], v[11:12]
.LBB256_50:                             ;   in Loop: Header=BB256_4 Depth=1
	s_wait_alu 0xfffe
	s_or_b32 exec_lo, exec_lo, s7
.LBB256_51:                             ;   in Loop: Header=BB256_4 Depth=1
	ds_store_2addr_stride64_b64 v65, v[11:12], v[15:16] offset1:1
	ds_store_2addr_stride64_b64 v65, v[17:18], v[19:20] offset0:2 offset1:3
	s_wait_loadcnt_dscnt 0x0
	s_barrier_signal -1
	s_barrier_wait -1
	global_inv scope:SCOPE_SE
                                        ; implicit-def: $vgpr11_vgpr12
	s_and_saveexec_b32 s7, s0
	s_cbranch_execz .LBB256_57
; %bb.52:                               ;   in Loop: Header=BB256_4 Depth=1
	ds_load_2addr_stride64_b64 v[11:14], v66 offset1:4
	s_mov_b32 s42, s40
	s_wait_dscnt 0x0
	v_add_f64_e32 v[15:16], v[11:12], v[13:14]
	ds_load_2addr_stride64_b64 v[11:14], v66 offset0:8 offset1:12
	s_wait_dscnt 0x0
	v_add_f64_e32 v[11:12], v[11:12], v[15:16]
	s_delay_alu instid0(VALU_DEP_1) | instskip(SKIP_3) | instid1(VALU_DEP_1)
	v_add_f64_e32 v[15:16], v[13:14], v[11:12]
	ds_load_2addr_stride64_b64 v[11:14], v66 offset0:16 offset1:20
	s_wait_dscnt 0x0
	v_add_f64_e32 v[11:12], v[11:12], v[15:16]
	v_add_f64_e32 v[15:16], v[13:14], v[11:12]
	ds_load_2addr_stride64_b64 v[11:14], v66 offset0:24 offset1:28
	s_wait_dscnt 0x0
	v_add_f64_e32 v[11:12], v[11:12], v[15:16]
	s_delay_alu instid0(VALU_DEP_1) | instskip(SKIP_3) | instid1(VALU_DEP_1)
	v_add_f64_e32 v[15:16], v[13:14], v[11:12]
	ds_load_2addr_stride64_b64 v[11:14], v66 offset0:32 offset1:36
	s_wait_dscnt 0x0
	v_add_f64_e32 v[11:12], v[11:12], v[15:16]
	;; [unrolled: 9-line block ×3, first 2 shown]
	v_add_f64_e32 v[15:16], v[13:14], v[11:12]
	ds_load_2addr_stride64_b64 v[11:14], v66 offset0:56 offset1:60
	s_wait_dscnt 0x0
	v_add_f64_e32 v[11:12], v[11:12], v[15:16]
	s_delay_alu instid0(VALU_DEP_1)
	v_add_f64_e32 v[13:14], v[13:14], v[11:12]
                                        ; implicit-def: $vgpr11_vgpr12
	ds_store_b64 v66, v[13:14]
	s_and_saveexec_b32 s41, s5
	s_cbranch_execz .LBB256_56
; %bb.53:                               ;   in Loop: Header=BB256_4 Depth=1
	v_mul_f64_e32 v[11:12], s[10:11], v[13:14]
	s_and_not1_b32 vcc_lo, exec_lo, s39
	s_wait_alu 0xfffe
	s_cbranch_vccnz .LBB256_55
; %bb.54:                               ;   in Loop: Header=BB256_4 Depth=1
	v_lshlrev_b64_e32 v[13:14], 3, v[4:5]
	s_delay_alu instid0(VALU_DEP_1) | instskip(SKIP_1) | instid1(VALU_DEP_2)
	v_add_co_u32 v13, vcc_lo, v72, v13
	s_wait_alu 0xfffd
	v_add_co_ci_u32_e64 v14, null, v73, v14, vcc_lo
	flat_load_b64 v[13:14], v[13:14]
	s_wait_loadcnt_dscnt 0x0
	v_fma_f64 v[11:12], s[26:27], v[13:14], v[11:12]
.LBB256_55:                             ;   in Loop: Header=BB256_4 Depth=1
	s_or_b32 s42, s40, exec_lo
.LBB256_56:                             ;   in Loop: Header=BB256_4 Depth=1
	s_or_b32 exec_lo, exec_lo, s41
	s_delay_alu instid0(SALU_CYCLE_1) | instskip(SKIP_2) | instid1(SALU_CYCLE_1)
	s_and_not1_b32 s40, s40, exec_lo
	s_wait_alu 0xfffe
	s_and_b32 s41, s42, exec_lo
	s_or_b32 s40, s40, s41
.LBB256_57:                             ;   in Loop: Header=BB256_4 Depth=1
	s_wait_alu 0xfffe
	s_or_b32 exec_lo, exec_lo, s7
	v_dual_mov_b32 v14, v5 :: v_dual_mov_b32 v13, v4
	s_and_saveexec_b32 s7, s40
	s_cbranch_execz .LBB256_2
.LBB256_58:                             ;   in Loop: Header=BB256_4 Depth=1
	s_delay_alu instid0(VALU_DEP_1) | instskip(NEXT) | instid1(VALU_DEP_1)
	v_lshlrev_b64_e32 v[13:14], 3, v[13:14]
	v_add_co_u32 v13, vcc_lo, v72, v13
	s_wait_alu 0xfffd
	s_delay_alu instid0(VALU_DEP_2)
	v_add_co_ci_u32_e64 v14, null, v73, v14, vcc_lo
	flat_store_b64 v[13:14], v[11:12]
	s_branch .LBB256_2
.LBB256_59:
	s_endpgm
	.section	.rodata,"a",@progbits
	.p2align	6, 0x0
	.amdhsa_kernel _ZL20rocblas_gemvn_kernelILi64ELi16EiPKddKPdEviiT3_lPKT2_lT1_lS7_lS8_lS4_lPT4_lS8_li
		.amdhsa_group_segment_fixed_size 32768
		.amdhsa_private_segment_fixed_size 0
		.amdhsa_kernarg_size 400
		.amdhsa_user_sgpr_count 2
		.amdhsa_user_sgpr_dispatch_ptr 0
		.amdhsa_user_sgpr_queue_ptr 0
		.amdhsa_user_sgpr_kernarg_segment_ptr 1
		.amdhsa_user_sgpr_dispatch_id 0
		.amdhsa_user_sgpr_private_segment_size 0
		.amdhsa_wavefront_size32 1
		.amdhsa_uses_dynamic_stack 0
		.amdhsa_enable_private_segment 0
		.amdhsa_system_sgpr_workgroup_id_x 1
		.amdhsa_system_sgpr_workgroup_id_y 0
		.amdhsa_system_sgpr_workgroup_id_z 1
		.amdhsa_system_sgpr_workgroup_info 0
		.amdhsa_system_vgpr_workitem_id 1
		.amdhsa_next_free_vgpr 79
		.amdhsa_next_free_sgpr 47
		.amdhsa_reserve_vcc 1
		.amdhsa_float_round_mode_32 0
		.amdhsa_float_round_mode_16_64 0
		.amdhsa_float_denorm_mode_32 3
		.amdhsa_float_denorm_mode_16_64 3
		.amdhsa_fp16_overflow 0
		.amdhsa_workgroup_processor_mode 1
		.amdhsa_memory_ordered 1
		.amdhsa_forward_progress 1
		.amdhsa_inst_pref_size 28
		.amdhsa_round_robin_scheduling 0
		.amdhsa_exception_fp_ieee_invalid_op 0
		.amdhsa_exception_fp_denorm_src 0
		.amdhsa_exception_fp_ieee_div_zero 0
		.amdhsa_exception_fp_ieee_overflow 0
		.amdhsa_exception_fp_ieee_underflow 0
		.amdhsa_exception_fp_ieee_inexact 0
		.amdhsa_exception_int_div_zero 0
	.end_amdhsa_kernel
	.section	.text._ZL20rocblas_gemvn_kernelILi64ELi16EiPKddKPdEviiT3_lPKT2_lT1_lS7_lS8_lS4_lPT4_lS8_li,"axG",@progbits,_ZL20rocblas_gemvn_kernelILi64ELi16EiPKddKPdEviiT3_lPKT2_lT1_lS7_lS8_lS4_lPT4_lS8_li,comdat
.Lfunc_end256:
	.size	_ZL20rocblas_gemvn_kernelILi64ELi16EiPKddKPdEviiT3_lPKT2_lT1_lS7_lS8_lS4_lPT4_lS8_li, .Lfunc_end256-_ZL20rocblas_gemvn_kernelILi64ELi16EiPKddKPdEviiT3_lPKT2_lT1_lS7_lS8_lS4_lPT4_lS8_li
                                        ; -- End function
	.set _ZL20rocblas_gemvn_kernelILi64ELi16EiPKddKPdEviiT3_lPKT2_lT1_lS7_lS8_lS4_lPT4_lS8_li.num_vgpr, 79
	.set _ZL20rocblas_gemvn_kernelILi64ELi16EiPKddKPdEviiT3_lPKT2_lT1_lS7_lS8_lS4_lPT4_lS8_li.num_agpr, 0
	.set _ZL20rocblas_gemvn_kernelILi64ELi16EiPKddKPdEviiT3_lPKT2_lT1_lS7_lS8_lS4_lPT4_lS8_li.numbered_sgpr, 47
	.set _ZL20rocblas_gemvn_kernelILi64ELi16EiPKddKPdEviiT3_lPKT2_lT1_lS7_lS8_lS4_lPT4_lS8_li.num_named_barrier, 0
	.set _ZL20rocblas_gemvn_kernelILi64ELi16EiPKddKPdEviiT3_lPKT2_lT1_lS7_lS8_lS4_lPT4_lS8_li.private_seg_size, 0
	.set _ZL20rocblas_gemvn_kernelILi64ELi16EiPKddKPdEviiT3_lPKT2_lT1_lS7_lS8_lS4_lPT4_lS8_li.uses_vcc, 1
	.set _ZL20rocblas_gemvn_kernelILi64ELi16EiPKddKPdEviiT3_lPKT2_lT1_lS7_lS8_lS4_lPT4_lS8_li.uses_flat_scratch, 1
	.set _ZL20rocblas_gemvn_kernelILi64ELi16EiPKddKPdEviiT3_lPKT2_lT1_lS7_lS8_lS4_lPT4_lS8_li.has_dyn_sized_stack, 0
	.set _ZL20rocblas_gemvn_kernelILi64ELi16EiPKddKPdEviiT3_lPKT2_lT1_lS7_lS8_lS4_lPT4_lS8_li.has_recursion, 0
	.set _ZL20rocblas_gemvn_kernelILi64ELi16EiPKddKPdEviiT3_lPKT2_lT1_lS7_lS8_lS4_lPT4_lS8_li.has_indirect_call, 0
	.section	.AMDGPU.csdata,"",@progbits
; Kernel info:
; codeLenInByte = 3532
; TotalNumSgprs: 49
; NumVgprs: 79
; ScratchSize: 0
; MemoryBound: 0
; FloatMode: 240
; IeeeMode: 1
; LDSByteSize: 32768 bytes/workgroup (compile time only)
; SGPRBlocks: 0
; VGPRBlocks: 9
; NumSGPRsForWavesPerEU: 49
; NumVGPRsForWavesPerEU: 79
; Occupancy: 16
; WaveLimiterHint : 1
; COMPUTE_PGM_RSRC2:SCRATCH_EN: 0
; COMPUTE_PGM_RSRC2:USER_SGPR: 2
; COMPUTE_PGM_RSRC2:TRAP_HANDLER: 0
; COMPUTE_PGM_RSRC2:TGID_X_EN: 1
; COMPUTE_PGM_RSRC2:TGID_Y_EN: 0
; COMPUTE_PGM_RSRC2:TGID_Z_EN: 1
; COMPUTE_PGM_RSRC2:TIDIG_COMP_CNT: 1
	.section	.text._ZL20rocblas_gemvn_kernelILi64ELi16ElPKddKPdEviiT3_lPKT2_lT1_lS7_lS8_lS4_lPT4_lS8_li,"axG",@progbits,_ZL20rocblas_gemvn_kernelILi64ELi16ElPKddKPdEviiT3_lPKT2_lT1_lS7_lS8_lS4_lPT4_lS8_li,comdat
	.globl	_ZL20rocblas_gemvn_kernelILi64ELi16ElPKddKPdEviiT3_lPKT2_lT1_lS7_lS8_lS4_lPT4_lS8_li ; -- Begin function _ZL20rocblas_gemvn_kernelILi64ELi16ElPKddKPdEviiT3_lPKT2_lT1_lS7_lS8_lS4_lPT4_lS8_li
	.p2align	8
	.type	_ZL20rocblas_gemvn_kernelILi64ELi16ElPKddKPdEviiT3_lPKT2_lT1_lS7_lS8_lS4_lPT4_lS8_li,@function
_ZL20rocblas_gemvn_kernelILi64ELi16ElPKddKPdEviiT3_lPKT2_lT1_lS7_lS8_lS4_lPT4_lS8_li: ; @_ZL20rocblas_gemvn_kernelILi64ELi16ElPKddKPdEviiT3_lPKT2_lT1_lS7_lS8_lS4_lPT4_lS8_li
; %bb.0:
	s_clause 0x1
	s_load_b64 s[2:3], s[0:1], 0x9c
	s_load_b32 s33, s[0:1], 0x88
	s_lshr_b32 s24, ttmp7, 16
	s_wait_kmcnt 0x0
	s_lshr_b32 s4, s2, 16
	s_and_b32 s2, s2, 0xffff
	s_and_b32 s3, s3, 0xffff
	s_mul_i32 s2, s4, s2
	s_delay_alu instid0(SALU_CYCLE_1) | instskip(NEXT) | instid1(SALU_CYCLE_1)
	s_mul_i32 s2, s2, s3
	s_cmp_lg_u32 s2, 0x400
	s_cselect_b32 s2, -1, 0
	s_cmp_ge_u32 s24, s33
	s_cselect_b32 s3, -1, 0
	s_delay_alu instid0(SALU_CYCLE_1) | instskip(NEXT) | instid1(SALU_CYCLE_1)
	s_or_b32 s2, s2, s3
	s_and_b32 vcc_lo, exec_lo, s2
	s_cbranch_vccnz .LBB257_59
; %bb.1:
	s_clause 0x7
	s_load_b64 s[26:27], s[0:1], 0x58
	s_load_b128 s[8:11], s[0:1], 0x0
	s_load_b64 s[28:29], s[0:1], 0x48
	s_load_b128 s[12:15], s[0:1], 0x18
	;; [unrolled: 2-line block ×4, first 2 shown]
	v_dual_mov_b32 v1, 0 :: v_dual_and_b32 v2, 0x3ff, v0
	v_bfe_u32 v26, v0, 10, 10
	s_lshl_b32 s36, ttmp9, 8
	s_mov_b32 s25, 0
	s_delay_alu instid0(VALU_DEP_2) | instskip(SKIP_2) | instid1(VALU_DEP_3)
	v_add_nc_u32_e32 v8, s36, v2
	v_lshlrev_b32_e32 v16, 3, v2
	v_lshl_add_u32 v3, v26, 6, v2
	v_add_nc_u32_e32 v4, 64, v8
	v_add_nc_u32_e32 v5, 0x80, v8
	s_delay_alu instid0(VALU_DEP_3)
	v_add_nc_u32_e32 v0, s36, v3
	v_or_b32_e32 v17, s36, v3
	v_cmp_gt_u32_e64 s0, 0x100, v3
	s_wait_kmcnt 0x0
	v_cmp_gt_i32_e64 s2, s8, v4
	v_cmp_gt_i32_e64 s3, s8, v5
	v_cmp_neq_f64_e64 s37, s[26:27], 1.0
	v_mad_co_u64_u32 v[2:3], null, s6, v0, 0
	v_mad_co_u64_u32 v[4:5], null, s6, v17, 0
	v_cmp_neq_f64_e64 s39, s[10:11], 0
	s_ashr_i32 s35, s8, 31
	s_mov_b32 s34, s8
	s_ashr_i32 s5, s9, 31
	v_cmp_gt_i64_e32 vcc_lo, s[34:35], v[0:1]
	s_lshr_b32 s5, s5, 26
	v_mad_co_u64_u32 v[14:15], null, s7, v0, v[3:4]
	s_add_co_i32 s38, s9, s5
	v_mul_lo_u32 v19, s7, v17
	s_and_not1_b32 s38, s38, 63
	v_cmp_eq_f64_e64 s41, s[10:11], 0
	s_sub_co_i32 s7, s9, s38
	v_cmp_neq_f64_e64 s42, s[26:27], 0
	v_dual_mov_b32 v3, v14 :: v_dual_add_nc_u32 v6, 0xc0, v8
	v_ashrrev_i32_e32 v9, 31, v8
	v_cmp_gt_i32_e64 s1, s8, v8
	s_delay_alu instid0(VALU_DEP_3) | instskip(SKIP_1) | instid1(VALU_DEP_4)
	v_cmp_gt_i32_e64 s4, s8, v6
	v_mad_co_u64_u32 v[6:7], null, s28, v26, 0
	v_lshlrev_b64_e32 v[8:9], 3, v[8:9]
	s_delay_alu instid0(VALU_DEP_2) | instskip(NEXT) | instid1(VALU_DEP_1)
	v_mov_b32_e32 v0, v7
	v_mad_co_u64_u32 v[14:15], null, s29, v26, v[0:1]
	v_lshlrev_b32_e32 v80, 2, v26
	v_cndmask_b32_e64 v82, 0, 1, s39
	s_or_b32 s39, s39, s37
	s_wait_alu 0xfffe
	s_cmp_gt_i32 s7, 0
	s_delay_alu instid0(VALU_DEP_3)
	v_mov_b32_e32 v7, v14
	v_or_b32_e32 v18, 3, v80
	v_or_b32_e32 v29, 2, v80
	s_cselect_b32 s40, -1, 0
	s_ashr_i32 s7, s36, 31
	v_mad_co_u64_u32 v[24:25], null, s30, v80, s[30:31]
	v_mad_co_u64_u32 v[10:11], null, s30, v18, 0
	;; [unrolled: 1-line block ×3, first 2 shown]
	s_wait_alu 0xfffe
	s_mul_i32 s7, s6, s7
	v_cmp_gt_i32_e64 s6, s8, v17
	s_wait_alu 0xfffe
	v_add3_u32 v5, v5, s7, v19
	v_mad_co_u64_u32 v[20:21], null, s28, v29, 0
	v_mad_co_u64_u32 v[22:23], null, s28, v80, s[28:29]
	;; [unrolled: 1-line block ×3, first 2 shown]
	v_lshlrev_b64_e32 v[6:7], 5, v[6:7]
	v_cmp_gt_i32_e64 s5, s38, v80
	s_and_b32 s8, s0, vcc_lo
	s_lshl_b64 s[34:35], s[28:29], 9
	s_lshl_b64 s[36:37], s[30:31], 9
	;; [unrolled: 1-line block ×3, first 2 shown]
	v_mov_b32_e32 v11, v14
	v_lshl_add_u32 v81, v26, 11, v16
	v_lshl_add_u32 v0, v26, 9, v16
	v_mad_co_u64_u32 v[15:16], null, s29, v18, v[13:14]
	v_mad_co_u64_u32 v[16:17], null, s30, v26, 0
	;; [unrolled: 1-line block ×3, first 2 shown]
	v_lshlrev_b64_e32 v[10:11], 3, v[10:11]
	s_lshl_b64 s[18:19], s[18:19], 3
	s_delay_alu instid0(VALU_DEP_4) | instskip(SKIP_1) | instid1(VALU_DEP_4)
	v_mov_b32_e32 v13, v15
	s_lshl_b64 s[22:23], s[22:23], 3
	v_dual_mov_b32 v14, v17 :: v_dual_mov_b32 v17, v25
	s_delay_alu instid0(VALU_DEP_4) | instskip(NEXT) | instid1(VALU_DEP_3)
	v_mov_b32_e32 v15, v19
	v_lshlrev_b64_e32 v[12:13], 3, v[12:13]
	s_delay_alu instid0(VALU_DEP_2) | instskip(SKIP_3) | instid1(VALU_DEP_1)
	v_mad_co_u64_u32 v[26:27], null, s31, v26, v[14:15]
	v_mov_b32_e32 v14, v21
	v_mad_co_u64_u32 v[27:28], null, s31, v29, v[15:16]
	v_mov_b32_e32 v15, v23
	v_mad_co_u64_u32 v[28:29], null, s29, v29, v[14:15]
	v_mad_co_u64_u32 v[14:15], null, s29, v80, v[15:16]
	v_mad_co_u64_u32 v[29:30], null, s31, v80, v[17:18]
	v_mov_b32_e32 v17, v26
	v_mov_b32_e32 v19, v27
	;; [unrolled: 1-line block ×4, first 2 shown]
	s_delay_alu instid0(VALU_DEP_4) | instskip(SKIP_4) | instid1(VALU_DEP_4)
	v_lshlrev_b64_e32 v[14:15], 5, v[16:17]
	v_mov_b32_e32 v25, v29
	v_lshlrev_b64_e32 v[16:17], 3, v[18:19]
	v_lshlrev_b64_e32 v[18:19], 3, v[20:21]
	;; [unrolled: 1-line block ×5, first 2 shown]
	s_branch .LBB257_4
.LBB257_2:                              ;   in Loop: Header=BB257_4 Depth=1
	s_wait_alu 0xfffe
	s_or_b32 exec_lo, exec_lo, s7
.LBB257_3:                              ;   in Loop: Header=BB257_4 Depth=1
	s_add_co_i32 s24, s24, 0x10000
	s_delay_alu instid0(SALU_CYCLE_1)
	s_cmp_lt_u32 s24, s33
	s_cbranch_scc0 .LBB257_59
.LBB257_4:                              ; =>This Loop Header: Depth=1
                                        ;     Child Loop BB257_27 Depth 2
	s_and_not1_b32 vcc_lo, exec_lo, s39
	s_wait_alu 0xfffe
	s_cbranch_vccnz .LBB257_3
; %bb.5:                                ;   in Loop: Header=BB257_4 Depth=1
	s_and_not1_b32 vcc_lo, exec_lo, s41
	s_wait_alu 0xfffe
	s_cbranch_vccnz .LBB257_7
; %bb.6:                                ;   in Loop: Header=BB257_4 Depth=1
	s_mov_b32 s7, 0
	s_branch .LBB257_8
.LBB257_7:                              ;   in Loop: Header=BB257_4 Depth=1
	s_mov_b32 s7, -1
.LBB257_8:                              ;   in Loop: Header=BB257_4 Depth=1
	v_mov_b32_e32 v36, 0
	v_dual_mov_b32 v37, 0 :: v_dual_mov_b32 v26, 0
	v_mov_b32_e32 v27, 0
	s_wait_alu 0xfffe
	s_and_not1_b32 vcc_lo, exec_lo, s7
	s_wait_alu 0xfffe
	s_cbranch_vccnz .LBB257_10
; %bb.9:                                ;   in Loop: Header=BB257_4 Depth=1
	s_lshl_b64 s[44:45], s[24:25], 3
	s_delay_alu instid0(SALU_CYCLE_1)
	s_add_nc_u64 s[44:45], s[12:13], s[44:45]
	global_load_b64 v[26:27], v1, s[44:45]
	s_wait_loadcnt 0x0
	v_add_co_u32 v26, vcc_lo, v26, s14
	s_wait_alu 0xfffd
	v_add_co_ci_u32_e64 v27, null, s15, v27, vcc_lo
.LBB257_10:                             ;   in Loop: Header=BB257_4 Depth=1
	v_cmp_ne_u32_e32 vcc_lo, 1, v82
	s_cbranch_vccnz .LBB257_12
; %bb.11:                               ;   in Loop: Header=BB257_4 Depth=1
	s_lshl_b64 s[44:45], s[24:25], 3
	s_delay_alu instid0(SALU_CYCLE_1)
	s_add_nc_u64 s[44:45], s[16:17], s[44:45]
	global_load_b64 v[28:29], v1, s[44:45]
	s_wait_loadcnt 0x0
	v_add_co_u32 v36, vcc_lo, v28, s18
	s_wait_alu 0xfffd
	v_add_co_ci_u32_e64 v37, null, s19, v29, vcc_lo
.LBB257_12:                             ;   in Loop: Header=BB257_4 Depth=1
	s_lshl_b64 s[44:45], s[24:25], 3
	s_delay_alu instid0(SALU_CYCLE_1)
	s_add_nc_u64 s[44:45], s[20:21], s[44:45]
	global_load_b64 v[28:29], v1, s[44:45]
	s_wait_loadcnt 0x0
	v_add_co_u32 v83, vcc_lo, v28, s22
	s_wait_alu 0xfffd
	v_add_co_ci_u32_e64 v84, null, s23, v29, vcc_lo
	s_and_not1_b32 vcc_lo, exec_lo, s41
	s_wait_alu 0xfffe
	s_cbranch_vccnz .LBB257_16
; %bb.13:                               ;   in Loop: Header=BB257_4 Depth=1
	s_mov_b32 s7, 0
	s_mov_b32 s43, 0
                                        ; implicit-def: $vgpr28_vgpr29
	s_and_saveexec_b32 s44, s8
	s_cbranch_execz .LBB257_17
; %bb.14:                               ;   in Loop: Header=BB257_4 Depth=1
	s_and_not1_b32 vcc_lo, exec_lo, s42
	s_wait_alu 0xfffe
	s_cbranch_vccnz .LBB257_19
; %bb.15:                               ;   in Loop: Header=BB257_4 Depth=1
	v_add_co_u32 v28, vcc_lo, v83, v24
	s_wait_alu 0xfffd
	v_add_co_ci_u32_e64 v29, null, v84, v25, vcc_lo
	flat_load_b64 v[28:29], v[28:29]
	s_wait_loadcnt_dscnt 0x0
	v_mul_f64_e32 v[28:29], s[26:27], v[28:29]
	s_branch .LBB257_20
.LBB257_16:                             ;   in Loop: Header=BB257_4 Depth=1
	s_mov_b32 s43, 0
                                        ; implicit-def: $vgpr28_vgpr29
	s_cbranch_execz .LBB257_18
	s_branch .LBB257_21
.LBB257_17:                             ;   in Loop: Header=BB257_4 Depth=1
	s_or_b32 exec_lo, exec_lo, s44
	s_wait_alu 0xfffe
	s_and_b32 vcc_lo, exec_lo, s7
	s_wait_alu 0xfffe
	s_cbranch_vccnz .LBB257_21
.LBB257_18:                             ;   in Loop: Header=BB257_4 Depth=1
	v_dual_mov_b32 v27, v3 :: v_dual_mov_b32 v26, v2
	s_and_saveexec_b32 s7, s43
	s_cbranch_execz .LBB257_2
	s_branch .LBB257_58
.LBB257_19:                             ;   in Loop: Header=BB257_4 Depth=1
	v_mov_b32_e32 v28, 0
	v_mov_b32_e32 v29, 0
.LBB257_20:                             ;   in Loop: Header=BB257_4 Depth=1
	s_mov_b32 s43, exec_lo
	s_or_b32 exec_lo, exec_lo, s44
	s_delay_alu instid0(SALU_CYCLE_1)
	s_and_b32 vcc_lo, exec_lo, s7
	s_wait_alu 0xfffe
	s_cbranch_vccz .LBB257_18
.LBB257_21:                             ;   in Loop: Header=BB257_4 Depth=1
	v_mov_b32_e32 v28, 0
	v_dual_mov_b32 v32, 0 :: v_dual_mov_b32 v29, 0
	v_dual_mov_b32 v30, 0 :: v_dual_mov_b32 v33, 0
	;; [unrolled: 1-line block ×3, first 2 shown]
	v_mov_b32_e32 v35, 0
	v_mov_b32_e32 v85, v80
	s_and_saveexec_b32 s44, s5
	s_cbranch_execz .LBB257_33
; %bb.22:                               ;   in Loop: Header=BB257_4 Depth=1
	v_add_co_u32 v86, vcc_lo, v26, v10
	s_wait_alu 0xfffd
	v_add_co_ci_u32_e64 v87, null, v27, v11, vcc_lo
	v_add_co_u32 v88, vcc_lo, v26, v14
	s_wait_alu 0xfffd
	v_add_co_ci_u32_e64 v89, null, v27, v15, vcc_lo
	;; [unrolled: 3-line block ×3, first 2 shown]
	v_add_co_u32 v92, vcc_lo, v26, v22
	v_mov_b32_e32 v30, 0
	v_dual_mov_b32 v28, 0 :: v_dual_mov_b32 v39, v37
	v_dual_mov_b32 v31, 0 :: v_dual_mov_b32 v32, 0
	;; [unrolled: 1-line block ×3, first 2 shown]
	s_wait_alu 0xfffd
	v_add_co_ci_u32_e64 v93, null, v27, v23, vcc_lo
	v_dual_mov_b32 v29, 0 :: v_dual_mov_b32 v38, v36
	v_mov_b32_e32 v33, 0
	v_mov_b32_e32 v35, 0
	s_mov_b32 s45, 0
	s_branch .LBB257_27
.LBB257_23:                             ;   in Loop: Header=BB257_27 Depth=2
	s_or_b32 exec_lo, exec_lo, s48
	s_wait_loadcnt_dscnt 0x303
	v_fma_f64 v[32:33], v[40:41], v[72:73], v[32:33]
	s_wait_loadcnt_dscnt 0x202
	s_delay_alu instid0(VALU_DEP_1) | instskip(SKIP_1) | instid1(VALU_DEP_1)
	v_fma_f64 v[32:33], v[42:43], v[74:75], v[32:33]
	s_wait_loadcnt_dscnt 0x101
	v_fma_f64 v[32:33], v[44:45], v[76:77], v[32:33]
	s_wait_loadcnt_dscnt 0x0
	s_delay_alu instid0(VALU_DEP_1)
	v_fma_f64 v[32:33], v[46:47], v[78:79], v[32:33]
.LBB257_24:                             ;   in Loop: Header=BB257_27 Depth=2
	s_or_b32 exec_lo, exec_lo, s47
	s_wait_loadcnt_dscnt 0x303
	v_fma_f64 v[30:31], v[40:41], v[64:65], v[30:31]
	s_wait_loadcnt_dscnt 0x202
	s_delay_alu instid0(VALU_DEP_1) | instskip(SKIP_1) | instid1(VALU_DEP_1)
	v_fma_f64 v[30:31], v[42:43], v[66:67], v[30:31]
	s_wait_loadcnt_dscnt 0x101
	v_fma_f64 v[30:31], v[44:45], v[68:69], v[30:31]
	s_wait_loadcnt_dscnt 0x0
	s_delay_alu instid0(VALU_DEP_1)
	v_fma_f64 v[30:31], v[46:47], v[70:71], v[30:31]
.LBB257_25:                             ;   in Loop: Header=BB257_27 Depth=2
	s_or_b32 exec_lo, exec_lo, s46
	s_wait_loadcnt_dscnt 0x303
	v_fma_f64 v[28:29], v[40:41], v[48:49], v[28:29]
	s_wait_loadcnt_dscnt 0x202
	s_delay_alu instid0(VALU_DEP_1) | instskip(SKIP_1) | instid1(VALU_DEP_1)
	v_fma_f64 v[28:29], v[42:43], v[50:51], v[28:29]
	s_wait_loadcnt_dscnt 0x101
	v_fma_f64 v[28:29], v[44:45], v[52:53], v[28:29]
	s_wait_loadcnt_dscnt 0x0
	s_delay_alu instid0(VALU_DEP_1)
	v_fma_f64 v[28:29], v[46:47], v[54:55], v[28:29]
.LBB257_26:                             ;   in Loop: Header=BB257_27 Depth=2
	s_wait_alu 0xfffe
	s_or_b32 exec_lo, exec_lo, s7
	v_add_co_u32 v38, vcc_lo, v38, s34
	s_wait_alu 0xfffd
	v_add_co_ci_u32_e64 v39, null, s35, v39, vcc_lo
	v_add_co_u32 v86, vcc_lo, v86, s36
	v_add_nc_u32_e32 v85, 64, v85
	s_wait_alu 0xfffd
	v_add_co_ci_u32_e64 v87, null, s37, v87, vcc_lo
	v_add_co_u32 v88, vcc_lo, v88, s36
	s_wait_alu 0xfffd
	v_add_co_ci_u32_e64 v89, null, s37, v89, vcc_lo
	v_add_co_u32 v90, vcc_lo, v90, s36
	s_wait_alu 0xfffd
	v_add_co_ci_u32_e64 v91, null, s37, v91, vcc_lo
	v_cmp_le_i32_e32 vcc_lo, s38, v85
	v_add_co_u32 v92, s7, v92, s36
	s_wait_alu 0xf1ff
	v_add_co_ci_u32_e64 v93, null, s37, v93, s7
	s_or_b32 s45, vcc_lo, s45
	s_delay_alu instid0(SALU_CYCLE_1)
	s_and_not1_b32 exec_lo, exec_lo, s45
	s_cbranch_execz .LBB257_32
.LBB257_27:                             ;   Parent Loop BB257_4 Depth=1
                                        ; =>  This Inner Loop Header: Depth=2
	s_and_saveexec_b32 s7, s1
	s_cbranch_execz .LBB257_26
; %bb.28:                               ;   in Loop: Header=BB257_27 Depth=2
	v_add_co_u32 v40, vcc_lo, v38, v6
	s_wait_alu 0xfffd
	v_add_co_ci_u32_e64 v41, null, v39, v7, vcc_lo
	v_add_co_u32 v42, vcc_lo, v38, v20
	s_wait_alu 0xfffd
	v_add_co_ci_u32_e64 v43, null, v39, v21, vcc_lo
	;; [unrolled: 3-line block ×8, first 2 shown]
	s_clause 0x3
	flat_load_b64 v[40:41], v[40:41]
	flat_load_b64 v[42:43], v[42:43]
	;; [unrolled: 1-line block ×8, first 2 shown]
	s_and_saveexec_b32 s46, s2
	s_cbranch_execz .LBB257_25
; %bb.29:                               ;   in Loop: Header=BB257_27 Depth=2
	flat_load_b64 v[64:65], v[56:57] offset:512
	flat_load_b64 v[66:67], v[58:59] offset:512
	flat_load_b64 v[68:69], v[60:61] offset:512
	flat_load_b64 v[70:71], v[62:63] offset:512
	s_and_saveexec_b32 s47, s3
	s_cbranch_execz .LBB257_24
; %bb.30:                               ;   in Loop: Header=BB257_27 Depth=2
	flat_load_b64 v[72:73], v[56:57] offset:1024
	flat_load_b64 v[74:75], v[58:59] offset:1024
	flat_load_b64 v[76:77], v[60:61] offset:1024
	flat_load_b64 v[78:79], v[62:63] offset:1024
	;; [unrolled: 7-line block ×3, first 2 shown]
	s_wait_loadcnt_dscnt 0x303
	v_fma_f64 v[34:35], v[40:41], v[56:57], v[34:35]
	s_wait_loadcnt_dscnt 0x202
	s_delay_alu instid0(VALU_DEP_1) | instskip(SKIP_1) | instid1(VALU_DEP_1)
	v_fma_f64 v[34:35], v[42:43], v[58:59], v[34:35]
	s_wait_loadcnt_dscnt 0x101
	v_fma_f64 v[34:35], v[44:45], v[60:61], v[34:35]
	s_wait_loadcnt_dscnt 0x0
	s_delay_alu instid0(VALU_DEP_1)
	v_fma_f64 v[34:35], v[46:47], v[62:63], v[34:35]
	s_branch .LBB257_23
.LBB257_32:                             ;   in Loop: Header=BB257_4 Depth=1
	s_or_b32 exec_lo, exec_lo, s45
.LBB257_33:                             ;   in Loop: Header=BB257_4 Depth=1
	s_delay_alu instid0(SALU_CYCLE_1) | instskip(NEXT) | instid1(SALU_CYCLE_1)
	s_or_b32 exec_lo, exec_lo, s44
	s_and_not1_b32 vcc_lo, exec_lo, s40
	s_wait_alu 0xfffe
	s_cbranch_vccnz .LBB257_51
; %bb.34:                               ;   in Loop: Header=BB257_4 Depth=1
	v_mov_b32_e32 v44, 0
	v_dual_mov_b32 v40, 0 :: v_dual_mov_b32 v45, 0
	v_dual_mov_b32 v42, 0 :: v_dual_mov_b32 v41, 0
	v_mov_b32_e32 v38, 0
	v_cmp_gt_i32_e32 vcc_lo, s9, v85
	v_mov_b32_e32 v43, 0
	v_mov_b32_e32 v39, 0
	v_or_b32_e32 v46, 1, v85
	s_and_saveexec_b32 s44, vcc_lo
	s_cbranch_execz .LBB257_42
; %bb.35:                               ;   in Loop: Header=BB257_4 Depth=1
	v_mad_co_u64_u32 v[38:39], null, s28, v85, 0
	v_mov_b32_e32 v44, 0
	v_mov_b32_e32 v45, 0
	s_mov_b32 s45, exec_lo
	v_mov_b32_e32 v42, 0
	v_mov_b32_e32 v43, 0
	v_mad_co_u64_u32 v[39:40], null, s29, v85, v[39:40]
	v_mov_b32_e32 v40, 0
	v_mov_b32_e32 v41, 0
	s_delay_alu instid0(VALU_DEP_3) | instskip(NEXT) | instid1(VALU_DEP_1)
	v_lshlrev_b64_e32 v[38:39], 3, v[38:39]
	v_add_co_u32 v38, s7, v36, v38
	s_wait_alu 0xf1ff
	s_delay_alu instid0(VALU_DEP_2)
	v_add_co_ci_u32_e64 v39, null, v37, v39, s7
	flat_load_b64 v[38:39], v[38:39]
	v_cmpx_gt_i32_e64 s9, v46
	s_cbranch_execz .LBB257_41
; %bb.36:                               ;   in Loop: Header=BB257_4 Depth=1
	v_mad_co_u64_u32 v[40:41], null, s28, v46, 0
	v_or_b32_e32 v47, 2, v85
	s_mov_b32 s46, exec_lo
	v_mov_b32_e32 v44, 0
	v_mov_b32_e32 v45, 0
	s_delay_alu instid0(VALU_DEP_4) | instskip(SKIP_2) | instid1(VALU_DEP_3)
	v_mad_co_u64_u32 v[41:42], null, s29, v46, v[41:42]
	v_mov_b32_e32 v42, 0
	v_mov_b32_e32 v43, 0
	v_lshlrev_b64_e32 v[40:41], 3, v[40:41]
	s_delay_alu instid0(VALU_DEP_1) | instskip(SKIP_1) | instid1(VALU_DEP_2)
	v_add_co_u32 v40, s7, v36, v40
	s_wait_alu 0xf1ff
	v_add_co_ci_u32_e64 v41, null, v37, v41, s7
	flat_load_b64 v[40:41], v[40:41]
	v_cmpx_gt_i32_e64 s9, v47
	s_cbranch_execz .LBB257_40
; %bb.37:                               ;   in Loop: Header=BB257_4 Depth=1
	v_mad_co_u64_u32 v[42:43], null, s28, v47, 0
	s_mov_b32 s47, exec_lo
	v_mad_co_u64_u32 v[43:44], null, s29, v47, v[43:44]
	v_mov_b32_e32 v44, 0
	v_or_b32_e32 v47, 3, v85
	v_mov_b32_e32 v45, 0
	s_delay_alu instid0(VALU_DEP_4) | instskip(NEXT) | instid1(VALU_DEP_1)
	v_lshlrev_b64_e32 v[42:43], 3, v[42:43]
	v_add_co_u32 v42, s7, v36, v42
	s_wait_alu 0xf1ff
	s_delay_alu instid0(VALU_DEP_2)
	v_add_co_ci_u32_e64 v43, null, v37, v43, s7
	flat_load_b64 v[42:43], v[42:43]
	v_cmpx_gt_i32_e64 s9, v47
	s_cbranch_execz .LBB257_39
; %bb.38:                               ;   in Loop: Header=BB257_4 Depth=1
	v_mad_co_u64_u32 v[44:45], null, s28, v47, 0
	s_delay_alu instid0(VALU_DEP_1) | instskip(NEXT) | instid1(VALU_DEP_1)
	v_mad_co_u64_u32 v[47:48], null, s29, v47, v[45:46]
	v_mov_b32_e32 v45, v47
	s_delay_alu instid0(VALU_DEP_1) | instskip(NEXT) | instid1(VALU_DEP_1)
	v_lshlrev_b64_e32 v[44:45], 3, v[44:45]
	v_add_co_u32 v36, s7, v36, v44
	s_wait_alu 0xf1ff
	s_delay_alu instid0(VALU_DEP_2)
	v_add_co_ci_u32_e64 v37, null, v37, v45, s7
	flat_load_b64 v[44:45], v[36:37]
.LBB257_39:                             ;   in Loop: Header=BB257_4 Depth=1
	s_or_b32 exec_lo, exec_lo, s47
.LBB257_40:                             ;   in Loop: Header=BB257_4 Depth=1
	s_delay_alu instid0(SALU_CYCLE_1)
	s_or_b32 exec_lo, exec_lo, s46
.LBB257_41:                             ;   in Loop: Header=BB257_4 Depth=1
	s_delay_alu instid0(SALU_CYCLE_1)
	s_or_b32 exec_lo, exec_lo, s45
.LBB257_42:                             ;   in Loop: Header=BB257_4 Depth=1
	s_delay_alu instid0(SALU_CYCLE_1)
	s_or_b32 exec_lo, exec_lo, s44
	s_and_saveexec_b32 s44, s1
	s_cbranch_execz .LBB257_50
; %bb.43:                               ;   in Loop: Header=BB257_4 Depth=1
	v_or_b32_e32 v55, 2, v85
	v_mad_co_u64_u32 v[36:37], null, s30, v85, 0
	v_mad_co_u64_u32 v[47:48], null, s30, v46, 0
	s_delay_alu instid0(VALU_DEP_3) | instskip(SKIP_4) | instid1(VALU_DEP_4)
	v_mad_co_u64_u32 v[49:50], null, s30, v55, 0
	v_cmp_gt_i32_e64 s7, s9, v46
	v_or_b32_e32 v57, 3, v85
	s_wait_loadcnt_dscnt 0x0
	v_mad_co_u64_u32 v[51:52], null, s31, v85, v[37:38]
	v_dual_mov_b32 v37, v50 :: v_dual_cndmask_b32 v50, 0, v36
	v_mad_co_u64_u32 v[52:53], null, s31, v46, v[48:49]
	s_wait_alu 0xf1ff
	v_cndmask_b32_e64 v36, 0, v47, s7
	s_delay_alu instid0(VALU_DEP_3)
	v_mad_co_u64_u32 v[46:47], null, s31, v55, v[37:38]
	v_cndmask_b32_e32 v51, 0, v51, vcc_lo
	v_cmp_gt_i32_e32 vcc_lo, s9, v55
	v_mad_co_u64_u32 v[53:54], null, s30, v57, 0
	v_cndmask_b32_e64 v37, 0, v52, s7
	s_wait_alu 0xfffd
	v_dual_cndmask_b32 v55, 0, v49 :: v_dual_cndmask_b32 v56, 0, v46
	v_lshlrev_b64_e32 v[47:48], 3, v[50:51]
	s_delay_alu instid0(VALU_DEP_3) | instskip(SKIP_1) | instid1(VALU_DEP_3)
	v_lshlrev_b64_e32 v[36:37], 3, v[36:37]
	v_mov_b32_e32 v49, v54
	v_add_co_u32 v47, s7, v26, v47
	s_wait_alu 0xf1ff
	s_delay_alu instid0(VALU_DEP_4) | instskip(NEXT) | instid1(VALU_DEP_2)
	v_add_co_ci_u32_e64 v48, null, v27, v48, s7
	v_add_co_u32 v50, vcc_lo, v47, v8
	s_wait_alu 0xfffd
	s_delay_alu instid0(VALU_DEP_2) | instskip(SKIP_1) | instid1(VALU_DEP_3)
	v_add_co_ci_u32_e64 v51, null, v48, v9, vcc_lo
	v_cmp_gt_i32_e32 vcc_lo, s9, v57
	v_mad_co_u64_u32 v[46:47], null, s31, v57, v[49:50]
	v_add_co_u32 v49, s7, v26, v36
	s_wait_alu 0xfffd
	v_cndmask_b32_e32 v47, 0, v53, vcc_lo
	s_wait_alu 0xf1ff
	v_add_co_ci_u32_e64 v54, null, v27, v37, s7
	s_delay_alu instid0(VALU_DEP_4)
	v_cndmask_b32_e32 v48, 0, v46, vcc_lo
	v_lshlrev_b64_e32 v[36:37], 3, v[55:56]
	v_add_co_u32 v52, vcc_lo, v49, v8
	s_wait_alu 0xfffd
	v_add_co_ci_u32_e64 v53, null, v54, v9, vcc_lo
	v_lshlrev_b64_e32 v[46:47], 3, v[47:48]
	s_delay_alu instid0(VALU_DEP_4) | instskip(SKIP_2) | instid1(VALU_DEP_3)
	v_add_co_u32 v36, vcc_lo, v26, v36
	s_wait_alu 0xfffd
	v_add_co_ci_u32_e64 v37, null, v27, v37, vcc_lo
	v_add_co_u32 v26, vcc_lo, v26, v46
	s_wait_alu 0xfffd
	v_add_co_ci_u32_e64 v27, null, v27, v47, vcc_lo
	;; [unrolled: 3-line block ×4, first 2 shown]
	s_clause 0x3
	flat_load_b64 v[26:27], v[50:51]
	flat_load_b64 v[36:37], v[52:53]
	;; [unrolled: 1-line block ×4, first 2 shown]
	s_and_saveexec_b32 s7, s2
	s_cbranch_execz .LBB257_49
; %bb.44:                               ;   in Loop: Header=BB257_4 Depth=1
	s_clause 0x3
	flat_load_b64 v[54:55], v[50:51] offset:512
	flat_load_b64 v[56:57], v[52:53] offset:512
	flat_load_b64 v[58:59], v[62:63] offset:512
	flat_load_b64 v[60:61], v[64:65] offset:512
	s_and_saveexec_b32 s45, s3
	s_cbranch_execz .LBB257_48
; %bb.45:                               ;   in Loop: Header=BB257_4 Depth=1
	s_clause 0x3
	flat_load_b64 v[66:67], v[50:51] offset:1024
	flat_load_b64 v[68:69], v[52:53] offset:1024
	flat_load_b64 v[70:71], v[62:63] offset:1024
	flat_load_b64 v[72:73], v[64:65] offset:1024
	;; [unrolled: 8-line block ×3, first 2 shown]
	s_wait_loadcnt_dscnt 0x303
	v_fma_f64 v[34:35], v[38:39], v[50:51], v[34:35]
	s_wait_loadcnt_dscnt 0x202
	s_delay_alu instid0(VALU_DEP_1) | instskip(SKIP_1) | instid1(VALU_DEP_1)
	v_fma_f64 v[34:35], v[40:41], v[52:53], v[34:35]
	s_wait_loadcnt_dscnt 0x101
	v_fma_f64 v[34:35], v[42:43], v[62:63], v[34:35]
	s_wait_loadcnt_dscnt 0x0
	s_delay_alu instid0(VALU_DEP_1)
	v_fma_f64 v[34:35], v[44:45], v[64:65], v[34:35]
.LBB257_47:                             ;   in Loop: Header=BB257_4 Depth=1
	s_or_b32 exec_lo, exec_lo, s46
	s_wait_loadcnt_dscnt 0x303
	v_fma_f64 v[32:33], v[38:39], v[66:67], v[32:33]
	s_wait_loadcnt_dscnt 0x202
	s_delay_alu instid0(VALU_DEP_1) | instskip(SKIP_1) | instid1(VALU_DEP_1)
	v_fma_f64 v[32:33], v[40:41], v[68:69], v[32:33]
	s_wait_loadcnt_dscnt 0x101
	v_fma_f64 v[32:33], v[42:43], v[70:71], v[32:33]
	s_wait_loadcnt_dscnt 0x0
	s_delay_alu instid0(VALU_DEP_1)
	v_fma_f64 v[32:33], v[44:45], v[72:73], v[32:33]
.LBB257_48:                             ;   in Loop: Header=BB257_4 Depth=1
	s_or_b32 exec_lo, exec_lo, s45
	s_wait_loadcnt_dscnt 0x303
	v_fma_f64 v[30:31], v[38:39], v[54:55], v[30:31]
	s_wait_loadcnt_dscnt 0x202
	s_delay_alu instid0(VALU_DEP_1) | instskip(SKIP_1) | instid1(VALU_DEP_1)
	v_fma_f64 v[30:31], v[40:41], v[56:57], v[30:31]
	s_wait_loadcnt_dscnt 0x101
	v_fma_f64 v[30:31], v[42:43], v[58:59], v[30:31]
	s_wait_loadcnt_dscnt 0x0
	s_delay_alu instid0(VALU_DEP_1)
	v_fma_f64 v[30:31], v[44:45], v[60:61], v[30:31]
.LBB257_49:                             ;   in Loop: Header=BB257_4 Depth=1
	s_wait_alu 0xfffe
	s_or_b32 exec_lo, exec_lo, s7
	s_wait_loadcnt_dscnt 0x303
	v_fma_f64 v[26:27], v[38:39], v[26:27], v[28:29]
	s_wait_loadcnt_dscnt 0x202
	s_delay_alu instid0(VALU_DEP_1) | instskip(SKIP_1) | instid1(VALU_DEP_1)
	v_fma_f64 v[26:27], v[40:41], v[36:37], v[26:27]
	s_wait_loadcnt_dscnt 0x101
	v_fma_f64 v[26:27], v[42:43], v[46:47], v[26:27]
	s_wait_loadcnt_dscnt 0x0
	s_delay_alu instid0(VALU_DEP_1)
	v_fma_f64 v[28:29], v[44:45], v[48:49], v[26:27]
.LBB257_50:                             ;   in Loop: Header=BB257_4 Depth=1
	s_or_b32 exec_lo, exec_lo, s44
.LBB257_51:                             ;   in Loop: Header=BB257_4 Depth=1
	ds_store_2addr_stride64_b64 v81, v[28:29], v[30:31] offset1:1
	ds_store_2addr_stride64_b64 v81, v[32:33], v[34:35] offset0:2 offset1:3
	s_wait_loadcnt_dscnt 0x0
	s_barrier_signal -1
	s_barrier_wait -1
	global_inv scope:SCOPE_SE
                                        ; implicit-def: $vgpr28_vgpr29
	s_and_saveexec_b32 s7, s0
	s_cbranch_execz .LBB257_57
; %bb.52:                               ;   in Loop: Header=BB257_4 Depth=1
	ds_load_2addr_stride64_b64 v[26:29], v0 offset1:4
	s_mov_b32 s45, s43
	s_wait_dscnt 0x0
	v_add_f64_e32 v[30:31], v[26:27], v[28:29]
	ds_load_2addr_stride64_b64 v[26:29], v0 offset0:8 offset1:12
	s_wait_dscnt 0x0
	v_add_f64_e32 v[26:27], v[26:27], v[30:31]
	s_delay_alu instid0(VALU_DEP_1) | instskip(SKIP_3) | instid1(VALU_DEP_1)
	v_add_f64_e32 v[30:31], v[28:29], v[26:27]
	ds_load_2addr_stride64_b64 v[26:29], v0 offset0:16 offset1:20
	s_wait_dscnt 0x0
	v_add_f64_e32 v[26:27], v[26:27], v[30:31]
	v_add_f64_e32 v[30:31], v[28:29], v[26:27]
	ds_load_2addr_stride64_b64 v[26:29], v0 offset0:24 offset1:28
	s_wait_dscnt 0x0
	v_add_f64_e32 v[26:27], v[26:27], v[30:31]
	s_delay_alu instid0(VALU_DEP_1) | instskip(SKIP_3) | instid1(VALU_DEP_1)
	v_add_f64_e32 v[30:31], v[28:29], v[26:27]
	ds_load_2addr_stride64_b64 v[26:29], v0 offset0:32 offset1:36
	s_wait_dscnt 0x0
	v_add_f64_e32 v[26:27], v[26:27], v[30:31]
	;; [unrolled: 9-line block ×3, first 2 shown]
	v_add_f64_e32 v[30:31], v[28:29], v[26:27]
	ds_load_2addr_stride64_b64 v[26:29], v0 offset0:56 offset1:60
	s_wait_dscnt 0x0
	v_add_f64_e32 v[26:27], v[26:27], v[30:31]
	s_delay_alu instid0(VALU_DEP_1)
	v_add_f64_e32 v[26:27], v[28:29], v[26:27]
                                        ; implicit-def: $vgpr28_vgpr29
	ds_store_b64 v0, v[26:27]
	s_and_saveexec_b32 s44, s6
	s_cbranch_execz .LBB257_56
; %bb.53:                               ;   in Loop: Header=BB257_4 Depth=1
	v_mul_f64_e32 v[28:29], s[10:11], v[26:27]
	s_and_not1_b32 vcc_lo, exec_lo, s42
	s_wait_alu 0xfffe
	s_cbranch_vccnz .LBB257_55
; %bb.54:                               ;   in Loop: Header=BB257_4 Depth=1
	v_lshlrev_b64_e32 v[26:27], 3, v[4:5]
	s_delay_alu instid0(VALU_DEP_1) | instskip(SKIP_1) | instid1(VALU_DEP_2)
	v_add_co_u32 v26, vcc_lo, v83, v26
	s_wait_alu 0xfffd
	v_add_co_ci_u32_e64 v27, null, v84, v27, vcc_lo
	flat_load_b64 v[26:27], v[26:27]
	s_wait_loadcnt_dscnt 0x0
	v_fma_f64 v[28:29], s[26:27], v[26:27], v[28:29]
.LBB257_55:                             ;   in Loop: Header=BB257_4 Depth=1
	s_or_b32 s45, s43, exec_lo
.LBB257_56:                             ;   in Loop: Header=BB257_4 Depth=1
	s_or_b32 exec_lo, exec_lo, s44
	s_delay_alu instid0(SALU_CYCLE_1) | instskip(SKIP_1) | instid1(SALU_CYCLE_1)
	s_and_not1_b32 s43, s43, exec_lo
	s_and_b32 s44, s45, exec_lo
	s_or_b32 s43, s43, s44
.LBB257_57:                             ;   in Loop: Header=BB257_4 Depth=1
	s_wait_alu 0xfffe
	s_or_b32 exec_lo, exec_lo, s7
	v_dual_mov_b32 v27, v5 :: v_dual_mov_b32 v26, v4
	s_and_saveexec_b32 s7, s43
	s_cbranch_execz .LBB257_2
.LBB257_58:                             ;   in Loop: Header=BB257_4 Depth=1
	s_delay_alu instid0(VALU_DEP_1) | instskip(NEXT) | instid1(VALU_DEP_1)
	v_lshlrev_b64_e32 v[26:27], 3, v[26:27]
	v_add_co_u32 v26, vcc_lo, v83, v26
	s_wait_alu 0xfffd
	s_delay_alu instid0(VALU_DEP_2)
	v_add_co_ci_u32_e64 v27, null, v84, v27, vcc_lo
	flat_store_b64 v[26:27], v[28:29]
	s_branch .LBB257_2
.LBB257_59:
	s_endpgm
	.section	.rodata,"a",@progbits
	.p2align	6, 0x0
	.amdhsa_kernel _ZL20rocblas_gemvn_kernelILi64ELi16ElPKddKPdEviiT3_lPKT2_lT1_lS7_lS8_lS4_lPT4_lS8_li
		.amdhsa_group_segment_fixed_size 32768
		.amdhsa_private_segment_fixed_size 0
		.amdhsa_kernarg_size 400
		.amdhsa_user_sgpr_count 2
		.amdhsa_user_sgpr_dispatch_ptr 0
		.amdhsa_user_sgpr_queue_ptr 0
		.amdhsa_user_sgpr_kernarg_segment_ptr 1
		.amdhsa_user_sgpr_dispatch_id 0
		.amdhsa_user_sgpr_private_segment_size 0
		.amdhsa_wavefront_size32 1
		.amdhsa_uses_dynamic_stack 0
		.amdhsa_enable_private_segment 0
		.amdhsa_system_sgpr_workgroup_id_x 1
		.amdhsa_system_sgpr_workgroup_id_y 0
		.amdhsa_system_sgpr_workgroup_id_z 1
		.amdhsa_system_sgpr_workgroup_info 0
		.amdhsa_system_vgpr_workitem_id 1
		.amdhsa_next_free_vgpr 94
		.amdhsa_next_free_sgpr 49
		.amdhsa_reserve_vcc 1
		.amdhsa_float_round_mode_32 0
		.amdhsa_float_round_mode_16_64 0
		.amdhsa_float_denorm_mode_32 3
		.amdhsa_float_denorm_mode_16_64 3
		.amdhsa_fp16_overflow 0
		.amdhsa_workgroup_processor_mode 1
		.amdhsa_memory_ordered 1
		.amdhsa_forward_progress 1
		.amdhsa_inst_pref_size 31
		.amdhsa_round_robin_scheduling 0
		.amdhsa_exception_fp_ieee_invalid_op 0
		.amdhsa_exception_fp_denorm_src 0
		.amdhsa_exception_fp_ieee_div_zero 0
		.amdhsa_exception_fp_ieee_overflow 0
		.amdhsa_exception_fp_ieee_underflow 0
		.amdhsa_exception_fp_ieee_inexact 0
		.amdhsa_exception_int_div_zero 0
	.end_amdhsa_kernel
	.section	.text._ZL20rocblas_gemvn_kernelILi64ELi16ElPKddKPdEviiT3_lPKT2_lT1_lS7_lS8_lS4_lPT4_lS8_li,"axG",@progbits,_ZL20rocblas_gemvn_kernelILi64ELi16ElPKddKPdEviiT3_lPKT2_lT1_lS7_lS8_lS4_lPT4_lS8_li,comdat
.Lfunc_end257:
	.size	_ZL20rocblas_gemvn_kernelILi64ELi16ElPKddKPdEviiT3_lPKT2_lT1_lS7_lS8_lS4_lPT4_lS8_li, .Lfunc_end257-_ZL20rocblas_gemvn_kernelILi64ELi16ElPKddKPdEviiT3_lPKT2_lT1_lS7_lS8_lS4_lPT4_lS8_li
                                        ; -- End function
	.set _ZL20rocblas_gemvn_kernelILi64ELi16ElPKddKPdEviiT3_lPKT2_lT1_lS7_lS8_lS4_lPT4_lS8_li.num_vgpr, 94
	.set _ZL20rocblas_gemvn_kernelILi64ELi16ElPKddKPdEviiT3_lPKT2_lT1_lS7_lS8_lS4_lPT4_lS8_li.num_agpr, 0
	.set _ZL20rocblas_gemvn_kernelILi64ELi16ElPKddKPdEviiT3_lPKT2_lT1_lS7_lS8_lS4_lPT4_lS8_li.numbered_sgpr, 49
	.set _ZL20rocblas_gemvn_kernelILi64ELi16ElPKddKPdEviiT3_lPKT2_lT1_lS7_lS8_lS4_lPT4_lS8_li.num_named_barrier, 0
	.set _ZL20rocblas_gemvn_kernelILi64ELi16ElPKddKPdEviiT3_lPKT2_lT1_lS7_lS8_lS4_lPT4_lS8_li.private_seg_size, 0
	.set _ZL20rocblas_gemvn_kernelILi64ELi16ElPKddKPdEviiT3_lPKT2_lT1_lS7_lS8_lS4_lPT4_lS8_li.uses_vcc, 1
	.set _ZL20rocblas_gemvn_kernelILi64ELi16ElPKddKPdEviiT3_lPKT2_lT1_lS7_lS8_lS4_lPT4_lS8_li.uses_flat_scratch, 1
	.set _ZL20rocblas_gemvn_kernelILi64ELi16ElPKddKPdEviiT3_lPKT2_lT1_lS7_lS8_lS4_lPT4_lS8_li.has_dyn_sized_stack, 0
	.set _ZL20rocblas_gemvn_kernelILi64ELi16ElPKddKPdEviiT3_lPKT2_lT1_lS7_lS8_lS4_lPT4_lS8_li.has_recursion, 0
	.set _ZL20rocblas_gemvn_kernelILi64ELi16ElPKddKPdEviiT3_lPKT2_lT1_lS7_lS8_lS4_lPT4_lS8_li.has_indirect_call, 0
	.section	.AMDGPU.csdata,"",@progbits
; Kernel info:
; codeLenInByte = 3868
; TotalNumSgprs: 51
; NumVgprs: 94
; ScratchSize: 0
; MemoryBound: 1
; FloatMode: 240
; IeeeMode: 1
; LDSByteSize: 32768 bytes/workgroup (compile time only)
; SGPRBlocks: 0
; VGPRBlocks: 11
; NumSGPRsForWavesPerEU: 51
; NumVGPRsForWavesPerEU: 94
; Occupancy: 16
; WaveLimiterHint : 1
; COMPUTE_PGM_RSRC2:SCRATCH_EN: 0
; COMPUTE_PGM_RSRC2:USER_SGPR: 2
; COMPUTE_PGM_RSRC2:TRAP_HANDLER: 0
; COMPUTE_PGM_RSRC2:TGID_X_EN: 1
; COMPUTE_PGM_RSRC2:TGID_Y_EN: 0
; COMPUTE_PGM_RSRC2:TGID_Z_EN: 1
; COMPUTE_PGM_RSRC2:TIDIG_COMP_CNT: 1
	.section	.text._ZL22rocblas_gemvtsm_kernelILb0ELi256EPKdS1_KPdEviiT2_lPKT1_lilS7_lilS4_lPT3_lil,"axG",@progbits,_ZL22rocblas_gemvtsm_kernelILb0ELi256EPKdS1_KPdEviiT2_lPKT1_lilS7_lilS4_lPT3_lil,comdat
	.globl	_ZL22rocblas_gemvtsm_kernelILb0ELi256EPKdS1_KPdEviiT2_lPKT1_lilS7_lilS4_lPT3_lil ; -- Begin function _ZL22rocblas_gemvtsm_kernelILb0ELi256EPKdS1_KPdEviiT2_lPKT1_lilS7_lilS4_lPT3_lil
	.p2align	8
	.type	_ZL22rocblas_gemvtsm_kernelILb0ELi256EPKdS1_KPdEviiT2_lPKT1_lilS7_lilS4_lPT3_lil,@function
_ZL22rocblas_gemvtsm_kernelILb0ELi256EPKdS1_KPdEviiT2_lPKT1_lilS7_lilS4_lPT3_lil: ; @_ZL22rocblas_gemvtsm_kernelILb0ELi256EPKdS1_KPdEviiT2_lPKT1_lilS7_lilS4_lPT3_lil
; %bb.0:
	s_clause 0x1
	s_load_b256 s[12:19], s[0:1], 0x8
	s_load_b256 s[4:11], s[0:1], 0x58
	s_mov_b32 s2, ttmp9
	s_mov_b32 s3, 0
	s_wait_kmcnt 0x0
	s_mul_u64 s[14:15], s[14:15], s[2:3]
	s_mul_u64 s[6:7], s[6:7], s[2:3]
	s_lshl_b64 s[14:15], s[14:15], 3
	s_lshl_b64 s[6:7], s[6:7], 3
	s_add_nc_u64 s[12:13], s[12:13], s[14:15]
	s_add_nc_u64 s[4:5], s[4:5], s[6:7]
	s_load_b64 s[14:15], s[12:13], 0x0
	s_load_b64 s[4:5], s[4:5], 0x0
	s_mov_b64 s[12:13], 0
	s_wait_kmcnt 0x0
	v_cmp_eq_f64_e64 s20, s[14:15], 0
	v_cmp_eq_f64_e64 s6, s[4:5], 1.0
	s_and_b32 s6, s20, s6
	s_delay_alu instid0(SALU_CYCLE_1)
	s_and_b32 vcc_lo, exec_lo, s6
	s_cbranch_vccnz .LBB258_39
; %bb.1:
	v_cmp_neq_f64_e64 s6, s[14:15], 0
	s_and_b32 vcc_lo, exec_lo, s20
	s_cbranch_vccnz .LBB258_3
; %bb.2:
	s_lshl_b64 s[12:13], s[2:3], 3
	s_delay_alu instid0(SALU_CYCLE_1)
	s_add_nc_u64 s[12:13], s[16:17], s[12:13]
	s_lshl_b64 s[16:17], s[18:19], 3
	s_load_b64 s[12:13], s[12:13], 0x0
	s_wait_kmcnt 0x0
	s_add_nc_u64 s[12:13], s[12:13], s[16:17]
.LBB258_3:
	s_and_not1_b32 vcc_lo, exec_lo, s6
	s_cbranch_vccnz .LBB258_5
; %bb.4:
	s_load_b128 s[16:19], s[0:1], 0x38
	s_lshl_b64 s[6:7], s[2:3], 3
	s_wait_kmcnt 0x0
	s_add_nc_u64 s[6:7], s[16:17], s[6:7]
	s_lshl_b64 s[16:17], s[18:19], 3
	s_load_b64 s[6:7], s[6:7], 0x0
	s_wait_kmcnt 0x0
	s_add_nc_u64 s[18:19], s[6:7], s[16:17]
	s_branch .LBB258_6
.LBB258_5:
	s_mov_b64 s[18:19], 0
.LBB258_6:
	s_lshl_b64 s[2:3], s[2:3], 3
	s_and_not1_b32 vcc_lo, exec_lo, s20
	s_add_nc_u64 s[2:3], s[8:9], s[2:3]
	s_clause 0x1
	s_load_b64 s[6:7], s[0:1], 0x0
	s_load_b32 s8, s[0:1], 0x78
	s_load_b64 s[16:17], s[2:3], 0x0
	s_mov_b32 s2, -1
	s_cbranch_vccnz .LBB258_21
; %bb.7:
	v_cmp_neq_f64_e64 s2, s[4:5], 0
	s_wait_kmcnt 0x0
	s_cmp_gt_i32 s7, 0
	s_cselect_b32 s20, -1, 0
	s_delay_alu instid0(SALU_CYCLE_1) | instskip(SKIP_1) | instid1(VALU_DEP_1)
	v_cndmask_b32_e64 v1, 0, 1, s20
	s_and_b32 vcc_lo, exec_lo, s2
	v_cmp_ne_u32_e64 s2, 1, v1
	s_cbranch_vccnz .LBB258_14
; %bb.8:
	s_and_b32 vcc_lo, exec_lo, s2
	s_cbranch_vccnz .LBB258_13
; %bb.9:
	v_mad_co_i64_i32 v[1:2], null, s8, v0, 0
	s_lshl_b64 s[2:3], s[10:11], 3
	v_mov_b32_e32 v3, 0
	s_add_nc_u64 s[2:3], s[16:17], s[2:3]
	s_ashr_i32 s9, s8, 31
	v_lshlrev_b64_e32 v[1:2], 3, v[1:2]
	s_delay_alu instid0(VALU_DEP_1) | instskip(NEXT) | instid1(VALU_DEP_1)
	v_add_co_u32 v1, vcc_lo, s2, v1
	v_add_co_ci_u32_e64 v2, null, s3, v2, vcc_lo
	s_wait_alu 0xfffe
	s_lshl_b64 s[2:3], s[8:9], 11
	s_mov_b32 s9, 0
	s_branch .LBB258_11
.LBB258_10:                             ;   in Loop: Header=BB258_11 Depth=1
	s_wait_alu 0xfffe
	s_or_b32 exec_lo, exec_lo, s21
	v_add_co_u32 v1, vcc_lo, v1, s2
	s_wait_alu 0xfffd
	v_add_co_ci_u32_e64 v2, null, s3, v2, vcc_lo
	s_addk_co_i32 s9, 0x100
	s_wait_alu 0xfffe
	s_cmp_ge_i32 s9, s7
	s_cbranch_scc1 .LBB258_13
.LBB258_11:                             ; =>This Inner Loop Header: Depth=1
	s_wait_alu 0xfffe
	v_add_nc_u32_e32 v4, s9, v0
	s_mov_b32 s21, exec_lo
	s_delay_alu instid0(VALU_DEP_1)
	v_cmpx_gt_i32_e64 s7, v4
	s_cbranch_execz .LBB258_10
; %bb.12:                               ;   in Loop: Header=BB258_11 Depth=1
	v_mov_b32_e32 v4, v3
	flat_store_b64 v[1:2], v[3:4]
	s_branch .LBB258_10
.LBB258_13:
	s_cbranch_execz .LBB258_15
	s_branch .LBB258_20
.LBB258_14:
.LBB258_15:
	s_and_not1_b32 vcc_lo, exec_lo, s20
	s_wait_alu 0xfffe
	s_cbranch_vccnz .LBB258_20
; %bb.16:
	v_mad_co_i64_i32 v[1:2], null, s8, v0, 0
	s_lshl_b64 s[2:3], s[10:11], 3
	s_ashr_i32 s9, s8, 31
	s_wait_alu 0xfffe
	s_add_nc_u64 s[2:3], s[16:17], s[2:3]
	v_lshlrev_b64_e32 v[1:2], 3, v[1:2]
	s_wait_alu 0xfffe
	s_delay_alu instid0(VALU_DEP_1) | instskip(SKIP_1) | instid1(VALU_DEP_2)
	v_add_co_u32 v1, vcc_lo, s2, v1
	s_wait_alu 0xfffd
	v_add_co_ci_u32_e64 v2, null, s3, v2, vcc_lo
	s_lshl_b64 s[2:3], s[8:9], 11
	s_mov_b32 s9, 0
	s_branch .LBB258_18
.LBB258_17:                             ;   in Loop: Header=BB258_18 Depth=1
	s_wait_alu 0xfffe
	s_or_b32 exec_lo, exec_lo, s20
	v_add_co_u32 v1, vcc_lo, v1, s2
	s_wait_alu 0xfffd
	v_add_co_ci_u32_e64 v2, null, s3, v2, vcc_lo
	s_addk_co_i32 s9, 0x100
	s_wait_alu 0xfffe
	s_cmp_ge_i32 s9, s7
	s_cbranch_scc1 .LBB258_20
.LBB258_18:                             ; =>This Inner Loop Header: Depth=1
	s_wait_alu 0xfffe
	v_add_nc_u32_e32 v3, s9, v0
	s_mov_b32 s20, exec_lo
	s_delay_alu instid0(VALU_DEP_1)
	v_cmpx_gt_i32_e64 s7, v3
	s_cbranch_execz .LBB258_17
; %bb.19:                               ;   in Loop: Header=BB258_18 Depth=1
	flat_load_b64 v[3:4], v[1:2]
	s_wait_loadcnt_dscnt 0x0
	v_mul_f64_e32 v[3:4], s[4:5], v[3:4]
	flat_store_b64 v[1:2], v[3:4]
	s_branch .LBB258_17
.LBB258_20:
	s_mov_b32 s2, 0
.LBB258_21:
	s_wait_alu 0xfffe
	s_and_not1_b32 vcc_lo, exec_lo, s2
	s_wait_alu 0xfffe
	s_cbranch_vccnz .LBB258_39
; %bb.22:
	s_mov_b32 s2, exec_lo
	s_wait_kmcnt 0x0
	v_cmpx_gt_i32_e64 s6, v0
	s_cbranch_execz .LBB258_24
; %bb.23:
	s_load_b32 s3, s[0:1], 0x48
	v_lshlrev_b32_e32 v3, 3, v0
	s_wait_kmcnt 0x0
	v_mad_co_i64_i32 v[1:2], null, s3, v0, 0
	s_delay_alu instid0(VALU_DEP_1) | instskip(NEXT) | instid1(VALU_DEP_1)
	v_lshlrev_b64_e32 v[1:2], 3, v[1:2]
	v_add_co_u32 v1, vcc_lo, s18, v1
	s_wait_alu 0xfffd
	s_delay_alu instid0(VALU_DEP_2)
	v_add_co_ci_u32_e64 v2, null, s19, v2, vcc_lo
	flat_load_b64 v[1:2], v[1:2]
	s_wait_loadcnt_dscnt 0x0
	v_mul_f64_e32 v[1:2], s[14:15], v[1:2]
	ds_store_b64 v3, v[1:2]
.LBB258_24:
	s_wait_alu 0xfffe
	s_or_b32 exec_lo, exec_lo, s2
	s_cmp_lt_i32 s7, 1
	s_wait_storecnt_dscnt 0x0
	s_barrier_signal -1
	s_barrier_wait -1
	global_inv scope:SCOPE_SE
	s_cbranch_scc1 .LBB258_39
; %bb.25:
	s_load_b32 s18, s[0:1], 0x28
	v_cmp_neq_f64_e64 s14, s[4:5], 0
	s_lshl_b64 s[0:1], s[10:11], 3
	s_ashr_i32 s9, s8, 31
	s_add_nc_u64 s[0:1], s[16:17], s[0:1]
	s_mov_b32 s3, 0
	s_wait_kmcnt 0x0
	v_mad_co_i64_i32 v[1:2], null, s18, v0, 0
	s_ashr_i32 s19, s18, 31
	s_cmp_gt_i32 s6, 0
	s_cselect_b32 s15, -1, 0
	s_and_b32 s16, s6, 7
	s_cmp_gt_u32 s6, 7
	v_lshlrev_b64_e32 v[1:2], 3, v[1:2]
	s_cselect_b32 s17, -1, 0
	s_and_b32 s6, s6, 0x7ffffff8
	s_cmp_lg_u32 s16, 0
	s_delay_alu instid0(VALU_DEP_1)
	v_add_co_u32 v9, vcc_lo, s12, v1
	s_wait_alu 0xfffd
	v_add_co_ci_u32_e64 v10, null, s13, v2, vcc_lo
	s_cselect_b32 s12, -1, 0
	v_add_co_u32 v1, vcc_lo, v9, 56
	s_wait_alu 0xfffd
	v_add_co_ci_u32_e64 v2, null, 0, v10, vcc_lo
	s_wait_alu 0xfffe
	s_lshl_b64 s[10:11], s[18:19], 11
	s_mov_b32 s13, 0
	s_branch .LBB258_28
.LBB258_26:                             ;   in Loop: Header=BB258_28 Depth=1
	v_add_co_u32 v3, vcc_lo, s0, v3
	s_wait_alu 0xfffd
	v_add_co_ci_u32_e64 v4, null, s1, v4, vcc_lo
	flat_store_b64 v[3:4], v[5:6]
.LBB258_27:                             ;   in Loop: Header=BB258_28 Depth=1
	s_wait_alu 0xfffe
	s_or_b32 exec_lo, exec_lo, s18
	v_add_co_u32 v1, vcc_lo, v1, s10
	s_wait_alu 0xfffd
	v_add_co_ci_u32_e64 v2, null, s11, v2, vcc_lo
	v_add_co_u32 v9, vcc_lo, v9, s10
	s_wait_alu 0xfffd
	v_add_co_ci_u32_e64 v10, null, s11, v10, vcc_lo
	s_addk_co_i32 s13, 0x100
	s_wait_alu 0xfffe
	s_cmp_ge_i32 s13, s7
	s_cbranch_scc1 .LBB258_39
.LBB258_28:                             ; =>This Loop Header: Depth=1
                                        ;     Child Loop BB258_34 Depth 2
                                        ;     Child Loop BB258_38 Depth 2
	s_wait_alu 0xfffe
	v_add_nc_u32_e32 v3, s13, v0
	s_mov_b32 s18, exec_lo
	s_delay_alu instid0(VALU_DEP_1)
	v_cmpx_gt_i32_e64 s7, v3
	s_cbranch_execz .LBB258_27
; %bb.29:                               ;   in Loop: Header=BB258_28 Depth=1
	v_mad_co_u64_u32 v[4:5], null, v3, s8, 0
	s_and_not1_b32 vcc_lo, exec_lo, s14
	v_mad_co_u64_u32 v[5:6], null, v3, s9, v[5:6]
	s_delay_alu instid0(VALU_DEP_1)
	v_lshlrev_b64_e32 v[3:4], 3, v[4:5]
	s_wait_alu 0xfffe
	s_cbranch_vccnz .LBB258_31
; %bb.30:                               ;   in Loop: Header=BB258_28 Depth=1
	s_delay_alu instid0(VALU_DEP_1) | instskip(SKIP_1) | instid1(VALU_DEP_2)
	v_add_co_u32 v5, vcc_lo, s0, v3
	s_wait_alu 0xfffd
	v_add_co_ci_u32_e64 v6, null, s1, v4, vcc_lo
	flat_load_b64 v[5:6], v[5:6]
	s_wait_loadcnt_dscnt 0x0
	v_mul_f64_e32 v[5:6], s[4:5], v[5:6]
	s_and_not1_b32 vcc_lo, exec_lo, s15
	s_wait_alu 0xfffe
	s_cbranch_vccz .LBB258_32
	s_branch .LBB258_26
.LBB258_31:                             ;   in Loop: Header=BB258_28 Depth=1
	v_mov_b32_e32 v5, 0
	v_mov_b32_e32 v6, 0
	s_and_not1_b32 vcc_lo, exec_lo, s15
	s_wait_alu 0xfffe
	s_cbranch_vccnz .LBB258_26
.LBB258_32:                             ;   in Loop: Header=BB258_28 Depth=1
	s_and_not1_b32 vcc_lo, exec_lo, s17
	s_mov_b32 s2, 0
	s_wait_alu 0xfffe
	s_cbranch_vccnz .LBB258_36
; %bb.33:                               ;   in Loop: Header=BB258_28 Depth=1
	v_dual_mov_b32 v8, v2 :: v_dual_mov_b32 v7, v1
	s_mov_b32 s19, 0
.LBB258_34:                             ;   Parent Loop BB258_28 Depth=1
                                        ; =>  This Inner Loop Header: Depth=2
	s_clause 0x3
	flat_load_b128 v[11:14], v[7:8] offset:-56
	flat_load_b128 v[15:18], v[7:8] offset:-40
	;; [unrolled: 1-line block ×4, first 2 shown]
	v_mov_b32_e32 v35, s2
	v_add_co_u32 v7, vcc_lo, v7, 64
	s_wait_alu 0xfffd
	v_add_co_ci_u32_e64 v8, null, 0, v8, vcc_lo
	ds_load_b128 v[27:30], v35
	ds_load_b128 v[31:34], v35 offset:16
	s_wait_alu 0xfffe
	s_add_co_i32 s19, s19, 8
	s_add_co_i32 s2, s2, 64
	s_wait_alu 0xfffe
	s_cmp_eq_u32 s6, s19
	s_wait_loadcnt_dscnt 0x301
	v_fma_f64 v[5:6], v[27:28], v[11:12], v[5:6]
	s_delay_alu instid0(VALU_DEP_1) | instskip(SKIP_1) | instid1(VALU_DEP_1)
	v_fma_f64 v[5:6], v[29:30], v[13:14], v[5:6]
	s_wait_loadcnt_dscnt 0x200
	v_fma_f64 v[5:6], v[31:32], v[15:16], v[5:6]
	s_delay_alu instid0(VALU_DEP_1) | instskip(SKIP_4) | instid1(VALU_DEP_1)
	v_fma_f64 v[5:6], v[33:34], v[17:18], v[5:6]
	ds_load_b128 v[11:14], v35 offset:32
	ds_load_b128 v[15:18], v35 offset:48
	s_wait_loadcnt_dscnt 0x101
	v_fma_f64 v[5:6], v[11:12], v[19:20], v[5:6]
	v_fma_f64 v[5:6], v[13:14], v[21:22], v[5:6]
	s_wait_loadcnt_dscnt 0x0
	s_delay_alu instid0(VALU_DEP_1) | instskip(NEXT) | instid1(VALU_DEP_1)
	v_fma_f64 v[5:6], v[15:16], v[23:24], v[5:6]
	v_fma_f64 v[5:6], v[17:18], v[25:26], v[5:6]
	s_cbranch_scc0 .LBB258_34
; %bb.35:                               ;   in Loop: Header=BB258_28 Depth=1
	s_mov_b32 s2, s6
.LBB258_36:                             ;   in Loop: Header=BB258_28 Depth=1
	s_and_not1_b32 vcc_lo, exec_lo, s12
	s_wait_alu 0xfffe
	s_cbranch_vccnz .LBB258_26
; %bb.37:                               ;   in Loop: Header=BB258_28 Depth=1
	s_lshl_b64 s[20:21], s[2:3], 3
	s_lshl_b32 s2, s2, 3
	s_wait_alu 0xfffe
	v_add_co_u32 v7, vcc_lo, v9, s20
	s_wait_alu 0xfffd
	v_add_co_ci_u32_e64 v8, null, s21, v10, vcc_lo
	s_mov_b32 s19, s16
.LBB258_38:                             ;   Parent Loop BB258_28 Depth=1
                                        ; =>  This Inner Loop Header: Depth=2
	flat_load_b64 v[11:12], v[7:8]
	v_mov_b32_e32 v13, s2
	v_add_co_u32 v7, vcc_lo, v7, 8
	s_wait_alu 0xfffd
	v_add_co_ci_u32_e64 v8, null, 0, v8, vcc_lo
	ds_load_b64 v[13:14], v13
	s_wait_alu 0xfffe
	s_add_co_i32 s19, s19, -1
	s_add_co_i32 s2, s2, 8
	s_wait_alu 0xfffe
	s_cmp_lg_u32 s19, 0
	s_wait_loadcnt_dscnt 0x0
	v_fma_f64 v[5:6], v[13:14], v[11:12], v[5:6]
	s_cbranch_scc1 .LBB258_38
	s_branch .LBB258_26
.LBB258_39:
	s_endpgm
	.section	.rodata,"a",@progbits
	.p2align	6, 0x0
	.amdhsa_kernel _ZL22rocblas_gemvtsm_kernelILb0ELi256EPKdS1_KPdEviiT2_lPKT1_lilS7_lilS4_lPT3_lil
		.amdhsa_group_segment_fixed_size 512
		.amdhsa_private_segment_fixed_size 0
		.amdhsa_kernarg_size 136
		.amdhsa_user_sgpr_count 2
		.amdhsa_user_sgpr_dispatch_ptr 0
		.amdhsa_user_sgpr_queue_ptr 0
		.amdhsa_user_sgpr_kernarg_segment_ptr 1
		.amdhsa_user_sgpr_dispatch_id 0
		.amdhsa_user_sgpr_private_segment_size 0
		.amdhsa_wavefront_size32 1
		.amdhsa_uses_dynamic_stack 0
		.amdhsa_enable_private_segment 0
		.amdhsa_system_sgpr_workgroup_id_x 1
		.amdhsa_system_sgpr_workgroup_id_y 0
		.amdhsa_system_sgpr_workgroup_id_z 0
		.amdhsa_system_sgpr_workgroup_info 0
		.amdhsa_system_vgpr_workitem_id 0
		.amdhsa_next_free_vgpr 36
		.amdhsa_next_free_sgpr 22
		.amdhsa_reserve_vcc 1
		.amdhsa_float_round_mode_32 0
		.amdhsa_float_round_mode_16_64 0
		.amdhsa_float_denorm_mode_32 3
		.amdhsa_float_denorm_mode_16_64 3
		.amdhsa_fp16_overflow 0
		.amdhsa_workgroup_processor_mode 1
		.amdhsa_memory_ordered 1
		.amdhsa_forward_progress 1
		.amdhsa_inst_pref_size 13
		.amdhsa_round_robin_scheduling 0
		.amdhsa_exception_fp_ieee_invalid_op 0
		.amdhsa_exception_fp_denorm_src 0
		.amdhsa_exception_fp_ieee_div_zero 0
		.amdhsa_exception_fp_ieee_overflow 0
		.amdhsa_exception_fp_ieee_underflow 0
		.amdhsa_exception_fp_ieee_inexact 0
		.amdhsa_exception_int_div_zero 0
	.end_amdhsa_kernel
	.section	.text._ZL22rocblas_gemvtsm_kernelILb0ELi256EPKdS1_KPdEviiT2_lPKT1_lilS7_lilS4_lPT3_lil,"axG",@progbits,_ZL22rocblas_gemvtsm_kernelILb0ELi256EPKdS1_KPdEviiT2_lPKT1_lilS7_lilS4_lPT3_lil,comdat
.Lfunc_end258:
	.size	_ZL22rocblas_gemvtsm_kernelILb0ELi256EPKdS1_KPdEviiT2_lPKT1_lilS7_lilS4_lPT3_lil, .Lfunc_end258-_ZL22rocblas_gemvtsm_kernelILb0ELi256EPKdS1_KPdEviiT2_lPKT1_lilS7_lilS4_lPT3_lil
                                        ; -- End function
	.set _ZL22rocblas_gemvtsm_kernelILb0ELi256EPKdS1_KPdEviiT2_lPKT1_lilS7_lilS4_lPT3_lil.num_vgpr, 36
	.set _ZL22rocblas_gemvtsm_kernelILb0ELi256EPKdS1_KPdEviiT2_lPKT1_lilS7_lilS4_lPT3_lil.num_agpr, 0
	.set _ZL22rocblas_gemvtsm_kernelILb0ELi256EPKdS1_KPdEviiT2_lPKT1_lilS7_lilS4_lPT3_lil.numbered_sgpr, 22
	.set _ZL22rocblas_gemvtsm_kernelILb0ELi256EPKdS1_KPdEviiT2_lPKT1_lilS7_lilS4_lPT3_lil.num_named_barrier, 0
	.set _ZL22rocblas_gemvtsm_kernelILb0ELi256EPKdS1_KPdEviiT2_lPKT1_lilS7_lilS4_lPT3_lil.private_seg_size, 0
	.set _ZL22rocblas_gemvtsm_kernelILb0ELi256EPKdS1_KPdEviiT2_lPKT1_lilS7_lilS4_lPT3_lil.uses_vcc, 1
	.set _ZL22rocblas_gemvtsm_kernelILb0ELi256EPKdS1_KPdEviiT2_lPKT1_lilS7_lilS4_lPT3_lil.uses_flat_scratch, 1
	.set _ZL22rocblas_gemvtsm_kernelILb0ELi256EPKdS1_KPdEviiT2_lPKT1_lilS7_lilS4_lPT3_lil.has_dyn_sized_stack, 0
	.set _ZL22rocblas_gemvtsm_kernelILb0ELi256EPKdS1_KPdEviiT2_lPKT1_lilS7_lilS4_lPT3_lil.has_recursion, 0
	.set _ZL22rocblas_gemvtsm_kernelILb0ELi256EPKdS1_KPdEviiT2_lPKT1_lilS7_lilS4_lPT3_lil.has_indirect_call, 0
	.section	.AMDGPU.csdata,"",@progbits
; Kernel info:
; codeLenInByte = 1616
; TotalNumSgprs: 24
; NumVgprs: 36
; ScratchSize: 0
; MemoryBound: 0
; FloatMode: 240
; IeeeMode: 1
; LDSByteSize: 512 bytes/workgroup (compile time only)
; SGPRBlocks: 0
; VGPRBlocks: 4
; NumSGPRsForWavesPerEU: 24
; NumVGPRsForWavesPerEU: 36
; Occupancy: 16
; WaveLimiterHint : 1
; COMPUTE_PGM_RSRC2:SCRATCH_EN: 0
; COMPUTE_PGM_RSRC2:USER_SGPR: 2
; COMPUTE_PGM_RSRC2:TRAP_HANDLER: 0
; COMPUTE_PGM_RSRC2:TGID_X_EN: 1
; COMPUTE_PGM_RSRC2:TGID_Y_EN: 0
; COMPUTE_PGM_RSRC2:TGID_Z_EN: 0
; COMPUTE_PGM_RSRC2:TIDIG_COMP_CNT: 0
	.section	.text._ZL22rocblas_gemvtsm_kernelILb0ELi256EPKddKPdEviiT2_lPKT1_lilS7_lilS4_lPT3_lil,"axG",@progbits,_ZL22rocblas_gemvtsm_kernelILb0ELi256EPKddKPdEviiT2_lPKT1_lilS7_lilS4_lPT3_lil,comdat
	.globl	_ZL22rocblas_gemvtsm_kernelILb0ELi256EPKddKPdEviiT2_lPKT1_lilS7_lilS4_lPT3_lil ; -- Begin function _ZL22rocblas_gemvtsm_kernelILb0ELi256EPKddKPdEviiT2_lPKT1_lilS7_lilS4_lPT3_lil
	.p2align	8
	.type	_ZL22rocblas_gemvtsm_kernelILb0ELi256EPKddKPdEviiT2_lPKT1_lilS7_lilS4_lPT3_lil,@function
_ZL22rocblas_gemvtsm_kernelILb0ELi256EPKddKPdEviiT2_lPKT1_lilS7_lilS4_lPT3_lil: ; @_ZL22rocblas_gemvtsm_kernelILb0ELi256EPKddKPdEviiT2_lPKT1_lilS7_lilS4_lPT3_lil
; %bb.0:
	s_clause 0x1
	s_load_b64 s[14:15], s[0:1], 0x8
	s_load_b64 s[8:9], s[0:1], 0x58
	s_wait_kmcnt 0x0
	v_cmp_eq_f64_e64 s20, s[14:15], 0
	v_cmp_eq_f64_e64 s2, s[8:9], 1.0
	s_and_b32 s2, s20, s2
	s_delay_alu instid0(SALU_CYCLE_1)
	s_and_b32 vcc_lo, exec_lo, s2
	s_cbranch_vccnz .LBB259_40
; %bb.1:
	v_cmp_neq_f64_e64 s4, s[14:15], 0
	s_mov_b32 s2, ttmp9
	s_mov_b32 s3, 0
	s_and_b32 vcc_lo, exec_lo, s4
	s_cbranch_vccnz .LBB259_3
; %bb.2:
	s_mov_b32 s5, s3
	s_mov_b64 s[18:19], 0
	s_and_not1_b32 vcc_lo, exec_lo, s5
	s_mov_b64 s[12:13], 0
	s_cbranch_vccz .LBB259_4
	s_branch .LBB259_5
.LBB259_3:
	s_mov_b64 s[18:19], 0
	s_mov_b64 s[12:13], 0
.LBB259_4:
	s_load_b128 s[24:27], s[0:1], 0x18
	s_lshl_b64 s[6:7], s[2:3], 3
	s_wait_kmcnt 0x0
	s_add_nc_u64 s[6:7], s[24:25], s[6:7]
	s_lshl_b64 s[10:11], s[26:27], 3
	s_load_b64 s[6:7], s[6:7], 0x0
	s_wait_kmcnt 0x0
	s_add_nc_u64 s[12:13], s[6:7], s[10:11]
.LBB259_5:
	s_and_not1_b32 vcc_lo, exec_lo, s4
	s_cbranch_vccnz .LBB259_7
; %bb.6:
	s_load_b128 s[4:7], s[0:1], 0x38
	s_lshl_b64 s[10:11], s[2:3], 3
	s_wait_kmcnt 0x0
	s_add_nc_u64 s[4:5], s[4:5], s[10:11]
	s_lshl_b64 s[6:7], s[6:7], 3
	s_load_b64 s[4:5], s[4:5], 0x0
	s_wait_kmcnt 0x0
	s_add_nc_u64 s[18:19], s[4:5], s[6:7]
.LBB259_7:
	s_clause 0x1
	s_load_b128 s[4:7], s[0:1], 0x68
	s_load_b64 s[10:11], s[0:1], 0x0
	s_lshl_b64 s[2:3], s[2:3], 3
	s_and_not1_b32 vcc_lo, exec_lo, s20
	s_wait_kmcnt 0x0
	s_add_nc_u64 s[2:3], s[4:5], s[2:3]
	s_load_b32 s4, s[0:1], 0x78
	s_load_b64 s[16:17], s[2:3], 0x0
	s_mov_b32 s2, -1
	s_cbranch_vccnz .LBB259_22
; %bb.8:
	v_cmp_neq_f64_e64 s2, s[8:9], 0
	s_cmp_gt_i32 s11, 0
	s_cselect_b32 s20, -1, 0
	s_delay_alu instid0(SALU_CYCLE_1) | instskip(SKIP_1) | instid1(VALU_DEP_1)
	v_cndmask_b32_e64 v1, 0, 1, s20
	s_and_b32 vcc_lo, exec_lo, s2
	v_cmp_ne_u32_e64 s2, 1, v1
	s_cbranch_vccnz .LBB259_15
; %bb.9:
	s_and_b32 vcc_lo, exec_lo, s2
	s_cbranch_vccnz .LBB259_14
; %bb.10:
	s_wait_kmcnt 0x0
	v_mad_co_i64_i32 v[1:2], null, s4, v0, 0
	s_lshl_b64 s[2:3], s[6:7], 3
	v_mov_b32_e32 v3, 0
	s_add_nc_u64 s[2:3], s[16:17], s[2:3]
	s_ashr_i32 s5, s4, 31
	v_lshlrev_b64_e32 v[1:2], 3, v[1:2]
	s_delay_alu instid0(VALU_DEP_1) | instskip(NEXT) | instid1(VALU_DEP_1)
	v_add_co_u32 v1, vcc_lo, s2, v1
	v_add_co_ci_u32_e64 v2, null, s3, v2, vcc_lo
	s_wait_alu 0xfffe
	s_lshl_b64 s[2:3], s[4:5], 11
	s_mov_b32 s5, 0
	s_branch .LBB259_12
.LBB259_11:                             ;   in Loop: Header=BB259_12 Depth=1
	s_wait_alu 0xfffe
	s_or_b32 exec_lo, exec_lo, s21
	v_add_co_u32 v1, vcc_lo, v1, s2
	s_wait_alu 0xfffd
	v_add_co_ci_u32_e64 v2, null, s3, v2, vcc_lo
	s_addk_co_i32 s5, 0x100
	s_wait_alu 0xfffe
	s_cmp_ge_i32 s5, s11
	s_cbranch_scc1 .LBB259_14
.LBB259_12:                             ; =>This Inner Loop Header: Depth=1
	s_wait_alu 0xfffe
	v_add_nc_u32_e32 v4, s5, v0
	s_mov_b32 s21, exec_lo
	s_delay_alu instid0(VALU_DEP_1)
	v_cmpx_gt_i32_e64 s11, v4
	s_cbranch_execz .LBB259_11
; %bb.13:                               ;   in Loop: Header=BB259_12 Depth=1
	v_mov_b32_e32 v4, v3
	flat_store_b64 v[1:2], v[3:4]
	s_branch .LBB259_11
.LBB259_14:
	s_cbranch_execz .LBB259_16
	s_branch .LBB259_21
.LBB259_15:
.LBB259_16:
	s_and_not1_b32 vcc_lo, exec_lo, s20
	s_wait_alu 0xfffe
	s_cbranch_vccnz .LBB259_21
; %bb.17:
	s_wait_kmcnt 0x0
	v_mad_co_i64_i32 v[1:2], null, s4, v0, 0
	s_lshl_b64 s[2:3], s[6:7], 3
	s_ashr_i32 s5, s4, 31
	s_wait_alu 0xfffe
	s_add_nc_u64 s[2:3], s[16:17], s[2:3]
	v_lshlrev_b64_e32 v[1:2], 3, v[1:2]
	s_wait_alu 0xfffe
	s_delay_alu instid0(VALU_DEP_1) | instskip(SKIP_1) | instid1(VALU_DEP_2)
	v_add_co_u32 v1, vcc_lo, s2, v1
	s_wait_alu 0xfffd
	v_add_co_ci_u32_e64 v2, null, s3, v2, vcc_lo
	s_lshl_b64 s[2:3], s[4:5], 11
	s_mov_b32 s5, 0
	s_branch .LBB259_19
.LBB259_18:                             ;   in Loop: Header=BB259_19 Depth=1
	s_wait_alu 0xfffe
	s_or_b32 exec_lo, exec_lo, s20
	v_add_co_u32 v1, vcc_lo, v1, s2
	s_wait_alu 0xfffd
	v_add_co_ci_u32_e64 v2, null, s3, v2, vcc_lo
	s_addk_co_i32 s5, 0x100
	s_wait_alu 0xfffe
	s_cmp_ge_i32 s5, s11
	s_cbranch_scc1 .LBB259_21
.LBB259_19:                             ; =>This Inner Loop Header: Depth=1
	s_wait_alu 0xfffe
	v_add_nc_u32_e32 v3, s5, v0
	s_mov_b32 s20, exec_lo
	s_delay_alu instid0(VALU_DEP_1)
	v_cmpx_gt_i32_e64 s11, v3
	s_cbranch_execz .LBB259_18
; %bb.20:                               ;   in Loop: Header=BB259_19 Depth=1
	flat_load_b64 v[3:4], v[1:2]
	s_wait_loadcnt_dscnt 0x0
	v_mul_f64_e32 v[3:4], s[8:9], v[3:4]
	flat_store_b64 v[1:2], v[3:4]
	s_branch .LBB259_18
.LBB259_21:
	s_mov_b32 s2, 0
.LBB259_22:
	s_wait_alu 0xfffe
	s_and_not1_b32 vcc_lo, exec_lo, s2
	s_wait_alu 0xfffe
	s_cbranch_vccnz .LBB259_40
; %bb.23:
	s_mov_b32 s2, exec_lo
	v_cmpx_gt_i32_e64 s10, v0
	s_cbranch_execz .LBB259_25
; %bb.24:
	s_load_b32 s3, s[0:1], 0x48
	v_lshlrev_b32_e32 v3, 3, v0
	s_wait_kmcnt 0x0
	v_mad_co_i64_i32 v[1:2], null, s3, v0, 0
	s_delay_alu instid0(VALU_DEP_1) | instskip(NEXT) | instid1(VALU_DEP_1)
	v_lshlrev_b64_e32 v[1:2], 3, v[1:2]
	v_add_co_u32 v1, vcc_lo, s18, v1
	s_wait_alu 0xfffd
	s_delay_alu instid0(VALU_DEP_2)
	v_add_co_ci_u32_e64 v2, null, s19, v2, vcc_lo
	flat_load_b64 v[1:2], v[1:2]
	s_wait_loadcnt_dscnt 0x0
	v_mul_f64_e32 v[1:2], s[14:15], v[1:2]
	ds_store_b64 v3, v[1:2]
.LBB259_25:
	s_wait_alu 0xfffe
	s_or_b32 exec_lo, exec_lo, s2
	s_cmp_lt_i32 s11, 1
	s_wait_storecnt_dscnt 0x0
	s_barrier_signal -1
	s_barrier_wait -1
	global_inv scope:SCOPE_SE
	s_cbranch_scc1 .LBB259_40
; %bb.26:
	s_load_b32 s18, s[0:1], 0x28
	v_cmp_neq_f64_e64 s14, s[8:9], 0
	s_lshl_b64 s[0:1], s[6:7], 3
	s_wait_kmcnt 0x0
	s_ashr_i32 s5, s4, 31
	s_add_nc_u64 s[0:1], s[16:17], s[0:1]
	s_mov_b32 s3, 0
	v_mad_co_i64_i32 v[1:2], null, s18, v0, 0
	s_ashr_i32 s19, s18, 31
	s_cmp_gt_i32 s10, 0
	s_cselect_b32 s15, -1, 0
	s_and_b32 s16, s10, 7
	s_cmp_gt_u32 s10, 7
	v_lshlrev_b64_e32 v[1:2], 3, v[1:2]
	s_cselect_b32 s17, -1, 0
	s_and_b32 s10, s10, 0x7ffffff8
	s_cmp_lg_u32 s16, 0
	s_delay_alu instid0(VALU_DEP_1)
	v_add_co_u32 v9, vcc_lo, s12, v1
	s_wait_alu 0xfffd
	v_add_co_ci_u32_e64 v10, null, s13, v2, vcc_lo
	s_cselect_b32 s12, -1, 0
	v_add_co_u32 v1, vcc_lo, v9, 56
	s_wait_alu 0xfffd
	v_add_co_ci_u32_e64 v2, null, 0, v10, vcc_lo
	s_wait_alu 0xfffe
	s_lshl_b64 s[6:7], s[18:19], 11
	s_mov_b32 s13, 0
	s_branch .LBB259_29
.LBB259_27:                             ;   in Loop: Header=BB259_29 Depth=1
	v_add_co_u32 v3, vcc_lo, s0, v3
	s_wait_alu 0xfffd
	v_add_co_ci_u32_e64 v4, null, s1, v4, vcc_lo
	flat_store_b64 v[3:4], v[5:6]
.LBB259_28:                             ;   in Loop: Header=BB259_29 Depth=1
	s_wait_alu 0xfffe
	s_or_b32 exec_lo, exec_lo, s18
	v_add_co_u32 v1, vcc_lo, v1, s6
	s_wait_alu 0xfffd
	v_add_co_ci_u32_e64 v2, null, s7, v2, vcc_lo
	v_add_co_u32 v9, vcc_lo, v9, s6
	s_wait_alu 0xfffd
	v_add_co_ci_u32_e64 v10, null, s7, v10, vcc_lo
	s_addk_co_i32 s13, 0x100
	s_wait_alu 0xfffe
	s_cmp_ge_i32 s13, s11
	s_cbranch_scc1 .LBB259_40
.LBB259_29:                             ; =>This Loop Header: Depth=1
                                        ;     Child Loop BB259_35 Depth 2
                                        ;     Child Loop BB259_39 Depth 2
	s_wait_alu 0xfffe
	v_add_nc_u32_e32 v3, s13, v0
	s_mov_b32 s18, exec_lo
	s_delay_alu instid0(VALU_DEP_1)
	v_cmpx_gt_i32_e64 s11, v3
	s_cbranch_execz .LBB259_28
; %bb.30:                               ;   in Loop: Header=BB259_29 Depth=1
	v_mad_co_u64_u32 v[4:5], null, v3, s4, 0
	s_and_not1_b32 vcc_lo, exec_lo, s14
	v_mad_co_u64_u32 v[5:6], null, v3, s5, v[5:6]
	s_delay_alu instid0(VALU_DEP_1)
	v_lshlrev_b64_e32 v[3:4], 3, v[4:5]
	s_wait_alu 0xfffe
	s_cbranch_vccnz .LBB259_32
; %bb.31:                               ;   in Loop: Header=BB259_29 Depth=1
	s_delay_alu instid0(VALU_DEP_1) | instskip(SKIP_1) | instid1(VALU_DEP_2)
	v_add_co_u32 v5, vcc_lo, s0, v3
	s_wait_alu 0xfffd
	v_add_co_ci_u32_e64 v6, null, s1, v4, vcc_lo
	flat_load_b64 v[5:6], v[5:6]
	s_wait_loadcnt_dscnt 0x0
	v_mul_f64_e32 v[5:6], s[8:9], v[5:6]
	s_and_not1_b32 vcc_lo, exec_lo, s15
	s_wait_alu 0xfffe
	s_cbranch_vccz .LBB259_33
	s_branch .LBB259_27
.LBB259_32:                             ;   in Loop: Header=BB259_29 Depth=1
	v_mov_b32_e32 v5, 0
	v_mov_b32_e32 v6, 0
	s_and_not1_b32 vcc_lo, exec_lo, s15
	s_wait_alu 0xfffe
	s_cbranch_vccnz .LBB259_27
.LBB259_33:                             ;   in Loop: Header=BB259_29 Depth=1
	s_and_not1_b32 vcc_lo, exec_lo, s17
	s_mov_b32 s2, 0
	s_wait_alu 0xfffe
	s_cbranch_vccnz .LBB259_37
; %bb.34:                               ;   in Loop: Header=BB259_29 Depth=1
	v_dual_mov_b32 v8, v2 :: v_dual_mov_b32 v7, v1
	s_mov_b32 s19, 0
.LBB259_35:                             ;   Parent Loop BB259_29 Depth=1
                                        ; =>  This Inner Loop Header: Depth=2
	s_clause 0x3
	flat_load_b128 v[11:14], v[7:8] offset:-56
	flat_load_b128 v[15:18], v[7:8] offset:-40
	;; [unrolled: 1-line block ×4, first 2 shown]
	v_mov_b32_e32 v35, s2
	v_add_co_u32 v7, vcc_lo, v7, 64
	s_wait_alu 0xfffd
	v_add_co_ci_u32_e64 v8, null, 0, v8, vcc_lo
	ds_load_b128 v[27:30], v35
	ds_load_b128 v[31:34], v35 offset:16
	s_wait_alu 0xfffe
	s_add_co_i32 s19, s19, 8
	s_add_co_i32 s2, s2, 64
	s_wait_alu 0xfffe
	s_cmp_eq_u32 s10, s19
	s_wait_loadcnt_dscnt 0x301
	v_fma_f64 v[5:6], v[27:28], v[11:12], v[5:6]
	s_delay_alu instid0(VALU_DEP_1) | instskip(SKIP_1) | instid1(VALU_DEP_1)
	v_fma_f64 v[5:6], v[29:30], v[13:14], v[5:6]
	s_wait_loadcnt_dscnt 0x200
	v_fma_f64 v[5:6], v[31:32], v[15:16], v[5:6]
	s_delay_alu instid0(VALU_DEP_1) | instskip(SKIP_4) | instid1(VALU_DEP_1)
	v_fma_f64 v[5:6], v[33:34], v[17:18], v[5:6]
	ds_load_b128 v[11:14], v35 offset:32
	ds_load_b128 v[15:18], v35 offset:48
	s_wait_loadcnt_dscnt 0x101
	v_fma_f64 v[5:6], v[11:12], v[19:20], v[5:6]
	v_fma_f64 v[5:6], v[13:14], v[21:22], v[5:6]
	s_wait_loadcnt_dscnt 0x0
	s_delay_alu instid0(VALU_DEP_1) | instskip(NEXT) | instid1(VALU_DEP_1)
	v_fma_f64 v[5:6], v[15:16], v[23:24], v[5:6]
	v_fma_f64 v[5:6], v[17:18], v[25:26], v[5:6]
	s_cbranch_scc0 .LBB259_35
; %bb.36:                               ;   in Loop: Header=BB259_29 Depth=1
	s_mov_b32 s2, s10
.LBB259_37:                             ;   in Loop: Header=BB259_29 Depth=1
	s_and_not1_b32 vcc_lo, exec_lo, s12
	s_wait_alu 0xfffe
	s_cbranch_vccnz .LBB259_27
; %bb.38:                               ;   in Loop: Header=BB259_29 Depth=1
	s_lshl_b64 s[20:21], s[2:3], 3
	s_lshl_b32 s2, s2, 3
	s_wait_alu 0xfffe
	v_add_co_u32 v7, vcc_lo, v9, s20
	s_wait_alu 0xfffd
	v_add_co_ci_u32_e64 v8, null, s21, v10, vcc_lo
	s_mov_b32 s19, s16
.LBB259_39:                             ;   Parent Loop BB259_29 Depth=1
                                        ; =>  This Inner Loop Header: Depth=2
	flat_load_b64 v[11:12], v[7:8]
	v_mov_b32_e32 v13, s2
	v_add_co_u32 v7, vcc_lo, v7, 8
	s_wait_alu 0xfffd
	v_add_co_ci_u32_e64 v8, null, 0, v8, vcc_lo
	ds_load_b64 v[13:14], v13
	s_wait_alu 0xfffe
	s_add_co_i32 s19, s19, -1
	s_add_co_i32 s2, s2, 8
	s_wait_alu 0xfffe
	s_cmp_lg_u32 s19, 0
	s_wait_loadcnt_dscnt 0x0
	v_fma_f64 v[5:6], v[13:14], v[11:12], v[5:6]
	s_cbranch_scc1 .LBB259_39
	s_branch .LBB259_27
.LBB259_40:
	s_endpgm
	.section	.rodata,"a",@progbits
	.p2align	6, 0x0
	.amdhsa_kernel _ZL22rocblas_gemvtsm_kernelILb0ELi256EPKddKPdEviiT2_lPKT1_lilS7_lilS4_lPT3_lil
		.amdhsa_group_segment_fixed_size 512
		.amdhsa_private_segment_fixed_size 0
		.amdhsa_kernarg_size 136
		.amdhsa_user_sgpr_count 2
		.amdhsa_user_sgpr_dispatch_ptr 0
		.amdhsa_user_sgpr_queue_ptr 0
		.amdhsa_user_sgpr_kernarg_segment_ptr 1
		.amdhsa_user_sgpr_dispatch_id 0
		.amdhsa_user_sgpr_private_segment_size 0
		.amdhsa_wavefront_size32 1
		.amdhsa_uses_dynamic_stack 0
		.amdhsa_enable_private_segment 0
		.amdhsa_system_sgpr_workgroup_id_x 1
		.amdhsa_system_sgpr_workgroup_id_y 0
		.amdhsa_system_sgpr_workgroup_id_z 0
		.amdhsa_system_sgpr_workgroup_info 0
		.amdhsa_system_vgpr_workitem_id 0
		.amdhsa_next_free_vgpr 36
		.amdhsa_next_free_sgpr 28
		.amdhsa_reserve_vcc 1
		.amdhsa_float_round_mode_32 0
		.amdhsa_float_round_mode_16_64 0
		.amdhsa_float_denorm_mode_32 3
		.amdhsa_float_denorm_mode_16_64 3
		.amdhsa_fp16_overflow 0
		.amdhsa_workgroup_processor_mode 1
		.amdhsa_memory_ordered 1
		.amdhsa_forward_progress 1
		.amdhsa_inst_pref_size 13
		.amdhsa_round_robin_scheduling 0
		.amdhsa_exception_fp_ieee_invalid_op 0
		.amdhsa_exception_fp_denorm_src 0
		.amdhsa_exception_fp_ieee_div_zero 0
		.amdhsa_exception_fp_ieee_overflow 0
		.amdhsa_exception_fp_ieee_underflow 0
		.amdhsa_exception_fp_ieee_inexact 0
		.amdhsa_exception_int_div_zero 0
	.end_amdhsa_kernel
	.section	.text._ZL22rocblas_gemvtsm_kernelILb0ELi256EPKddKPdEviiT2_lPKT1_lilS7_lilS4_lPT3_lil,"axG",@progbits,_ZL22rocblas_gemvtsm_kernelILb0ELi256EPKddKPdEviiT2_lPKT1_lilS7_lilS4_lPT3_lil,comdat
.Lfunc_end259:
	.size	_ZL22rocblas_gemvtsm_kernelILb0ELi256EPKddKPdEviiT2_lPKT1_lilS7_lilS4_lPT3_lil, .Lfunc_end259-_ZL22rocblas_gemvtsm_kernelILb0ELi256EPKddKPdEviiT2_lPKT1_lilS7_lilS4_lPT3_lil
                                        ; -- End function
	.set _ZL22rocblas_gemvtsm_kernelILb0ELi256EPKddKPdEviiT2_lPKT1_lilS7_lilS4_lPT3_lil.num_vgpr, 36
	.set _ZL22rocblas_gemvtsm_kernelILb0ELi256EPKddKPdEviiT2_lPKT1_lilS7_lilS4_lPT3_lil.num_agpr, 0
	.set _ZL22rocblas_gemvtsm_kernelILb0ELi256EPKddKPdEviiT2_lPKT1_lilS7_lilS4_lPT3_lil.numbered_sgpr, 28
	.set _ZL22rocblas_gemvtsm_kernelILb0ELi256EPKddKPdEviiT2_lPKT1_lilS7_lilS4_lPT3_lil.num_named_barrier, 0
	.set _ZL22rocblas_gemvtsm_kernelILb0ELi256EPKddKPdEviiT2_lPKT1_lilS7_lilS4_lPT3_lil.private_seg_size, 0
	.set _ZL22rocblas_gemvtsm_kernelILb0ELi256EPKddKPdEviiT2_lPKT1_lilS7_lilS4_lPT3_lil.uses_vcc, 1
	.set _ZL22rocblas_gemvtsm_kernelILb0ELi256EPKddKPdEviiT2_lPKT1_lilS7_lilS4_lPT3_lil.uses_flat_scratch, 1
	.set _ZL22rocblas_gemvtsm_kernelILb0ELi256EPKddKPdEviiT2_lPKT1_lilS7_lilS4_lPT3_lil.has_dyn_sized_stack, 0
	.set _ZL22rocblas_gemvtsm_kernelILb0ELi256EPKddKPdEviiT2_lPKT1_lilS7_lilS4_lPT3_lil.has_recursion, 0
	.set _ZL22rocblas_gemvtsm_kernelILb0ELi256EPKddKPdEviiT2_lPKT1_lilS7_lilS4_lPT3_lil.has_indirect_call, 0
	.section	.AMDGPU.csdata,"",@progbits
; Kernel info:
; codeLenInByte = 1612
; TotalNumSgprs: 30
; NumVgprs: 36
; ScratchSize: 0
; MemoryBound: 0
; FloatMode: 240
; IeeeMode: 1
; LDSByteSize: 512 bytes/workgroup (compile time only)
; SGPRBlocks: 0
; VGPRBlocks: 4
; NumSGPRsForWavesPerEU: 30
; NumVGPRsForWavesPerEU: 36
; Occupancy: 16
; WaveLimiterHint : 1
; COMPUTE_PGM_RSRC2:SCRATCH_EN: 0
; COMPUTE_PGM_RSRC2:USER_SGPR: 2
; COMPUTE_PGM_RSRC2:TRAP_HANDLER: 0
; COMPUTE_PGM_RSRC2:TGID_X_EN: 1
; COMPUTE_PGM_RSRC2:TGID_Y_EN: 0
; COMPUTE_PGM_RSRC2:TGID_Z_EN: 0
; COMPUTE_PGM_RSRC2:TIDIG_COMP_CNT: 0
	.section	.text._ZL23rocblas_gemvt_sn_kernelILb0ELi256ELi4EiPKdS1_dEviiT4_lPKT3_lilS5_lilPT5_i,"axG",@progbits,_ZL23rocblas_gemvt_sn_kernelILb0ELi256ELi4EiPKdS1_dEviiT4_lPKT3_lilS5_lilPT5_i,comdat
	.globl	_ZL23rocblas_gemvt_sn_kernelILb0ELi256ELi4EiPKdS1_dEviiT4_lPKT3_lilS5_lilPT5_i ; -- Begin function _ZL23rocblas_gemvt_sn_kernelILb0ELi256ELi4EiPKdS1_dEviiT4_lPKT3_lilS5_lilPT5_i
	.p2align	8
	.type	_ZL23rocblas_gemvt_sn_kernelILb0ELi256ELi4EiPKdS1_dEviiT4_lPKT3_lilS5_lilPT5_i,@function
_ZL23rocblas_gemvt_sn_kernelILb0ELi256ELi4EiPKdS1_dEviiT4_lPKT3_lilS5_lilPT5_i: ; @_ZL23rocblas_gemvt_sn_kernelILb0ELi256ELi4EiPKdS1_dEviiT4_lPKT3_lilS5_lilPT5_i
; %bb.0:
	s_load_b32 s33, s[0:1], 0x60
	s_lshr_b32 s10, ttmp7, 16
	s_wait_kmcnt 0x0
	s_cmp_ge_u32 s10, s33
	s_cbranch_scc1 .LBB260_65
; %bb.1:
	s_clause 0x6
	s_load_b64 s[26:27], s[0:1], 0x0
	s_load_b256 s[12:19], s[0:1], 0x8
	s_load_b32 s28, s[0:1], 0x68
	s_load_b32 s30, s[0:1], 0x28
	s_load_b128 s[20:23], s[0:1], 0x38
	s_load_b32 s66, s[0:1], 0x48
	s_load_b64 s[34:35], s[0:1], 0x58
	v_cmp_eq_u32_e64 s0, 0, v0
	v_and_b32_e32 v1, 31, v0
	v_cmp_gt_u32_e64 s1, 32, v0
	v_cmp_gt_u32_e64 s2, 8, v0
	v_lshrrev_b32_e32 v2, 2, v0
	s_mov_b32 s37, 0
	v_cmp_eq_u32_e64 s3, 0, v1
	s_mov_b32 s29, s37
	v_lshlrev_b32_e32 v48, 3, v1
	v_and_b32_e32 v49, 56, v2
	v_mbcnt_lo_u32_b32 v50, -1, 0
	s_mov_b32 s24, ttmp9
	s_mov_b32 s25, s37
	s_wait_kmcnt 0x0
	s_ashr_i32 s5, s27, 31
	s_cmp_gt_i32 s27, 0
	s_mov_b32 s4, s27
	s_cselect_b32 s6, -1, 0
	s_lshl_b32 s7, ttmp9, 10
	s_mul_u64 s[38:39], s[4:5], s[28:29]
	v_lshl_or_b32 v0, v0, 2, s7
	s_lshr_b32 s4, s5, 30
	s_ashr_i32 s5, s26, 31
	s_add_co_i32 s4, s27, s4
	s_lshr_b32 s5, s5, 30
	v_mul_lo_u32 v24, s66, v0
	s_add_co_i32 s5, s26, s5
	s_and_b32 s68, s4, -4
	s_and_b32 s4, s5, -4
	v_add_nc_u32_e32 v3, 4, v0
	s_sub_co_i32 s69, s26, s4
	s_and_b32 s67, s0, s6
	v_add_nc_u32_e32 v5, s69, v0
	v_add_nc_u32_e32 v2, s66, v24
	v_ashrrev_i32_e32 v1, 31, v0
	v_cmp_ge_i32_e64 s4, s26, v3
	v_ashrrev_i32_e32 v25, 31, v24
	v_cmp_ge_i32_e64 s5, s26, v5
	v_add_nc_u32_e32 v4, s66, v2
	v_ashrrev_i32_e32 v3, 31, v2
	s_cmp_gt_i32 s68, 0
	v_lshlrev_b64_e32 v[26:27], 3, v[0:1]
	s_cselect_b32 s70, -1, 0
	v_add_nc_u32_e32 v6, s66, v4
	v_ashrrev_i32_e32 v5, 31, v4
	s_cmp_gt_i32 s69, 0
	v_lshlrev_b64_e32 v[28:29], 3, v[24:25]
	s_cselect_b32 s71, -1, 0
	v_ashrrev_i32_e32 v7, 31, v6
	s_lshl_b32 s36, s30, 1
	v_lshlrev_b64_e32 v[30:31], 3, v[2:3]
	v_lshlrev_b64_e32 v[32:33], 3, v[4:5]
	v_mov_b32_e32 v0, 0
	v_lshlrev_b64_e32 v[34:35], 3, v[6:7]
	v_lshl_or_b32 v25, v50, 2, 64
	s_lshl_b64 s[40:41], s[24:25], 3
	s_mov_b64 s[50:51], s[36:37]
	s_mul_i32 s36, s30, 3
	s_add_nc_u64 s[42:43], s[34:35], s[40:41]
	s_lshl_b64 s[44:45], s[38:39], 3
	s_lshl_b64 s[46:47], s[28:29], 3
	s_mov_b32 s31, s37
	s_lshl_b32 s48, s30, 2
	s_mov_b32 s49, s37
	s_mov_b64 s[52:53], s[36:37]
	s_lshl_b64 s[18:19], s[18:19], 3
	s_lshl_b64 s[22:23], s[22:23], 3
	s_branch .LBB260_3
.LBB260_2:                              ;   in Loop: Header=BB260_3 Depth=1
	s_add_co_i32 s10, s10, 0x10000
	s_delay_alu instid0(SALU_CYCLE_1)
	s_cmp_lt_u32 s10, s33
	s_cbranch_scc0 .LBB260_65
.LBB260_3:                              ; =>This Loop Header: Depth=1
                                        ;     Child Loop BB260_10 Depth 2
                                        ;     Child Loop BB260_16 Depth 2
                                        ;       Child Loop BB260_22 Depth 3
                                        ;       Child Loop BB260_25 Depth 3
                                        ;       Child Loop BB260_30 Depth 3
                                        ;     Child Loop BB260_44 Depth 2
                                        ;       Child Loop BB260_57 Depth 3
                                        ;       Child Loop BB260_60 Depth 3
	s_mov_b32 s11, s37
	v_mov_b32_e32 v38, 0
	s_mul_u64 s[6:7], s[14:15], s[10:11]
	v_dual_mov_b32 v39, 0 :: v_dual_mov_b32 v2, 0
	s_wait_alu 0xfffe
	s_lshl_b64 s[6:7], s[6:7], 3
	v_mov_b32_e32 v3, 0
	s_wait_alu 0xfffe
	s_add_nc_u64 s[6:7], s[12:13], s[6:7]
	global_load_b64 v[36:37], v0, s[6:7]
	s_wait_loadcnt 0x0
	v_cmp_eq_f64_e64 s6, 0, v[36:37]
	v_cmp_neq_f64_e64 s7, 0, v[36:37]
	s_wait_alu 0xfffe
	s_and_b32 vcc_lo, exec_lo, s6
	s_wait_alu 0xfffe
	s_cbranch_vccnz .LBB260_5
; %bb.4:                                ;   in Loop: Header=BB260_3 Depth=1
	s_lshl_b64 s[8:9], s[10:11], 3
	s_wait_alu 0xfffe
	s_add_nc_u64 s[8:9], s[16:17], s[8:9]
	global_load_b64 v[2:3], v0, s[8:9]
	s_wait_loadcnt 0x0
	v_add_co_u32 v2, vcc_lo, v2, s18
	s_wait_alu 0xfffd
	v_add_co_ci_u32_e64 v3, null, s19, v3, vcc_lo
.LBB260_5:                              ;   in Loop: Header=BB260_3 Depth=1
	s_and_not1_b32 vcc_lo, exec_lo, s7
	s_wait_alu 0xfffe
	s_cbranch_vccnz .LBB260_7
; %bb.6:                                ;   in Loop: Header=BB260_3 Depth=1
	s_lshl_b64 s[8:9], s[10:11], 3
	s_wait_alu 0xfffe
	s_add_nc_u64 s[8:9], s[20:21], s[8:9]
	global_load_b64 v[4:5], v0, s[8:9]
	s_wait_loadcnt 0x0
	v_add_co_u32 v38, vcc_lo, v4, s22
	s_wait_alu 0xfffd
	v_add_co_ci_u32_e64 v39, null, s23, v5, vcc_lo
.LBB260_7:                              ;   in Loop: Header=BB260_3 Depth=1
	s_and_not1_b32 vcc_lo, exec_lo, s6
	s_mov_b32 s6, -1
	s_wait_alu 0xfffe
	s_cbranch_vccnz .LBB260_12
; %bb.8:                                ;   in Loop: Header=BB260_3 Depth=1
	s_and_saveexec_b32 s8, s67
	s_cbranch_execz .LBB260_11
; %bb.9:                                ;   in Loop: Header=BB260_3 Depth=1
	s_mul_u64 s[6:7], s[44:45], s[10:11]
	s_mov_b32 s9, s27
	s_wait_alu 0xfffe
	s_add_nc_u64 s[6:7], s[42:43], s[6:7]
.LBB260_10:                             ;   Parent Loop BB260_3 Depth=1
                                        ; =>  This Inner Loop Header: Depth=2
	v_mov_b32_e32 v1, v0
	s_add_co_i32 s9, s9, -1
	s_wait_alu 0xfffe
	s_cmp_eq_u32 s9, 0
	global_store_b64 v0, v[0:1], s[6:7]
	s_add_nc_u64 s[6:7], s[6:7], s[46:47]
	s_cbranch_scc0 .LBB260_10
.LBB260_11:                             ;   in Loop: Header=BB260_3 Depth=1
	s_wait_alu 0xfffe
	s_or_b32 exec_lo, exec_lo, s8
	s_mov_b32 s6, 0
.LBB260_12:                             ;   in Loop: Header=BB260_3 Depth=1
	s_wait_alu 0xfffe
	s_and_not1_b32 vcc_lo, exec_lo, s6
	s_wait_alu 0xfffe
	s_cbranch_vccnz .LBB260_2
; %bb.13:                               ;   in Loop: Header=BB260_3 Depth=1
	v_add_co_u32 v51, vcc_lo, v2, v26
	s_mul_u64 s[54:55], s[38:39], s[10:11]
	s_wait_alu 0xfffd
	v_add_co_ci_u32_e64 v52, null, v3, v27, vcc_lo
	v_cmp_gt_u32_e64 s9, 24, v50
	v_cmp_gt_u32_e64 s8, 28, v50
	;; [unrolled: 1-line block ×3, first 2 shown]
	v_cmp_ne_u32_e64 s6, 31, v50
	s_lshl_b64 s[54:55], s[54:55], 3
	s_and_not1_b32 vcc_lo, exec_lo, s70
	s_add_nc_u64 s[54:55], s[34:35], s[54:55]
	s_wait_alu 0xfffe
	s_cbranch_vccnz .LBB260_40
; %bb.14:                               ;   in Loop: Header=BB260_3 Depth=1
	s_wait_alu 0xf1ff
	v_cndmask_b32_e64 v1, 0, 8, s9
	v_cndmask_b32_e64 v2, 0, 4, s8
	v_cndmask_b32_e64 v3, 0, 2, s7
	v_add_co_ci_u32_e64 v4, null, 0, v50, s6
	v_add_co_u32 v40, vcc_lo, v38, v28
	s_wait_alu 0xfffd
	v_add_co_ci_u32_e64 v41, null, v39, v29, vcc_lo
	v_add_co_u32 v42, vcc_lo, v38, v30
	v_dual_mov_b32 v6, v0 :: v_dual_mov_b32 v7, v0
	v_add_lshl_u32 v53, v1, v50, 2
	v_add_lshl_u32 v54, v2, v50, 2
	;; [unrolled: 1-line block ×3, first 2 shown]
	v_dual_mov_b32 v1, v0 :: v_dual_lshlrev_b32 v56, 2, v4
	v_dual_mov_b32 v2, v0 :: v_dual_mov_b32 v3, v0
	v_dual_mov_b32 v4, v0 :: v_dual_mov_b32 v5, v0
	s_wait_alu 0xfffd
	v_add_co_ci_u32_e64 v43, null, v39, v31, vcc_lo
	v_add_co_u32 v44, vcc_lo, v38, v32
	s_wait_alu 0xfffd
	v_add_co_ci_u32_e64 v45, null, v39, v33, vcc_lo
	v_add_co_u32 v46, vcc_lo, v38, v34
	v_dual_mov_b32 v15, v7 :: v_dual_mov_b32 v14, v6
	s_wait_alu 0xfffd
	v_add_co_ci_u32_e64 v47, null, v39, v35, vcc_lo
	v_dual_mov_b32 v13, v5 :: v_dual_mov_b32 v12, v4
	v_dual_mov_b32 v11, v3 :: v_dual_mov_b32 v10, v2
	;; [unrolled: 1-line block ×3, first 2 shown]
	s_mov_b32 s56, 0
	s_mov_b64 s[58:59], s[52:53]
	s_mov_b64 s[60:61], s[50:51]
	;; [unrolled: 1-line block ×3, first 2 shown]
	s_mov_b32 s9, 0
	s_branch .LBB260_16
.LBB260_15:                             ;   in Loop: Header=BB260_16 Depth=2
	s_wait_alu 0xfffe
	s_or_b32 exec_lo, exec_lo, s6
	s_add_co_i32 s9, s9, 4
	s_add_co_i32 s56, s56, s48
	s_add_nc_u64 s[62:63], s[62:63], s[48:49]
	s_add_nc_u64 s[60:61], s[60:61], s[48:49]
	s_wait_alu 0xfffe
	s_cmp_ge_i32 s9, s68
	s_add_nc_u64 s[58:59], s[58:59], s[48:49]
	s_cbranch_scc1 .LBB260_41
.LBB260_16:                             ;   Parent Loop BB260_3 Depth=1
                                        ; =>  This Loop Header: Depth=2
                                        ;       Child Loop BB260_22 Depth 3
                                        ;       Child Loop BB260_25 Depth 3
	;; [unrolled: 1-line block ×3, first 2 shown]
                                        ; implicit-def: $vgpr16_vgpr17_vgpr18_vgpr19_vgpr20_vgpr21_vgpr22_vgpr23
	s_and_saveexec_b32 s6, s4
	s_wait_alu 0xfffe
	s_xor_b32 s6, exec_lo, s6
	s_cbranch_execz .LBB260_18
; %bb.17:                               ;   in Loop: Header=BB260_16 Depth=2
	s_mul_i32 s64, s9, s30
	s_wait_alu 0xfffe
	s_ashr_i32 s65, s64, 31
	s_add_co_i32 s72, s64, s30
	s_wait_alu 0xfffe
	s_lshl_b64 s[64:65], s[64:65], 3
	s_ashr_i32 s73, s72, 31
	s_wait_alu 0xfffe
	v_add_co_u32 v5, vcc_lo, v51, s64
	s_wait_alu 0xfffd
	v_add_co_ci_u32_e64 v6, null, s65, v52, vcc_lo
	s_lshl_b64 s[64:65], s[72:73], 3
	s_add_co_i32 s72, s72, s30
	s_wait_alu 0xfffe
	v_add_co_u32 v14, vcc_lo, v51, s64
	s_ashr_i32 s73, s72, 31
	s_add_co_i32 s64, s72, s30
	s_wait_alu 0xfffd
	v_add_co_ci_u32_e64 v15, null, s65, v52, vcc_lo
	s_wait_alu 0xfffe
	s_lshl_b64 s[72:73], s[72:73], 3
	s_ashr_i32 s65, s64, 31
	s_wait_alu 0xfffe
	v_add_co_u32 v69, vcc_lo, v51, s72
	s_lshl_b64 s[64:65], s[64:65], 3
	s_wait_alu 0xfffd
	v_add_co_ci_u32_e64 v70, null, s73, v52, vcc_lo
	s_wait_alu 0xfffe
	v_add_co_u32 v73, vcc_lo, v51, s64
	s_wait_alu 0xfffd
	v_add_co_ci_u32_e64 v74, null, s65, v52, vcc_lo
	flat_load_b64 v[8:9], v[40:41]
	flat_load_b128 v[1:4], v[5:6]
	s_wait_dscnt 0x2
	s_clause 0x2
	flat_load_b128 v[16:19], v[14:15]
	flat_load_b128 v[20:23], v[69:70]
	flat_load_b128 v[57:60], v[73:74]
	s_clause 0x1
	flat_load_b64 v[10:11], v[42:43]
	flat_load_b64 v[12:13], v[44:45]
	s_clause 0x3
	flat_load_b128 v[61:64], v[5:6] offset:16
	flat_load_b128 v[65:68], v[14:15] offset:16
	;; [unrolled: 1-line block ×4, first 2 shown]
	flat_load_b64 v[14:15], v[46:47]
	s_wait_loadcnt_dscnt 0xa0a
	v_fma_f64 v[1:2], v[8:9], v[1:2], 0
	s_wait_loadcnt_dscnt 0x909
	v_fma_f64 v[5:6], v[8:9], v[16:17], 0
	;; [unrolled: 2-line block ×4, first 2 shown]
	s_wait_loadcnt_dscnt 0x606
	s_delay_alu instid0(VALU_DEP_4) | instskip(NEXT) | instid1(VALU_DEP_4)
	v_fma_f64 v[1:2], v[10:11], v[3:4], v[1:2]
	v_fma_f64 v[3:4], v[10:11], v[18:19], v[5:6]
	s_delay_alu instid0(VALU_DEP_4) | instskip(NEXT) | instid1(VALU_DEP_4)
	v_fma_f64 v[5:6], v[10:11], v[22:23], v[16:17]
	v_fma_f64 v[16:17], v[10:11], v[59:60], v[20:21]
	s_wait_loadcnt_dscnt 0x404
	s_delay_alu instid0(VALU_DEP_4) | instskip(SKIP_1) | instid1(VALU_DEP_4)
	v_fma_f64 v[1:2], v[12:13], v[61:62], v[1:2]
	s_wait_loadcnt_dscnt 0x303
	v_fma_f64 v[3:4], v[12:13], v[65:66], v[3:4]
	s_wait_loadcnt_dscnt 0x202
	s_delay_alu instid0(VALU_DEP_4) | instskip(SKIP_1) | instid1(VALU_DEP_4)
	v_fma_f64 v[5:6], v[12:13], v[69:70], v[5:6]
	s_wait_loadcnt_dscnt 0x101
	v_fma_f64 v[22:23], v[12:13], v[73:74], v[16:17]
	s_wait_loadcnt_dscnt 0x0
	s_delay_alu instid0(VALU_DEP_4) | instskip(NEXT) | instid1(VALU_DEP_4)
	v_fma_f64 v[16:17], v[14:15], v[63:64], v[1:2]
	v_fma_f64 v[18:19], v[14:15], v[67:68], v[3:4]
	s_delay_alu instid0(VALU_DEP_4) | instskip(NEXT) | instid1(VALU_DEP_4)
	v_fma_f64 v[20:21], v[14:15], v[71:72], v[5:6]
	v_fma_f64 v[22:23], v[14:15], v[75:76], v[22:23]
.LBB260_18:                             ;   in Loop: Header=BB260_16 Depth=2
	s_wait_alu 0xfffe
	s_and_not1_saveexec_b32 s11, s6
	s_cbranch_execz .LBB260_28
; %bb.19:                               ;   in Loop: Header=BB260_16 Depth=2
	v_mov_b32_e32 v7, v0
	v_dual_mov_b32 v1, v0 :: v_dual_mov_b32 v2, v0
	v_dual_mov_b32 v3, v0 :: v_dual_mov_b32 v4, v0
	;; [unrolled: 1-line block ×3, first 2 shown]
	s_wait_dscnt 0x0
	v_mov_b32_e32 v23, v7
	s_delay_alu instid0(VALU_DEP_3) | instskip(NEXT) | instid1(VALU_DEP_3)
	v_dual_mov_b32 v19, v3 :: v_dual_mov_b32 v18, v2
	v_dual_mov_b32 v21, v5 :: v_dual_mov_b32 v20, v4
	;; [unrolled: 1-line block ×3, first 2 shown]
	v_mov_b32_e32 v16, v0
	s_and_saveexec_b32 s25, s5
	s_cbranch_execz .LBB260_27
; %bb.20:                               ;   in Loop: Header=BB260_16 Depth=2
	s_and_not1_b32 vcc_lo, exec_lo, s71
	s_wait_alu 0xfffe
	s_cbranch_vccnz .LBB260_23
; %bb.21:                               ;   in Loop: Header=BB260_16 Depth=2
	v_mov_b32_e32 v1, v24
	s_mov_b64 s[64:65], 0
.LBB260_22:                             ;   Parent Loop BB260_3 Depth=1
                                        ;     Parent Loop BB260_16 Depth=2
                                        ; =>    This Inner Loop Header: Depth=3
	s_delay_alu instid0(VALU_DEP_1) | instskip(SKIP_2) | instid1(VALU_DEP_1)
	v_ashrrev_i32_e32 v2, 31, v1
	s_wait_alu 0xfffe
	s_cmp_eq_u32 s64, 3
	v_lshlrev_b64_e32 v[2:3], 3, v[1:2]
	s_delay_alu instid0(VALU_DEP_1) | instskip(SKIP_1) | instid1(VALU_DEP_2)
	v_add_co_u32 v2, vcc_lo, v38, v2
	s_wait_alu 0xfffd
	v_add_co_ci_u32_e64 v3, null, v39, v3, vcc_lo
	s_cselect_b32 vcc_lo, -1, 0
	s_cmp_eq_u32 s64, 2
	s_cselect_b32 s6, -1, 0
	flat_load_b64 v[2:3], v[2:3]
	s_cmp_eq_u32 s64, 1
	v_add_nc_u32_e32 v1, s66, v1
	s_cselect_b32 s7, -1, 0
	s_cmp_eq_u32 s64, 0
	s_add_nc_u64 s[64:65], s[64:65], 1
	s_cselect_b32 s8, -1, 0
	s_wait_alu 0xfffe
	s_cmp_eq_u32 s69, s64
	s_wait_loadcnt_dscnt 0x0
	v_dual_cndmask_b32 v15, v15, v3 :: v_dual_cndmask_b32 v14, v14, v2
	v_cndmask_b32_e64 v13, v13, v3, s6
	v_cndmask_b32_e64 v12, v12, v2, s6
	;; [unrolled: 1-line block ×6, first 2 shown]
	s_cbranch_scc0 .LBB260_22
.LBB260_23:                             ;   in Loop: Header=BB260_16 Depth=2
	s_and_not1_b32 vcc_lo, exec_lo, s71
	s_wait_alu 0xfffe
	s_cbranch_vccnz .LBB260_26
; %bb.24:                               ;   in Loop: Header=BB260_16 Depth=2
	s_ashr_i32 s57, s56, 31
	v_mov_b32_e32 v16, 0
	s_lshl_b64 s[6:7], s[56:57], 3
	v_mov_b32_e32 v20, 0
	s_wait_alu 0xfffe
	v_add_co_u32 v1, vcc_lo, v51, s6
	v_dual_mov_b32 v17, 0 :: v_dual_mov_b32 v18, 0
	v_dual_mov_b32 v21, 0 :: v_dual_mov_b32 v22, 0
	v_mov_b32_e32 v19, 0
	v_mov_b32_e32 v23, 0
	s_wait_alu 0xfffd
	v_add_co_ci_u32_e64 v2, null, s7, v52, vcc_lo
	s_mov_b64 s[64:65], 0
.LBB260_25:                             ;   Parent Loop BB260_3 Depth=1
                                        ;     Parent Loop BB260_16 Depth=2
                                        ; =>    This Inner Loop Header: Depth=3
	s_wait_alu 0xfffe
	s_cmp_eq_u32 s64, 1
	s_cselect_b32 vcc_lo, -1, 0
	s_cmp_eq_u32 s64, 2
	s_wait_alu 0xfffe
	v_cndmask_b32_e32 v3, v9, v11, vcc_lo
	s_cselect_b32 s6, -1, 0
	s_cmp_eq_u32 s64, 3
	v_cndmask_b32_e32 v61, v8, v10, vcc_lo
	s_cselect_b32 s7, -1, 0
	s_add_co_i32 s72, s62, s64
	s_add_co_i32 s74, s60, s64
	s_wait_alu 0xfffe
	s_ashr_i32 s73, s72, 31
	s_add_co_i32 s76, s58, s64
	s_ashr_i32 s75, s74, 31
	s_wait_alu 0xfffe
	s_lshl_b64 s[72:73], s[72:73], 3
	v_cndmask_b32_e64 v7, v3, v13, s6
	s_ashr_i32 s77, s76, 31
	s_lshl_b64 s[74:75], s[74:75], 3
	s_wait_alu 0xfffe
	v_add_co_u32 v3, s8, v51, s72
	s_lshl_b64 s[76:77], s[76:77], 3
	v_add_co_ci_u32_e64 v4, null, s73, v52, s8
	v_add_co_u32 v5, s8, v51, s74
	s_wait_alu 0xf1ff
	v_add_co_ci_u32_e64 v6, null, s75, v52, s8
	s_wait_alu 0xfffe
	v_add_co_u32 v57, s8, v51, s76
	s_wait_alu 0xf1ff
	v_add_co_ci_u32_e64 v58, null, s77, v52, s8
	flat_load_b64 v[59:60], v[1:2]
	s_clause 0x2
	flat_load_b64 v[3:4], v[3:4]
	flat_load_b64 v[5:6], v[5:6]
	;; [unrolled: 1-line block ×3, first 2 shown]
	v_cndmask_b32_e64 v61, v61, v12, s6
	v_cndmask_b32_e64 v62, v7, v15, s7
	v_add_co_u32 v1, vcc_lo, v1, 8
	s_wait_alu 0xfffd
	v_add_co_ci_u32_e64 v2, null, 0, v2, vcc_lo
	v_cndmask_b32_e64 v61, v61, v14, s7
	s_add_nc_u64 s[64:65], s[64:65], 1
	s_wait_alu 0xfffe
	s_cmp_lg_u32 s69, s64
	s_wait_loadcnt_dscnt 0x303
	v_fma_f64 v[16:17], v[61:62], v[59:60], v[16:17]
	s_wait_loadcnt_dscnt 0x202
	v_fma_f64 v[18:19], v[61:62], v[3:4], v[18:19]
	;; [unrolled: 2-line block ×4, first 2 shown]
	s_cbranch_scc1 .LBB260_25
	s_branch .LBB260_27
.LBB260_26:                             ;   in Loop: Header=BB260_16 Depth=2
	v_mov_b32_e32 v7, v0
	v_dual_mov_b32 v1, v0 :: v_dual_mov_b32 v2, v0
	v_dual_mov_b32 v3, v0 :: v_dual_mov_b32 v4, v0
	;; [unrolled: 1-line block ×3, first 2 shown]
	s_delay_alu instid0(VALU_DEP_4) | instskip(NEXT) | instid1(VALU_DEP_3)
	v_mov_b32_e32 v23, v7
	v_dual_mov_b32 v19, v3 :: v_dual_mov_b32 v18, v2
	s_delay_alu instid0(VALU_DEP_3) | instskip(NEXT) | instid1(VALU_DEP_4)
	v_dual_mov_b32 v21, v5 :: v_dual_mov_b32 v20, v4
	v_dual_mov_b32 v22, v6 :: v_dual_mov_b32 v17, v1
	v_mov_b32_e32 v16, v0
.LBB260_27:                             ;   in Loop: Header=BB260_16 Depth=2
	s_or_b32 exec_lo, exec_lo, s25
.LBB260_28:                             ;   in Loop: Header=BB260_16 Depth=2
	s_delay_alu instid0(SALU_CYCLE_1)
	s_or_b32 exec_lo, exec_lo, s11
	s_mov_b64 s[6:7], 0
	s_branch .LBB260_30
.LBB260_29:                             ;   in Loop: Header=BB260_30 Depth=3
	s_wait_alu 0xfffe
	s_or_b32 exec_lo, exec_lo, s8
	s_cmp_eq_u32 s6, 3
	s_cselect_b32 vcc_lo, -1, 0
	s_cmp_eq_u32 s6, 2
	s_wait_dscnt 0x0
	s_wait_alu 0xfffe
	s_delay_alu instid0(VALU_DEP_1)
	v_dual_cndmask_b32 v23, v23, v2 :: v_dual_cndmask_b32 v22, v22, v1
	s_cselect_b32 vcc_lo, -1, 0
	s_cmp_eq_u32 s6, 1
	s_wait_alu 0xfffe
	v_dual_cndmask_b32 v21, v21, v2 :: v_dual_cndmask_b32 v20, v20, v1
	s_cselect_b32 vcc_lo, -1, 0
	s_cmp_eq_u32 s6, 0
	s_wait_alu 0xfffe
	v_dual_cndmask_b32 v19, v19, v2 :: v_dual_cndmask_b32 v18, v18, v1
	s_cselect_b32 vcc_lo, -1, 0
	s_add_nc_u64 s[6:7], s[6:7], 1
	s_wait_alu 0xfffe
	v_dual_cndmask_b32 v17, v17, v2 :: v_dual_cndmask_b32 v16, v16, v1
	s_cmp_eq_u32 s6, 4
	s_cbranch_scc1 .LBB260_38
.LBB260_30:                             ;   Parent Loop BB260_3 Depth=1
                                        ;     Parent Loop BB260_16 Depth=2
                                        ; =>    This Inner Loop Header: Depth=3
	s_and_saveexec_b32 s8, s1
; %bb.31:                               ;   in Loop: Header=BB260_30 Depth=3
	v_mov_b32_e32 v1, v0
	ds_store_b64 v48, v[0:1]
; %bb.32:                               ;   in Loop: Header=BB260_30 Depth=3
	s_wait_alu 0xfffe
	s_or_b32 exec_lo, exec_lo, s8
	s_cmp_eq_u32 s6, 1
	s_wait_storecnt_dscnt 0x0
	s_cselect_b32 vcc_lo, -1, 0
	s_cmp_eq_u32 s6, 2
	s_wait_alu 0xfffe
	v_dual_cndmask_b32 v1, v17, v19 :: v_dual_cndmask_b32 v2, v16, v18
	s_cselect_b32 vcc_lo, -1, 0
	s_cmp_eq_u32 s6, 3
	s_barrier_signal -1
	s_wait_alu 0xfffe
	v_cndmask_b32_e32 v1, v1, v21, vcc_lo
	v_cndmask_b32_e32 v3, v2, v20, vcc_lo
	s_cselect_b32 vcc_lo, -1, 0
	s_barrier_wait -1
	global_inv scope:SCOPE_SE
	s_wait_alu 0xfffe
	v_dual_cndmask_b32 v2, v1, v23 :: v_dual_cndmask_b32 v1, v3, v22
	ds_bpermute_b32 v4, v25, v2
	ds_bpermute_b32 v3, v25, v1
	s_wait_dscnt 0x0
	v_add_f64_e32 v[1:2], v[1:2], v[3:4]
	ds_bpermute_b32 v3, v53, v1
	ds_bpermute_b32 v4, v53, v2
	s_wait_dscnt 0x0
	v_add_f64_e32 v[1:2], v[1:2], v[3:4]
	;; [unrolled: 4-line block ×4, first 2 shown]
	ds_bpermute_b32 v3, v56, v1
	ds_bpermute_b32 v4, v56, v2
	s_and_saveexec_b32 s8, s3
	s_cbranch_execz .LBB260_34
; %bb.33:                               ;   in Loop: Header=BB260_30 Depth=3
	s_wait_dscnt 0x0
	v_add_f64_e32 v[1:2], v[1:2], v[3:4]
	ds_store_b64 v49, v[1:2]
.LBB260_34:                             ;   in Loop: Header=BB260_30 Depth=3
	s_wait_alu 0xfffe
	s_or_b32 exec_lo, exec_lo, s8
	v_mov_b32_e32 v1, 0
	v_mov_b32_e32 v2, 0
	s_wait_loadcnt_dscnt 0x0
	s_barrier_signal -1
	s_barrier_wait -1
	global_inv scope:SCOPE_SE
	s_and_saveexec_b32 s8, s2
; %bb.35:                               ;   in Loop: Header=BB260_30 Depth=3
	ds_load_b64 v[1:2], v48
; %bb.36:                               ;   in Loop: Header=BB260_30 Depth=3
	s_wait_alu 0xfffe
	s_or_b32 exec_lo, exec_lo, s8
	s_and_saveexec_b32 s8, s1
	s_cbranch_execz .LBB260_29
; %bb.37:                               ;   in Loop: Header=BB260_30 Depth=3
	s_wait_dscnt 0x0
	ds_bpermute_b32 v3, v54, v1
	ds_bpermute_b32 v4, v54, v2
	s_wait_dscnt 0x0
	v_add_f64_e32 v[1:2], v[1:2], v[3:4]
	ds_bpermute_b32 v3, v55, v1
	ds_bpermute_b32 v4, v55, v2
	s_wait_dscnt 0x0
	v_add_f64_e32 v[1:2], v[1:2], v[3:4]
	;; [unrolled: 4-line block ×3, first 2 shown]
	s_branch .LBB260_29
.LBB260_38:                             ;   in Loop: Header=BB260_16 Depth=2
	s_and_saveexec_b32 s6, s0
	s_cbranch_execz .LBB260_15
; %bb.39:                               ;   in Loop: Header=BB260_16 Depth=2
	v_mul_f64_e32 v[1:2], v[36:37], v[16:17]
	v_mul_f64_e32 v[3:4], v[36:37], v[18:19]
	;; [unrolled: 1-line block ×4, first 2 shown]
	s_mul_i32 s7, s9, s28
	s_wait_alu 0xfffe
	s_add_co_i32 s36, s7, s24
	s_wait_alu 0xfffe
	s_lshl_b64 s[64:65], s[36:37], 3
	s_add_co_i32 s36, s36, s28
	s_wait_alu 0xfffe
	s_add_nc_u64 s[64:65], s[54:55], s[64:65]
	s_lshl_b64 s[72:73], s[36:37], 3
	s_add_co_i32 s36, s36, s28
	s_wait_alu 0xfffe
	s_add_nc_u64 s[72:73], s[54:55], s[72:73]
	;; [unrolled: 4-line block ×3, first 2 shown]
	s_lshl_b64 s[76:77], s[36:37], 3
	s_wait_alu 0xfffe
	s_add_nc_u64 s[76:77], s[54:55], s[76:77]
	s_clause 0x3
	global_store_b64 v0, v[1:2], s[64:65]
	global_store_b64 v0, v[3:4], s[72:73]
	;; [unrolled: 1-line block ×4, first 2 shown]
	s_branch .LBB260_15
.LBB260_40:                             ;   in Loop: Header=BB260_3 Depth=1
	v_mov_b32_e32 v7, v0
	v_dual_mov_b32 v1, v0 :: v_dual_mov_b32 v2, v0
	v_dual_mov_b32 v3, v0 :: v_dual_mov_b32 v4, v0
	;; [unrolled: 1-line block ×3, first 2 shown]
	s_delay_alu instid0(VALU_DEP_4) | instskip(NEXT) | instid1(VALU_DEP_3)
	v_mov_b32_e32 v15, v7
	v_dual_mov_b32 v11, v3 :: v_dual_mov_b32 v10, v2
	s_delay_alu instid0(VALU_DEP_3) | instskip(NEXT) | instid1(VALU_DEP_4)
	v_dual_mov_b32 v13, v5 :: v_dual_mov_b32 v12, v4
	v_dual_mov_b32 v14, v6 :: v_dual_mov_b32 v9, v1
	v_mov_b32_e32 v8, v0
	s_mov_b32 s9, 0
.LBB260_41:                             ;   in Loop: Header=BB260_3 Depth=1
	s_wait_alu 0xfffe
	s_cmp_ge_i32 s9, s27
	s_cbranch_scc1 .LBB260_2
; %bb.42:                               ;   in Loop: Header=BB260_3 Depth=1
	v_cmp_gt_u32_e32 vcc_lo, 24, v50
	s_add_nc_u64 s[54:55], s[54:55], s[40:41]
	s_mul_i32 s56, s30, s9
	s_mov_b32 s36, s9
	s_wait_alu 0xfffd
	v_cndmask_b32_e64 v1, 0, 8, vcc_lo
	v_cmp_gt_u32_e32 vcc_lo, 28, v50
	s_delay_alu instid0(VALU_DEP_2) | instskip(SKIP_3) | instid1(VALU_DEP_2)
	v_add_lshl_u32 v22, v1, v50, 2
	s_wait_alu 0xfffd
	v_cndmask_b32_e64 v2, 0, 4, vcc_lo
	v_cmp_gt_u32_e32 vcc_lo, 30, v50
	v_add_lshl_u32 v23, v2, v50, 2
	s_wait_alu 0xfffd
	v_cndmask_b32_e64 v3, 0, 2, vcc_lo
	v_cmp_ne_u32_e32 vcc_lo, 31, v50
	s_delay_alu instid0(VALU_DEP_2)
	v_add_lshl_u32 v40, v3, v50, 2
	s_wait_alu 0xfffd
	v_add_co_ci_u32_e64 v4, null, 0, v50, vcc_lo
	v_add_co_u32 v2, vcc_lo, v38, v28
	s_wait_alu 0xfffd
	v_add_co_ci_u32_e64 v3, null, v39, v29, vcc_lo
	s_delay_alu instid0(VALU_DEP_3)
	v_lshlrev_b32_e32 v41, 2, v4
	v_add_co_u32 v4, vcc_lo, v38, v30
	s_wait_alu 0xfffd
	v_add_co_ci_u32_e64 v5, null, v39, v31, vcc_lo
	v_add_co_u32 v6, vcc_lo, v38, v32
	s_wait_alu 0xfffd
	v_add_co_ci_u32_e64 v7, null, v39, v33, vcc_lo
	;; [unrolled: 3-line block ×3, first 2 shown]
	s_branch .LBB260_44
.LBB260_43:                             ;   in Loop: Header=BB260_44 Depth=2
	s_wait_alu 0xfffe
	s_or_b32 exec_lo, exec_lo, s6
	s_add_co_i32 s36, s36, 1
	s_add_co_i32 s56, s56, s30
	s_wait_alu 0xfffe
	s_cmp_ge_i32 s36, s27
	s_cbranch_scc1 .LBB260_2
.LBB260_44:                             ;   Parent Loop BB260_3 Depth=1
                                        ; =>  This Loop Header: Depth=2
                                        ;       Child Loop BB260_57 Depth 3
                                        ;       Child Loop BB260_60 Depth 3
	s_wait_dscnt 0x0
	v_dual_mov_b32 v18, s37 :: v_dual_mov_b32 v19, s37
	s_and_saveexec_b32 s6, s4
	s_wait_alu 0xfffe
	s_xor_b32 s6, exec_lo, s6
	s_cbranch_execnz .LBB260_53
; %bb.45:                               ;   in Loop: Header=BB260_44 Depth=2
	s_wait_alu 0xfffe
	s_and_not1_saveexec_b32 s9, s6
	s_cbranch_execnz .LBB260_54
.LBB260_46:                             ;   in Loop: Header=BB260_44 Depth=2
	s_wait_alu 0xfffe
	s_or_b32 exec_lo, exec_lo, s9
	s_and_saveexec_b32 s6, s1
.LBB260_47:                             ;   in Loop: Header=BB260_44 Depth=2
	v_mov_b32_e32 v1, v0
	ds_store_b64 v48, v[0:1]
.LBB260_48:                             ;   in Loop: Header=BB260_44 Depth=2
	s_wait_alu 0xfffe
	s_or_b32 exec_lo, exec_lo, s6
	ds_bpermute_b32 v20, v25, v18
	ds_bpermute_b32 v21, v25, v19
	s_wait_storecnt 0x0
	s_wait_loadcnt_dscnt 0x0
	s_barrier_signal -1
	s_barrier_wait -1
	global_inv scope:SCOPE_SE
	v_add_f64_e32 v[18:19], v[18:19], v[20:21]
	ds_bpermute_b32 v20, v22, v18
	ds_bpermute_b32 v21, v22, v19
	s_wait_dscnt 0x0
	v_add_f64_e32 v[18:19], v[18:19], v[20:21]
	ds_bpermute_b32 v20, v23, v18
	ds_bpermute_b32 v21, v23, v19
	s_wait_dscnt 0x0
	;; [unrolled: 4-line block ×3, first 2 shown]
	v_add_f64_e32 v[18:19], v[18:19], v[20:21]
	ds_bpermute_b32 v20, v41, v18
	ds_bpermute_b32 v21, v41, v19
	s_and_saveexec_b32 s6, s3
	s_cbranch_execz .LBB260_50
; %bb.49:                               ;   in Loop: Header=BB260_44 Depth=2
	s_wait_dscnt 0x0
	v_add_f64_e32 v[18:19], v[18:19], v[20:21]
	ds_store_b64 v49, v[18:19]
.LBB260_50:                             ;   in Loop: Header=BB260_44 Depth=2
	s_wait_alu 0xfffe
	s_or_b32 exec_lo, exec_lo, s6
	v_mov_b32_e32 v18, 0
	v_mov_b32_e32 v19, 0
	s_wait_loadcnt_dscnt 0x0
	s_barrier_signal -1
	s_barrier_wait -1
	global_inv scope:SCOPE_SE
	s_and_saveexec_b32 s6, s2
	s_cbranch_execnz .LBB260_62
; %bb.51:                               ;   in Loop: Header=BB260_44 Depth=2
	s_wait_alu 0xfffe
	s_or_b32 exec_lo, exec_lo, s6
	s_and_saveexec_b32 s6, s1
	s_cbranch_execnz .LBB260_63
.LBB260_52:                             ;   in Loop: Header=BB260_44 Depth=2
	s_wait_alu 0xfffe
	s_or_b32 exec_lo, exec_lo, s6
	s_and_saveexec_b32 s6, s0
	s_cbranch_execz .LBB260_43
	s_branch .LBB260_64
.LBB260_53:                             ;   in Loop: Header=BB260_44 Depth=2
	s_mul_i32 s8, s36, s30
	s_wait_alu 0xfffe
	s_ashr_i32 s9, s8, 31
	s_wait_alu 0xfffe
	s_lshl_b64 s[8:9], s[8:9], 3
	s_wait_alu 0xfffe
	v_add_co_u32 v12, vcc_lo, v51, s8
	s_wait_alu 0xfffd
	v_add_co_ci_u32_e64 v13, null, s9, v52, vcc_lo
	flat_load_b128 v[18:21], v[12:13]
	s_clause 0x1
	flat_load_b64 v[8:9], v[2:3]
	flat_load_b64 v[10:11], v[4:5]
	flat_load_b128 v[42:45], v[12:13] offset:16
	s_clause 0x1
	flat_load_b64 v[12:13], v[6:7]
	flat_load_b64 v[14:15], v[16:17]
	s_wait_loadcnt_dscnt 0x404
	v_fma_f64 v[18:19], v[8:9], v[18:19], 0
	s_wait_loadcnt_dscnt 0x303
	s_delay_alu instid0(VALU_DEP_1) | instskip(SKIP_1) | instid1(VALU_DEP_1)
	v_fma_f64 v[18:19], v[10:11], v[20:21], v[18:19]
	s_wait_loadcnt_dscnt 0x101
	v_fma_f64 v[18:19], v[12:13], v[42:43], v[18:19]
	s_wait_loadcnt_dscnt 0x0
	s_delay_alu instid0(VALU_DEP_1)
	v_fma_f64 v[18:19], v[14:15], v[44:45], v[18:19]
	s_and_not1_saveexec_b32 s9, s6
	s_cbranch_execz .LBB260_46
.LBB260_54:                             ;   in Loop: Header=BB260_44 Depth=2
	s_and_saveexec_b32 s11, s5
	s_cbranch_execz .LBB260_61
; %bb.55:                               ;   in Loop: Header=BB260_44 Depth=2
	s_and_not1_b32 vcc_lo, exec_lo, s71
	s_wait_alu 0xfffe
	s_cbranch_vccnz .LBB260_58
; %bb.56:                               ;   in Loop: Header=BB260_44 Depth=2
	v_mov_b32_e32 v20, v24
	s_mov_b64 s[58:59], 0
.LBB260_57:                             ;   Parent Loop BB260_3 Depth=1
                                        ;     Parent Loop BB260_44 Depth=2
                                        ; =>    This Inner Loop Header: Depth=3
	s_delay_alu instid0(VALU_DEP_1) | instskip(SKIP_1) | instid1(VALU_DEP_1)
	v_ashrrev_i32_e32 v21, 31, v20
	s_cmp_eq_u32 s58, 3
	v_lshlrev_b64_e32 v[42:43], 3, v[20:21]
	s_delay_alu instid0(VALU_DEP_1) | instskip(SKIP_1) | instid1(VALU_DEP_2)
	v_add_co_u32 v42, vcc_lo, v38, v42
	s_wait_alu 0xfffd
	v_add_co_ci_u32_e64 v43, null, v39, v43, vcc_lo
	s_cselect_b32 vcc_lo, -1, 0
	s_cmp_eq_u32 s58, 2
	s_cselect_b32 s6, -1, 0
	flat_load_b64 v[42:43], v[42:43]
	s_cmp_eq_u32 s58, 1
	v_add_nc_u32_e32 v20, s66, v20
	s_cselect_b32 s7, -1, 0
	s_cmp_eq_u32 s58, 0
	s_add_nc_u64 s[58:59], s[58:59], 1
	s_cselect_b32 s8, -1, 0
	s_cmp_eq_u32 s69, s58
	s_wait_loadcnt_dscnt 0x0
	s_wait_alu 0xfffe
	v_dual_cndmask_b32 v15, v15, v43 :: v_dual_cndmask_b32 v14, v14, v42
	v_cndmask_b32_e64 v13, v13, v43, s6
	v_cndmask_b32_e64 v12, v12, v42, s6
	;; [unrolled: 1-line block ×6, first 2 shown]
	s_cbranch_scc0 .LBB260_57
.LBB260_58:                             ;   in Loop: Header=BB260_44 Depth=2
	s_and_not1_b32 vcc_lo, exec_lo, s71
	s_wait_alu 0xfffe
	s_cbranch_vccnz .LBB260_61
; %bb.59:                               ;   in Loop: Header=BB260_44 Depth=2
	s_ashr_i32 s57, s56, 31
	s_delay_alu instid0(SALU_CYCLE_1)
	s_lshl_b64 s[6:7], s[56:57], 3
	s_wait_alu 0xfffe
	v_add_co_u32 v20, vcc_lo, v51, s6
	s_wait_alu 0xfffd
	v_add_co_ci_u32_e64 v21, null, s7, v52, vcc_lo
	s_mov_b64 s[6:7], 0
.LBB260_60:                             ;   Parent Loop BB260_3 Depth=1
                                        ;     Parent Loop BB260_44 Depth=2
                                        ; =>    This Inner Loop Header: Depth=3
	flat_load_b64 v[42:43], v[20:21]
	s_wait_alu 0xfffe
	s_cmp_eq_u32 s6, 1
	s_cselect_b32 vcc_lo, -1, 0
	s_cmp_eq_u32 s6, 2
	s_wait_alu 0xfffe
	v_dual_cndmask_b32 v1, v9, v11 :: v_dual_cndmask_b32 v44, v8, v10
	s_cselect_b32 vcc_lo, -1, 0
	s_cmp_eq_u32 s6, 3
	s_add_nc_u64 s[6:7], s[6:7], 1
	s_wait_alu 0xfffe
	v_dual_cndmask_b32 v1, v1, v13 :: v_dual_cndmask_b32 v44, v44, v12
	s_cselect_b32 vcc_lo, -1, 0
	s_cmp_lg_u32 s69, s6
	s_wait_alu 0xfffe
	s_delay_alu instid0(VALU_DEP_1)
	v_dual_cndmask_b32 v45, v1, v15 :: v_dual_cndmask_b32 v44, v44, v14
	v_add_co_u32 v20, vcc_lo, v20, 8
	s_wait_alu 0xfffd
	v_add_co_ci_u32_e64 v21, null, 0, v21, vcc_lo
	s_wait_loadcnt_dscnt 0x0
	v_fma_f64 v[18:19], v[44:45], v[42:43], v[18:19]
	s_cbranch_scc1 .LBB260_60
.LBB260_61:                             ;   in Loop: Header=BB260_44 Depth=2
	s_or_b32 exec_lo, exec_lo, s11
	s_wait_alu 0xfffe
	s_or_b32 exec_lo, exec_lo, s9
	s_and_saveexec_b32 s6, s1
	s_cbranch_execnz .LBB260_47
	s_branch .LBB260_48
.LBB260_62:                             ;   in Loop: Header=BB260_44 Depth=2
	ds_load_b64 v[18:19], v48
	s_wait_alu 0xfffe
	s_or_b32 exec_lo, exec_lo, s6
	s_and_saveexec_b32 s6, s1
	s_cbranch_execz .LBB260_52
.LBB260_63:                             ;   in Loop: Header=BB260_44 Depth=2
	s_wait_dscnt 0x0
	ds_bpermute_b32 v20, v23, v18
	ds_bpermute_b32 v21, v23, v19
	s_wait_dscnt 0x0
	v_add_f64_e32 v[18:19], v[18:19], v[20:21]
	ds_bpermute_b32 v20, v40, v18
	ds_bpermute_b32 v21, v40, v19
	s_wait_dscnt 0x0
	v_add_f64_e32 v[18:19], v[18:19], v[20:21]
	;; [unrolled: 4-line block ×3, first 2 shown]
	s_wait_alu 0xfffe
	s_or_b32 exec_lo, exec_lo, s6
	s_and_saveexec_b32 s6, s0
	s_cbranch_execz .LBB260_43
.LBB260_64:                             ;   in Loop: Header=BB260_44 Depth=2
	s_wait_dscnt 0x0
	s_delay_alu instid0(VALU_DEP_1)
	v_mul_f64_e32 v[18:19], v[36:37], v[18:19]
	s_mul_u64 s[8:9], s[36:37], s[28:29]
	s_wait_alu 0xfffe
	s_lshl_b64 s[8:9], s[8:9], 3
	s_wait_alu 0xfffe
	s_add_nc_u64 s[8:9], s[54:55], s[8:9]
	global_store_b64 v0, v[18:19], s[8:9]
	s_branch .LBB260_43
.LBB260_65:
	s_endpgm
	.section	.rodata,"a",@progbits
	.p2align	6, 0x0
	.amdhsa_kernel _ZL23rocblas_gemvt_sn_kernelILb0ELi256ELi4EiPKdS1_dEviiT4_lPKT3_lilS5_lilPT5_i
		.amdhsa_group_segment_fixed_size 256
		.amdhsa_private_segment_fixed_size 0
		.amdhsa_kernarg_size 360
		.amdhsa_user_sgpr_count 2
		.amdhsa_user_sgpr_dispatch_ptr 0
		.amdhsa_user_sgpr_queue_ptr 0
		.amdhsa_user_sgpr_kernarg_segment_ptr 1
		.amdhsa_user_sgpr_dispatch_id 0
		.amdhsa_user_sgpr_private_segment_size 0
		.amdhsa_wavefront_size32 1
		.amdhsa_uses_dynamic_stack 0
		.amdhsa_enable_private_segment 0
		.amdhsa_system_sgpr_workgroup_id_x 1
		.amdhsa_system_sgpr_workgroup_id_y 0
		.amdhsa_system_sgpr_workgroup_id_z 1
		.amdhsa_system_sgpr_workgroup_info 0
		.amdhsa_system_vgpr_workitem_id 0
		.amdhsa_next_free_vgpr 77
		.amdhsa_next_free_sgpr 78
		.amdhsa_reserve_vcc 1
		.amdhsa_float_round_mode_32 0
		.amdhsa_float_round_mode_16_64 0
		.amdhsa_float_denorm_mode_32 3
		.amdhsa_float_denorm_mode_16_64 3
		.amdhsa_fp16_overflow 0
		.amdhsa_workgroup_processor_mode 1
		.amdhsa_memory_ordered 1
		.amdhsa_forward_progress 1
		.amdhsa_inst_pref_size 35
		.amdhsa_round_robin_scheduling 0
		.amdhsa_exception_fp_ieee_invalid_op 0
		.amdhsa_exception_fp_denorm_src 0
		.amdhsa_exception_fp_ieee_div_zero 0
		.amdhsa_exception_fp_ieee_overflow 0
		.amdhsa_exception_fp_ieee_underflow 0
		.amdhsa_exception_fp_ieee_inexact 0
		.amdhsa_exception_int_div_zero 0
	.end_amdhsa_kernel
	.section	.text._ZL23rocblas_gemvt_sn_kernelILb0ELi256ELi4EiPKdS1_dEviiT4_lPKT3_lilS5_lilPT5_i,"axG",@progbits,_ZL23rocblas_gemvt_sn_kernelILb0ELi256ELi4EiPKdS1_dEviiT4_lPKT3_lilS5_lilPT5_i,comdat
.Lfunc_end260:
	.size	_ZL23rocblas_gemvt_sn_kernelILb0ELi256ELi4EiPKdS1_dEviiT4_lPKT3_lilS5_lilPT5_i, .Lfunc_end260-_ZL23rocblas_gemvt_sn_kernelILb0ELi256ELi4EiPKdS1_dEviiT4_lPKT3_lilS5_lilPT5_i
                                        ; -- End function
	.set _ZL23rocblas_gemvt_sn_kernelILb0ELi256ELi4EiPKdS1_dEviiT4_lPKT3_lilS5_lilPT5_i.num_vgpr, 77
	.set _ZL23rocblas_gemvt_sn_kernelILb0ELi256ELi4EiPKdS1_dEviiT4_lPKT3_lilS5_lilPT5_i.num_agpr, 0
	.set _ZL23rocblas_gemvt_sn_kernelILb0ELi256ELi4EiPKdS1_dEviiT4_lPKT3_lilS5_lilPT5_i.numbered_sgpr, 78
	.set _ZL23rocblas_gemvt_sn_kernelILb0ELi256ELi4EiPKdS1_dEviiT4_lPKT3_lilS5_lilPT5_i.num_named_barrier, 0
	.set _ZL23rocblas_gemvt_sn_kernelILb0ELi256ELi4EiPKdS1_dEviiT4_lPKT3_lilS5_lilPT5_i.private_seg_size, 0
	.set _ZL23rocblas_gemvt_sn_kernelILb0ELi256ELi4EiPKdS1_dEviiT4_lPKT3_lilS5_lilPT5_i.uses_vcc, 1
	.set _ZL23rocblas_gemvt_sn_kernelILb0ELi256ELi4EiPKdS1_dEviiT4_lPKT3_lilS5_lilPT5_i.uses_flat_scratch, 1
	.set _ZL23rocblas_gemvt_sn_kernelILb0ELi256ELi4EiPKdS1_dEviiT4_lPKT3_lilS5_lilPT5_i.has_dyn_sized_stack, 0
	.set _ZL23rocblas_gemvt_sn_kernelILb0ELi256ELi4EiPKdS1_dEviiT4_lPKT3_lilS5_lilPT5_i.has_recursion, 0
	.set _ZL23rocblas_gemvt_sn_kernelILb0ELi256ELi4EiPKdS1_dEviiT4_lPKT3_lilS5_lilPT5_i.has_indirect_call, 0
	.section	.AMDGPU.csdata,"",@progbits
; Kernel info:
; codeLenInByte = 4372
; TotalNumSgprs: 80
; NumVgprs: 77
; ScratchSize: 0
; MemoryBound: 1
; FloatMode: 240
; IeeeMode: 1
; LDSByteSize: 256 bytes/workgroup (compile time only)
; SGPRBlocks: 0
; VGPRBlocks: 9
; NumSGPRsForWavesPerEU: 80
; NumVGPRsForWavesPerEU: 77
; Occupancy: 16
; WaveLimiterHint : 0
; COMPUTE_PGM_RSRC2:SCRATCH_EN: 0
; COMPUTE_PGM_RSRC2:USER_SGPR: 2
; COMPUTE_PGM_RSRC2:TRAP_HANDLER: 0
; COMPUTE_PGM_RSRC2:TGID_X_EN: 1
; COMPUTE_PGM_RSRC2:TGID_Y_EN: 0
; COMPUTE_PGM_RSRC2:TGID_Z_EN: 1
; COMPUTE_PGM_RSRC2:TIDIG_COMP_CNT: 0
	.section	.text._ZL23rocblas_gemvt_sn_kernelILb0ELi256ELi4ElPKdS1_dEviiT4_lPKT3_lilS5_lilPT5_i,"axG",@progbits,_ZL23rocblas_gemvt_sn_kernelILb0ELi256ELi4ElPKdS1_dEviiT4_lPKT3_lilS5_lilPT5_i,comdat
	.globl	_ZL23rocblas_gemvt_sn_kernelILb0ELi256ELi4ElPKdS1_dEviiT4_lPKT3_lilS5_lilPT5_i ; -- Begin function _ZL23rocblas_gemvt_sn_kernelILb0ELi256ELi4ElPKdS1_dEviiT4_lPKT3_lilS5_lilPT5_i
	.p2align	8
	.type	_ZL23rocblas_gemvt_sn_kernelILb0ELi256ELi4ElPKdS1_dEviiT4_lPKT3_lilS5_lilPT5_i,@function
_ZL23rocblas_gemvt_sn_kernelILb0ELi256ELi4ElPKdS1_dEviiT4_lPKT3_lilS5_lilPT5_i: ; @_ZL23rocblas_gemvt_sn_kernelILb0ELi256ELi4ElPKdS1_dEviiT4_lPKT3_lilS5_lilPT5_i
; %bb.0:
	s_load_b32 s33, s[0:1], 0x60
	s_lshr_b32 s10, ttmp7, 16
	s_wait_kmcnt 0x0
	s_cmp_ge_u32 s10, s33
	s_cbranch_scc1 .LBB261_65
; %bb.1:
	s_clause 0x6
	s_load_b32 s26, s[0:1], 0x28
	s_load_b32 s6, s[0:1], 0x48
	s_load_b64 s[28:29], s[0:1], 0x0
	s_load_b32 s30, s[0:1], 0x68
	s_load_b256 s[12:19], s[0:1], 0x8
	s_load_b128 s[20:23], s[0:1], 0x38
	s_load_b64 s[34:35], s[0:1], 0x58
	s_mov_b32 s25, 0
	v_cmp_eq_u32_e64 s0, 0, v0
	s_mov_b32 s31, s25
	v_and_b32_e32 v3, 31, v0
	v_cmp_gt_u32_e64 s5, 8, v0
	v_mbcnt_lo_u32_b32 v52, -1, 0
	s_mov_b32 s24, ttmp9
	s_delay_alu instid0(VALU_DEP_1)
	v_lshl_or_b32 v53, v52, 2, 64
	s_wait_kmcnt 0x0
	s_ashr_i32 s27, s26, 31
	s_ashr_i32 s7, s6, 31
	;; [unrolled: 1-line block ×3, first 2 shown]
	s_mov_b32 s2, s29
	s_cmp_gt_i32 s29, 0
	s_mul_u64 s[36:37], s[2:3], s[30:31]
	s_cselect_b32 s1, -1, 0
	s_lshl_b32 s2, ttmp9, 10
	s_ashr_i32 s4, s28, 31
	v_lshl_or_b32 v1, v0, 2, s2
	s_and_b32 s60, s0, s1
	s_lshr_b32 s1, s4, 30
	s_lshr_b32 s3, s3, 30
	s_add_co_i32 s1, s28, s1
	v_add_nc_u32_e32 v4, 4, v1
	s_and_b32 s1, s1, -4
	s_wait_alu 0xfffe
	s_add_co_i32 s2, s29, s3
	s_sub_co_i32 s62, s28, s1
	v_cmp_gt_u32_e64 s3, 32, v0
	v_add_nc_u32_e32 v5, s62, v1
	v_cmp_ge_i32_e64 s1, s28, v4
	v_lshrrev_b32_e32 v4, 2, v0
	v_or_b32_e32 v0, 1, v1
	s_wait_alu 0xfffe
	s_and_b32 s61, s2, -4
	v_cmp_ge_i32_e64 s2, s28, v5
	v_or_b32_e32 v7, 2, v1
	v_and_b32_e32 v51, 56, v4
	v_mad_co_i64_i32 v[5:6], null, s6, v0, 0
	v_or_b32_e32 v0, 3, v1
	s_delay_alu instid0(VALU_DEP_4) | instskip(SKIP_2) | instid1(VALU_DEP_3)
	v_mad_co_i64_i32 v[7:8], null, s6, v7, 0
	v_ashrrev_i32_e32 v2, 31, v1
	s_cmp_gt_i32 s61, 0
	v_mad_co_i64_i32 v[9:10], null, s6, v0, 0
	v_mov_b32_e32 v0, 0
	v_cmp_eq_u32_e64 s4, 0, v3
	v_lshlrev_b32_e32 v50, 3, v3
	v_mad_co_i64_i32 v[3:4], null, s6, v1, 0
	s_cselect_b32 s63, -1, 0
	s_cmp_gt_i32 s62, 0
	v_lshlrev_b64_e32 v[26:27], 3, v[1:2]
	v_lshlrev_b64_e32 v[28:29], 3, v[5:6]
	;; [unrolled: 1-line block ×5, first 2 shown]
	s_cselect_b32 s64, -1, 0
	s_lshl_b64 s[38:39], s[24:25], 3
	s_lshl_b64 s[42:43], s[36:37], 3
	s_add_nc_u64 s[40:41], s[34:35], s[38:39]
	s_lshl_b64 s[44:45], s[30:31], 3
	s_lshl_b64 s[46:47], s[6:7], 3
	s_mul_u64 s[48:49], s[26:27], 24
	s_lshl_b64 s[50:51], s[26:27], 5
	s_lshl_b64 s[52:53], s[26:27], 4
	;; [unrolled: 1-line block ×5, first 2 shown]
	s_branch .LBB261_3
.LBB261_2:                              ;   in Loop: Header=BB261_3 Depth=1
	s_add_co_i32 s10, s10, 0x10000
	s_delay_alu instid0(SALU_CYCLE_1)
	s_cmp_lt_u32 s10, s33
	s_cbranch_scc0 .LBB261_65
.LBB261_3:                              ; =>This Loop Header: Depth=1
                                        ;     Child Loop BB261_10 Depth 2
                                        ;     Child Loop BB261_16 Depth 2
                                        ;       Child Loop BB261_22 Depth 3
                                        ;       Child Loop BB261_25 Depth 3
	;; [unrolled: 1-line block ×3, first 2 shown]
                                        ;     Child Loop BB261_44 Depth 2
                                        ;       Child Loop BB261_57 Depth 3
                                        ;       Child Loop BB261_60 Depth 3
	s_mov_b32 s11, s25
	v_mov_b32_e32 v38, 0
	s_mul_u64 s[6:7], s[14:15], s[10:11]
	v_dual_mov_b32 v39, 0 :: v_dual_mov_b32 v2, 0
	s_wait_alu 0xfffe
	s_lshl_b64 s[6:7], s[6:7], 3
	v_mov_b32_e32 v3, 0
	s_wait_alu 0xfffe
	s_add_nc_u64 s[6:7], s[12:13], s[6:7]
	global_load_b64 v[34:35], v0, s[6:7]
	s_wait_loadcnt 0x0
	v_cmp_eq_f64_e64 s6, 0, v[34:35]
	v_cmp_neq_f64_e64 s7, 0, v[34:35]
	s_wait_alu 0xfffe
	s_and_b32 vcc_lo, exec_lo, s6
	s_wait_alu 0xfffe
	s_cbranch_vccnz .LBB261_5
; %bb.4:                                ;   in Loop: Header=BB261_3 Depth=1
	s_lshl_b64 s[8:9], s[10:11], 3
	s_wait_alu 0xfffe
	s_add_nc_u64 s[8:9], s[16:17], s[8:9]
	global_load_b64 v[2:3], v0, s[8:9]
	s_wait_loadcnt 0x0
	v_add_co_u32 v2, vcc_lo, v2, s18
	s_wait_alu 0xfffd
	v_add_co_ci_u32_e64 v3, null, s19, v3, vcc_lo
.LBB261_5:                              ;   in Loop: Header=BB261_3 Depth=1
	s_and_not1_b32 vcc_lo, exec_lo, s7
	s_wait_alu 0xfffe
	s_cbranch_vccnz .LBB261_7
; %bb.6:                                ;   in Loop: Header=BB261_3 Depth=1
	s_lshl_b64 s[8:9], s[10:11], 3
	s_wait_alu 0xfffe
	s_add_nc_u64 s[8:9], s[20:21], s[8:9]
	global_load_b64 v[4:5], v0, s[8:9]
	s_wait_loadcnt 0x0
	v_add_co_u32 v38, vcc_lo, v4, s22
	s_wait_alu 0xfffd
	v_add_co_ci_u32_e64 v39, null, s23, v5, vcc_lo
.LBB261_7:                              ;   in Loop: Header=BB261_3 Depth=1
	s_and_not1_b32 vcc_lo, exec_lo, s6
	s_mov_b32 s6, -1
	s_wait_alu 0xfffe
	s_cbranch_vccnz .LBB261_12
; %bb.8:                                ;   in Loop: Header=BB261_3 Depth=1
	s_and_saveexec_b32 s8, s60
	s_cbranch_execz .LBB261_11
; %bb.9:                                ;   in Loop: Header=BB261_3 Depth=1
	s_mul_u64 s[6:7], s[42:43], s[10:11]
	s_mov_b32 s9, s29
	s_wait_alu 0xfffe
	s_add_nc_u64 s[6:7], s[40:41], s[6:7]
.LBB261_10:                             ;   Parent Loop BB261_3 Depth=1
                                        ; =>  This Inner Loop Header: Depth=2
	v_mov_b32_e32 v1, v0
	s_add_co_i32 s9, s9, -1
	s_wait_alu 0xfffe
	s_cmp_eq_u32 s9, 0
	global_store_b64 v0, v[0:1], s[6:7]
	s_add_nc_u64 s[6:7], s[6:7], s[44:45]
	s_cbranch_scc0 .LBB261_10
.LBB261_11:                             ;   in Loop: Header=BB261_3 Depth=1
	s_wait_alu 0xfffe
	s_or_b32 exec_lo, exec_lo, s8
	s_mov_b32 s6, 0
.LBB261_12:                             ;   in Loop: Header=BB261_3 Depth=1
	s_wait_alu 0xfffe
	s_and_not1_b32 vcc_lo, exec_lo, s6
	s_wait_alu 0xfffe
	s_cbranch_vccnz .LBB261_2
; %bb.13:                               ;   in Loop: Header=BB261_3 Depth=1
	s_mul_u64 s[6:7], s[36:37], s[10:11]
	v_add_co_u32 v36, vcc_lo, v2, v26
	s_wait_alu 0xfffe
	s_lshl_b64 s[56:57], s[6:7], 3
	s_wait_alu 0xfffd
	v_add_co_ci_u32_e64 v37, null, v3, v27, vcc_lo
	v_cmp_gt_u32_e64 s9, 24, v52
	v_cmp_gt_u32_e64 s8, 28, v52
	;; [unrolled: 1-line block ×3, first 2 shown]
	v_cmp_ne_u32_e64 s6, 31, v52
	s_add_nc_u64 s[56:57], s[34:35], s[56:57]
	s_and_not1_b32 vcc_lo, exec_lo, s63
	s_add_nc_u64 s[56:57], s[56:57], s[38:39]
	s_wait_alu 0xfffe
	s_cbranch_vccnz .LBB261_40
; %bb.14:                               ;   in Loop: Header=BB261_3 Depth=1
	v_cndmask_b32_e64 v1, 0, 8, s9
	v_cndmask_b32_e64 v2, 0, 4, s8
	;; [unrolled: 1-line block ×3, first 2 shown]
	v_add_co_ci_u32_e64 v4, null, 0, v52, s6
	v_add_co_u32 v40, vcc_lo, v38, v24
	s_wait_alu 0xfffd
	v_add_co_ci_u32_e64 v41, null, v39, v25, vcc_lo
	v_add_co_u32 v42, vcc_lo, v38, v28
	v_mov_b32_e32 v7, v0
	v_add_lshl_u32 v54, v1, v52, 2
	v_add_lshl_u32 v55, v2, v52, 2
	v_add_lshl_u32 v56, v3, v52, 2
	v_dual_mov_b32 v2, v0 :: v_dual_lshlrev_b32 v57, 2, v4
	v_dual_mov_b32 v1, v0 :: v_dual_mov_b32 v4, v0
	v_dual_mov_b32 v3, v0 :: v_dual_mov_b32 v6, v0
	v_mov_b32_e32 v5, v0
	s_wait_alu 0xfffd
	v_add_co_ci_u32_e64 v43, null, v39, v29, vcc_lo
	v_add_co_u32 v44, vcc_lo, v38, v30
	s_wait_alu 0xfffd
	v_add_co_ci_u32_e64 v45, null, v39, v31, vcc_lo
	v_add_co_u32 v46, vcc_lo, v38, v32
	v_dual_mov_b32 v49, v37 :: v_dual_mov_b32 v48, v36
	v_dual_mov_b32 v15, v7 :: v_dual_mov_b32 v12, v4
	s_wait_alu 0xfffd
	v_add_co_ci_u32_e64 v47, null, v39, v33, vcc_lo
	v_dual_mov_b32 v14, v6 :: v_dual_mov_b32 v13, v5
	v_dual_mov_b32 v10, v2 :: v_dual_mov_b32 v11, v3
	;; [unrolled: 1-line block ×3, first 2 shown]
	s_mov_b32 s24, 0
	s_branch .LBB261_16
.LBB261_15:                             ;   in Loop: Header=BB261_16 Depth=2
	s_wait_alu 0xfffe
	s_or_b32 exec_lo, exec_lo, s6
	v_add_co_u32 v48, vcc_lo, v48, s50
	s_wait_alu 0xfffd
	v_add_co_ci_u32_e64 v49, null, s51, v49, vcc_lo
	s_add_co_i32 s24, s24, 4
	s_wait_alu 0xfffe
	s_cmp_ge_i32 s24, s61
	s_cbranch_scc1 .LBB261_41
.LBB261_16:                             ;   Parent Loop BB261_3 Depth=1
                                        ; =>  This Loop Header: Depth=2
                                        ;       Child Loop BB261_22 Depth 3
                                        ;       Child Loop BB261_25 Depth 3
	;; [unrolled: 1-line block ×3, first 2 shown]
                                        ; implicit-def: $vgpr16_vgpr17_vgpr18_vgpr19_vgpr20_vgpr21_vgpr22_vgpr23
	s_and_saveexec_b32 s6, s1
	s_wait_alu 0xfffe
	s_xor_b32 s6, exec_lo, s6
	s_cbranch_execz .LBB261_18
; %bb.17:                               ;   in Loop: Header=BB261_16 Depth=2
	s_mul_u64 s[8:9], s[24:25], s[26:27]
	s_or_b32 s58, s24, 1
	s_mov_b32 s59, s25
	s_wait_alu 0xfffe
	s_lshl_b64 s[8:9], s[8:9], 3
	s_mul_u64 s[58:59], s[58:59], s[26:27]
	s_wait_alu 0xfffe
	v_add_co_u32 v5, vcc_lo, v36, s8
	s_wait_alu 0xfffd
	v_add_co_ci_u32_e64 v6, null, s9, v37, vcc_lo
	s_lshl_b64 s[8:9], s[58:59], 3
	s_or_b32 s58, s24, 2
	s_mov_b32 s59, s25
	s_wait_alu 0xfffe
	v_add_co_u32 v14, vcc_lo, v36, s8
	s_wait_alu 0xfffd
	v_add_co_ci_u32_e64 v15, null, s9, v37, vcc_lo
	s_mul_u64 s[8:9], s[58:59], s[26:27]
	s_or_b32 s58, s24, 3
	s_wait_alu 0xfffe
	s_lshl_b64 s[8:9], s[8:9], 3
	s_mul_u64 s[58:59], s[58:59], s[26:27]
	s_wait_alu 0xfffe
	v_add_co_u32 v70, vcc_lo, v36, s8
	s_wait_alu 0xfffd
	v_add_co_ci_u32_e64 v71, null, s9, v37, vcc_lo
	s_lshl_b64 s[8:9], s[58:59], 3
	s_wait_alu 0xfffe
	v_add_co_u32 v74, vcc_lo, v36, s8
	s_wait_alu 0xfffd
	v_add_co_ci_u32_e64 v75, null, s9, v37, vcc_lo
	flat_load_b64 v[8:9], v[40:41]
	s_clause 0x1
	flat_load_b128 v[1:4], v[5:6]
	flat_load_b128 v[16:19], v[14:15]
	s_wait_dscnt 0x3
	s_clause 0x1
	flat_load_b128 v[20:23], v[70:71]
	flat_load_b128 v[58:61], v[74:75]
	s_clause 0x1
	flat_load_b64 v[10:11], v[42:43]
	flat_load_b64 v[12:13], v[44:45]
	s_clause 0x3
	flat_load_b128 v[62:65], v[5:6] offset:16
	flat_load_b128 v[66:69], v[14:15] offset:16
	;; [unrolled: 1-line block ×4, first 2 shown]
	flat_load_b64 v[14:15], v[46:47]
	s_wait_loadcnt_dscnt 0xa0a
	v_fma_f64 v[1:2], v[8:9], v[1:2], 0
	s_wait_loadcnt_dscnt 0x909
	v_fma_f64 v[5:6], v[8:9], v[16:17], 0
	;; [unrolled: 2-line block ×4, first 2 shown]
	s_wait_loadcnt_dscnt 0x606
	s_delay_alu instid0(VALU_DEP_4) | instskip(NEXT) | instid1(VALU_DEP_4)
	v_fma_f64 v[1:2], v[10:11], v[3:4], v[1:2]
	v_fma_f64 v[3:4], v[10:11], v[18:19], v[5:6]
	s_delay_alu instid0(VALU_DEP_4) | instskip(NEXT) | instid1(VALU_DEP_4)
	v_fma_f64 v[5:6], v[10:11], v[22:23], v[16:17]
	v_fma_f64 v[16:17], v[10:11], v[60:61], v[20:21]
	s_wait_loadcnt_dscnt 0x404
	s_delay_alu instid0(VALU_DEP_4) | instskip(SKIP_1) | instid1(VALU_DEP_4)
	v_fma_f64 v[1:2], v[12:13], v[62:63], v[1:2]
	s_wait_loadcnt_dscnt 0x303
	v_fma_f64 v[3:4], v[12:13], v[66:67], v[3:4]
	s_wait_loadcnt_dscnt 0x202
	s_delay_alu instid0(VALU_DEP_4) | instskip(SKIP_1) | instid1(VALU_DEP_4)
	v_fma_f64 v[5:6], v[12:13], v[70:71], v[5:6]
	s_wait_loadcnt_dscnt 0x101
	v_fma_f64 v[22:23], v[12:13], v[74:75], v[16:17]
	s_wait_loadcnt_dscnt 0x0
	s_delay_alu instid0(VALU_DEP_4) | instskip(NEXT) | instid1(VALU_DEP_4)
	v_fma_f64 v[16:17], v[14:15], v[64:65], v[1:2]
	v_fma_f64 v[18:19], v[14:15], v[68:69], v[3:4]
	s_delay_alu instid0(VALU_DEP_4) | instskip(NEXT) | instid1(VALU_DEP_4)
	v_fma_f64 v[20:21], v[14:15], v[72:73], v[5:6]
	v_fma_f64 v[22:23], v[14:15], v[76:77], v[22:23]
.LBB261_18:                             ;   in Loop: Header=BB261_16 Depth=2
	s_wait_alu 0xfffe
	s_and_not1_saveexec_b32 s11, s6
	s_cbranch_execz .LBB261_28
; %bb.19:                               ;   in Loop: Header=BB261_16 Depth=2
	v_mov_b32_e32 v7, v0
	v_dual_mov_b32 v1, v0 :: v_dual_mov_b32 v2, v0
	v_dual_mov_b32 v3, v0 :: v_dual_mov_b32 v4, v0
	;; [unrolled: 1-line block ×3, first 2 shown]
	s_wait_dscnt 0x0
	v_mov_b32_e32 v23, v7
	s_delay_alu instid0(VALU_DEP_3) | instskip(NEXT) | instid1(VALU_DEP_3)
	v_dual_mov_b32 v19, v3 :: v_dual_mov_b32 v18, v2
	v_dual_mov_b32 v21, v5 :: v_dual_mov_b32 v20, v4
	v_dual_mov_b32 v22, v6 :: v_dual_mov_b32 v17, v1
	v_mov_b32_e32 v16, v0
	s_and_saveexec_b32 s28, s2
	s_cbranch_execz .LBB261_27
; %bb.20:                               ;   in Loop: Header=BB261_16 Depth=2
	s_and_not1_b32 vcc_lo, exec_lo, s64
	s_wait_alu 0xfffe
	s_cbranch_vccnz .LBB261_23
; %bb.21:                               ;   in Loop: Header=BB261_16 Depth=2
	v_dual_mov_b32 v1, v40 :: v_dual_mov_b32 v2, v41
	s_mov_b64 s[58:59], 0
.LBB261_22:                             ;   Parent Loop BB261_3 Depth=1
                                        ;     Parent Loop BB261_16 Depth=2
                                        ; =>    This Inner Loop Header: Depth=3
	flat_load_b64 v[3:4], v[1:2]
	s_cmp_eq_u32 s58, 3
	v_add_co_u32 v1, vcc_lo, v1, s46
	s_wait_alu 0xfffd
	v_add_co_ci_u32_e64 v2, null, s47, v2, vcc_lo
	s_cselect_b32 vcc_lo, -1, 0
	s_cmp_eq_u32 s58, 2
	s_cselect_b32 s6, -1, 0
	s_cmp_eq_u32 s58, 1
	s_cselect_b32 s7, -1, 0
	s_cmp_eq_u32 s58, 0
	s_add_nc_u64 s[58:59], s[58:59], 1
	s_cselect_b32 s8, -1, 0
	s_cmp_eq_u32 s62, s58
	s_wait_loadcnt_dscnt 0x0
	s_wait_alu 0xfffe
	v_dual_cndmask_b32 v15, v15, v4 :: v_dual_cndmask_b32 v14, v14, v3
	v_cndmask_b32_e64 v13, v13, v4, s6
	v_cndmask_b32_e64 v12, v12, v3, s6
	;; [unrolled: 1-line block ×6, first 2 shown]
	s_cbranch_scc0 .LBB261_22
.LBB261_23:                             ;   in Loop: Header=BB261_16 Depth=2
	s_and_not1_b32 vcc_lo, exec_lo, s64
	s_wait_alu 0xfffe
	s_cbranch_vccnz .LBB261_26
; %bb.24:                               ;   in Loop: Header=BB261_16 Depth=2
	v_mov_b32_e32 v16, 0
	v_dual_mov_b32 v20, 0 :: v_dual_mov_b32 v17, 0
	v_dual_mov_b32 v18, 0 :: v_dual_mov_b32 v21, 0
	v_dual_mov_b32 v22, 0 :: v_dual_mov_b32 v19, 0
	v_mov_b32_e32 v23, 0
	v_dual_mov_b32 v1, v48 :: v_dual_mov_b32 v2, v49
	s_mov_b64 s[8:9], 0
.LBB261_25:                             ;   Parent Loop BB261_3 Depth=1
                                        ;     Parent Loop BB261_16 Depth=2
                                        ; =>    This Inner Loop Header: Depth=3
	s_delay_alu instid0(VALU_DEP_1) | instskip(SKIP_1) | instid1(VALU_DEP_2)
	v_add_co_u32 v3, vcc_lo, v1, s54
	s_wait_alu 0xfffd
	v_add_co_ci_u32_e64 v4, null, s55, v2, vcc_lo
	v_add_co_u32 v5, vcc_lo, v1, s52
	s_wait_alu 0xfffd
	v_add_co_ci_u32_e64 v6, null, s53, v2, vcc_lo
	;; [unrolled: 3-line block ×3, first 2 shown]
	s_clause 0x3
	flat_load_b64 v[60:61], v[1:2]
	flat_load_b64 v[3:4], v[3:4]
	;; [unrolled: 1-line block ×4, first 2 shown]
	s_wait_alu 0xfffe
	s_cmp_eq_u32 s8, 1
	s_cselect_b32 vcc_lo, -1, 0
	s_cmp_eq_u32 s8, 2
	s_wait_alu 0xfffe
	v_dual_cndmask_b32 v7, v9, v11 :: v_dual_cndmask_b32 v62, v8, v10
	s_cselect_b32 vcc_lo, -1, 0
	s_cmp_eq_u32 s8, 3
	s_add_nc_u64 s[8:9], s[8:9], 1
	s_wait_alu 0xfffe
	v_dual_cndmask_b32 v7, v7, v13 :: v_dual_cndmask_b32 v62, v62, v12
	s_cselect_b32 s6, -1, 0
	v_add_co_u32 v1, vcc_lo, v1, 8
	s_wait_alu 0xfffe
	s_delay_alu instid0(VALU_DEP_2)
	v_cndmask_b32_e64 v63, v7, v15, s6
	v_cndmask_b32_e64 v62, v62, v14, s6
	s_wait_alu 0xfffd
	v_add_co_ci_u32_e64 v2, null, 0, v2, vcc_lo
	s_cmp_lg_u32 s62, s8
	s_wait_loadcnt_dscnt 0x303
	v_fma_f64 v[16:17], v[62:63], v[60:61], v[16:17]
	s_wait_loadcnt_dscnt 0x202
	v_fma_f64 v[18:19], v[62:63], v[3:4], v[18:19]
	;; [unrolled: 2-line block ×4, first 2 shown]
	s_cbranch_scc1 .LBB261_25
	s_branch .LBB261_27
.LBB261_26:                             ;   in Loop: Header=BB261_16 Depth=2
	v_mov_b32_e32 v7, v0
	v_dual_mov_b32 v1, v0 :: v_dual_mov_b32 v2, v0
	v_dual_mov_b32 v3, v0 :: v_dual_mov_b32 v4, v0
	v_dual_mov_b32 v5, v0 :: v_dual_mov_b32 v6, v0
	s_delay_alu instid0(VALU_DEP_4) | instskip(NEXT) | instid1(VALU_DEP_3)
	v_mov_b32_e32 v23, v7
	v_dual_mov_b32 v19, v3 :: v_dual_mov_b32 v18, v2
	s_delay_alu instid0(VALU_DEP_3) | instskip(NEXT) | instid1(VALU_DEP_4)
	v_dual_mov_b32 v21, v5 :: v_dual_mov_b32 v20, v4
	v_dual_mov_b32 v22, v6 :: v_dual_mov_b32 v17, v1
	v_mov_b32_e32 v16, v0
.LBB261_27:                             ;   in Loop: Header=BB261_16 Depth=2
	s_wait_alu 0xfffe
	s_or_b32 exec_lo, exec_lo, s28
.LBB261_28:                             ;   in Loop: Header=BB261_16 Depth=2
	s_delay_alu instid0(SALU_CYCLE_1)
	s_or_b32 exec_lo, exec_lo, s11
	s_mov_b64 s[6:7], 0
	s_branch .LBB261_30
.LBB261_29:                             ;   in Loop: Header=BB261_30 Depth=3
	s_wait_alu 0xfffe
	s_or_b32 exec_lo, exec_lo, s8
	s_cmp_eq_u32 s6, 3
	s_cselect_b32 vcc_lo, -1, 0
	s_cmp_eq_u32 s6, 2
	s_wait_dscnt 0x0
	s_wait_alu 0xfffe
	s_delay_alu instid0(VALU_DEP_1)
	v_dual_cndmask_b32 v23, v23, v2 :: v_dual_cndmask_b32 v22, v22, v1
	s_cselect_b32 vcc_lo, -1, 0
	s_cmp_eq_u32 s6, 1
	s_wait_alu 0xfffe
	v_dual_cndmask_b32 v21, v21, v2 :: v_dual_cndmask_b32 v20, v20, v1
	s_cselect_b32 vcc_lo, -1, 0
	s_cmp_eq_u32 s6, 0
	s_wait_alu 0xfffe
	v_dual_cndmask_b32 v19, v19, v2 :: v_dual_cndmask_b32 v18, v18, v1
	s_cselect_b32 vcc_lo, -1, 0
	s_add_nc_u64 s[6:7], s[6:7], 1
	s_wait_alu 0xfffe
	v_dual_cndmask_b32 v17, v17, v2 :: v_dual_cndmask_b32 v16, v16, v1
	s_cmp_eq_u32 s6, 4
	s_cbranch_scc1 .LBB261_38
.LBB261_30:                             ;   Parent Loop BB261_3 Depth=1
                                        ;     Parent Loop BB261_16 Depth=2
                                        ; =>    This Inner Loop Header: Depth=3
	s_and_saveexec_b32 s8, s3
; %bb.31:                               ;   in Loop: Header=BB261_30 Depth=3
	v_mov_b32_e32 v1, v0
	ds_store_b64 v50, v[0:1]
; %bb.32:                               ;   in Loop: Header=BB261_30 Depth=3
	s_wait_alu 0xfffe
	s_or_b32 exec_lo, exec_lo, s8
	s_cmp_eq_u32 s6, 1
	s_wait_storecnt_dscnt 0x0
	s_cselect_b32 vcc_lo, -1, 0
	s_cmp_eq_u32 s6, 2
	s_wait_alu 0xfffe
	v_dual_cndmask_b32 v1, v17, v19 :: v_dual_cndmask_b32 v2, v16, v18
	s_cselect_b32 vcc_lo, -1, 0
	s_cmp_eq_u32 s6, 3
	s_barrier_signal -1
	s_wait_alu 0xfffe
	v_cndmask_b32_e32 v1, v1, v21, vcc_lo
	v_cndmask_b32_e32 v3, v2, v20, vcc_lo
	s_cselect_b32 vcc_lo, -1, 0
	s_barrier_wait -1
	global_inv scope:SCOPE_SE
	s_wait_alu 0xfffe
	v_dual_cndmask_b32 v2, v1, v23 :: v_dual_cndmask_b32 v1, v3, v22
	ds_bpermute_b32 v4, v53, v2
	ds_bpermute_b32 v3, v53, v1
	s_wait_dscnt 0x0
	v_add_f64_e32 v[1:2], v[1:2], v[3:4]
	ds_bpermute_b32 v3, v54, v1
	ds_bpermute_b32 v4, v54, v2
	s_wait_dscnt 0x0
	v_add_f64_e32 v[1:2], v[1:2], v[3:4]
	;; [unrolled: 4-line block ×4, first 2 shown]
	ds_bpermute_b32 v3, v57, v1
	ds_bpermute_b32 v4, v57, v2
	s_and_saveexec_b32 s8, s4
	s_cbranch_execz .LBB261_34
; %bb.33:                               ;   in Loop: Header=BB261_30 Depth=3
	s_wait_dscnt 0x0
	v_add_f64_e32 v[1:2], v[1:2], v[3:4]
	ds_store_b64 v51, v[1:2]
.LBB261_34:                             ;   in Loop: Header=BB261_30 Depth=3
	s_wait_alu 0xfffe
	s_or_b32 exec_lo, exec_lo, s8
	v_mov_b32_e32 v1, 0
	v_mov_b32_e32 v2, 0
	s_wait_loadcnt_dscnt 0x0
	s_barrier_signal -1
	s_barrier_wait -1
	global_inv scope:SCOPE_SE
	s_and_saveexec_b32 s8, s5
; %bb.35:                               ;   in Loop: Header=BB261_30 Depth=3
	ds_load_b64 v[1:2], v50
; %bb.36:                               ;   in Loop: Header=BB261_30 Depth=3
	s_wait_alu 0xfffe
	s_or_b32 exec_lo, exec_lo, s8
	s_and_saveexec_b32 s8, s3
	s_cbranch_execz .LBB261_29
; %bb.37:                               ;   in Loop: Header=BB261_30 Depth=3
	s_wait_dscnt 0x0
	ds_bpermute_b32 v3, v55, v1
	ds_bpermute_b32 v4, v55, v2
	s_wait_dscnt 0x0
	v_add_f64_e32 v[1:2], v[1:2], v[3:4]
	ds_bpermute_b32 v3, v56, v1
	ds_bpermute_b32 v4, v56, v2
	s_wait_dscnt 0x0
	v_add_f64_e32 v[1:2], v[1:2], v[3:4]
	ds_bpermute_b32 v3, v57, v1
	ds_bpermute_b32 v4, v57, v2
	s_wait_dscnt 0x0
	v_add_f64_e32 v[1:2], v[1:2], v[3:4]
	s_branch .LBB261_29
.LBB261_38:                             ;   in Loop: Header=BB261_16 Depth=2
	s_and_saveexec_b32 s6, s0
	s_cbranch_execz .LBB261_15
; %bb.39:                               ;   in Loop: Header=BB261_16 Depth=2
	v_mul_f64_e32 v[1:2], v[34:35], v[16:17]
	v_mul_f64_e32 v[3:4], v[34:35], v[18:19]
	;; [unrolled: 1-line block ×4, first 2 shown]
	s_or_b32 s58, s24, 1
	s_mov_b32 s59, s25
	s_mul_u64 s[8:9], s[24:25], s[30:31]
	s_or_b32 s66, s24, 2
	s_mov_b32 s67, s25
	s_or_b32 s68, s24, 3
	s_mov_b32 s69, s25
	s_mul_u64 s[58:59], s[58:59], s[30:31]
	s_mul_u64 s[66:67], s[66:67], s[30:31]
	;; [unrolled: 1-line block ×3, first 2 shown]
	s_wait_alu 0xfffe
	s_lshl_b64 s[8:9], s[8:9], 3
	s_lshl_b64 s[58:59], s[58:59], 3
	s_wait_alu 0xfffe
	s_add_nc_u64 s[8:9], s[56:57], s[8:9]
	s_lshl_b64 s[66:67], s[66:67], 3
	s_lshl_b64 s[68:69], s[68:69], 3
	s_add_nc_u64 s[58:59], s[56:57], s[58:59]
	s_add_nc_u64 s[66:67], s[56:57], s[66:67]
	;; [unrolled: 1-line block ×3, first 2 shown]
	s_clause 0x3
	global_store_b64 v0, v[1:2], s[8:9]
	global_store_b64 v0, v[3:4], s[58:59]
	;; [unrolled: 1-line block ×4, first 2 shown]
	s_branch .LBB261_15
.LBB261_40:                             ;   in Loop: Header=BB261_3 Depth=1
	v_mov_b32_e32 v7, v0
	v_dual_mov_b32 v1, v0 :: v_dual_mov_b32 v2, v0
	v_dual_mov_b32 v3, v0 :: v_dual_mov_b32 v4, v0
	;; [unrolled: 1-line block ×3, first 2 shown]
	s_delay_alu instid0(VALU_DEP_4) | instskip(NEXT) | instid1(VALU_DEP_3)
	v_mov_b32_e32 v15, v7
	v_dual_mov_b32 v11, v3 :: v_dual_mov_b32 v10, v2
	s_delay_alu instid0(VALU_DEP_3) | instskip(NEXT) | instid1(VALU_DEP_4)
	v_dual_mov_b32 v13, v5 :: v_dual_mov_b32 v12, v4
	v_dual_mov_b32 v14, v6 :: v_dual_mov_b32 v9, v1
	v_mov_b32_e32 v8, v0
	s_mov_b32 s24, 0
.LBB261_41:                             ;   in Loop: Header=BB261_3 Depth=1
	s_wait_alu 0xfffe
	s_cmp_ge_i32 s24, s29
	s_cbranch_scc1 .LBB261_2
; %bb.42:                               ;   in Loop: Header=BB261_3 Depth=1
	v_cmp_gt_u32_e32 vcc_lo, 24, v52
	v_mad_co_u64_u32 v[2:3], null, s54, s24, v[36:37]
	s_wait_alu 0xfffd
	v_cndmask_b32_e64 v1, 0, 8, vcc_lo
	v_cmp_gt_u32_e32 vcc_lo, 28, v52
	s_delay_alu instid0(VALU_DEP_2) | instskip(SKIP_3) | instid1(VALU_DEP_2)
	v_add_lshl_u32 v40, v1, v52, 2
	s_wait_alu 0xfffd
	v_cndmask_b32_e64 v4, 0, 4, vcc_lo
	v_cmp_gt_u32_e32 vcc_lo, 30, v52
	v_add_lshl_u32 v41, v4, v52, 2
	s_wait_alu 0xfffd
	v_cndmask_b32_e64 v1, 0, 2, vcc_lo
	v_cmp_ne_u32_e32 vcc_lo, 31, v52
	s_delay_alu instid0(VALU_DEP_2)
	v_add_lshl_u32 v42, v1, v52, 2
	v_mov_b32_e32 v1, v3
	s_wait_alu 0xfffd
	v_add_co_ci_u32_e64 v5, null, 0, v52, vcc_lo
	v_add_co_u32 v4, vcc_lo, v38, v24
	s_wait_dscnt 0x0
	v_mad_co_u64_u32 v[20:21], null, s55, s24, v[1:2]
	s_delay_alu instid0(VALU_DEP_3)
	v_lshlrev_b32_e32 v43, 2, v5
	s_wait_alu 0xfffd
	v_add_co_ci_u32_e64 v5, null, v39, v25, vcc_lo
	v_add_co_u32 v6, vcc_lo, v38, v28
	s_wait_alu 0xfffd
	v_add_co_ci_u32_e64 v7, null, v39, v29, vcc_lo
	v_add_co_u32 v16, vcc_lo, v38, v30
	;; [unrolled: 3-line block ×3, first 2 shown]
	s_wait_alu 0xfffd
	v_add_co_ci_u32_e64 v19, null, v39, v33, vcc_lo
	v_mov_b32_e32 v3, v20
	s_branch .LBB261_44
.LBB261_43:                             ;   in Loop: Header=BB261_44 Depth=2
	s_wait_alu 0xfffe
	s_or_b32 exec_lo, exec_lo, s6
	v_add_co_u32 v2, vcc_lo, v2, s54
	s_wait_alu 0xfffd
	v_add_co_ci_u32_e64 v3, null, s55, v3, vcc_lo
	s_add_co_i32 s24, s24, 1
	s_wait_alu 0xfffe
	s_cmp_ge_i32 s24, s29
	s_cbranch_scc1 .LBB261_2
.LBB261_44:                             ;   Parent Loop BB261_3 Depth=1
                                        ; =>  This Loop Header: Depth=2
                                        ;       Child Loop BB261_57 Depth 3
                                        ;       Child Loop BB261_60 Depth 3
	s_wait_dscnt 0x0
	v_dual_mov_b32 v20, s25 :: v_dual_mov_b32 v21, s25
	s_and_saveexec_b32 s6, s1
	s_wait_alu 0xfffe
	s_xor_b32 s6, exec_lo, s6
	s_cbranch_execnz .LBB261_53
; %bb.45:                               ;   in Loop: Header=BB261_44 Depth=2
	s_wait_alu 0xfffe
	s_and_not1_saveexec_b32 s9, s6
	s_cbranch_execnz .LBB261_54
.LBB261_46:                             ;   in Loop: Header=BB261_44 Depth=2
	s_wait_alu 0xfffe
	s_or_b32 exec_lo, exec_lo, s9
	s_and_saveexec_b32 s6, s3
.LBB261_47:                             ;   in Loop: Header=BB261_44 Depth=2
	v_mov_b32_e32 v1, v0
	ds_store_b64 v50, v[0:1]
.LBB261_48:                             ;   in Loop: Header=BB261_44 Depth=2
	s_wait_alu 0xfffe
	s_or_b32 exec_lo, exec_lo, s6
	ds_bpermute_b32 v22, v53, v20
	ds_bpermute_b32 v23, v53, v21
	s_wait_storecnt 0x0
	s_wait_loadcnt_dscnt 0x0
	s_barrier_signal -1
	s_barrier_wait -1
	global_inv scope:SCOPE_SE
	v_add_f64_e32 v[20:21], v[20:21], v[22:23]
	ds_bpermute_b32 v22, v40, v20
	ds_bpermute_b32 v23, v40, v21
	s_wait_dscnt 0x0
	v_add_f64_e32 v[20:21], v[20:21], v[22:23]
	ds_bpermute_b32 v22, v41, v20
	ds_bpermute_b32 v23, v41, v21
	s_wait_dscnt 0x0
	;; [unrolled: 4-line block ×3, first 2 shown]
	v_add_f64_e32 v[20:21], v[20:21], v[22:23]
	ds_bpermute_b32 v22, v43, v20
	ds_bpermute_b32 v23, v43, v21
	s_and_saveexec_b32 s6, s4
	s_cbranch_execz .LBB261_50
; %bb.49:                               ;   in Loop: Header=BB261_44 Depth=2
	s_wait_dscnt 0x0
	v_add_f64_e32 v[20:21], v[20:21], v[22:23]
	ds_store_b64 v51, v[20:21]
.LBB261_50:                             ;   in Loop: Header=BB261_44 Depth=2
	s_wait_alu 0xfffe
	s_or_b32 exec_lo, exec_lo, s6
	v_mov_b32_e32 v20, 0
	v_mov_b32_e32 v21, 0
	s_wait_loadcnt_dscnt 0x0
	s_barrier_signal -1
	s_barrier_wait -1
	global_inv scope:SCOPE_SE
	s_and_saveexec_b32 s6, s5
	s_cbranch_execnz .LBB261_62
; %bb.51:                               ;   in Loop: Header=BB261_44 Depth=2
	s_wait_alu 0xfffe
	s_or_b32 exec_lo, exec_lo, s6
	s_and_saveexec_b32 s6, s3
	s_cbranch_execnz .LBB261_63
.LBB261_52:                             ;   in Loop: Header=BB261_44 Depth=2
	s_wait_alu 0xfffe
	s_or_b32 exec_lo, exec_lo, s6
	s_and_saveexec_b32 s6, s0
	s_cbranch_execz .LBB261_43
	s_branch .LBB261_64
.LBB261_53:                             ;   in Loop: Header=BB261_44 Depth=2
	s_mul_u64 s[8:9], s[24:25], s[26:27]
	s_wait_alu 0xfffe
	s_lshl_b64 s[8:9], s[8:9], 3
	s_wait_alu 0xfffe
	v_add_co_u32 v12, vcc_lo, v36, s8
	s_wait_alu 0xfffd
	v_add_co_ci_u32_e64 v13, null, s9, v37, vcc_lo
	flat_load_b128 v[20:23], v[12:13]
	s_clause 0x1
	flat_load_b64 v[8:9], v[4:5]
	flat_load_b64 v[10:11], v[6:7]
	flat_load_b128 v[44:47], v[12:13] offset:16
	s_clause 0x1
	flat_load_b64 v[12:13], v[16:17]
	flat_load_b64 v[14:15], v[18:19]
	s_wait_loadcnt_dscnt 0x404
	v_fma_f64 v[20:21], v[8:9], v[20:21], 0
	s_wait_loadcnt_dscnt 0x303
	s_delay_alu instid0(VALU_DEP_1) | instskip(SKIP_1) | instid1(VALU_DEP_1)
	v_fma_f64 v[20:21], v[10:11], v[22:23], v[20:21]
	s_wait_loadcnt_dscnt 0x101
	v_fma_f64 v[20:21], v[12:13], v[44:45], v[20:21]
	s_wait_loadcnt_dscnt 0x0
	s_delay_alu instid0(VALU_DEP_1)
	v_fma_f64 v[20:21], v[14:15], v[46:47], v[20:21]
	s_and_not1_saveexec_b32 s9, s6
	s_cbranch_execz .LBB261_46
.LBB261_54:                             ;   in Loop: Header=BB261_44 Depth=2
	s_and_saveexec_b32 s11, s2
	s_cbranch_execz .LBB261_61
; %bb.55:                               ;   in Loop: Header=BB261_44 Depth=2
	s_and_not1_b32 vcc_lo, exec_lo, s64
	s_wait_alu 0xfffe
	s_cbranch_vccnz .LBB261_58
; %bb.56:                               ;   in Loop: Header=BB261_44 Depth=2
	v_dual_mov_b32 v23, v5 :: v_dual_mov_b32 v22, v4
	s_mov_b64 s[58:59], 0
.LBB261_57:                             ;   Parent Loop BB261_3 Depth=1
                                        ;     Parent Loop BB261_44 Depth=2
                                        ; =>    This Inner Loop Header: Depth=3
	flat_load_b64 v[38:39], v[22:23]
	s_cmp_eq_u32 s58, 3
	v_add_co_u32 v22, vcc_lo, v22, s46
	s_wait_alu 0xfffd
	v_add_co_ci_u32_e64 v23, null, s47, v23, vcc_lo
	s_cselect_b32 vcc_lo, -1, 0
	s_cmp_eq_u32 s58, 2
	s_cselect_b32 s6, -1, 0
	s_cmp_eq_u32 s58, 1
	s_cselect_b32 s7, -1, 0
	s_cmp_eq_u32 s58, 0
	s_add_nc_u64 s[58:59], s[58:59], 1
	s_cselect_b32 s8, -1, 0
	s_cmp_eq_u32 s62, s58
	s_wait_loadcnt_dscnt 0x0
	s_wait_alu 0xfffe
	v_dual_cndmask_b32 v15, v15, v39 :: v_dual_cndmask_b32 v14, v14, v38
	v_cndmask_b32_e64 v13, v13, v39, s6
	v_cndmask_b32_e64 v12, v12, v38, s6
	;; [unrolled: 1-line block ×6, first 2 shown]
	s_cbranch_scc0 .LBB261_57
.LBB261_58:                             ;   in Loop: Header=BB261_44 Depth=2
	s_and_not1_b32 vcc_lo, exec_lo, s64
	s_wait_alu 0xfffe
	s_cbranch_vccnz .LBB261_61
; %bb.59:                               ;   in Loop: Header=BB261_44 Depth=2
	v_dual_mov_b32 v23, v3 :: v_dual_mov_b32 v22, v2
	s_mov_b64 s[6:7], 0
.LBB261_60:                             ;   Parent Loop BB261_3 Depth=1
                                        ;     Parent Loop BB261_44 Depth=2
                                        ; =>    This Inner Loop Header: Depth=3
	flat_load_b64 v[38:39], v[22:23]
	s_wait_alu 0xfffe
	s_cmp_eq_u32 s6, 1
	s_cselect_b32 vcc_lo, -1, 0
	s_cmp_eq_u32 s6, 2
	s_wait_alu 0xfffe
	v_dual_cndmask_b32 v1, v9, v11 :: v_dual_cndmask_b32 v44, v8, v10
	s_cselect_b32 vcc_lo, -1, 0
	s_cmp_eq_u32 s6, 3
	s_add_nc_u64 s[6:7], s[6:7], 1
	s_wait_alu 0xfffe
	v_dual_cndmask_b32 v1, v1, v13 :: v_dual_cndmask_b32 v44, v44, v12
	s_cselect_b32 vcc_lo, -1, 0
	s_cmp_lg_u32 s62, s6
	s_wait_alu 0xfffe
	s_delay_alu instid0(VALU_DEP_1)
	v_dual_cndmask_b32 v45, v1, v15 :: v_dual_cndmask_b32 v44, v44, v14
	v_add_co_u32 v22, vcc_lo, v22, 8
	s_wait_alu 0xfffd
	v_add_co_ci_u32_e64 v23, null, 0, v23, vcc_lo
	s_wait_loadcnt_dscnt 0x0
	v_fma_f64 v[20:21], v[44:45], v[38:39], v[20:21]
	s_cbranch_scc1 .LBB261_60
.LBB261_61:                             ;   in Loop: Header=BB261_44 Depth=2
	s_or_b32 exec_lo, exec_lo, s11
	s_wait_alu 0xfffe
	s_or_b32 exec_lo, exec_lo, s9
	s_and_saveexec_b32 s6, s3
	s_cbranch_execnz .LBB261_47
	s_branch .LBB261_48
.LBB261_62:                             ;   in Loop: Header=BB261_44 Depth=2
	ds_load_b64 v[20:21], v50
	s_wait_alu 0xfffe
	s_or_b32 exec_lo, exec_lo, s6
	s_and_saveexec_b32 s6, s3
	s_cbranch_execz .LBB261_52
.LBB261_63:                             ;   in Loop: Header=BB261_44 Depth=2
	s_wait_dscnt 0x0
	ds_bpermute_b32 v22, v41, v20
	ds_bpermute_b32 v23, v41, v21
	s_wait_dscnt 0x0
	v_add_f64_e32 v[20:21], v[20:21], v[22:23]
	ds_bpermute_b32 v22, v42, v20
	ds_bpermute_b32 v23, v42, v21
	s_wait_dscnt 0x0
	v_add_f64_e32 v[20:21], v[20:21], v[22:23]
	;; [unrolled: 4-line block ×3, first 2 shown]
	s_wait_alu 0xfffe
	s_or_b32 exec_lo, exec_lo, s6
	s_and_saveexec_b32 s6, s0
	s_cbranch_execz .LBB261_43
.LBB261_64:                             ;   in Loop: Header=BB261_44 Depth=2
	s_wait_dscnt 0x0
	s_delay_alu instid0(VALU_DEP_1)
	v_mul_f64_e32 v[20:21], v[34:35], v[20:21]
	s_mul_u64 s[8:9], s[24:25], s[30:31]
	s_wait_alu 0xfffe
	s_lshl_b64 s[8:9], s[8:9], 3
	s_wait_alu 0xfffe
	s_add_nc_u64 s[8:9], s[56:57], s[8:9]
	global_store_b64 v0, v[20:21], s[8:9]
	s_branch .LBB261_43
.LBB261_65:
	s_endpgm
	.section	.rodata,"a",@progbits
	.p2align	6, 0x0
	.amdhsa_kernel _ZL23rocblas_gemvt_sn_kernelILb0ELi256ELi4ElPKdS1_dEviiT4_lPKT3_lilS5_lilPT5_i
		.amdhsa_group_segment_fixed_size 256
		.amdhsa_private_segment_fixed_size 0
		.amdhsa_kernarg_size 360
		.amdhsa_user_sgpr_count 2
		.amdhsa_user_sgpr_dispatch_ptr 0
		.amdhsa_user_sgpr_queue_ptr 0
		.amdhsa_user_sgpr_kernarg_segment_ptr 1
		.amdhsa_user_sgpr_dispatch_id 0
		.amdhsa_user_sgpr_private_segment_size 0
		.amdhsa_wavefront_size32 1
		.amdhsa_uses_dynamic_stack 0
		.amdhsa_enable_private_segment 0
		.amdhsa_system_sgpr_workgroup_id_x 1
		.amdhsa_system_sgpr_workgroup_id_y 0
		.amdhsa_system_sgpr_workgroup_id_z 1
		.amdhsa_system_sgpr_workgroup_info 0
		.amdhsa_system_vgpr_workitem_id 0
		.amdhsa_next_free_vgpr 78
		.amdhsa_next_free_sgpr 70
		.amdhsa_reserve_vcc 1
		.amdhsa_float_round_mode_32 0
		.amdhsa_float_round_mode_16_64 0
		.amdhsa_float_denorm_mode_32 3
		.amdhsa_float_denorm_mode_16_64 3
		.amdhsa_fp16_overflow 0
		.amdhsa_workgroup_processor_mode 1
		.amdhsa_memory_ordered 1
		.amdhsa_forward_progress 1
		.amdhsa_inst_pref_size 34
		.amdhsa_round_robin_scheduling 0
		.amdhsa_exception_fp_ieee_invalid_op 0
		.amdhsa_exception_fp_denorm_src 0
		.amdhsa_exception_fp_ieee_div_zero 0
		.amdhsa_exception_fp_ieee_overflow 0
		.amdhsa_exception_fp_ieee_underflow 0
		.amdhsa_exception_fp_ieee_inexact 0
		.amdhsa_exception_int_div_zero 0
	.end_amdhsa_kernel
	.section	.text._ZL23rocblas_gemvt_sn_kernelILb0ELi256ELi4ElPKdS1_dEviiT4_lPKT3_lilS5_lilPT5_i,"axG",@progbits,_ZL23rocblas_gemvt_sn_kernelILb0ELi256ELi4ElPKdS1_dEviiT4_lPKT3_lilS5_lilPT5_i,comdat
.Lfunc_end261:
	.size	_ZL23rocblas_gemvt_sn_kernelILb0ELi256ELi4ElPKdS1_dEviiT4_lPKT3_lilS5_lilPT5_i, .Lfunc_end261-_ZL23rocblas_gemvt_sn_kernelILb0ELi256ELi4ElPKdS1_dEviiT4_lPKT3_lilS5_lilPT5_i
                                        ; -- End function
	.set _ZL23rocblas_gemvt_sn_kernelILb0ELi256ELi4ElPKdS1_dEviiT4_lPKT3_lilS5_lilPT5_i.num_vgpr, 78
	.set _ZL23rocblas_gemvt_sn_kernelILb0ELi256ELi4ElPKdS1_dEviiT4_lPKT3_lilS5_lilPT5_i.num_agpr, 0
	.set _ZL23rocblas_gemvt_sn_kernelILb0ELi256ELi4ElPKdS1_dEviiT4_lPKT3_lilS5_lilPT5_i.numbered_sgpr, 70
	.set _ZL23rocblas_gemvt_sn_kernelILb0ELi256ELi4ElPKdS1_dEviiT4_lPKT3_lilS5_lilPT5_i.num_named_barrier, 0
	.set _ZL23rocblas_gemvt_sn_kernelILb0ELi256ELi4ElPKdS1_dEviiT4_lPKT3_lilS5_lilPT5_i.private_seg_size, 0
	.set _ZL23rocblas_gemvt_sn_kernelILb0ELi256ELi4ElPKdS1_dEviiT4_lPKT3_lilS5_lilPT5_i.uses_vcc, 1
	.set _ZL23rocblas_gemvt_sn_kernelILb0ELi256ELi4ElPKdS1_dEviiT4_lPKT3_lilS5_lilPT5_i.uses_flat_scratch, 1
	.set _ZL23rocblas_gemvt_sn_kernelILb0ELi256ELi4ElPKdS1_dEviiT4_lPKT3_lilS5_lilPT5_i.has_dyn_sized_stack, 0
	.set _ZL23rocblas_gemvt_sn_kernelILb0ELi256ELi4ElPKdS1_dEviiT4_lPKT3_lilS5_lilPT5_i.has_recursion, 0
	.set _ZL23rocblas_gemvt_sn_kernelILb0ELi256ELi4ElPKdS1_dEviiT4_lPKT3_lilS5_lilPT5_i.has_indirect_call, 0
	.section	.AMDGPU.csdata,"",@progbits
; Kernel info:
; codeLenInByte = 4296
; TotalNumSgprs: 72
; NumVgprs: 78
; ScratchSize: 0
; MemoryBound: 1
; FloatMode: 240
; IeeeMode: 1
; LDSByteSize: 256 bytes/workgroup (compile time only)
; SGPRBlocks: 0
; VGPRBlocks: 9
; NumSGPRsForWavesPerEU: 72
; NumVGPRsForWavesPerEU: 78
; Occupancy: 16
; WaveLimiterHint : 0
; COMPUTE_PGM_RSRC2:SCRATCH_EN: 0
; COMPUTE_PGM_RSRC2:USER_SGPR: 2
; COMPUTE_PGM_RSRC2:TRAP_HANDLER: 0
; COMPUTE_PGM_RSRC2:TGID_X_EN: 1
; COMPUTE_PGM_RSRC2:TGID_Y_EN: 0
; COMPUTE_PGM_RSRC2:TGID_Z_EN: 1
; COMPUTE_PGM_RSRC2:TIDIG_COMP_CNT: 0
	.section	.text._ZL23rocblas_gemvt_sn_reduceILi256ELi8EdPKdKPdEviT2_lPT3_lilPT1_i,"axG",@progbits,_ZL23rocblas_gemvt_sn_reduceILi256ELi8EdPKdKPdEviT2_lPT3_lilPT1_i,comdat
	.globl	_ZL23rocblas_gemvt_sn_reduceILi256ELi8EdPKdKPdEviT2_lPT3_lilPT1_i ; -- Begin function _ZL23rocblas_gemvt_sn_reduceILi256ELi8EdPKdKPdEviT2_lPT3_lilPT1_i
	.p2align	8
	.type	_ZL23rocblas_gemvt_sn_reduceILi256ELi8EdPKdKPdEviT2_lPT3_lilPT1_i,@function
_ZL23rocblas_gemvt_sn_reduceILi256ELi8EdPKdKPdEviT2_lPT3_lilPT1_i: ; @_ZL23rocblas_gemvt_sn_reduceILi256ELi8EdPKdKPdEviT2_lPT3_lilPT1_i
; %bb.0:
	s_load_b32 s7, s[0:1], 0x40
	s_lshr_b32 s16, ttmp7, 16
	s_wait_kmcnt 0x0
	s_cmp_ge_u32 s16, s7
	s_cbranch_scc1 .LBB262_21
; %bb.1:
	s_clause 0x5
	s_load_b32 s18, s[0:1], 0x0
	s_load_b32 s28, s[0:1], 0x4c
	s_load_b32 s2, s[0:1], 0x54
	s_load_b32 s24, s[0:1], 0x28
	s_load_b64 s[20:21], s[0:1], 0x38
	s_load_b256 s[8:15], s[0:1], 0x8
	v_mbcnt_lo_u32_b32 v3, -1, 0
	v_dual_mov_b32 v1, 0 :: v_dual_and_b32 v2, 31, v0
	v_lshlrev_b32_e32 v15, 3, v0
	v_cmp_gt_u32_e64 s0, 32, v0
	s_delay_alu instid0(VALU_DEP_4)
	v_cmp_gt_u32_e32 vcc_lo, 24, v3
	v_cmp_gt_u32_e64 s4, 8, v0
	v_lshlrev_b32_e32 v16, 3, v2
	v_cmp_eq_u32_e64 s3, 0, v2
	v_lshlrev_b32_e32 v2, 6, v0
	v_cndmask_b32_e64 v4, 0, 8, vcc_lo
	v_cmp_gt_u32_e32 vcc_lo, 28, v3
	v_cmp_eq_u32_e64 s5, 0, v0
	v_mov_b32_e32 v6, v1
	s_wait_kmcnt 0x0
	s_ashr_i32 s19, s18, 31
	v_xad_u32 v5, v0, -1, s18
	s_wait_alu 0xfffd
	v_cndmask_b32_e64 v7, 0, 4, vcc_lo
	s_lshr_b32 s1, s19, 29
	v_cmp_gt_u32_e32 vcc_lo, 30, v3
	s_add_co_i32 s1, s18, s1
	s_and_b32 s6, s2, 0xffff
	s_and_b32 s29, s1, -8
	v_add_lshl_u32 v18, v4, v3, 2
	s_wait_alu 0xfffd
	v_cndmask_b32_e64 v8, 0, 2, vcc_lo
	v_cmp_ne_u32_e32 vcc_lo, 31, v3
	s_sub_co_i32 s2, s18, s29
	v_lshrrev_b32_e32 v4, 2, v0
	v_cmp_gt_u32_e64 s2, s2, v0
	v_add_co_u32 v0, s26, s20, v2
	s_wait_alu 0xfffd
	v_add_co_ci_u32_e64 v9, null, 0, v3, vcc_lo
	v_add_co_ci_u32_e64 v2, null, s21, 0, s26
	s_mov_b32 s17, 0
	v_lshl_or_b32 v17, v3, 2, 64
	v_add_lshl_u32 v19, v7, v3, 2
	v_add_lshl_u32 v20, v8, v3, 2
	v_add_co_u32 v3, vcc_lo, v0, 56
	s_and_b32 s22, ttmp7, 0xffff
	s_ashr_i32 s25, s24, 31
	s_mov_b32 s23, s17
	v_lshlrev_b64_e32 v[5:6], 3, v[5:6]
	v_cmp_gt_i32_e64 s1, s29, v15
	v_lshlrev_b32_e32 v21, 2, v9
	v_and_b32_e32 v22, 56, v4
	s_wait_alu 0xfffd
	v_add_co_ci_u32_e64 v4, null, 0, v2, vcc_lo
	s_mul_u64 s[26:27], s[24:25], s[22:23]
	s_mul_i32 s23, s16, s28
	s_lshl_b32 s30, s6, 3
	s_lshl_b64 s[24:25], s[18:19], 3
	s_add_co_i32 s23, s22, s23
	s_lshl_b32 s31, s28, 16
	s_lshl_b32 s33, s6, 6
	s_lshl_b64 s[14:15], s[14:15], 3
	s_wait_alu 0xfffe
	s_lshl_b64 s[26:27], s[26:27], 3
	s_branch .LBB262_4
.LBB262_2:                              ;   in Loop: Header=BB262_4 Depth=1
	s_wait_alu 0xfffe
	v_add_co_u32 v7, vcc_lo, v0, s26
	s_wait_alu 0xfffd
	v_add_co_ci_u32_e64 v8, null, s27, v2, vcc_lo
	s_wait_dscnt 0x0
	flat_store_b64 v[7:8], v[11:12]
.LBB262_3:                              ;   in Loop: Header=BB262_4 Depth=1
	s_wait_alu 0xfffe
	s_or_b32 exec_lo, exec_lo, s34
	s_add_co_i32 s16, s16, 0x10000
	s_add_co_i32 s23, s23, s31
	s_cmp_lt_u32 s16, s7
	s_cbranch_scc0 .LBB262_21
.LBB262_4:                              ; =>This Loop Header: Depth=1
                                        ;     Child Loop BB262_14 Depth 2
	s_mul_u64 s[34:35], s[10:11], s[16:17]
	s_lshl_b64 s[36:37], s[16:17], 3
	s_wait_alu 0xfffe
	s_lshl_b64 s[34:35], s[34:35], 3
	s_add_nc_u64 s[36:37], s[12:13], s[36:37]
	s_wait_alu 0xfffe
	s_add_nc_u64 s[34:35], s[8:9], s[34:35]
	s_clause 0x1
	global_load_b64 v[9:10], v1, s[36:37]
	global_load_b64 v[7:8], v1, s[34:35]
	s_wait_dscnt 0x0
	v_mov_b32_e32 v11, 0
	v_mov_b32_e32 v12, 0
	s_and_saveexec_b32 s34, s1
	s_cbranch_execnz .LBB262_13
; %bb.5:                                ;   in Loop: Header=BB262_4 Depth=1
	s_wait_alu 0xfffe
	s_or_b32 exec_lo, exec_lo, s34
	s_and_saveexec_b32 s6, s2
	s_cbranch_execnz .LBB262_16
.LBB262_6:                              ;   in Loop: Header=BB262_4 Depth=1
	s_wait_alu 0xfffe
	s_or_b32 exec_lo, exec_lo, s6
	s_and_saveexec_b32 s6, s0
.LBB262_7:                              ;   in Loop: Header=BB262_4 Depth=1
	v_mov_b32_e32 v2, v1
	ds_store_b64 v16, v[1:2]
.LBB262_8:                              ;   in Loop: Header=BB262_4 Depth=1
	s_wait_alu 0xfffe
	s_or_b32 exec_lo, exec_lo, s6
	ds_bpermute_b32 v13, v17, v11
	ds_bpermute_b32 v14, v17, v12
	s_wait_loadcnt_dscnt 0x0
	s_barrier_signal -1
	s_barrier_wait -1
	global_inv scope:SCOPE_SE
	v_add_f64_e32 v[11:12], v[11:12], v[13:14]
	ds_bpermute_b32 v13, v18, v11
	ds_bpermute_b32 v14, v18, v12
	s_wait_dscnt 0x0
	v_add_f64_e32 v[11:12], v[11:12], v[13:14]
	ds_bpermute_b32 v13, v19, v11
	ds_bpermute_b32 v14, v19, v12
	s_wait_dscnt 0x0
	;; [unrolled: 4-line block ×3, first 2 shown]
	v_add_f64_e32 v[11:12], v[11:12], v[13:14]
	ds_bpermute_b32 v13, v21, v11
	ds_bpermute_b32 v14, v21, v12
	s_and_saveexec_b32 s6, s3
	s_cbranch_execz .LBB262_10
; %bb.9:                                ;   in Loop: Header=BB262_4 Depth=1
	s_wait_dscnt 0x0
	v_add_f64_e32 v[11:12], v[11:12], v[13:14]
	ds_store_b64 v22, v[11:12]
.LBB262_10:                             ;   in Loop: Header=BB262_4 Depth=1
	s_wait_alu 0xfffe
	s_or_b32 exec_lo, exec_lo, s6
	v_mov_b32_e32 v11, 0
	v_mov_b32_e32 v12, 0
	s_wait_loadcnt_dscnt 0x0
	s_barrier_signal -1
	s_barrier_wait -1
	global_inv scope:SCOPE_SE
	s_and_saveexec_b32 s6, s4
	s_cbranch_execnz .LBB262_17
; %bb.11:                               ;   in Loop: Header=BB262_4 Depth=1
	s_wait_alu 0xfffe
	s_or_b32 exec_lo, exec_lo, s6
	s_and_saveexec_b32 s6, s0
	s_cbranch_execnz .LBB262_18
.LBB262_12:                             ;   in Loop: Header=BB262_4 Depth=1
	s_wait_alu 0xfffe
	s_or_b32 exec_lo, exec_lo, s6
	s_and_saveexec_b32 s34, s5
	s_cbranch_execz .LBB262_3
	s_branch .LBB262_19
.LBB262_13:                             ;   in Loop: Header=BB262_4 Depth=1
	v_mad_co_u64_u32 v[13:14], null, s24, s23, v[3:4]
	s_mov_b32 s35, 0
	v_mov_b32_e32 v11, 0
	v_mov_b32_e32 v12, 0
	;; [unrolled: 1-line block ×3, first 2 shown]
	s_delay_alu instid0(VALU_DEP_1) | instskip(SKIP_1) | instid1(VALU_DEP_2)
	v_mad_co_u64_u32 v[23:24], null, s25, s23, v[0:1]
	v_mov_b32_e32 v0, v15
	v_mov_b32_e32 v14, v23
.LBB262_14:                             ;   Parent Loop BB262_4 Depth=1
                                        ; =>  This Inner Loop Header: Depth=2
	s_clause 0x3
	global_load_b128 v[23:26], v[13:14], off offset:-56
	global_load_b128 v[27:30], v[13:14], off offset:-40
	;; [unrolled: 1-line block ×4, first 2 shown]
	v_add_nc_u32_e32 v0, s30, v0
	v_add_co_u32 v13, s6, v13, s33
	s_wait_alu 0xf1ff
	v_add_co_ci_u32_e64 v14, null, 0, v14, s6
	s_delay_alu instid0(VALU_DEP_3) | instskip(SKIP_4) | instid1(VALU_DEP_1)
	v_cmp_le_i32_e32 vcc_lo, s29, v0
	s_wait_alu 0xfffe
	s_or_b32 s35, vcc_lo, s35
	s_wait_loadcnt 0x3
	v_add_f64_e32 v[11:12], v[11:12], v[23:24]
	v_add_f64_e32 v[11:12], v[11:12], v[25:26]
	s_wait_loadcnt 0x2
	s_delay_alu instid0(VALU_DEP_1) | instskip(NEXT) | instid1(VALU_DEP_1)
	v_add_f64_e32 v[11:12], v[11:12], v[27:28]
	v_add_f64_e32 v[11:12], v[11:12], v[29:30]
	s_wait_loadcnt 0x1
	s_delay_alu instid0(VALU_DEP_1) | instskip(NEXT) | instid1(VALU_DEP_1)
	;; [unrolled: 4-line block ×3, first 2 shown]
	v_add_f64_e32 v[11:12], v[11:12], v[35:36]
	v_add_f64_e32 v[11:12], v[11:12], v[37:38]
	s_wait_alu 0xfffe
	s_and_not1_b32 exec_lo, exec_lo, s35
	s_cbranch_execnz .LBB262_14
; %bb.15:                               ;   in Loop: Header=BB262_4 Depth=1
	s_or_b32 exec_lo, exec_lo, s35
	s_delay_alu instid0(SALU_CYCLE_1)
	s_or_b32 exec_lo, exec_lo, s34
	s_and_saveexec_b32 s6, s2
	s_cbranch_execz .LBB262_6
.LBB262_16:                             ;   in Loop: Header=BB262_4 Depth=1
	s_mul_i32 s34, s28, s16
	s_mov_b32 s35, s17
	s_wait_alu 0xfffe
	s_add_co_i32 s34, s34, s22
	s_wait_alu 0xfffe
	s_mul_u64 s[34:35], s[34:35], s[18:19]
	s_wait_alu 0xfffe
	s_lshl_b64 s[34:35], s[34:35], 3
	s_wait_alu 0xfffe
	s_add_nc_u64 s[34:35], s[20:21], s[34:35]
	s_wait_alu 0xfffe
	v_add_co_u32 v13, vcc_lo, s34, v5
	s_wait_alu 0xfffd
	v_add_co_ci_u32_e64 v14, null, s35, v6, vcc_lo
	global_load_b64 v[13:14], v[13:14], off
	s_wait_loadcnt 0x0
	v_add_f64_e32 v[11:12], v[11:12], v[13:14]
	s_or_b32 exec_lo, exec_lo, s6
	s_and_saveexec_b32 s6, s0
	s_cbranch_execnz .LBB262_7
	s_branch .LBB262_8
.LBB262_17:                             ;   in Loop: Header=BB262_4 Depth=1
	ds_load_b64 v[11:12], v16
	s_wait_alu 0xfffe
	s_or_b32 exec_lo, exec_lo, s6
	s_and_saveexec_b32 s6, s0
	s_cbranch_execz .LBB262_12
.LBB262_18:                             ;   in Loop: Header=BB262_4 Depth=1
	s_wait_dscnt 0x0
	ds_bpermute_b32 v13, v19, v11
	ds_bpermute_b32 v14, v19, v12
	s_wait_dscnt 0x0
	v_add_f64_e32 v[11:12], v[11:12], v[13:14]
	ds_bpermute_b32 v13, v20, v11
	ds_bpermute_b32 v14, v20, v12
	s_wait_dscnt 0x0
	v_add_f64_e32 v[11:12], v[11:12], v[13:14]
	;; [unrolled: 4-line block ×3, first 2 shown]
	s_wait_alu 0xfffe
	s_or_b32 exec_lo, exec_lo, s6
	s_and_saveexec_b32 s34, s5
	s_cbranch_execz .LBB262_3
.LBB262_19:                             ;   in Loop: Header=BB262_4 Depth=1
	v_cmp_eq_f64_e32 vcc_lo, 0, v[7:8]
	v_add_co_u32 v0, s6, v9, s14
	s_wait_alu 0xf1ff
	v_add_co_ci_u32_e64 v2, null, s15, v10, s6
	s_cbranch_vccnz .LBB262_2
; %bb.20:                               ;   in Loop: Header=BB262_4 Depth=1
	s_wait_alu 0xfffe
	v_add_co_u32 v9, vcc_lo, v0, s26
	s_wait_alu 0xfffd
	v_add_co_ci_u32_e64 v10, null, s27, v2, vcc_lo
	flat_load_b64 v[9:10], v[9:10]
	s_wait_loadcnt_dscnt 0x0
	v_fma_f64 v[11:12], v[7:8], v[9:10], v[11:12]
	s_branch .LBB262_2
.LBB262_21:
	s_endpgm
	.section	.rodata,"a",@progbits
	.p2align	6, 0x0
	.amdhsa_kernel _ZL23rocblas_gemvt_sn_reduceILi256ELi8EdPKdKPdEviT2_lPT3_lilPT1_i
		.amdhsa_group_segment_fixed_size 256
		.amdhsa_private_segment_fixed_size 0
		.amdhsa_kernarg_size 328
		.amdhsa_user_sgpr_count 2
		.amdhsa_user_sgpr_dispatch_ptr 0
		.amdhsa_user_sgpr_queue_ptr 0
		.amdhsa_user_sgpr_kernarg_segment_ptr 1
		.amdhsa_user_sgpr_dispatch_id 0
		.amdhsa_user_sgpr_private_segment_size 0
		.amdhsa_wavefront_size32 1
		.amdhsa_uses_dynamic_stack 0
		.amdhsa_enable_private_segment 0
		.amdhsa_system_sgpr_workgroup_id_x 1
		.amdhsa_system_sgpr_workgroup_id_y 1
		.amdhsa_system_sgpr_workgroup_id_z 1
		.amdhsa_system_sgpr_workgroup_info 0
		.amdhsa_system_vgpr_workitem_id 0
		.amdhsa_next_free_vgpr 39
		.amdhsa_next_free_sgpr 38
		.amdhsa_reserve_vcc 1
		.amdhsa_float_round_mode_32 0
		.amdhsa_float_round_mode_16_64 0
		.amdhsa_float_denorm_mode_32 3
		.amdhsa_float_denorm_mode_16_64 3
		.amdhsa_fp16_overflow 0
		.amdhsa_workgroup_processor_mode 1
		.amdhsa_memory_ordered 1
		.amdhsa_forward_progress 1
		.amdhsa_inst_pref_size 11
		.amdhsa_round_robin_scheduling 0
		.amdhsa_exception_fp_ieee_invalid_op 0
		.amdhsa_exception_fp_denorm_src 0
		.amdhsa_exception_fp_ieee_div_zero 0
		.amdhsa_exception_fp_ieee_overflow 0
		.amdhsa_exception_fp_ieee_underflow 0
		.amdhsa_exception_fp_ieee_inexact 0
		.amdhsa_exception_int_div_zero 0
	.end_amdhsa_kernel
	.section	.text._ZL23rocblas_gemvt_sn_reduceILi256ELi8EdPKdKPdEviT2_lPT3_lilPT1_i,"axG",@progbits,_ZL23rocblas_gemvt_sn_reduceILi256ELi8EdPKdKPdEviT2_lPT3_lilPT1_i,comdat
.Lfunc_end262:
	.size	_ZL23rocblas_gemvt_sn_reduceILi256ELi8EdPKdKPdEviT2_lPT3_lilPT1_i, .Lfunc_end262-_ZL23rocblas_gemvt_sn_reduceILi256ELi8EdPKdKPdEviT2_lPT3_lilPT1_i
                                        ; -- End function
	.set _ZL23rocblas_gemvt_sn_reduceILi256ELi8EdPKdKPdEviT2_lPT3_lilPT1_i.num_vgpr, 39
	.set _ZL23rocblas_gemvt_sn_reduceILi256ELi8EdPKdKPdEviT2_lPT3_lilPT1_i.num_agpr, 0
	.set _ZL23rocblas_gemvt_sn_reduceILi256ELi8EdPKdKPdEviT2_lPT3_lilPT1_i.numbered_sgpr, 38
	.set _ZL23rocblas_gemvt_sn_reduceILi256ELi8EdPKdKPdEviT2_lPT3_lilPT1_i.num_named_barrier, 0
	.set _ZL23rocblas_gemvt_sn_reduceILi256ELi8EdPKdKPdEviT2_lPT3_lilPT1_i.private_seg_size, 0
	.set _ZL23rocblas_gemvt_sn_reduceILi256ELi8EdPKdKPdEviT2_lPT3_lilPT1_i.uses_vcc, 1
	.set _ZL23rocblas_gemvt_sn_reduceILi256ELi8EdPKdKPdEviT2_lPT3_lilPT1_i.uses_flat_scratch, 0
	.set _ZL23rocblas_gemvt_sn_reduceILi256ELi8EdPKdKPdEviT2_lPT3_lilPT1_i.has_dyn_sized_stack, 0
	.set _ZL23rocblas_gemvt_sn_reduceILi256ELi8EdPKdKPdEviT2_lPT3_lilPT1_i.has_recursion, 0
	.set _ZL23rocblas_gemvt_sn_reduceILi256ELi8EdPKdKPdEviT2_lPT3_lilPT1_i.has_indirect_call, 0
	.section	.AMDGPU.csdata,"",@progbits
; Kernel info:
; codeLenInByte = 1368
; TotalNumSgprs: 40
; NumVgprs: 39
; ScratchSize: 0
; MemoryBound: 1
; FloatMode: 240
; IeeeMode: 1
; LDSByteSize: 256 bytes/workgroup (compile time only)
; SGPRBlocks: 0
; VGPRBlocks: 4
; NumSGPRsForWavesPerEU: 40
; NumVGPRsForWavesPerEU: 39
; Occupancy: 16
; WaveLimiterHint : 1
; COMPUTE_PGM_RSRC2:SCRATCH_EN: 0
; COMPUTE_PGM_RSRC2:USER_SGPR: 2
; COMPUTE_PGM_RSRC2:TRAP_HANDLER: 0
; COMPUTE_PGM_RSRC2:TGID_X_EN: 1
; COMPUTE_PGM_RSRC2:TGID_Y_EN: 1
; COMPUTE_PGM_RSRC2:TGID_Z_EN: 1
; COMPUTE_PGM_RSRC2:TIDIG_COMP_CNT: 0
	.section	.text._ZL23rocblas_gemvt_sn_kernelILb0ELi256ELi4EiPKdddEviiT4_lPKT3_lilS5_lilPT5_i,"axG",@progbits,_ZL23rocblas_gemvt_sn_kernelILb0ELi256ELi4EiPKdddEviiT4_lPKT3_lilS5_lilPT5_i,comdat
	.globl	_ZL23rocblas_gemvt_sn_kernelILb0ELi256ELi4EiPKdddEviiT4_lPKT3_lilS5_lilPT5_i ; -- Begin function _ZL23rocblas_gemvt_sn_kernelILb0ELi256ELi4EiPKdddEviiT4_lPKT3_lilS5_lilPT5_i
	.p2align	8
	.type	_ZL23rocblas_gemvt_sn_kernelILb0ELi256ELi4EiPKdddEviiT4_lPKT3_lilS5_lilPT5_i,@function
_ZL23rocblas_gemvt_sn_kernelILb0ELi256ELi4EiPKdddEviiT4_lPKT3_lilS5_lilPT5_i: ; @_ZL23rocblas_gemvt_sn_kernelILb0ELi256ELi4EiPKdddEviiT4_lPKT3_lilS5_lilPT5_i
; %bb.0:
	s_load_b32 s33, s[0:1], 0x60
	s_lshr_b32 s10, ttmp7, 16
	s_wait_kmcnt 0x0
	s_cmp_ge_u32 s10, s33
	s_cbranch_scc1 .LBB263_67
; %bb.1:
	s_clause 0x6
	s_load_b128 s[12:15], s[0:1], 0x0
	s_load_b128 s[16:19], s[0:1], 0x18
	s_load_b32 s26, s[0:1], 0x68
	s_load_b32 s28, s[0:1], 0x28
	s_load_b128 s[20:23], s[0:1], 0x38
	s_load_b32 s60, s[0:1], 0x48
	s_load_b64 s[30:31], s[0:1], 0x58
	s_mov_b32 s35, 0
	v_cmp_eq_u32_e64 s0, 0, v0
	s_mov_b32 s27, s35
	v_and_b32_e32 v1, 31, v0
	v_cmp_gt_u32_e64 s1, 32, v0
	v_cmp_gt_u32_e64 s2, 8, v0
	v_lshrrev_b32_e32 v2, 2, v0
	v_mbcnt_lo_u32_b32 v48, -1, 0
	v_cmp_eq_u32_e64 s3, 0, v1
	v_lshlrev_b32_e32 v46, 3, v1
	s_mov_b32 s24, ttmp9
	v_and_b32_e32 v47, 56, v2
	s_mov_b32 s25, s35
	s_wait_kmcnt 0x0
	s_ashr_i32 s5, s13, 31
	s_cmp_gt_i32 s13, 0
	s_mov_b32 s4, s13
	s_cselect_b32 s6, -1, 0
	s_mul_u64 s[36:37], s[4:5], s[26:27]
	s_lshr_b32 s4, s5, 30
	s_ashr_i32 s5, s12, 31
	s_lshl_b32 s7, ttmp9, 10
	s_lshr_b32 s5, s5, 30
	s_add_co_i32 s4, s13, s4
	s_add_co_i32 s5, s12, s5
	v_lshl_or_b32 v0, v0, 2, s7
	s_and_b32 s62, s4, -4
	s_and_b32 s4, s5, -4
	v_cmp_neq_f64_e64 s66, s[14:15], 0
	s_sub_co_i32 s63, s12, s4
	v_add_nc_u32_e32 v3, 4, v0
	v_add_nc_u32_e32 v5, s63, v0
	v_mul_lo_u32 v24, s60, v0
	s_and_b32 s61, s0, s6
	v_ashrrev_i32_e32 v1, 31, v0
	v_cmp_ge_i32_e64 s4, s12, v3
	v_cmp_ge_i32_e64 s5, s12, v5
	v_cmp_eq_f64_e64 s12, s[14:15], 0
	s_cmp_gt_i32 s62, 0
	v_lshlrev_b64_e32 v[26:27], 3, v[0:1]
	v_add_nc_u32_e32 v2, s60, v24
	v_ashrrev_i32_e32 v25, 31, v24
	s_cselect_b32 s64, -1, 0
	s_cmp_gt_i32 s63, 0
	v_mov_b32_e32 v0, 0
	v_add_nc_u32_e32 v4, s60, v2
	v_ashrrev_i32_e32 v3, 31, v2
	s_cselect_b32 s65, -1, 0
	s_lshl_b32 s34, s28, 1
	v_lshlrev_b64_e32 v[28:29], 3, v[24:25]
	v_add_nc_u32_e32 v6, s60, v4
	v_ashrrev_i32_e32 v5, 31, v4
	v_lshlrev_b64_e32 v[30:31], 3, v[2:3]
	v_lshl_or_b32 v25, v48, 2, 64
	s_mov_b64 s[42:43], s[34:35]
	v_ashrrev_i32_e32 v7, 31, v6
	v_lshlrev_b64_e32 v[32:33], 3, v[4:5]
	s_mul_i32 s34, s28, 3
	s_mov_b32 s29, s35
	s_lshl_b64 s[38:39], s[26:27], 3
	v_lshlrev_b64_e32 v[34:35], 3, v[6:7]
	s_lshl_b32 s40, s28, 2
	s_mov_b32 s41, s35
	s_mov_b64 s[44:45], s[34:35]
	s_lshl_b64 s[18:19], s[18:19], 3
	s_lshl_b64 s[22:23], s[22:23], 3
	;; [unrolled: 1-line block ×3, first 2 shown]
	s_branch .LBB263_3
.LBB263_2:                              ;   in Loop: Header=BB263_3 Depth=1
	s_add_co_i32 s10, s10, 0x10000
	s_delay_alu instid0(SALU_CYCLE_1)
	s_cmp_lt_u32 s10, s33
	s_cbranch_scc0 .LBB263_67
.LBB263_3:                              ; =>This Loop Header: Depth=1
                                        ;     Child Loop BB263_12 Depth 2
                                        ;     Child Loop BB263_18 Depth 2
                                        ;       Child Loop BB263_24 Depth 3
                                        ;       Child Loop BB263_27 Depth 3
                                        ;       Child Loop BB263_32 Depth 3
                                        ;     Child Loop BB263_46 Depth 2
                                        ;       Child Loop BB263_59 Depth 3
                                        ;       Child Loop BB263_62 Depth 3
	s_mov_b32 s11, s35
	s_and_not1_b32 vcc_lo, exec_lo, s12
	s_mov_b32 s6, -1
	s_wait_alu 0xfffe
	s_cbranch_vccnz .LBB263_5
; %bb.4:                                ;   in Loop: Header=BB263_3 Depth=1
	s_mov_b32 s6, 0
.LBB263_5:                              ;   in Loop: Header=BB263_3 Depth=1
	v_mov_b32_e32 v36, 0
	v_dual_mov_b32 v37, 0 :: v_dual_mov_b32 v2, 0
	v_mov_b32_e32 v3, 0
	s_wait_alu 0xfffe
	s_and_not1_b32 vcc_lo, exec_lo, s6
	s_wait_alu 0xfffe
	s_cbranch_vccnz .LBB263_7
; %bb.6:                                ;   in Loop: Header=BB263_3 Depth=1
	s_lshl_b64 s[6:7], s[10:11], 3
	s_wait_alu 0xfffe
	s_add_nc_u64 s[6:7], s[16:17], s[6:7]
	global_load_b64 v[2:3], v0, s[6:7]
	s_wait_loadcnt 0x0
	v_add_co_u32 v2, vcc_lo, v2, s18
	s_wait_alu 0xfffd
	v_add_co_ci_u32_e64 v3, null, s19, v3, vcc_lo
.LBB263_7:                              ;   in Loop: Header=BB263_3 Depth=1
	s_and_not1_b32 vcc_lo, exec_lo, s66
	s_wait_alu 0xfffe
	s_cbranch_vccnz .LBB263_9
; %bb.8:                                ;   in Loop: Header=BB263_3 Depth=1
	s_lshl_b64 s[6:7], s[10:11], 3
	s_wait_alu 0xfffe
	s_add_nc_u64 s[6:7], s[20:21], s[6:7]
	global_load_b64 v[4:5], v0, s[6:7]
	s_wait_loadcnt 0x0
	v_add_co_u32 v36, vcc_lo, v4, s22
	s_wait_alu 0xfffd
	v_add_co_ci_u32_e64 v37, null, s23, v5, vcc_lo
.LBB263_9:                              ;   in Loop: Header=BB263_3 Depth=1
	s_mul_u64 s[6:7], s[36:37], s[10:11]
	s_and_not1_b32 vcc_lo, exec_lo, s12
	s_wait_alu 0xfffe
	s_lshl_b64 s[6:7], s[6:7], 3
	s_wait_alu 0xfffe
	s_add_nc_u64 s[48:49], s[30:31], s[6:7]
	s_mov_b32 s6, -1
	s_cbranch_vccnz .LBB263_14
; %bb.10:                               ;   in Loop: Header=BB263_3 Depth=1
	s_and_saveexec_b32 s8, s61
	s_cbranch_execz .LBB263_13
; %bb.11:                               ;   in Loop: Header=BB263_3 Depth=1
	s_add_nc_u64 s[6:7], s[48:49], s[46:47]
	s_mov_b32 s9, s13
.LBB263_12:                             ;   Parent Loop BB263_3 Depth=1
                                        ; =>  This Inner Loop Header: Depth=2
	v_mov_b32_e32 v1, v0
	s_wait_alu 0xfffe
	s_add_co_i32 s9, s9, -1
	s_wait_alu 0xfffe
	s_cmp_eq_u32 s9, 0
	global_store_b64 v0, v[0:1], s[6:7]
	s_add_nc_u64 s[6:7], s[6:7], s[38:39]
	s_cbranch_scc0 .LBB263_12
.LBB263_13:                             ;   in Loop: Header=BB263_3 Depth=1
	s_wait_alu 0xfffe
	s_or_b32 exec_lo, exec_lo, s8
	s_mov_b32 s6, 0
.LBB263_14:                             ;   in Loop: Header=BB263_3 Depth=1
	s_wait_alu 0xfffe
	s_and_not1_b32 vcc_lo, exec_lo, s6
	s_wait_alu 0xfffe
	s_cbranch_vccnz .LBB263_2
; %bb.15:                               ;   in Loop: Header=BB263_3 Depth=1
	v_add_co_u32 v49, vcc_lo, v2, v26
	s_wait_alu 0xfffd
	v_add_co_ci_u32_e64 v50, null, v3, v27, vcc_lo
	v_cmp_gt_u32_e64 s9, 24, v48
	v_cmp_gt_u32_e64 s8, 28, v48
	;; [unrolled: 1-line block ×3, first 2 shown]
	v_cmp_ne_u32_e64 s6, 31, v48
	s_and_not1_b32 vcc_lo, exec_lo, s64
	s_wait_alu 0xfffe
	s_cbranch_vccnz .LBB263_42
; %bb.16:                               ;   in Loop: Header=BB263_3 Depth=1
	s_wait_alu 0xf1ff
	v_cndmask_b32_e64 v1, 0, 8, s9
	v_cndmask_b32_e64 v2, 0, 4, s8
	;; [unrolled: 1-line block ×3, first 2 shown]
	v_add_co_ci_u32_e64 v4, null, 0, v48, s6
	v_add_co_u32 v38, vcc_lo, v36, v28
	s_wait_alu 0xfffd
	v_add_co_ci_u32_e64 v39, null, v37, v29, vcc_lo
	v_add_co_u32 v40, vcc_lo, v36, v30
	v_dual_mov_b32 v6, v0 :: v_dual_mov_b32 v7, v0
	v_add_lshl_u32 v51, v1, v48, 2
	v_add_lshl_u32 v52, v2, v48, 2
	;; [unrolled: 1-line block ×3, first 2 shown]
	v_dual_mov_b32 v1, v0 :: v_dual_lshlrev_b32 v54, 2, v4
	v_dual_mov_b32 v2, v0 :: v_dual_mov_b32 v3, v0
	v_dual_mov_b32 v4, v0 :: v_dual_mov_b32 v5, v0
	s_wait_alu 0xfffd
	v_add_co_ci_u32_e64 v41, null, v37, v31, vcc_lo
	v_add_co_u32 v42, vcc_lo, v36, v32
	s_wait_alu 0xfffd
	v_add_co_ci_u32_e64 v43, null, v37, v33, vcc_lo
	v_add_co_u32 v44, vcc_lo, v36, v34
	v_dual_mov_b32 v15, v7 :: v_dual_mov_b32 v14, v6
	s_wait_alu 0xfffd
	v_add_co_ci_u32_e64 v45, null, v37, v35, vcc_lo
	v_dual_mov_b32 v13, v5 :: v_dual_mov_b32 v12, v4
	v_dual_mov_b32 v11, v3 :: v_dual_mov_b32 v10, v2
	;; [unrolled: 1-line block ×3, first 2 shown]
	s_mov_b32 s50, 0
	s_mov_b64 s[52:53], s[44:45]
	s_mov_b64 s[54:55], s[42:43]
	;; [unrolled: 1-line block ×3, first 2 shown]
	s_mov_b32 s9, 0
	s_branch .LBB263_18
.LBB263_17:                             ;   in Loop: Header=BB263_18 Depth=2
	s_wait_alu 0xfffe
	s_or_b32 exec_lo, exec_lo, s6
	s_add_co_i32 s9, s9, 4
	s_add_co_i32 s50, s50, s40
	s_add_nc_u64 s[56:57], s[56:57], s[40:41]
	s_add_nc_u64 s[54:55], s[54:55], s[40:41]
	s_wait_alu 0xfffe
	s_cmp_ge_i32 s9, s62
	s_add_nc_u64 s[52:53], s[52:53], s[40:41]
	s_cbranch_scc1 .LBB263_43
.LBB263_18:                             ;   Parent Loop BB263_3 Depth=1
                                        ; =>  This Loop Header: Depth=2
                                        ;       Child Loop BB263_24 Depth 3
                                        ;       Child Loop BB263_27 Depth 3
	;; [unrolled: 1-line block ×3, first 2 shown]
                                        ; implicit-def: $vgpr16_vgpr17_vgpr18_vgpr19_vgpr20_vgpr21_vgpr22_vgpr23
	s_and_saveexec_b32 s6, s4
	s_wait_alu 0xfffe
	s_xor_b32 s6, exec_lo, s6
	s_cbranch_execz .LBB263_20
; %bb.19:                               ;   in Loop: Header=BB263_18 Depth=2
	s_mul_i32 s58, s9, s28
	s_wait_alu 0xfffe
	s_ashr_i32 s59, s58, 31
	s_add_co_i32 s68, s58, s28
	s_wait_alu 0xfffe
	s_lshl_b64 s[58:59], s[58:59], 3
	s_ashr_i32 s69, s68, 31
	s_wait_alu 0xfffe
	v_add_co_u32 v5, vcc_lo, v49, s58
	s_wait_alu 0xfffd
	v_add_co_ci_u32_e64 v6, null, s59, v50, vcc_lo
	s_lshl_b64 s[58:59], s[68:69], 3
	s_add_co_i32 s68, s68, s28
	s_wait_alu 0xfffe
	v_add_co_u32 v14, vcc_lo, v49, s58
	s_ashr_i32 s69, s68, 31
	s_add_co_i32 s58, s68, s28
	s_wait_alu 0xfffd
	v_add_co_ci_u32_e64 v15, null, s59, v50, vcc_lo
	s_wait_alu 0xfffe
	s_lshl_b64 s[68:69], s[68:69], 3
	s_ashr_i32 s59, s58, 31
	s_wait_alu 0xfffe
	v_add_co_u32 v67, vcc_lo, v49, s68
	s_lshl_b64 s[58:59], s[58:59], 3
	s_wait_alu 0xfffd
	v_add_co_ci_u32_e64 v68, null, s69, v50, vcc_lo
	s_wait_alu 0xfffe
	v_add_co_u32 v71, vcc_lo, v49, s58
	s_wait_alu 0xfffd
	v_add_co_ci_u32_e64 v72, null, s59, v50, vcc_lo
	flat_load_b64 v[8:9], v[38:39]
	flat_load_b128 v[1:4], v[5:6]
	s_wait_dscnt 0x2
	s_clause 0x2
	flat_load_b128 v[16:19], v[14:15]
	flat_load_b128 v[20:23], v[67:68]
	;; [unrolled: 1-line block ×3, first 2 shown]
	s_clause 0x1
	flat_load_b64 v[10:11], v[40:41]
	flat_load_b64 v[12:13], v[42:43]
	s_clause 0x3
	flat_load_b128 v[59:62], v[5:6] offset:16
	flat_load_b128 v[63:66], v[14:15] offset:16
	;; [unrolled: 1-line block ×4, first 2 shown]
	flat_load_b64 v[14:15], v[44:45]
	s_wait_loadcnt_dscnt 0xa0a
	v_fma_f64 v[1:2], v[8:9], v[1:2], 0
	s_wait_loadcnt_dscnt 0x909
	v_fma_f64 v[5:6], v[8:9], v[16:17], 0
	;; [unrolled: 2-line block ×4, first 2 shown]
	s_wait_loadcnt_dscnt 0x606
	s_delay_alu instid0(VALU_DEP_4) | instskip(NEXT) | instid1(VALU_DEP_4)
	v_fma_f64 v[1:2], v[10:11], v[3:4], v[1:2]
	v_fma_f64 v[3:4], v[10:11], v[18:19], v[5:6]
	s_delay_alu instid0(VALU_DEP_4) | instskip(NEXT) | instid1(VALU_DEP_4)
	v_fma_f64 v[5:6], v[10:11], v[22:23], v[16:17]
	v_fma_f64 v[16:17], v[10:11], v[57:58], v[20:21]
	s_wait_loadcnt_dscnt 0x404
	s_delay_alu instid0(VALU_DEP_4) | instskip(SKIP_1) | instid1(VALU_DEP_4)
	v_fma_f64 v[1:2], v[12:13], v[59:60], v[1:2]
	s_wait_loadcnt_dscnt 0x303
	v_fma_f64 v[3:4], v[12:13], v[63:64], v[3:4]
	s_wait_loadcnt_dscnt 0x202
	s_delay_alu instid0(VALU_DEP_4) | instskip(SKIP_1) | instid1(VALU_DEP_4)
	v_fma_f64 v[5:6], v[12:13], v[67:68], v[5:6]
	s_wait_loadcnt_dscnt 0x101
	v_fma_f64 v[22:23], v[12:13], v[71:72], v[16:17]
	s_wait_loadcnt_dscnt 0x0
	s_delay_alu instid0(VALU_DEP_4) | instskip(NEXT) | instid1(VALU_DEP_4)
	v_fma_f64 v[16:17], v[14:15], v[61:62], v[1:2]
	v_fma_f64 v[18:19], v[14:15], v[65:66], v[3:4]
	s_delay_alu instid0(VALU_DEP_4) | instskip(NEXT) | instid1(VALU_DEP_4)
	v_fma_f64 v[20:21], v[14:15], v[69:70], v[5:6]
	v_fma_f64 v[22:23], v[14:15], v[73:74], v[22:23]
.LBB263_20:                             ;   in Loop: Header=BB263_18 Depth=2
	s_wait_alu 0xfffe
	s_and_not1_saveexec_b32 s11, s6
	s_cbranch_execz .LBB263_30
; %bb.21:                               ;   in Loop: Header=BB263_18 Depth=2
	v_mov_b32_e32 v7, v0
	v_dual_mov_b32 v1, v0 :: v_dual_mov_b32 v2, v0
	v_dual_mov_b32 v3, v0 :: v_dual_mov_b32 v4, v0
	;; [unrolled: 1-line block ×3, first 2 shown]
	s_wait_dscnt 0x0
	v_mov_b32_e32 v23, v7
	s_delay_alu instid0(VALU_DEP_3) | instskip(NEXT) | instid1(VALU_DEP_3)
	v_dual_mov_b32 v19, v3 :: v_dual_mov_b32 v18, v2
	v_dual_mov_b32 v21, v5 :: v_dual_mov_b32 v20, v4
	;; [unrolled: 1-line block ×3, first 2 shown]
	v_mov_b32_e32 v16, v0
	s_and_saveexec_b32 s25, s5
	s_cbranch_execz .LBB263_29
; %bb.22:                               ;   in Loop: Header=BB263_18 Depth=2
	s_and_not1_b32 vcc_lo, exec_lo, s65
	s_wait_alu 0xfffe
	s_cbranch_vccnz .LBB263_25
; %bb.23:                               ;   in Loop: Header=BB263_18 Depth=2
	v_mov_b32_e32 v1, v24
	s_mov_b64 s[58:59], 0
.LBB263_24:                             ;   Parent Loop BB263_3 Depth=1
                                        ;     Parent Loop BB263_18 Depth=2
                                        ; =>    This Inner Loop Header: Depth=3
	s_delay_alu instid0(VALU_DEP_1) | instskip(SKIP_2) | instid1(VALU_DEP_1)
	v_ashrrev_i32_e32 v2, 31, v1
	s_wait_alu 0xfffe
	s_cmp_eq_u32 s58, 3
	v_lshlrev_b64_e32 v[2:3], 3, v[1:2]
	s_delay_alu instid0(VALU_DEP_1) | instskip(SKIP_1) | instid1(VALU_DEP_2)
	v_add_co_u32 v2, vcc_lo, v36, v2
	s_wait_alu 0xfffd
	v_add_co_ci_u32_e64 v3, null, v37, v3, vcc_lo
	s_cselect_b32 vcc_lo, -1, 0
	s_cmp_eq_u32 s58, 2
	s_cselect_b32 s6, -1, 0
	flat_load_b64 v[2:3], v[2:3]
	s_cmp_eq_u32 s58, 1
	v_add_nc_u32_e32 v1, s60, v1
	s_cselect_b32 s7, -1, 0
	s_cmp_eq_u32 s58, 0
	s_add_nc_u64 s[58:59], s[58:59], 1
	s_cselect_b32 s8, -1, 0
	s_wait_alu 0xfffe
	s_cmp_eq_u32 s63, s58
	s_wait_loadcnt_dscnt 0x0
	v_dual_cndmask_b32 v15, v15, v3 :: v_dual_cndmask_b32 v14, v14, v2
	v_cndmask_b32_e64 v13, v13, v3, s6
	v_cndmask_b32_e64 v12, v12, v2, s6
	v_cndmask_b32_e64 v11, v11, v3, s7
	v_cndmask_b32_e64 v10, v10, v2, s7
	v_cndmask_b32_e64 v9, v9, v3, s8
	v_cndmask_b32_e64 v8, v8, v2, s8
	s_cbranch_scc0 .LBB263_24
.LBB263_25:                             ;   in Loop: Header=BB263_18 Depth=2
	s_and_not1_b32 vcc_lo, exec_lo, s65
	s_wait_alu 0xfffe
	s_cbranch_vccnz .LBB263_28
; %bb.26:                               ;   in Loop: Header=BB263_18 Depth=2
	s_ashr_i32 s51, s50, 31
	v_mov_b32_e32 v16, 0
	s_lshl_b64 s[6:7], s[50:51], 3
	v_mov_b32_e32 v20, 0
	s_wait_alu 0xfffe
	v_add_co_u32 v1, vcc_lo, v49, s6
	v_dual_mov_b32 v17, 0 :: v_dual_mov_b32 v18, 0
	v_dual_mov_b32 v21, 0 :: v_dual_mov_b32 v22, 0
	v_mov_b32_e32 v19, 0
	v_mov_b32_e32 v23, 0
	s_wait_alu 0xfffd
	v_add_co_ci_u32_e64 v2, null, s7, v50, vcc_lo
	s_mov_b64 s[58:59], 0
.LBB263_27:                             ;   Parent Loop BB263_3 Depth=1
                                        ;     Parent Loop BB263_18 Depth=2
                                        ; =>    This Inner Loop Header: Depth=3
	s_wait_alu 0xfffe
	s_cmp_eq_u32 s58, 1
	s_cselect_b32 vcc_lo, -1, 0
	s_cmp_eq_u32 s58, 2
	s_wait_alu 0xfffe
	v_cndmask_b32_e32 v3, v9, v11, vcc_lo
	s_cselect_b32 s6, -1, 0
	s_cmp_eq_u32 s58, 3
	v_cndmask_b32_e32 v59, v8, v10, vcc_lo
	s_cselect_b32 s7, -1, 0
	s_add_co_i32 s68, s56, s58
	s_add_co_i32 s70, s54, s58
	s_wait_alu 0xfffe
	s_ashr_i32 s69, s68, 31
	s_add_co_i32 s72, s52, s58
	s_ashr_i32 s71, s70, 31
	s_wait_alu 0xfffe
	s_lshl_b64 s[68:69], s[68:69], 3
	v_cndmask_b32_e64 v7, v3, v13, s6
	s_ashr_i32 s73, s72, 31
	s_lshl_b64 s[70:71], s[70:71], 3
	s_wait_alu 0xfffe
	v_add_co_u32 v3, s8, v49, s68
	s_lshl_b64 s[72:73], s[72:73], 3
	v_add_co_ci_u32_e64 v4, null, s69, v50, s8
	v_add_co_u32 v5, s8, v49, s70
	s_wait_alu 0xf1ff
	v_add_co_ci_u32_e64 v6, null, s71, v50, s8
	s_wait_alu 0xfffe
	v_add_co_u32 v55, s8, v49, s72
	s_wait_alu 0xf1ff
	v_add_co_ci_u32_e64 v56, null, s73, v50, s8
	flat_load_b64 v[57:58], v[1:2]
	s_clause 0x2
	flat_load_b64 v[3:4], v[3:4]
	flat_load_b64 v[5:6], v[5:6]
	;; [unrolled: 1-line block ×3, first 2 shown]
	v_cndmask_b32_e64 v59, v59, v12, s6
	v_cndmask_b32_e64 v60, v7, v15, s7
	v_add_co_u32 v1, vcc_lo, v1, 8
	s_wait_alu 0xfffd
	v_add_co_ci_u32_e64 v2, null, 0, v2, vcc_lo
	v_cndmask_b32_e64 v59, v59, v14, s7
	s_add_nc_u64 s[58:59], s[58:59], 1
	s_wait_alu 0xfffe
	s_cmp_lg_u32 s63, s58
	s_wait_loadcnt_dscnt 0x303
	v_fma_f64 v[16:17], v[59:60], v[57:58], v[16:17]
	s_wait_loadcnt_dscnt 0x202
	v_fma_f64 v[18:19], v[59:60], v[3:4], v[18:19]
	;; [unrolled: 2-line block ×4, first 2 shown]
	s_cbranch_scc1 .LBB263_27
	s_branch .LBB263_29
.LBB263_28:                             ;   in Loop: Header=BB263_18 Depth=2
	v_mov_b32_e32 v7, v0
	v_dual_mov_b32 v1, v0 :: v_dual_mov_b32 v2, v0
	v_dual_mov_b32 v3, v0 :: v_dual_mov_b32 v4, v0
	;; [unrolled: 1-line block ×3, first 2 shown]
	s_delay_alu instid0(VALU_DEP_4) | instskip(NEXT) | instid1(VALU_DEP_3)
	v_mov_b32_e32 v23, v7
	v_dual_mov_b32 v19, v3 :: v_dual_mov_b32 v18, v2
	s_delay_alu instid0(VALU_DEP_3) | instskip(NEXT) | instid1(VALU_DEP_4)
	v_dual_mov_b32 v21, v5 :: v_dual_mov_b32 v20, v4
	v_dual_mov_b32 v22, v6 :: v_dual_mov_b32 v17, v1
	v_mov_b32_e32 v16, v0
.LBB263_29:                             ;   in Loop: Header=BB263_18 Depth=2
	s_or_b32 exec_lo, exec_lo, s25
.LBB263_30:                             ;   in Loop: Header=BB263_18 Depth=2
	s_delay_alu instid0(SALU_CYCLE_1)
	s_or_b32 exec_lo, exec_lo, s11
	s_mov_b64 s[6:7], 0
	s_branch .LBB263_32
.LBB263_31:                             ;   in Loop: Header=BB263_32 Depth=3
	s_wait_alu 0xfffe
	s_or_b32 exec_lo, exec_lo, s8
	s_cmp_eq_u32 s6, 3
	s_cselect_b32 vcc_lo, -1, 0
	s_cmp_eq_u32 s6, 2
	s_wait_dscnt 0x0
	s_wait_alu 0xfffe
	s_delay_alu instid0(VALU_DEP_1)
	v_dual_cndmask_b32 v23, v23, v2 :: v_dual_cndmask_b32 v22, v22, v1
	s_cselect_b32 vcc_lo, -1, 0
	s_cmp_eq_u32 s6, 1
	s_wait_alu 0xfffe
	v_dual_cndmask_b32 v21, v21, v2 :: v_dual_cndmask_b32 v20, v20, v1
	s_cselect_b32 vcc_lo, -1, 0
	s_cmp_eq_u32 s6, 0
	s_wait_alu 0xfffe
	v_dual_cndmask_b32 v19, v19, v2 :: v_dual_cndmask_b32 v18, v18, v1
	s_cselect_b32 vcc_lo, -1, 0
	s_add_nc_u64 s[6:7], s[6:7], 1
	s_wait_alu 0xfffe
	v_dual_cndmask_b32 v17, v17, v2 :: v_dual_cndmask_b32 v16, v16, v1
	s_cmp_eq_u32 s6, 4
	s_cbranch_scc1 .LBB263_40
.LBB263_32:                             ;   Parent Loop BB263_3 Depth=1
                                        ;     Parent Loop BB263_18 Depth=2
                                        ; =>    This Inner Loop Header: Depth=3
	s_and_saveexec_b32 s8, s1
; %bb.33:                               ;   in Loop: Header=BB263_32 Depth=3
	v_mov_b32_e32 v1, v0
	ds_store_b64 v46, v[0:1]
; %bb.34:                               ;   in Loop: Header=BB263_32 Depth=3
	s_wait_alu 0xfffe
	s_or_b32 exec_lo, exec_lo, s8
	s_cmp_eq_u32 s6, 1
	s_wait_storecnt_dscnt 0x0
	s_cselect_b32 vcc_lo, -1, 0
	s_cmp_eq_u32 s6, 2
	s_wait_alu 0xfffe
	v_dual_cndmask_b32 v1, v17, v19 :: v_dual_cndmask_b32 v2, v16, v18
	s_cselect_b32 vcc_lo, -1, 0
	s_cmp_eq_u32 s6, 3
	s_barrier_signal -1
	s_wait_alu 0xfffe
	v_cndmask_b32_e32 v1, v1, v21, vcc_lo
	v_cndmask_b32_e32 v3, v2, v20, vcc_lo
	s_cselect_b32 vcc_lo, -1, 0
	s_barrier_wait -1
	global_inv scope:SCOPE_SE
	s_wait_alu 0xfffe
	v_dual_cndmask_b32 v2, v1, v23 :: v_dual_cndmask_b32 v1, v3, v22
	ds_bpermute_b32 v4, v25, v2
	ds_bpermute_b32 v3, v25, v1
	s_wait_dscnt 0x0
	v_add_f64_e32 v[1:2], v[1:2], v[3:4]
	ds_bpermute_b32 v3, v51, v1
	ds_bpermute_b32 v4, v51, v2
	s_wait_dscnt 0x0
	v_add_f64_e32 v[1:2], v[1:2], v[3:4]
	;; [unrolled: 4-line block ×4, first 2 shown]
	ds_bpermute_b32 v3, v54, v1
	ds_bpermute_b32 v4, v54, v2
	s_and_saveexec_b32 s8, s3
	s_cbranch_execz .LBB263_36
; %bb.35:                               ;   in Loop: Header=BB263_32 Depth=3
	s_wait_dscnt 0x0
	v_add_f64_e32 v[1:2], v[1:2], v[3:4]
	ds_store_b64 v47, v[1:2]
.LBB263_36:                             ;   in Loop: Header=BB263_32 Depth=3
	s_wait_alu 0xfffe
	s_or_b32 exec_lo, exec_lo, s8
	v_mov_b32_e32 v1, 0
	v_mov_b32_e32 v2, 0
	s_wait_loadcnt_dscnt 0x0
	s_barrier_signal -1
	s_barrier_wait -1
	global_inv scope:SCOPE_SE
	s_and_saveexec_b32 s8, s2
; %bb.37:                               ;   in Loop: Header=BB263_32 Depth=3
	ds_load_b64 v[1:2], v46
; %bb.38:                               ;   in Loop: Header=BB263_32 Depth=3
	s_wait_alu 0xfffe
	s_or_b32 exec_lo, exec_lo, s8
	s_and_saveexec_b32 s8, s1
	s_cbranch_execz .LBB263_31
; %bb.39:                               ;   in Loop: Header=BB263_32 Depth=3
	s_wait_dscnt 0x0
	ds_bpermute_b32 v3, v52, v1
	ds_bpermute_b32 v4, v52, v2
	s_wait_dscnt 0x0
	v_add_f64_e32 v[1:2], v[1:2], v[3:4]
	ds_bpermute_b32 v3, v53, v1
	ds_bpermute_b32 v4, v53, v2
	s_wait_dscnt 0x0
	v_add_f64_e32 v[1:2], v[1:2], v[3:4]
	;; [unrolled: 4-line block ×3, first 2 shown]
	s_branch .LBB263_31
.LBB263_40:                             ;   in Loop: Header=BB263_18 Depth=2
	s_and_saveexec_b32 s6, s0
	s_cbranch_execz .LBB263_17
; %bb.41:                               ;   in Loop: Header=BB263_18 Depth=2
	v_mul_f64_e32 v[1:2], s[14:15], v[16:17]
	v_mul_f64_e32 v[3:4], s[14:15], v[18:19]
	;; [unrolled: 1-line block ×4, first 2 shown]
	s_mul_i32 s7, s9, s26
	s_wait_alu 0xfffe
	s_add_co_i32 s34, s7, s24
	s_wait_alu 0xfffe
	s_lshl_b64 s[58:59], s[34:35], 3
	s_add_co_i32 s34, s34, s26
	s_wait_alu 0xfffe
	s_add_nc_u64 s[58:59], s[48:49], s[58:59]
	s_lshl_b64 s[68:69], s[34:35], 3
	s_add_co_i32 s34, s34, s26
	s_wait_alu 0xfffe
	s_add_nc_u64 s[68:69], s[48:49], s[68:69]
	;; [unrolled: 4-line block ×3, first 2 shown]
	s_lshl_b64 s[72:73], s[34:35], 3
	s_wait_alu 0xfffe
	s_add_nc_u64 s[72:73], s[48:49], s[72:73]
	s_clause 0x3
	global_store_b64 v0, v[1:2], s[58:59]
	global_store_b64 v0, v[3:4], s[68:69]
	;; [unrolled: 1-line block ×4, first 2 shown]
	s_branch .LBB263_17
.LBB263_42:                             ;   in Loop: Header=BB263_3 Depth=1
	v_mov_b32_e32 v7, v0
	v_dual_mov_b32 v1, v0 :: v_dual_mov_b32 v2, v0
	v_dual_mov_b32 v3, v0 :: v_dual_mov_b32 v4, v0
	;; [unrolled: 1-line block ×3, first 2 shown]
	s_delay_alu instid0(VALU_DEP_4) | instskip(NEXT) | instid1(VALU_DEP_3)
	v_mov_b32_e32 v15, v7
	v_dual_mov_b32 v11, v3 :: v_dual_mov_b32 v10, v2
	s_delay_alu instid0(VALU_DEP_3) | instskip(NEXT) | instid1(VALU_DEP_4)
	v_dual_mov_b32 v13, v5 :: v_dual_mov_b32 v12, v4
	v_dual_mov_b32 v14, v6 :: v_dual_mov_b32 v9, v1
	v_mov_b32_e32 v8, v0
	s_mov_b32 s9, 0
.LBB263_43:                             ;   in Loop: Header=BB263_3 Depth=1
	s_wait_alu 0xfffe
	s_cmp_ge_i32 s9, s13
	s_cbranch_scc1 .LBB263_2
; %bb.44:                               ;   in Loop: Header=BB263_3 Depth=1
	v_cmp_gt_u32_e32 vcc_lo, 24, v48
	s_add_nc_u64 s[48:49], s[48:49], s[46:47]
	s_mul_i32 s50, s28, s9
	s_mov_b32 s34, s9
	s_wait_alu 0xfffd
	v_cndmask_b32_e64 v1, 0, 8, vcc_lo
	v_cmp_gt_u32_e32 vcc_lo, 28, v48
	s_delay_alu instid0(VALU_DEP_2) | instskip(SKIP_3) | instid1(VALU_DEP_2)
	v_add_lshl_u32 v22, v1, v48, 2
	s_wait_alu 0xfffd
	v_cndmask_b32_e64 v2, 0, 4, vcc_lo
	v_cmp_gt_u32_e32 vcc_lo, 30, v48
	v_add_lshl_u32 v23, v2, v48, 2
	s_wait_alu 0xfffd
	v_cndmask_b32_e64 v3, 0, 2, vcc_lo
	v_cmp_ne_u32_e32 vcc_lo, 31, v48
	s_delay_alu instid0(VALU_DEP_2)
	v_add_lshl_u32 v38, v3, v48, 2
	s_wait_alu 0xfffd
	v_add_co_ci_u32_e64 v4, null, 0, v48, vcc_lo
	v_add_co_u32 v2, vcc_lo, v36, v28
	s_wait_alu 0xfffd
	v_add_co_ci_u32_e64 v3, null, v37, v29, vcc_lo
	s_delay_alu instid0(VALU_DEP_3)
	v_lshlrev_b32_e32 v39, 2, v4
	v_add_co_u32 v4, vcc_lo, v36, v30
	s_wait_alu 0xfffd
	v_add_co_ci_u32_e64 v5, null, v37, v31, vcc_lo
	v_add_co_u32 v6, vcc_lo, v36, v32
	s_wait_alu 0xfffd
	v_add_co_ci_u32_e64 v7, null, v37, v33, vcc_lo
	v_add_co_u32 v16, vcc_lo, v36, v34
	s_wait_alu 0xfffd
	v_add_co_ci_u32_e64 v17, null, v37, v35, vcc_lo
	s_branch .LBB263_46
.LBB263_45:                             ;   in Loop: Header=BB263_46 Depth=2
	s_wait_alu 0xfffe
	s_or_b32 exec_lo, exec_lo, s6
	s_add_co_i32 s34, s34, 1
	s_add_co_i32 s50, s50, s28
	s_wait_alu 0xfffe
	s_cmp_ge_i32 s34, s13
	s_cbranch_scc1 .LBB263_2
.LBB263_46:                             ;   Parent Loop BB263_3 Depth=1
                                        ; =>  This Loop Header: Depth=2
                                        ;       Child Loop BB263_59 Depth 3
                                        ;       Child Loop BB263_62 Depth 3
	s_wait_dscnt 0x0
	v_dual_mov_b32 v18, s35 :: v_dual_mov_b32 v19, s35
	s_and_saveexec_b32 s6, s4
	s_wait_alu 0xfffe
	s_xor_b32 s6, exec_lo, s6
	s_cbranch_execnz .LBB263_55
; %bb.47:                               ;   in Loop: Header=BB263_46 Depth=2
	s_wait_alu 0xfffe
	s_and_not1_saveexec_b32 s9, s6
	s_cbranch_execnz .LBB263_56
.LBB263_48:                             ;   in Loop: Header=BB263_46 Depth=2
	s_wait_alu 0xfffe
	s_or_b32 exec_lo, exec_lo, s9
	s_and_saveexec_b32 s6, s1
.LBB263_49:                             ;   in Loop: Header=BB263_46 Depth=2
	v_mov_b32_e32 v1, v0
	ds_store_b64 v46, v[0:1]
.LBB263_50:                             ;   in Loop: Header=BB263_46 Depth=2
	s_wait_alu 0xfffe
	s_or_b32 exec_lo, exec_lo, s6
	ds_bpermute_b32 v20, v25, v18
	ds_bpermute_b32 v21, v25, v19
	s_wait_storecnt 0x0
	s_wait_loadcnt_dscnt 0x0
	s_barrier_signal -1
	s_barrier_wait -1
	global_inv scope:SCOPE_SE
	v_add_f64_e32 v[18:19], v[18:19], v[20:21]
	ds_bpermute_b32 v20, v22, v18
	ds_bpermute_b32 v21, v22, v19
	s_wait_dscnt 0x0
	v_add_f64_e32 v[18:19], v[18:19], v[20:21]
	ds_bpermute_b32 v20, v23, v18
	ds_bpermute_b32 v21, v23, v19
	s_wait_dscnt 0x0
	v_add_f64_e32 v[18:19], v[18:19], v[20:21]
	ds_bpermute_b32 v20, v38, v18
	ds_bpermute_b32 v21, v38, v19
	s_wait_dscnt 0x0
	v_add_f64_e32 v[18:19], v[18:19], v[20:21]
	ds_bpermute_b32 v20, v39, v18
	ds_bpermute_b32 v21, v39, v19
	s_and_saveexec_b32 s6, s3
	s_cbranch_execz .LBB263_52
; %bb.51:                               ;   in Loop: Header=BB263_46 Depth=2
	s_wait_dscnt 0x0
	v_add_f64_e32 v[18:19], v[18:19], v[20:21]
	ds_store_b64 v47, v[18:19]
.LBB263_52:                             ;   in Loop: Header=BB263_46 Depth=2
	s_wait_alu 0xfffe
	s_or_b32 exec_lo, exec_lo, s6
	v_mov_b32_e32 v18, 0
	v_mov_b32_e32 v19, 0
	s_wait_loadcnt_dscnt 0x0
	s_barrier_signal -1
	s_barrier_wait -1
	global_inv scope:SCOPE_SE
	s_and_saveexec_b32 s6, s2
	s_cbranch_execnz .LBB263_64
; %bb.53:                               ;   in Loop: Header=BB263_46 Depth=2
	s_wait_alu 0xfffe
	s_or_b32 exec_lo, exec_lo, s6
	s_and_saveexec_b32 s6, s1
	s_cbranch_execnz .LBB263_65
.LBB263_54:                             ;   in Loop: Header=BB263_46 Depth=2
	s_wait_alu 0xfffe
	s_or_b32 exec_lo, exec_lo, s6
	s_and_saveexec_b32 s6, s0
	s_cbranch_execz .LBB263_45
	s_branch .LBB263_66
.LBB263_55:                             ;   in Loop: Header=BB263_46 Depth=2
	s_mul_i32 s8, s34, s28
	s_wait_alu 0xfffe
	s_ashr_i32 s9, s8, 31
	s_wait_alu 0xfffe
	s_lshl_b64 s[8:9], s[8:9], 3
	s_wait_alu 0xfffe
	v_add_co_u32 v12, vcc_lo, v49, s8
	s_wait_alu 0xfffd
	v_add_co_ci_u32_e64 v13, null, s9, v50, vcc_lo
	flat_load_b128 v[18:21], v[12:13]
	s_clause 0x1
	flat_load_b64 v[8:9], v[2:3]
	flat_load_b64 v[10:11], v[4:5]
	flat_load_b128 v[40:43], v[12:13] offset:16
	s_clause 0x1
	flat_load_b64 v[12:13], v[6:7]
	flat_load_b64 v[14:15], v[16:17]
	s_wait_loadcnt_dscnt 0x404
	v_fma_f64 v[18:19], v[8:9], v[18:19], 0
	s_wait_loadcnt_dscnt 0x303
	s_delay_alu instid0(VALU_DEP_1) | instskip(SKIP_1) | instid1(VALU_DEP_1)
	v_fma_f64 v[18:19], v[10:11], v[20:21], v[18:19]
	s_wait_loadcnt_dscnt 0x101
	v_fma_f64 v[18:19], v[12:13], v[40:41], v[18:19]
	s_wait_loadcnt_dscnt 0x0
	s_delay_alu instid0(VALU_DEP_1)
	v_fma_f64 v[18:19], v[14:15], v[42:43], v[18:19]
	s_and_not1_saveexec_b32 s9, s6
	s_cbranch_execz .LBB263_48
.LBB263_56:                             ;   in Loop: Header=BB263_46 Depth=2
	s_and_saveexec_b32 s11, s5
	s_cbranch_execz .LBB263_63
; %bb.57:                               ;   in Loop: Header=BB263_46 Depth=2
	s_and_not1_b32 vcc_lo, exec_lo, s65
	s_wait_alu 0xfffe
	s_cbranch_vccnz .LBB263_60
; %bb.58:                               ;   in Loop: Header=BB263_46 Depth=2
	v_mov_b32_e32 v20, v24
	s_mov_b64 s[52:53], 0
.LBB263_59:                             ;   Parent Loop BB263_3 Depth=1
                                        ;     Parent Loop BB263_46 Depth=2
                                        ; =>    This Inner Loop Header: Depth=3
	s_delay_alu instid0(VALU_DEP_1) | instskip(SKIP_1) | instid1(VALU_DEP_1)
	v_ashrrev_i32_e32 v21, 31, v20
	s_cmp_eq_u32 s52, 3
	v_lshlrev_b64_e32 v[40:41], 3, v[20:21]
	s_delay_alu instid0(VALU_DEP_1) | instskip(SKIP_1) | instid1(VALU_DEP_2)
	v_add_co_u32 v40, vcc_lo, v36, v40
	s_wait_alu 0xfffd
	v_add_co_ci_u32_e64 v41, null, v37, v41, vcc_lo
	s_cselect_b32 vcc_lo, -1, 0
	s_cmp_eq_u32 s52, 2
	s_cselect_b32 s6, -1, 0
	flat_load_b64 v[40:41], v[40:41]
	s_cmp_eq_u32 s52, 1
	v_add_nc_u32_e32 v20, s60, v20
	s_cselect_b32 s7, -1, 0
	s_cmp_eq_u32 s52, 0
	s_add_nc_u64 s[52:53], s[52:53], 1
	s_cselect_b32 s8, -1, 0
	s_cmp_eq_u32 s63, s52
	s_wait_loadcnt_dscnt 0x0
	s_wait_alu 0xfffe
	v_dual_cndmask_b32 v15, v15, v41 :: v_dual_cndmask_b32 v14, v14, v40
	v_cndmask_b32_e64 v13, v13, v41, s6
	v_cndmask_b32_e64 v12, v12, v40, s6
	;; [unrolled: 1-line block ×6, first 2 shown]
	s_cbranch_scc0 .LBB263_59
.LBB263_60:                             ;   in Loop: Header=BB263_46 Depth=2
	s_and_not1_b32 vcc_lo, exec_lo, s65
	s_wait_alu 0xfffe
	s_cbranch_vccnz .LBB263_63
; %bb.61:                               ;   in Loop: Header=BB263_46 Depth=2
	s_ashr_i32 s51, s50, 31
	s_delay_alu instid0(SALU_CYCLE_1)
	s_lshl_b64 s[6:7], s[50:51], 3
	s_wait_alu 0xfffe
	v_add_co_u32 v20, vcc_lo, v49, s6
	s_wait_alu 0xfffd
	v_add_co_ci_u32_e64 v21, null, s7, v50, vcc_lo
	s_mov_b64 s[6:7], 0
.LBB263_62:                             ;   Parent Loop BB263_3 Depth=1
                                        ;     Parent Loop BB263_46 Depth=2
                                        ; =>    This Inner Loop Header: Depth=3
	flat_load_b64 v[40:41], v[20:21]
	s_wait_alu 0xfffe
	s_cmp_eq_u32 s6, 1
	s_cselect_b32 vcc_lo, -1, 0
	s_cmp_eq_u32 s6, 2
	s_wait_alu 0xfffe
	v_dual_cndmask_b32 v1, v9, v11 :: v_dual_cndmask_b32 v42, v8, v10
	s_cselect_b32 vcc_lo, -1, 0
	s_cmp_eq_u32 s6, 3
	s_add_nc_u64 s[6:7], s[6:7], 1
	s_wait_alu 0xfffe
	v_dual_cndmask_b32 v1, v1, v13 :: v_dual_cndmask_b32 v42, v42, v12
	s_cselect_b32 vcc_lo, -1, 0
	s_cmp_lg_u32 s63, s6
	s_wait_alu 0xfffe
	s_delay_alu instid0(VALU_DEP_1)
	v_dual_cndmask_b32 v43, v1, v15 :: v_dual_cndmask_b32 v42, v42, v14
	v_add_co_u32 v20, vcc_lo, v20, 8
	s_wait_alu 0xfffd
	v_add_co_ci_u32_e64 v21, null, 0, v21, vcc_lo
	s_wait_loadcnt_dscnt 0x0
	v_fma_f64 v[18:19], v[42:43], v[40:41], v[18:19]
	s_cbranch_scc1 .LBB263_62
.LBB263_63:                             ;   in Loop: Header=BB263_46 Depth=2
	s_or_b32 exec_lo, exec_lo, s11
	s_wait_alu 0xfffe
	s_or_b32 exec_lo, exec_lo, s9
	s_and_saveexec_b32 s6, s1
	s_cbranch_execnz .LBB263_49
	s_branch .LBB263_50
.LBB263_64:                             ;   in Loop: Header=BB263_46 Depth=2
	ds_load_b64 v[18:19], v46
	s_wait_alu 0xfffe
	s_or_b32 exec_lo, exec_lo, s6
	s_and_saveexec_b32 s6, s1
	s_cbranch_execz .LBB263_54
.LBB263_65:                             ;   in Loop: Header=BB263_46 Depth=2
	s_wait_dscnt 0x0
	ds_bpermute_b32 v20, v23, v18
	ds_bpermute_b32 v21, v23, v19
	s_wait_dscnt 0x0
	v_add_f64_e32 v[18:19], v[18:19], v[20:21]
	ds_bpermute_b32 v20, v38, v18
	ds_bpermute_b32 v21, v38, v19
	s_wait_dscnt 0x0
	v_add_f64_e32 v[18:19], v[18:19], v[20:21]
	ds_bpermute_b32 v20, v39, v18
	ds_bpermute_b32 v21, v39, v19
	s_wait_dscnt 0x0
	v_add_f64_e32 v[18:19], v[18:19], v[20:21]
	s_wait_alu 0xfffe
	s_or_b32 exec_lo, exec_lo, s6
	s_and_saveexec_b32 s6, s0
	s_cbranch_execz .LBB263_45
.LBB263_66:                             ;   in Loop: Header=BB263_46 Depth=2
	s_wait_dscnt 0x0
	s_delay_alu instid0(VALU_DEP_1)
	v_mul_f64_e32 v[18:19], s[14:15], v[18:19]
	s_mul_u64 s[8:9], s[34:35], s[26:27]
	s_wait_alu 0xfffe
	s_lshl_b64 s[8:9], s[8:9], 3
	s_wait_alu 0xfffe
	s_add_nc_u64 s[8:9], s[48:49], s[8:9]
	global_store_b64 v0, v[18:19], s[8:9]
	s_branch .LBB263_45
.LBB263_67:
	s_endpgm
	.section	.rodata,"a",@progbits
	.p2align	6, 0x0
	.amdhsa_kernel _ZL23rocblas_gemvt_sn_kernelILb0ELi256ELi4EiPKdddEviiT4_lPKT3_lilS5_lilPT5_i
		.amdhsa_group_segment_fixed_size 256
		.amdhsa_private_segment_fixed_size 0
		.amdhsa_kernarg_size 360
		.amdhsa_user_sgpr_count 2
		.amdhsa_user_sgpr_dispatch_ptr 0
		.amdhsa_user_sgpr_queue_ptr 0
		.amdhsa_user_sgpr_kernarg_segment_ptr 1
		.amdhsa_user_sgpr_dispatch_id 0
		.amdhsa_user_sgpr_private_segment_size 0
		.amdhsa_wavefront_size32 1
		.amdhsa_uses_dynamic_stack 0
		.amdhsa_enable_private_segment 0
		.amdhsa_system_sgpr_workgroup_id_x 1
		.amdhsa_system_sgpr_workgroup_id_y 0
		.amdhsa_system_sgpr_workgroup_id_z 1
		.amdhsa_system_sgpr_workgroup_info 0
		.amdhsa_system_vgpr_workitem_id 0
		.amdhsa_next_free_vgpr 75
		.amdhsa_next_free_sgpr 74
		.amdhsa_reserve_vcc 1
		.amdhsa_float_round_mode_32 0
		.amdhsa_float_round_mode_16_64 0
		.amdhsa_float_denorm_mode_32 3
		.amdhsa_float_denorm_mode_16_64 3
		.amdhsa_fp16_overflow 0
		.amdhsa_workgroup_processor_mode 1
		.amdhsa_memory_ordered 1
		.amdhsa_forward_progress 1
		.amdhsa_inst_pref_size 34
		.amdhsa_round_robin_scheduling 0
		.amdhsa_exception_fp_ieee_invalid_op 0
		.amdhsa_exception_fp_denorm_src 0
		.amdhsa_exception_fp_ieee_div_zero 0
		.amdhsa_exception_fp_ieee_overflow 0
		.amdhsa_exception_fp_ieee_underflow 0
		.amdhsa_exception_fp_ieee_inexact 0
		.amdhsa_exception_int_div_zero 0
	.end_amdhsa_kernel
	.section	.text._ZL23rocblas_gemvt_sn_kernelILb0ELi256ELi4EiPKdddEviiT4_lPKT3_lilS5_lilPT5_i,"axG",@progbits,_ZL23rocblas_gemvt_sn_kernelILb0ELi256ELi4EiPKdddEviiT4_lPKT3_lilS5_lilPT5_i,comdat
.Lfunc_end263:
	.size	_ZL23rocblas_gemvt_sn_kernelILb0ELi256ELi4EiPKdddEviiT4_lPKT3_lilS5_lilPT5_i, .Lfunc_end263-_ZL23rocblas_gemvt_sn_kernelILb0ELi256ELi4EiPKdddEviiT4_lPKT3_lilS5_lilPT5_i
                                        ; -- End function
	.set _ZL23rocblas_gemvt_sn_kernelILb0ELi256ELi4EiPKdddEviiT4_lPKT3_lilS5_lilPT5_i.num_vgpr, 75
	.set _ZL23rocblas_gemvt_sn_kernelILb0ELi256ELi4EiPKdddEviiT4_lPKT3_lilS5_lilPT5_i.num_agpr, 0
	.set _ZL23rocblas_gemvt_sn_kernelILb0ELi256ELi4EiPKdddEviiT4_lPKT3_lilS5_lilPT5_i.numbered_sgpr, 74
	.set _ZL23rocblas_gemvt_sn_kernelILb0ELi256ELi4EiPKdddEviiT4_lPKT3_lilS5_lilPT5_i.num_named_barrier, 0
	.set _ZL23rocblas_gemvt_sn_kernelILb0ELi256ELi4EiPKdddEviiT4_lPKT3_lilS5_lilPT5_i.private_seg_size, 0
	.set _ZL23rocblas_gemvt_sn_kernelILb0ELi256ELi4EiPKdddEviiT4_lPKT3_lilS5_lilPT5_i.uses_vcc, 1
	.set _ZL23rocblas_gemvt_sn_kernelILb0ELi256ELi4EiPKdddEviiT4_lPKT3_lilS5_lilPT5_i.uses_flat_scratch, 1
	.set _ZL23rocblas_gemvt_sn_kernelILb0ELi256ELi4EiPKdddEviiT4_lPKT3_lilS5_lilPT5_i.has_dyn_sized_stack, 0
	.set _ZL23rocblas_gemvt_sn_kernelILb0ELi256ELi4EiPKdddEviiT4_lPKT3_lilS5_lilPT5_i.has_recursion, 0
	.set _ZL23rocblas_gemvt_sn_kernelILb0ELi256ELi4EiPKdddEviiT4_lPKT3_lilS5_lilPT5_i.has_indirect_call, 0
	.section	.AMDGPU.csdata,"",@progbits
; Kernel info:
; codeLenInByte = 4348
; TotalNumSgprs: 76
; NumVgprs: 75
; ScratchSize: 0
; MemoryBound: 1
; FloatMode: 240
; IeeeMode: 1
; LDSByteSize: 256 bytes/workgroup (compile time only)
; SGPRBlocks: 0
; VGPRBlocks: 9
; NumSGPRsForWavesPerEU: 76
; NumVGPRsForWavesPerEU: 75
; Occupancy: 16
; WaveLimiterHint : 0
; COMPUTE_PGM_RSRC2:SCRATCH_EN: 0
; COMPUTE_PGM_RSRC2:USER_SGPR: 2
; COMPUTE_PGM_RSRC2:TRAP_HANDLER: 0
; COMPUTE_PGM_RSRC2:TGID_X_EN: 1
; COMPUTE_PGM_RSRC2:TGID_Y_EN: 0
; COMPUTE_PGM_RSRC2:TGID_Z_EN: 1
; COMPUTE_PGM_RSRC2:TIDIG_COMP_CNT: 0
	.section	.text._ZL23rocblas_gemvt_sn_kernelILb0ELi256ELi4ElPKdddEviiT4_lPKT3_lilS5_lilPT5_i,"axG",@progbits,_ZL23rocblas_gemvt_sn_kernelILb0ELi256ELi4ElPKdddEviiT4_lPKT3_lilS5_lilPT5_i,comdat
	.globl	_ZL23rocblas_gemvt_sn_kernelILb0ELi256ELi4ElPKdddEviiT4_lPKT3_lilS5_lilPT5_i ; -- Begin function _ZL23rocblas_gemvt_sn_kernelILb0ELi256ELi4ElPKdddEviiT4_lPKT3_lilS5_lilPT5_i
	.p2align	8
	.type	_ZL23rocblas_gemvt_sn_kernelILb0ELi256ELi4ElPKdddEviiT4_lPKT3_lilS5_lilPT5_i,@function
_ZL23rocblas_gemvt_sn_kernelILb0ELi256ELi4ElPKdddEviiT4_lPKT3_lilS5_lilPT5_i: ; @_ZL23rocblas_gemvt_sn_kernelILb0ELi256ELi4ElPKdddEviiT4_lPKT3_lilS5_lilPT5_i
; %bb.0:
	s_load_b32 s33, s[0:1], 0x60
	s_lshr_b32 s10, ttmp7, 16
	s_wait_kmcnt 0x0
	s_cmp_ge_u32 s10, s33
	s_cbranch_scc1 .LBB264_67
; %bb.1:
	s_clause 0x6
	s_load_b32 s26, s[0:1], 0x28
	s_load_b32 s6, s[0:1], 0x48
	s_load_b128 s[12:15], s[0:1], 0x0
	s_load_b32 s28, s[0:1], 0x68
	s_load_b128 s[16:19], s[0:1], 0x18
	s_load_b128 s[20:23], s[0:1], 0x38
	s_load_b64 s[30:31], s[0:1], 0x58
	v_cmp_eq_u32_e64 s0, 0, v0
	s_mov_b32 s25, 0
	v_and_b32_e32 v3, 31, v0
	s_mov_b32 s29, s25
	v_cmp_gt_u32_e64 s5, 8, v0
	v_mbcnt_lo_u32_b32 v50, -1, 0
	s_mov_b32 s24, ttmp9
	s_delay_alu instid0(VALU_DEP_1)
	v_lshl_or_b32 v51, v50, 2, 64
	s_wait_kmcnt 0x0
	s_ashr_i32 s27, s26, 31
	s_ashr_i32 s7, s6, 31
	;; [unrolled: 1-line block ×3, first 2 shown]
	s_cmp_gt_i32 s13, 0
	s_mov_b32 s2, s13
	s_cselect_b32 s1, -1, 0
	s_ashr_i32 s4, s12, 31
	s_and_b32 s54, s0, s1
	s_lshr_b32 s1, s4, 30
	s_mul_u64 s[34:35], s[2:3], s[28:29]
	s_lshl_b32 s2, ttmp9, 10
	s_add_co_i32 s1, s12, s1
	v_lshl_or_b32 v1, v0, 2, s2
	s_and_b32 s1, s1, -4
	s_lshr_b32 s3, s3, 30
	s_sub_co_i32 s56, s12, s1
	s_wait_alu 0xfffe
	s_add_co_i32 s2, s13, s3
	v_add_nc_u32_e32 v4, 4, v1
	v_add_nc_u32_e32 v5, s56, v1
	s_wait_alu 0xfffe
	s_and_b32 s55, s2, -4
	v_cmp_neq_f64_e64 s59, s[14:15], 0
	v_cmp_gt_u32_e64 s3, 32, v0
	v_cmp_ge_i32_e64 s1, s12, v4
	v_cmp_ge_i32_e64 s2, s12, v5
	v_cmp_eq_f64_e64 s12, s[14:15], 0
	v_lshrrev_b32_e32 v4, 2, v0
	v_or_b32_e32 v0, 1, v1
	v_or_b32_e32 v7, 2, v1
	;; [unrolled: 1-line block ×3, first 2 shown]
	v_ashrrev_i32_e32 v2, 31, v1
	v_and_b32_e32 v49, 56, v4
	v_mad_co_i64_i32 v[5:6], null, s6, v0, 0
	v_mad_co_i64_i32 v[7:8], null, s6, v7, 0
	;; [unrolled: 1-line block ×3, first 2 shown]
	v_mov_b32_e32 v0, 0
	v_cmp_eq_u32_e64 s4, 0, v3
	v_lshlrev_b32_e32 v48, 3, v3
	v_mad_co_i64_i32 v[3:4], null, s6, v1, 0
	s_cmp_gt_i32 s55, 0
	v_lshlrev_b64_e32 v[26:27], 3, v[1:2]
	v_lshlrev_b64_e32 v[28:29], 3, v[5:6]
	;; [unrolled: 1-line block ×4, first 2 shown]
	s_cselect_b32 s57, -1, 0
	v_lshlrev_b64_e32 v[24:25], 3, v[3:4]
	s_cmp_gt_i32 s56, 0
	s_mul_u64 s[40:41], s[26:27], 24
	s_cselect_b32 s58, -1, 0
	s_lshl_b64 s[36:37], s[28:29], 3
	s_lshl_b64 s[38:39], s[6:7], 3
	;; [unrolled: 1-line block ×8, first 2 shown]
	s_branch .LBB264_3
.LBB264_2:                              ;   in Loop: Header=BB264_3 Depth=1
	s_add_co_i32 s10, s10, 0x10000
	s_delay_alu instid0(SALU_CYCLE_1)
	s_cmp_lt_u32 s10, s33
	s_cbranch_scc0 .LBB264_67
.LBB264_3:                              ; =>This Loop Header: Depth=1
                                        ;     Child Loop BB264_12 Depth 2
                                        ;     Child Loop BB264_18 Depth 2
                                        ;       Child Loop BB264_24 Depth 3
                                        ;       Child Loop BB264_27 Depth 3
	;; [unrolled: 1-line block ×3, first 2 shown]
                                        ;     Child Loop BB264_46 Depth 2
                                        ;       Child Loop BB264_59 Depth 3
                                        ;       Child Loop BB264_62 Depth 3
	s_mov_b32 s11, s25
	s_and_not1_b32 vcc_lo, exec_lo, s12
	s_mov_b32 s6, -1
	s_wait_alu 0xfffe
	s_cbranch_vccnz .LBB264_5
; %bb.4:                                ;   in Loop: Header=BB264_3 Depth=1
	s_mov_b32 s6, 0
.LBB264_5:                              ;   in Loop: Header=BB264_3 Depth=1
	v_mov_b32_e32 v36, 0
	v_dual_mov_b32 v37, 0 :: v_dual_mov_b32 v2, 0
	v_mov_b32_e32 v3, 0
	s_wait_alu 0xfffe
	s_and_not1_b32 vcc_lo, exec_lo, s6
	s_wait_alu 0xfffe
	s_cbranch_vccnz .LBB264_7
; %bb.6:                                ;   in Loop: Header=BB264_3 Depth=1
	s_lshl_b64 s[6:7], s[10:11], 3
	s_wait_alu 0xfffe
	s_add_nc_u64 s[6:7], s[16:17], s[6:7]
	global_load_b64 v[2:3], v0, s[6:7]
	s_wait_loadcnt 0x0
	v_add_co_u32 v2, vcc_lo, v2, s18
	s_wait_alu 0xfffd
	v_add_co_ci_u32_e64 v3, null, s19, v3, vcc_lo
.LBB264_7:                              ;   in Loop: Header=BB264_3 Depth=1
	s_and_not1_b32 vcc_lo, exec_lo, s59
	s_wait_alu 0xfffe
	s_cbranch_vccnz .LBB264_9
; %bb.8:                                ;   in Loop: Header=BB264_3 Depth=1
	s_lshl_b64 s[6:7], s[10:11], 3
	s_wait_alu 0xfffe
	s_add_nc_u64 s[6:7], s[20:21], s[6:7]
	global_load_b64 v[4:5], v0, s[6:7]
	s_wait_loadcnt 0x0
	v_add_co_u32 v36, vcc_lo, v4, s22
	s_wait_alu 0xfffd
	v_add_co_ci_u32_e64 v37, null, s23, v5, vcc_lo
.LBB264_9:                              ;   in Loop: Header=BB264_3 Depth=1
	s_mul_u64 s[6:7], s[34:35], s[10:11]
	s_and_not1_b32 vcc_lo, exec_lo, s12
	s_wait_alu 0xfffe
	s_lshl_b64 s[6:7], s[6:7], 3
	s_wait_alu 0xfffe
	s_add_nc_u64 s[50:51], s[30:31], s[6:7]
	s_mov_b32 s6, -1
	s_cbranch_vccnz .LBB264_14
; %bb.10:                               ;   in Loop: Header=BB264_3 Depth=1
	s_and_saveexec_b32 s8, s54
	s_cbranch_execz .LBB264_13
; %bb.11:                               ;   in Loop: Header=BB264_3 Depth=1
	s_add_nc_u64 s[6:7], s[50:51], s[48:49]
	s_mov_b32 s9, s13
.LBB264_12:                             ;   Parent Loop BB264_3 Depth=1
                                        ; =>  This Inner Loop Header: Depth=2
	v_mov_b32_e32 v1, v0
	s_wait_alu 0xfffe
	s_add_co_i32 s9, s9, -1
	s_wait_alu 0xfffe
	s_cmp_eq_u32 s9, 0
	global_store_b64 v0, v[0:1], s[6:7]
	s_add_nc_u64 s[6:7], s[6:7], s[36:37]
	s_cbranch_scc0 .LBB264_12
.LBB264_13:                             ;   in Loop: Header=BB264_3 Depth=1
	s_wait_alu 0xfffe
	s_or_b32 exec_lo, exec_lo, s8
	s_mov_b32 s6, 0
.LBB264_14:                             ;   in Loop: Header=BB264_3 Depth=1
	s_wait_alu 0xfffe
	s_and_not1_b32 vcc_lo, exec_lo, s6
	s_wait_alu 0xfffe
	s_cbranch_vccnz .LBB264_2
; %bb.15:                               ;   in Loop: Header=BB264_3 Depth=1
	v_add_co_u32 v34, vcc_lo, v2, v26
	s_wait_alu 0xfffd
	v_add_co_ci_u32_e64 v35, null, v3, v27, vcc_lo
	v_cmp_gt_u32_e64 s9, 24, v50
	v_cmp_gt_u32_e64 s8, 28, v50
	;; [unrolled: 1-line block ×3, first 2 shown]
	v_cmp_ne_u32_e64 s6, 31, v50
	s_and_not1_b32 vcc_lo, exec_lo, s57
	s_add_nc_u64 s[50:51], s[50:51], s[48:49]
	s_wait_alu 0xfffe
	s_cbranch_vccnz .LBB264_42
; %bb.16:                               ;   in Loop: Header=BB264_3 Depth=1
	v_cndmask_b32_e64 v1, 0, 8, s9
	v_cndmask_b32_e64 v2, 0, 4, s8
	;; [unrolled: 1-line block ×3, first 2 shown]
	v_add_co_ci_u32_e64 v4, null, 0, v50, s6
	v_add_co_u32 v38, vcc_lo, v36, v24
	s_wait_alu 0xfffd
	v_add_co_ci_u32_e64 v39, null, v37, v25, vcc_lo
	v_add_co_u32 v40, vcc_lo, v36, v28
	v_mov_b32_e32 v7, v0
	v_add_lshl_u32 v52, v1, v50, 2
	v_add_lshl_u32 v53, v2, v50, 2
	;; [unrolled: 1-line block ×3, first 2 shown]
	v_dual_mov_b32 v2, v0 :: v_dual_lshlrev_b32 v55, 2, v4
	v_dual_mov_b32 v1, v0 :: v_dual_mov_b32 v4, v0
	v_dual_mov_b32 v3, v0 :: v_dual_mov_b32 v6, v0
	v_mov_b32_e32 v5, v0
	s_wait_alu 0xfffd
	v_add_co_ci_u32_e64 v41, null, v37, v29, vcc_lo
	v_add_co_u32 v42, vcc_lo, v36, v30
	s_wait_alu 0xfffd
	v_add_co_ci_u32_e64 v43, null, v37, v31, vcc_lo
	v_add_co_u32 v44, vcc_lo, v36, v32
	v_dual_mov_b32 v47, v35 :: v_dual_mov_b32 v46, v34
	v_dual_mov_b32 v15, v7 :: v_dual_mov_b32 v12, v4
	s_wait_alu 0xfffd
	v_add_co_ci_u32_e64 v45, null, v37, v33, vcc_lo
	v_dual_mov_b32 v14, v6 :: v_dual_mov_b32 v13, v5
	v_dual_mov_b32 v10, v2 :: v_dual_mov_b32 v11, v3
	;; [unrolled: 1-line block ×3, first 2 shown]
	s_mov_b32 s24, 0
	s_branch .LBB264_18
.LBB264_17:                             ;   in Loop: Header=BB264_18 Depth=2
	s_wait_alu 0xfffe
	s_or_b32 exec_lo, exec_lo, s6
	v_add_co_u32 v46, vcc_lo, v46, s42
	s_wait_alu 0xfffd
	v_add_co_ci_u32_e64 v47, null, s43, v47, vcc_lo
	s_add_co_i32 s24, s24, 4
	s_wait_alu 0xfffe
	s_cmp_ge_i32 s24, s55
	s_cbranch_scc1 .LBB264_43
.LBB264_18:                             ;   Parent Loop BB264_3 Depth=1
                                        ; =>  This Loop Header: Depth=2
                                        ;       Child Loop BB264_24 Depth 3
                                        ;       Child Loop BB264_27 Depth 3
	;; [unrolled: 1-line block ×3, first 2 shown]
                                        ; implicit-def: $vgpr16_vgpr17_vgpr18_vgpr19_vgpr20_vgpr21_vgpr22_vgpr23
	s_and_saveexec_b32 s6, s1
	s_wait_alu 0xfffe
	s_xor_b32 s6, exec_lo, s6
	s_cbranch_execz .LBB264_20
; %bb.19:                               ;   in Loop: Header=BB264_18 Depth=2
	s_mul_u64 s[8:9], s[24:25], s[26:27]
	s_or_b32 s52, s24, 1
	s_mov_b32 s53, s25
	s_wait_alu 0xfffe
	s_lshl_b64 s[8:9], s[8:9], 3
	s_mul_u64 s[52:53], s[52:53], s[26:27]
	s_wait_alu 0xfffe
	v_add_co_u32 v5, vcc_lo, v34, s8
	s_wait_alu 0xfffd
	v_add_co_ci_u32_e64 v6, null, s9, v35, vcc_lo
	s_lshl_b64 s[8:9], s[52:53], 3
	s_or_b32 s52, s24, 2
	s_mov_b32 s53, s25
	s_wait_alu 0xfffe
	v_add_co_u32 v14, vcc_lo, v34, s8
	s_wait_alu 0xfffd
	v_add_co_ci_u32_e64 v15, null, s9, v35, vcc_lo
	s_mul_u64 s[8:9], s[52:53], s[26:27]
	s_or_b32 s52, s24, 3
	s_wait_alu 0xfffe
	s_lshl_b64 s[8:9], s[8:9], 3
	s_mul_u64 s[52:53], s[52:53], s[26:27]
	s_wait_alu 0xfffe
	v_add_co_u32 v68, vcc_lo, v34, s8
	s_wait_alu 0xfffd
	v_add_co_ci_u32_e64 v69, null, s9, v35, vcc_lo
	s_lshl_b64 s[8:9], s[52:53], 3
	s_wait_alu 0xfffe
	v_add_co_u32 v72, vcc_lo, v34, s8
	s_wait_alu 0xfffd
	v_add_co_ci_u32_e64 v73, null, s9, v35, vcc_lo
	flat_load_b64 v[8:9], v[38:39]
	s_clause 0x1
	flat_load_b128 v[1:4], v[5:6]
	flat_load_b128 v[16:19], v[14:15]
	s_wait_dscnt 0x3
	s_clause 0x1
	flat_load_b128 v[20:23], v[68:69]
	flat_load_b128 v[56:59], v[72:73]
	s_clause 0x1
	flat_load_b64 v[10:11], v[40:41]
	flat_load_b64 v[12:13], v[42:43]
	s_clause 0x3
	flat_load_b128 v[60:63], v[5:6] offset:16
	flat_load_b128 v[64:67], v[14:15] offset:16
	flat_load_b128 v[68:71], v[68:69] offset:16
	flat_load_b128 v[72:75], v[72:73] offset:16
	flat_load_b64 v[14:15], v[44:45]
	s_wait_loadcnt_dscnt 0xa0a
	v_fma_f64 v[1:2], v[8:9], v[1:2], 0
	s_wait_loadcnt_dscnt 0x909
	v_fma_f64 v[5:6], v[8:9], v[16:17], 0
	;; [unrolled: 2-line block ×4, first 2 shown]
	s_wait_loadcnt_dscnt 0x606
	s_delay_alu instid0(VALU_DEP_4) | instskip(NEXT) | instid1(VALU_DEP_4)
	v_fma_f64 v[1:2], v[10:11], v[3:4], v[1:2]
	v_fma_f64 v[3:4], v[10:11], v[18:19], v[5:6]
	s_delay_alu instid0(VALU_DEP_4) | instskip(NEXT) | instid1(VALU_DEP_4)
	v_fma_f64 v[5:6], v[10:11], v[22:23], v[16:17]
	v_fma_f64 v[16:17], v[10:11], v[58:59], v[20:21]
	s_wait_loadcnt_dscnt 0x404
	s_delay_alu instid0(VALU_DEP_4) | instskip(SKIP_1) | instid1(VALU_DEP_4)
	v_fma_f64 v[1:2], v[12:13], v[60:61], v[1:2]
	s_wait_loadcnt_dscnt 0x303
	v_fma_f64 v[3:4], v[12:13], v[64:65], v[3:4]
	s_wait_loadcnt_dscnt 0x202
	s_delay_alu instid0(VALU_DEP_4) | instskip(SKIP_1) | instid1(VALU_DEP_4)
	v_fma_f64 v[5:6], v[12:13], v[68:69], v[5:6]
	s_wait_loadcnt_dscnt 0x101
	v_fma_f64 v[22:23], v[12:13], v[72:73], v[16:17]
	s_wait_loadcnt_dscnt 0x0
	s_delay_alu instid0(VALU_DEP_4) | instskip(NEXT) | instid1(VALU_DEP_4)
	v_fma_f64 v[16:17], v[14:15], v[62:63], v[1:2]
	v_fma_f64 v[18:19], v[14:15], v[66:67], v[3:4]
	s_delay_alu instid0(VALU_DEP_4) | instskip(NEXT) | instid1(VALU_DEP_4)
	v_fma_f64 v[20:21], v[14:15], v[70:71], v[5:6]
	v_fma_f64 v[22:23], v[14:15], v[74:75], v[22:23]
.LBB264_20:                             ;   in Loop: Header=BB264_18 Depth=2
	s_wait_alu 0xfffe
	s_and_not1_saveexec_b32 s11, s6
	s_cbranch_execz .LBB264_30
; %bb.21:                               ;   in Loop: Header=BB264_18 Depth=2
	v_mov_b32_e32 v7, v0
	v_dual_mov_b32 v1, v0 :: v_dual_mov_b32 v2, v0
	v_dual_mov_b32 v3, v0 :: v_dual_mov_b32 v4, v0
	;; [unrolled: 1-line block ×3, first 2 shown]
	s_wait_dscnt 0x0
	v_mov_b32_e32 v23, v7
	s_delay_alu instid0(VALU_DEP_3) | instskip(NEXT) | instid1(VALU_DEP_3)
	v_dual_mov_b32 v19, v3 :: v_dual_mov_b32 v18, v2
	v_dual_mov_b32 v21, v5 :: v_dual_mov_b32 v20, v4
	;; [unrolled: 1-line block ×3, first 2 shown]
	v_mov_b32_e32 v16, v0
	s_and_saveexec_b32 s60, s2
	s_cbranch_execz .LBB264_29
; %bb.22:                               ;   in Loop: Header=BB264_18 Depth=2
	s_and_not1_b32 vcc_lo, exec_lo, s58
	s_wait_alu 0xfffe
	s_cbranch_vccnz .LBB264_25
; %bb.23:                               ;   in Loop: Header=BB264_18 Depth=2
	v_dual_mov_b32 v1, v38 :: v_dual_mov_b32 v2, v39
	s_mov_b64 s[52:53], 0
.LBB264_24:                             ;   Parent Loop BB264_3 Depth=1
                                        ;     Parent Loop BB264_18 Depth=2
                                        ; =>    This Inner Loop Header: Depth=3
	flat_load_b64 v[3:4], v[1:2]
	s_cmp_eq_u32 s52, 3
	v_add_co_u32 v1, vcc_lo, v1, s38
	s_wait_alu 0xfffd
	v_add_co_ci_u32_e64 v2, null, s39, v2, vcc_lo
	s_cselect_b32 vcc_lo, -1, 0
	s_cmp_eq_u32 s52, 2
	s_cselect_b32 s6, -1, 0
	s_cmp_eq_u32 s52, 1
	s_cselect_b32 s7, -1, 0
	s_cmp_eq_u32 s52, 0
	s_add_nc_u64 s[52:53], s[52:53], 1
	s_cselect_b32 s8, -1, 0
	s_cmp_eq_u32 s56, s52
	s_wait_loadcnt_dscnt 0x0
	s_wait_alu 0xfffe
	v_dual_cndmask_b32 v15, v15, v4 :: v_dual_cndmask_b32 v14, v14, v3
	v_cndmask_b32_e64 v13, v13, v4, s6
	v_cndmask_b32_e64 v12, v12, v3, s6
	;; [unrolled: 1-line block ×6, first 2 shown]
	s_cbranch_scc0 .LBB264_24
.LBB264_25:                             ;   in Loop: Header=BB264_18 Depth=2
	s_and_not1_b32 vcc_lo, exec_lo, s58
	s_wait_alu 0xfffe
	s_cbranch_vccnz .LBB264_28
; %bb.26:                               ;   in Loop: Header=BB264_18 Depth=2
	v_mov_b32_e32 v16, 0
	v_dual_mov_b32 v20, 0 :: v_dual_mov_b32 v17, 0
	v_dual_mov_b32 v18, 0 :: v_dual_mov_b32 v21, 0
	;; [unrolled: 1-line block ×3, first 2 shown]
	v_mov_b32_e32 v23, 0
	v_dual_mov_b32 v1, v46 :: v_dual_mov_b32 v2, v47
	s_mov_b64 s[8:9], 0
.LBB264_27:                             ;   Parent Loop BB264_3 Depth=1
                                        ;     Parent Loop BB264_18 Depth=2
                                        ; =>    This Inner Loop Header: Depth=3
	s_delay_alu instid0(VALU_DEP_1) | instskip(SKIP_1) | instid1(VALU_DEP_2)
	v_add_co_u32 v3, vcc_lo, v1, s46
	s_wait_alu 0xfffd
	v_add_co_ci_u32_e64 v4, null, s47, v2, vcc_lo
	v_add_co_u32 v5, vcc_lo, v1, s44
	s_wait_alu 0xfffd
	v_add_co_ci_u32_e64 v6, null, s45, v2, vcc_lo
	;; [unrolled: 3-line block ×3, first 2 shown]
	s_clause 0x3
	flat_load_b64 v[58:59], v[1:2]
	flat_load_b64 v[3:4], v[3:4]
	;; [unrolled: 1-line block ×4, first 2 shown]
	s_wait_alu 0xfffe
	s_cmp_eq_u32 s8, 1
	s_cselect_b32 vcc_lo, -1, 0
	s_cmp_eq_u32 s8, 2
	s_wait_alu 0xfffe
	v_dual_cndmask_b32 v7, v9, v11 :: v_dual_cndmask_b32 v60, v8, v10
	s_cselect_b32 vcc_lo, -1, 0
	s_cmp_eq_u32 s8, 3
	s_add_nc_u64 s[8:9], s[8:9], 1
	s_wait_alu 0xfffe
	v_dual_cndmask_b32 v7, v7, v13 :: v_dual_cndmask_b32 v60, v60, v12
	s_cselect_b32 s6, -1, 0
	v_add_co_u32 v1, vcc_lo, v1, 8
	s_wait_alu 0xfffe
	s_delay_alu instid0(VALU_DEP_2)
	v_cndmask_b32_e64 v61, v7, v15, s6
	v_cndmask_b32_e64 v60, v60, v14, s6
	s_wait_alu 0xfffd
	v_add_co_ci_u32_e64 v2, null, 0, v2, vcc_lo
	s_cmp_lg_u32 s56, s8
	s_wait_loadcnt_dscnt 0x303
	v_fma_f64 v[16:17], v[60:61], v[58:59], v[16:17]
	s_wait_loadcnt_dscnt 0x202
	v_fma_f64 v[18:19], v[60:61], v[3:4], v[18:19]
	;; [unrolled: 2-line block ×4, first 2 shown]
	s_cbranch_scc1 .LBB264_27
	s_branch .LBB264_29
.LBB264_28:                             ;   in Loop: Header=BB264_18 Depth=2
	v_mov_b32_e32 v7, v0
	v_dual_mov_b32 v1, v0 :: v_dual_mov_b32 v2, v0
	v_dual_mov_b32 v3, v0 :: v_dual_mov_b32 v4, v0
	;; [unrolled: 1-line block ×3, first 2 shown]
	s_delay_alu instid0(VALU_DEP_4) | instskip(NEXT) | instid1(VALU_DEP_3)
	v_mov_b32_e32 v23, v7
	v_dual_mov_b32 v19, v3 :: v_dual_mov_b32 v18, v2
	s_delay_alu instid0(VALU_DEP_3) | instskip(NEXT) | instid1(VALU_DEP_4)
	v_dual_mov_b32 v21, v5 :: v_dual_mov_b32 v20, v4
	v_dual_mov_b32 v22, v6 :: v_dual_mov_b32 v17, v1
	v_mov_b32_e32 v16, v0
.LBB264_29:                             ;   in Loop: Header=BB264_18 Depth=2
	s_or_b32 exec_lo, exec_lo, s60
.LBB264_30:                             ;   in Loop: Header=BB264_18 Depth=2
	s_delay_alu instid0(SALU_CYCLE_1)
	s_or_b32 exec_lo, exec_lo, s11
	s_mov_b64 s[6:7], 0
	s_branch .LBB264_32
.LBB264_31:                             ;   in Loop: Header=BB264_32 Depth=3
	s_wait_alu 0xfffe
	s_or_b32 exec_lo, exec_lo, s8
	s_cmp_eq_u32 s6, 3
	s_cselect_b32 vcc_lo, -1, 0
	s_cmp_eq_u32 s6, 2
	s_wait_dscnt 0x0
	s_wait_alu 0xfffe
	s_delay_alu instid0(VALU_DEP_1)
	v_dual_cndmask_b32 v23, v23, v2 :: v_dual_cndmask_b32 v22, v22, v1
	s_cselect_b32 vcc_lo, -1, 0
	s_cmp_eq_u32 s6, 1
	s_wait_alu 0xfffe
	v_dual_cndmask_b32 v21, v21, v2 :: v_dual_cndmask_b32 v20, v20, v1
	s_cselect_b32 vcc_lo, -1, 0
	s_cmp_eq_u32 s6, 0
	s_wait_alu 0xfffe
	v_dual_cndmask_b32 v19, v19, v2 :: v_dual_cndmask_b32 v18, v18, v1
	s_cselect_b32 vcc_lo, -1, 0
	s_add_nc_u64 s[6:7], s[6:7], 1
	s_wait_alu 0xfffe
	v_dual_cndmask_b32 v17, v17, v2 :: v_dual_cndmask_b32 v16, v16, v1
	s_cmp_eq_u32 s6, 4
	s_cbranch_scc1 .LBB264_40
.LBB264_32:                             ;   Parent Loop BB264_3 Depth=1
                                        ;     Parent Loop BB264_18 Depth=2
                                        ; =>    This Inner Loop Header: Depth=3
	s_and_saveexec_b32 s8, s3
; %bb.33:                               ;   in Loop: Header=BB264_32 Depth=3
	v_mov_b32_e32 v1, v0
	ds_store_b64 v48, v[0:1]
; %bb.34:                               ;   in Loop: Header=BB264_32 Depth=3
	s_wait_alu 0xfffe
	s_or_b32 exec_lo, exec_lo, s8
	s_cmp_eq_u32 s6, 1
	s_wait_storecnt_dscnt 0x0
	s_cselect_b32 vcc_lo, -1, 0
	s_cmp_eq_u32 s6, 2
	s_wait_alu 0xfffe
	v_dual_cndmask_b32 v1, v17, v19 :: v_dual_cndmask_b32 v2, v16, v18
	s_cselect_b32 vcc_lo, -1, 0
	s_cmp_eq_u32 s6, 3
	s_barrier_signal -1
	s_wait_alu 0xfffe
	v_cndmask_b32_e32 v1, v1, v21, vcc_lo
	v_cndmask_b32_e32 v3, v2, v20, vcc_lo
	s_cselect_b32 vcc_lo, -1, 0
	s_barrier_wait -1
	global_inv scope:SCOPE_SE
	s_wait_alu 0xfffe
	v_dual_cndmask_b32 v2, v1, v23 :: v_dual_cndmask_b32 v1, v3, v22
	ds_bpermute_b32 v4, v51, v2
	ds_bpermute_b32 v3, v51, v1
	s_wait_dscnt 0x0
	v_add_f64_e32 v[1:2], v[1:2], v[3:4]
	ds_bpermute_b32 v3, v52, v1
	ds_bpermute_b32 v4, v52, v2
	s_wait_dscnt 0x0
	v_add_f64_e32 v[1:2], v[1:2], v[3:4]
	ds_bpermute_b32 v3, v53, v1
	ds_bpermute_b32 v4, v53, v2
	s_wait_dscnt 0x0
	v_add_f64_e32 v[1:2], v[1:2], v[3:4]
	ds_bpermute_b32 v3, v54, v1
	ds_bpermute_b32 v4, v54, v2
	s_wait_dscnt 0x0
	v_add_f64_e32 v[1:2], v[1:2], v[3:4]
	ds_bpermute_b32 v3, v55, v1
	ds_bpermute_b32 v4, v55, v2
	s_and_saveexec_b32 s8, s4
	s_cbranch_execz .LBB264_36
; %bb.35:                               ;   in Loop: Header=BB264_32 Depth=3
	s_wait_dscnt 0x0
	v_add_f64_e32 v[1:2], v[1:2], v[3:4]
	ds_store_b64 v49, v[1:2]
.LBB264_36:                             ;   in Loop: Header=BB264_32 Depth=3
	s_wait_alu 0xfffe
	s_or_b32 exec_lo, exec_lo, s8
	v_mov_b32_e32 v1, 0
	v_mov_b32_e32 v2, 0
	s_wait_loadcnt_dscnt 0x0
	s_barrier_signal -1
	s_barrier_wait -1
	global_inv scope:SCOPE_SE
	s_and_saveexec_b32 s8, s5
; %bb.37:                               ;   in Loop: Header=BB264_32 Depth=3
	ds_load_b64 v[1:2], v48
; %bb.38:                               ;   in Loop: Header=BB264_32 Depth=3
	s_wait_alu 0xfffe
	s_or_b32 exec_lo, exec_lo, s8
	s_and_saveexec_b32 s8, s3
	s_cbranch_execz .LBB264_31
; %bb.39:                               ;   in Loop: Header=BB264_32 Depth=3
	s_wait_dscnt 0x0
	ds_bpermute_b32 v3, v53, v1
	ds_bpermute_b32 v4, v53, v2
	s_wait_dscnt 0x0
	v_add_f64_e32 v[1:2], v[1:2], v[3:4]
	ds_bpermute_b32 v3, v54, v1
	ds_bpermute_b32 v4, v54, v2
	s_wait_dscnt 0x0
	v_add_f64_e32 v[1:2], v[1:2], v[3:4]
	;; [unrolled: 4-line block ×3, first 2 shown]
	s_branch .LBB264_31
.LBB264_40:                             ;   in Loop: Header=BB264_18 Depth=2
	s_and_saveexec_b32 s6, s0
	s_cbranch_execz .LBB264_17
; %bb.41:                               ;   in Loop: Header=BB264_18 Depth=2
	v_mul_f64_e32 v[1:2], s[14:15], v[16:17]
	v_mul_f64_e32 v[3:4], s[14:15], v[18:19]
	;; [unrolled: 1-line block ×4, first 2 shown]
	s_or_b32 s52, s24, 1
	s_mov_b32 s53, s25
	s_mul_u64 s[8:9], s[24:25], s[28:29]
	s_or_b32 s60, s24, 2
	s_mov_b32 s61, s25
	s_or_b32 s62, s24, 3
	s_mov_b32 s63, s25
	s_mul_u64 s[52:53], s[52:53], s[28:29]
	s_mul_u64 s[60:61], s[60:61], s[28:29]
	;; [unrolled: 1-line block ×3, first 2 shown]
	s_wait_alu 0xfffe
	s_lshl_b64 s[8:9], s[8:9], 3
	s_lshl_b64 s[52:53], s[52:53], 3
	s_wait_alu 0xfffe
	s_add_nc_u64 s[8:9], s[50:51], s[8:9]
	s_lshl_b64 s[60:61], s[60:61], 3
	s_lshl_b64 s[62:63], s[62:63], 3
	s_add_nc_u64 s[52:53], s[50:51], s[52:53]
	s_add_nc_u64 s[60:61], s[50:51], s[60:61]
	;; [unrolled: 1-line block ×3, first 2 shown]
	s_clause 0x3
	global_store_b64 v0, v[1:2], s[8:9]
	global_store_b64 v0, v[3:4], s[52:53]
	;; [unrolled: 1-line block ×4, first 2 shown]
	s_branch .LBB264_17
.LBB264_42:                             ;   in Loop: Header=BB264_3 Depth=1
	v_mov_b32_e32 v7, v0
	v_dual_mov_b32 v1, v0 :: v_dual_mov_b32 v2, v0
	v_dual_mov_b32 v3, v0 :: v_dual_mov_b32 v4, v0
	;; [unrolled: 1-line block ×3, first 2 shown]
	s_delay_alu instid0(VALU_DEP_4) | instskip(NEXT) | instid1(VALU_DEP_3)
	v_mov_b32_e32 v15, v7
	v_dual_mov_b32 v11, v3 :: v_dual_mov_b32 v10, v2
	s_delay_alu instid0(VALU_DEP_3) | instskip(NEXT) | instid1(VALU_DEP_4)
	v_dual_mov_b32 v13, v5 :: v_dual_mov_b32 v12, v4
	v_dual_mov_b32 v14, v6 :: v_dual_mov_b32 v9, v1
	v_mov_b32_e32 v8, v0
	s_mov_b32 s24, 0
.LBB264_43:                             ;   in Loop: Header=BB264_3 Depth=1
	s_wait_alu 0xfffe
	s_cmp_ge_i32 s24, s13
	s_cbranch_scc1 .LBB264_2
; %bb.44:                               ;   in Loop: Header=BB264_3 Depth=1
	v_cmp_gt_u32_e32 vcc_lo, 24, v50
	v_mad_co_u64_u32 v[2:3], null, s46, s24, v[34:35]
	s_wait_alu 0xfffd
	v_cndmask_b32_e64 v1, 0, 8, vcc_lo
	v_cmp_gt_u32_e32 vcc_lo, 28, v50
	s_delay_alu instid0(VALU_DEP_2) | instskip(SKIP_3) | instid1(VALU_DEP_2)
	v_add_lshl_u32 v38, v1, v50, 2
	s_wait_alu 0xfffd
	v_cndmask_b32_e64 v4, 0, 4, vcc_lo
	v_cmp_gt_u32_e32 vcc_lo, 30, v50
	v_add_lshl_u32 v39, v4, v50, 2
	s_wait_alu 0xfffd
	v_cndmask_b32_e64 v1, 0, 2, vcc_lo
	v_cmp_ne_u32_e32 vcc_lo, 31, v50
	s_delay_alu instid0(VALU_DEP_2)
	v_add_lshl_u32 v40, v1, v50, 2
	v_mov_b32_e32 v1, v3
	s_wait_alu 0xfffd
	v_add_co_ci_u32_e64 v5, null, 0, v50, vcc_lo
	v_add_co_u32 v4, vcc_lo, v36, v24
	s_wait_dscnt 0x0
	v_mad_co_u64_u32 v[20:21], null, s47, s24, v[1:2]
	s_delay_alu instid0(VALU_DEP_3)
	v_lshlrev_b32_e32 v41, 2, v5
	s_wait_alu 0xfffd
	v_add_co_ci_u32_e64 v5, null, v37, v25, vcc_lo
	v_add_co_u32 v6, vcc_lo, v36, v28
	s_wait_alu 0xfffd
	v_add_co_ci_u32_e64 v7, null, v37, v29, vcc_lo
	v_add_co_u32 v16, vcc_lo, v36, v30
	;; [unrolled: 3-line block ×3, first 2 shown]
	s_wait_alu 0xfffd
	v_add_co_ci_u32_e64 v19, null, v37, v33, vcc_lo
	v_mov_b32_e32 v3, v20
	s_branch .LBB264_46
.LBB264_45:                             ;   in Loop: Header=BB264_46 Depth=2
	s_wait_alu 0xfffe
	s_or_b32 exec_lo, exec_lo, s6
	v_add_co_u32 v2, vcc_lo, v2, s46
	s_wait_alu 0xfffd
	v_add_co_ci_u32_e64 v3, null, s47, v3, vcc_lo
	s_add_co_i32 s24, s24, 1
	s_wait_alu 0xfffe
	s_cmp_ge_i32 s24, s13
	s_cbranch_scc1 .LBB264_2
.LBB264_46:                             ;   Parent Loop BB264_3 Depth=1
                                        ; =>  This Loop Header: Depth=2
                                        ;       Child Loop BB264_59 Depth 3
                                        ;       Child Loop BB264_62 Depth 3
	s_wait_dscnt 0x0
	v_dual_mov_b32 v20, s25 :: v_dual_mov_b32 v21, s25
	s_and_saveexec_b32 s6, s1
	s_wait_alu 0xfffe
	s_xor_b32 s6, exec_lo, s6
	s_cbranch_execnz .LBB264_55
; %bb.47:                               ;   in Loop: Header=BB264_46 Depth=2
	s_wait_alu 0xfffe
	s_and_not1_saveexec_b32 s9, s6
	s_cbranch_execnz .LBB264_56
.LBB264_48:                             ;   in Loop: Header=BB264_46 Depth=2
	s_wait_alu 0xfffe
	s_or_b32 exec_lo, exec_lo, s9
	s_and_saveexec_b32 s6, s3
.LBB264_49:                             ;   in Loop: Header=BB264_46 Depth=2
	v_mov_b32_e32 v1, v0
	ds_store_b64 v48, v[0:1]
.LBB264_50:                             ;   in Loop: Header=BB264_46 Depth=2
	s_wait_alu 0xfffe
	s_or_b32 exec_lo, exec_lo, s6
	ds_bpermute_b32 v22, v51, v20
	ds_bpermute_b32 v23, v51, v21
	s_wait_storecnt 0x0
	s_wait_loadcnt_dscnt 0x0
	s_barrier_signal -1
	s_barrier_wait -1
	global_inv scope:SCOPE_SE
	v_add_f64_e32 v[20:21], v[20:21], v[22:23]
	ds_bpermute_b32 v22, v38, v20
	ds_bpermute_b32 v23, v38, v21
	s_wait_dscnt 0x0
	v_add_f64_e32 v[20:21], v[20:21], v[22:23]
	ds_bpermute_b32 v22, v39, v20
	ds_bpermute_b32 v23, v39, v21
	s_wait_dscnt 0x0
	;; [unrolled: 4-line block ×3, first 2 shown]
	v_add_f64_e32 v[20:21], v[20:21], v[22:23]
	ds_bpermute_b32 v22, v41, v20
	ds_bpermute_b32 v23, v41, v21
	s_and_saveexec_b32 s6, s4
	s_cbranch_execz .LBB264_52
; %bb.51:                               ;   in Loop: Header=BB264_46 Depth=2
	s_wait_dscnt 0x0
	v_add_f64_e32 v[20:21], v[20:21], v[22:23]
	ds_store_b64 v49, v[20:21]
.LBB264_52:                             ;   in Loop: Header=BB264_46 Depth=2
	s_wait_alu 0xfffe
	s_or_b32 exec_lo, exec_lo, s6
	v_mov_b32_e32 v20, 0
	v_mov_b32_e32 v21, 0
	s_wait_loadcnt_dscnt 0x0
	s_barrier_signal -1
	s_barrier_wait -1
	global_inv scope:SCOPE_SE
	s_and_saveexec_b32 s6, s5
	s_cbranch_execnz .LBB264_64
; %bb.53:                               ;   in Loop: Header=BB264_46 Depth=2
	s_wait_alu 0xfffe
	s_or_b32 exec_lo, exec_lo, s6
	s_and_saveexec_b32 s6, s3
	s_cbranch_execnz .LBB264_65
.LBB264_54:                             ;   in Loop: Header=BB264_46 Depth=2
	s_wait_alu 0xfffe
	s_or_b32 exec_lo, exec_lo, s6
	s_and_saveexec_b32 s6, s0
	s_cbranch_execz .LBB264_45
	s_branch .LBB264_66
.LBB264_55:                             ;   in Loop: Header=BB264_46 Depth=2
	s_mul_u64 s[8:9], s[24:25], s[26:27]
	s_wait_alu 0xfffe
	s_lshl_b64 s[8:9], s[8:9], 3
	s_wait_alu 0xfffe
	v_add_co_u32 v12, vcc_lo, v34, s8
	s_wait_alu 0xfffd
	v_add_co_ci_u32_e64 v13, null, s9, v35, vcc_lo
	flat_load_b128 v[20:23], v[12:13]
	s_clause 0x1
	flat_load_b64 v[8:9], v[4:5]
	flat_load_b64 v[10:11], v[6:7]
	flat_load_b128 v[42:45], v[12:13] offset:16
	s_clause 0x1
	flat_load_b64 v[12:13], v[16:17]
	flat_load_b64 v[14:15], v[18:19]
	s_wait_loadcnt_dscnt 0x404
	v_fma_f64 v[20:21], v[8:9], v[20:21], 0
	s_wait_loadcnt_dscnt 0x303
	s_delay_alu instid0(VALU_DEP_1) | instskip(SKIP_1) | instid1(VALU_DEP_1)
	v_fma_f64 v[20:21], v[10:11], v[22:23], v[20:21]
	s_wait_loadcnt_dscnt 0x101
	v_fma_f64 v[20:21], v[12:13], v[42:43], v[20:21]
	s_wait_loadcnt_dscnt 0x0
	s_delay_alu instid0(VALU_DEP_1)
	v_fma_f64 v[20:21], v[14:15], v[44:45], v[20:21]
	s_and_not1_saveexec_b32 s9, s6
	s_cbranch_execz .LBB264_48
.LBB264_56:                             ;   in Loop: Header=BB264_46 Depth=2
	s_and_saveexec_b32 s11, s2
	s_cbranch_execz .LBB264_63
; %bb.57:                               ;   in Loop: Header=BB264_46 Depth=2
	s_and_not1_b32 vcc_lo, exec_lo, s58
	s_wait_alu 0xfffe
	s_cbranch_vccnz .LBB264_60
; %bb.58:                               ;   in Loop: Header=BB264_46 Depth=2
	v_dual_mov_b32 v23, v5 :: v_dual_mov_b32 v22, v4
	s_mov_b64 s[52:53], 0
.LBB264_59:                             ;   Parent Loop BB264_3 Depth=1
                                        ;     Parent Loop BB264_46 Depth=2
                                        ; =>    This Inner Loop Header: Depth=3
	flat_load_b64 v[36:37], v[22:23]
	s_cmp_eq_u32 s52, 3
	v_add_co_u32 v22, vcc_lo, v22, s38
	s_wait_alu 0xfffd
	v_add_co_ci_u32_e64 v23, null, s39, v23, vcc_lo
	s_cselect_b32 vcc_lo, -1, 0
	s_cmp_eq_u32 s52, 2
	s_cselect_b32 s6, -1, 0
	s_cmp_eq_u32 s52, 1
	s_cselect_b32 s7, -1, 0
	s_cmp_eq_u32 s52, 0
	s_add_nc_u64 s[52:53], s[52:53], 1
	s_cselect_b32 s8, -1, 0
	s_cmp_eq_u32 s56, s52
	s_wait_loadcnt_dscnt 0x0
	s_wait_alu 0xfffe
	v_dual_cndmask_b32 v15, v15, v37 :: v_dual_cndmask_b32 v14, v14, v36
	v_cndmask_b32_e64 v13, v13, v37, s6
	v_cndmask_b32_e64 v12, v12, v36, s6
	;; [unrolled: 1-line block ×6, first 2 shown]
	s_cbranch_scc0 .LBB264_59
.LBB264_60:                             ;   in Loop: Header=BB264_46 Depth=2
	s_and_not1_b32 vcc_lo, exec_lo, s58
	s_wait_alu 0xfffe
	s_cbranch_vccnz .LBB264_63
; %bb.61:                               ;   in Loop: Header=BB264_46 Depth=2
	v_dual_mov_b32 v23, v3 :: v_dual_mov_b32 v22, v2
	s_mov_b64 s[6:7], 0
.LBB264_62:                             ;   Parent Loop BB264_3 Depth=1
                                        ;     Parent Loop BB264_46 Depth=2
                                        ; =>    This Inner Loop Header: Depth=3
	flat_load_b64 v[36:37], v[22:23]
	s_wait_alu 0xfffe
	s_cmp_eq_u32 s6, 1
	s_cselect_b32 vcc_lo, -1, 0
	s_cmp_eq_u32 s6, 2
	s_wait_alu 0xfffe
	v_dual_cndmask_b32 v1, v9, v11 :: v_dual_cndmask_b32 v42, v8, v10
	s_cselect_b32 vcc_lo, -1, 0
	s_cmp_eq_u32 s6, 3
	s_add_nc_u64 s[6:7], s[6:7], 1
	s_wait_alu 0xfffe
	v_dual_cndmask_b32 v1, v1, v13 :: v_dual_cndmask_b32 v42, v42, v12
	s_cselect_b32 vcc_lo, -1, 0
	s_cmp_lg_u32 s56, s6
	s_wait_alu 0xfffe
	s_delay_alu instid0(VALU_DEP_1)
	v_dual_cndmask_b32 v43, v1, v15 :: v_dual_cndmask_b32 v42, v42, v14
	v_add_co_u32 v22, vcc_lo, v22, 8
	s_wait_alu 0xfffd
	v_add_co_ci_u32_e64 v23, null, 0, v23, vcc_lo
	s_wait_loadcnt_dscnt 0x0
	v_fma_f64 v[20:21], v[42:43], v[36:37], v[20:21]
	s_cbranch_scc1 .LBB264_62
.LBB264_63:                             ;   in Loop: Header=BB264_46 Depth=2
	s_or_b32 exec_lo, exec_lo, s11
	s_wait_alu 0xfffe
	s_or_b32 exec_lo, exec_lo, s9
	s_and_saveexec_b32 s6, s3
	s_cbranch_execnz .LBB264_49
	s_branch .LBB264_50
.LBB264_64:                             ;   in Loop: Header=BB264_46 Depth=2
	ds_load_b64 v[20:21], v48
	s_wait_alu 0xfffe
	s_or_b32 exec_lo, exec_lo, s6
	s_and_saveexec_b32 s6, s3
	s_cbranch_execz .LBB264_54
.LBB264_65:                             ;   in Loop: Header=BB264_46 Depth=2
	s_wait_dscnt 0x0
	ds_bpermute_b32 v22, v39, v20
	ds_bpermute_b32 v23, v39, v21
	s_wait_dscnt 0x0
	v_add_f64_e32 v[20:21], v[20:21], v[22:23]
	ds_bpermute_b32 v22, v40, v20
	ds_bpermute_b32 v23, v40, v21
	s_wait_dscnt 0x0
	v_add_f64_e32 v[20:21], v[20:21], v[22:23]
	;; [unrolled: 4-line block ×3, first 2 shown]
	s_wait_alu 0xfffe
	s_or_b32 exec_lo, exec_lo, s6
	s_and_saveexec_b32 s6, s0
	s_cbranch_execz .LBB264_45
.LBB264_66:                             ;   in Loop: Header=BB264_46 Depth=2
	s_wait_dscnt 0x0
	s_delay_alu instid0(VALU_DEP_1)
	v_mul_f64_e32 v[20:21], s[14:15], v[20:21]
	s_mul_u64 s[8:9], s[24:25], s[28:29]
	s_wait_alu 0xfffe
	s_lshl_b64 s[8:9], s[8:9], 3
	s_wait_alu 0xfffe
	s_add_nc_u64 s[8:9], s[50:51], s[8:9]
	global_store_b64 v0, v[20:21], s[8:9]
	s_branch .LBB264_45
.LBB264_67:
	s_endpgm
	.section	.rodata,"a",@progbits
	.p2align	6, 0x0
	.amdhsa_kernel _ZL23rocblas_gemvt_sn_kernelILb0ELi256ELi4ElPKdddEviiT4_lPKT3_lilS5_lilPT5_i
		.amdhsa_group_segment_fixed_size 256
		.amdhsa_private_segment_fixed_size 0
		.amdhsa_kernarg_size 360
		.amdhsa_user_sgpr_count 2
		.amdhsa_user_sgpr_dispatch_ptr 0
		.amdhsa_user_sgpr_queue_ptr 0
		.amdhsa_user_sgpr_kernarg_segment_ptr 1
		.amdhsa_user_sgpr_dispatch_id 0
		.amdhsa_user_sgpr_private_segment_size 0
		.amdhsa_wavefront_size32 1
		.amdhsa_uses_dynamic_stack 0
		.amdhsa_enable_private_segment 0
		.amdhsa_system_sgpr_workgroup_id_x 1
		.amdhsa_system_sgpr_workgroup_id_y 0
		.amdhsa_system_sgpr_workgroup_id_z 1
		.amdhsa_system_sgpr_workgroup_info 0
		.amdhsa_system_vgpr_workitem_id 0
		.amdhsa_next_free_vgpr 76
		.amdhsa_next_free_sgpr 64
		.amdhsa_reserve_vcc 1
		.amdhsa_float_round_mode_32 0
		.amdhsa_float_round_mode_16_64 0
		.amdhsa_float_denorm_mode_32 3
		.amdhsa_float_denorm_mode_16_64 3
		.amdhsa_fp16_overflow 0
		.amdhsa_workgroup_processor_mode 1
		.amdhsa_memory_ordered 1
		.amdhsa_forward_progress 1
		.amdhsa_inst_pref_size 34
		.amdhsa_round_robin_scheduling 0
		.amdhsa_exception_fp_ieee_invalid_op 0
		.amdhsa_exception_fp_denorm_src 0
		.amdhsa_exception_fp_ieee_div_zero 0
		.amdhsa_exception_fp_ieee_overflow 0
		.amdhsa_exception_fp_ieee_underflow 0
		.amdhsa_exception_fp_ieee_inexact 0
		.amdhsa_exception_int_div_zero 0
	.end_amdhsa_kernel
	.section	.text._ZL23rocblas_gemvt_sn_kernelILb0ELi256ELi4ElPKdddEviiT4_lPKT3_lilS5_lilPT5_i,"axG",@progbits,_ZL23rocblas_gemvt_sn_kernelILb0ELi256ELi4ElPKdddEviiT4_lPKT3_lilS5_lilPT5_i,comdat
.Lfunc_end264:
	.size	_ZL23rocblas_gemvt_sn_kernelILb0ELi256ELi4ElPKdddEviiT4_lPKT3_lilS5_lilPT5_i, .Lfunc_end264-_ZL23rocblas_gemvt_sn_kernelILb0ELi256ELi4ElPKdddEviiT4_lPKT3_lilS5_lilPT5_i
                                        ; -- End function
	.set _ZL23rocblas_gemvt_sn_kernelILb0ELi256ELi4ElPKdddEviiT4_lPKT3_lilS5_lilPT5_i.num_vgpr, 76
	.set _ZL23rocblas_gemvt_sn_kernelILb0ELi256ELi4ElPKdddEviiT4_lPKT3_lilS5_lilPT5_i.num_agpr, 0
	.set _ZL23rocblas_gemvt_sn_kernelILb0ELi256ELi4ElPKdddEviiT4_lPKT3_lilS5_lilPT5_i.numbered_sgpr, 64
	.set _ZL23rocblas_gemvt_sn_kernelILb0ELi256ELi4ElPKdddEviiT4_lPKT3_lilS5_lilPT5_i.num_named_barrier, 0
	.set _ZL23rocblas_gemvt_sn_kernelILb0ELi256ELi4ElPKdddEviiT4_lPKT3_lilS5_lilPT5_i.private_seg_size, 0
	.set _ZL23rocblas_gemvt_sn_kernelILb0ELi256ELi4ElPKdddEviiT4_lPKT3_lilS5_lilPT5_i.uses_vcc, 1
	.set _ZL23rocblas_gemvt_sn_kernelILb0ELi256ELi4ElPKdddEviiT4_lPKT3_lilS5_lilPT5_i.uses_flat_scratch, 1
	.set _ZL23rocblas_gemvt_sn_kernelILb0ELi256ELi4ElPKdddEviiT4_lPKT3_lilS5_lilPT5_i.has_dyn_sized_stack, 0
	.set _ZL23rocblas_gemvt_sn_kernelILb0ELi256ELi4ElPKdddEviiT4_lPKT3_lilS5_lilPT5_i.has_recursion, 0
	.set _ZL23rocblas_gemvt_sn_kernelILb0ELi256ELi4ElPKdddEviiT4_lPKT3_lilS5_lilPT5_i.has_indirect_call, 0
	.section	.AMDGPU.csdata,"",@progbits
; Kernel info:
; codeLenInByte = 4260
; TotalNumSgprs: 66
; NumVgprs: 76
; ScratchSize: 0
; MemoryBound: 1
; FloatMode: 240
; IeeeMode: 1
; LDSByteSize: 256 bytes/workgroup (compile time only)
; SGPRBlocks: 0
; VGPRBlocks: 9
; NumSGPRsForWavesPerEU: 66
; NumVGPRsForWavesPerEU: 76
; Occupancy: 16
; WaveLimiterHint : 0
; COMPUTE_PGM_RSRC2:SCRATCH_EN: 0
; COMPUTE_PGM_RSRC2:USER_SGPR: 2
; COMPUTE_PGM_RSRC2:TRAP_HANDLER: 0
; COMPUTE_PGM_RSRC2:TGID_X_EN: 1
; COMPUTE_PGM_RSRC2:TGID_Y_EN: 0
; COMPUTE_PGM_RSRC2:TGID_Z_EN: 1
; COMPUTE_PGM_RSRC2:TIDIG_COMP_CNT: 0
	.section	.text._ZL23rocblas_gemvt_sn_reduceILi256ELi8EddKPdEviT2_lPT3_lilPT1_i,"axG",@progbits,_ZL23rocblas_gemvt_sn_reduceILi256ELi8EddKPdEviT2_lPT3_lilPT1_i,comdat
	.globl	_ZL23rocblas_gemvt_sn_reduceILi256ELi8EddKPdEviT2_lPT3_lilPT1_i ; -- Begin function _ZL23rocblas_gemvt_sn_reduceILi256ELi8EddKPdEviT2_lPT3_lilPT1_i
	.p2align	8
	.type	_ZL23rocblas_gemvt_sn_reduceILi256ELi8EddKPdEviT2_lPT3_lilPT1_i,@function
_ZL23rocblas_gemvt_sn_reduceILi256ELi8EddKPdEviT2_lPT3_lilPT1_i: ; @_ZL23rocblas_gemvt_sn_reduceILi256ELi8EddKPdEviT2_lPT3_lilPT1_i
; %bb.0:
	s_load_b32 s7, s[0:1], 0x40
	s_lshr_b32 s12, ttmp7, 16
	s_wait_kmcnt 0x0
	s_cmp_ge_u32 s12, s7
	s_cbranch_scc1 .LBB265_21
; %bb.1:
	s_clause 0x6
	s_load_b32 s14, s[0:1], 0x0
	s_load_b32 s22, s[0:1], 0x28
	;; [unrolled: 1-line block ×3, first 2 shown]
	s_load_b128 s[8:11], s[0:1], 0x18
	s_load_b64 s[16:17], s[0:1], 0x38
	s_load_b32 s26, s[0:1], 0x4c
	s_load_b64 s[18:19], s[0:1], 0x8
	v_mbcnt_lo_u32_b32 v3, -1, 0
	v_dual_mov_b32 v1, 0 :: v_dual_and_b32 v2, 31, v0
	v_lshlrev_b32_e32 v13, 3, v0
	v_cmp_gt_u32_e64 s0, 32, v0
	s_delay_alu instid0(VALU_DEP_4)
	v_cmp_gt_u32_e32 vcc_lo, 24, v3
	v_cmp_gt_u32_e64 s4, 8, v0
	v_lshlrev_b32_e32 v14, 3, v2
	v_cmp_eq_u32_e64 s3, 0, v2
	v_lshlrev_b32_e32 v2, 6, v0
	v_cndmask_b32_e64 v4, 0, 8, vcc_lo
	v_cmp_gt_u32_e32 vcc_lo, 28, v3
	v_cmp_eq_u32_e64 s5, 0, v0
	s_wait_kmcnt 0x0
	s_ashr_i32 s15, s14, 31
	v_xad_u32 v5, v0, -1, s14
	s_lshr_b32 s1, s15, 29
	s_wait_alu 0xfffd
	v_cndmask_b32_e64 v7, 0, 4, vcc_lo
	v_cmp_gt_u32_e32 vcc_lo, 30, v3
	s_add_co_i32 s1, s14, s1
	v_cmp_neq_f64_e64 s30, s[18:19], 0
	s_and_b32 s27, s1, -8
	s_and_b32 s6, s2, 0xffff
	s_wait_alu 0xfffd
	v_cndmask_b32_e64 v8, 0, 2, vcc_lo
	v_cmp_ne_u32_e32 vcc_lo, 31, v3
	s_sub_co_i32 s2, s14, s27
	v_add_lshl_u32 v16, v4, v3, 2
	v_cmp_gt_u32_e64 s2, s2, v0
	v_lshrrev_b32_e32 v4, 2, v0
	v_add_co_u32 v0, s24, s16, v2
	v_mov_b32_e32 v6, v1
	s_wait_alu 0xfffd
	v_add_co_ci_u32_e64 v9, null, 0, v3, vcc_lo
	v_add_co_ci_u32_e64 v2, null, s17, 0, s24
	s_mov_b32 s13, 0
	v_lshl_or_b32 v15, v3, 2, 64
	v_add_lshl_u32 v17, v7, v3, 2
	v_add_lshl_u32 v18, v8, v3, 2
	v_add_co_u32 v3, vcc_lo, v0, 56
	s_and_b32 s20, ttmp7, 0xffff
	s_ashr_i32 s23, s22, 31
	s_mov_b32 s21, s13
	v_lshlrev_b64_e32 v[5:6], 3, v[5:6]
	v_cmp_gt_i32_e64 s1, s27, v13
	v_lshlrev_b32_e32 v19, 2, v9
	v_and_b32_e32 v20, 56, v4
	s_wait_alu 0xfffd
	v_add_co_ci_u32_e64 v4, null, 0, v2, vcc_lo
	s_mul_u64 s[24:25], s[22:23], s[20:21]
	s_mul_i32 s21, s12, s26
	s_lshl_b32 s28, s6, 3
	s_lshl_b64 s[22:23], s[14:15], 3
	s_add_co_i32 s21, s20, s21
	s_lshl_b32 s29, s26, 16
	s_lshl_b32 s31, s6, 6
	s_lshl_b64 s[10:11], s[10:11], 3
	s_wait_alu 0xfffe
	s_lshl_b64 s[24:25], s[24:25], 3
	s_branch .LBB265_4
.LBB265_2:                              ;   in Loop: Header=BB265_4 Depth=1
	v_add_co_u32 v7, vcc_lo, v0, s24
	s_wait_alu 0xfffd
	v_add_co_ci_u32_e64 v8, null, s25, v2, vcc_lo
	s_wait_dscnt 0x0
	flat_store_b64 v[7:8], v[9:10]
.LBB265_3:                              ;   in Loop: Header=BB265_4 Depth=1
	s_wait_alu 0xfffe
	s_or_b32 exec_lo, exec_lo, s6
	s_add_co_i32 s12, s12, 0x10000
	s_add_co_i32 s21, s21, s29
	s_cmp_lt_u32 s12, s7
	s_cbranch_scc0 .LBB265_21
.LBB265_4:                              ; =>This Loop Header: Depth=1
                                        ;     Child Loop BB265_14 Depth 2
	s_lshl_b64 s[34:35], s[12:13], 3
	s_wait_dscnt 0x0
	v_mov_b32_e32 v9, 0
	s_wait_alu 0xfffe
	s_add_nc_u64 s[34:35], s[8:9], s[34:35]
	v_mov_b32_e32 v10, 0
	global_load_b64 v[7:8], v1, s[34:35]
	s_and_saveexec_b32 s33, s1
	s_cbranch_execnz .LBB265_13
; %bb.5:                                ;   in Loop: Header=BB265_4 Depth=1
	s_or_b32 exec_lo, exec_lo, s33
	s_and_saveexec_b32 s6, s2
	s_cbranch_execnz .LBB265_16
.LBB265_6:                              ;   in Loop: Header=BB265_4 Depth=1
	s_wait_alu 0xfffe
	s_or_b32 exec_lo, exec_lo, s6
	s_and_saveexec_b32 s6, s0
.LBB265_7:                              ;   in Loop: Header=BB265_4 Depth=1
	v_mov_b32_e32 v2, v1
	ds_store_b64 v14, v[1:2]
.LBB265_8:                              ;   in Loop: Header=BB265_4 Depth=1
	s_wait_alu 0xfffe
	s_or_b32 exec_lo, exec_lo, s6
	ds_bpermute_b32 v11, v15, v9
	ds_bpermute_b32 v12, v15, v10
	s_wait_loadcnt_dscnt 0x0
	s_barrier_signal -1
	s_barrier_wait -1
	global_inv scope:SCOPE_SE
	v_add_f64_e32 v[9:10], v[9:10], v[11:12]
	ds_bpermute_b32 v11, v16, v9
	ds_bpermute_b32 v12, v16, v10
	s_wait_dscnt 0x0
	v_add_f64_e32 v[9:10], v[9:10], v[11:12]
	ds_bpermute_b32 v11, v17, v9
	ds_bpermute_b32 v12, v17, v10
	s_wait_dscnt 0x0
	;; [unrolled: 4-line block ×3, first 2 shown]
	v_add_f64_e32 v[9:10], v[9:10], v[11:12]
	ds_bpermute_b32 v11, v19, v9
	ds_bpermute_b32 v12, v19, v10
	s_and_saveexec_b32 s6, s3
	s_cbranch_execz .LBB265_10
; %bb.9:                                ;   in Loop: Header=BB265_4 Depth=1
	s_wait_dscnt 0x0
	v_add_f64_e32 v[9:10], v[9:10], v[11:12]
	ds_store_b64 v20, v[9:10]
.LBB265_10:                             ;   in Loop: Header=BB265_4 Depth=1
	s_wait_alu 0xfffe
	s_or_b32 exec_lo, exec_lo, s6
	v_mov_b32_e32 v9, 0
	v_mov_b32_e32 v10, 0
	s_wait_loadcnt_dscnt 0x0
	s_barrier_signal -1
	s_barrier_wait -1
	global_inv scope:SCOPE_SE
	s_and_saveexec_b32 s6, s4
	s_cbranch_execnz .LBB265_17
; %bb.11:                               ;   in Loop: Header=BB265_4 Depth=1
	s_wait_alu 0xfffe
	s_or_b32 exec_lo, exec_lo, s6
	s_and_saveexec_b32 s6, s0
	s_cbranch_execnz .LBB265_18
.LBB265_12:                             ;   in Loop: Header=BB265_4 Depth=1
	s_wait_alu 0xfffe
	s_or_b32 exec_lo, exec_lo, s6
	s_and_saveexec_b32 s6, s5
	s_cbranch_execz .LBB265_3
	s_branch .LBB265_19
.LBB265_13:                             ;   in Loop: Header=BB265_4 Depth=1
	v_mad_co_u64_u32 v[11:12], null, s22, s21, v[3:4]
	s_mov_b32 s34, 0
	v_mov_b32_e32 v9, 0
	v_mov_b32_e32 v10, 0
	;; [unrolled: 1-line block ×3, first 2 shown]
	s_delay_alu instid0(VALU_DEP_1) | instskip(SKIP_1) | instid1(VALU_DEP_2)
	v_mad_co_u64_u32 v[21:22], null, s23, s21, v[0:1]
	v_mov_b32_e32 v0, v13
	v_mov_b32_e32 v12, v21
.LBB265_14:                             ;   Parent Loop BB265_4 Depth=1
                                        ; =>  This Inner Loop Header: Depth=2
	s_clause 0x3
	global_load_b128 v[21:24], v[11:12], off offset:-56
	global_load_b128 v[25:28], v[11:12], off offset:-40
	;; [unrolled: 1-line block ×4, first 2 shown]
	v_add_nc_u32_e32 v0, s28, v0
	v_add_co_u32 v11, s6, v11, s31
	s_wait_alu 0xf1ff
	v_add_co_ci_u32_e64 v12, null, 0, v12, s6
	s_delay_alu instid0(VALU_DEP_3) | instskip(SKIP_4) | instid1(VALU_DEP_1)
	v_cmp_le_i32_e32 vcc_lo, s27, v0
	s_wait_alu 0xfffe
	s_or_b32 s34, vcc_lo, s34
	s_wait_loadcnt 0x3
	v_add_f64_e32 v[9:10], v[9:10], v[21:22]
	v_add_f64_e32 v[9:10], v[9:10], v[23:24]
	s_wait_loadcnt 0x2
	s_delay_alu instid0(VALU_DEP_1) | instskip(NEXT) | instid1(VALU_DEP_1)
	v_add_f64_e32 v[9:10], v[9:10], v[25:26]
	v_add_f64_e32 v[9:10], v[9:10], v[27:28]
	s_wait_loadcnt 0x1
	s_delay_alu instid0(VALU_DEP_1) | instskip(NEXT) | instid1(VALU_DEP_1)
	;; [unrolled: 4-line block ×3, first 2 shown]
	v_add_f64_e32 v[9:10], v[9:10], v[33:34]
	v_add_f64_e32 v[9:10], v[9:10], v[35:36]
	s_wait_alu 0xfffe
	s_and_not1_b32 exec_lo, exec_lo, s34
	s_cbranch_execnz .LBB265_14
; %bb.15:                               ;   in Loop: Header=BB265_4 Depth=1
	s_or_b32 exec_lo, exec_lo, s34
	s_delay_alu instid0(SALU_CYCLE_1)
	s_or_b32 exec_lo, exec_lo, s33
	s_and_saveexec_b32 s6, s2
	s_cbranch_execz .LBB265_6
.LBB265_16:                             ;   in Loop: Header=BB265_4 Depth=1
	s_mul_i32 s33, s26, s12
	s_mov_b32 s35, s13
	s_add_co_i32 s34, s33, s20
	s_wait_alu 0xfffe
	s_mul_u64 s[34:35], s[34:35], s[14:15]
	s_wait_alu 0xfffe
	s_lshl_b64 s[34:35], s[34:35], 3
	s_wait_alu 0xfffe
	s_add_nc_u64 s[34:35], s[16:17], s[34:35]
	s_wait_alu 0xfffe
	v_add_co_u32 v11, vcc_lo, s34, v5
	s_wait_alu 0xfffd
	v_add_co_ci_u32_e64 v12, null, s35, v6, vcc_lo
	global_load_b64 v[11:12], v[11:12], off
	s_wait_loadcnt 0x0
	v_add_f64_e32 v[9:10], v[9:10], v[11:12]
	s_or_b32 exec_lo, exec_lo, s6
	s_and_saveexec_b32 s6, s0
	s_cbranch_execnz .LBB265_7
	s_branch .LBB265_8
.LBB265_17:                             ;   in Loop: Header=BB265_4 Depth=1
	ds_load_b64 v[9:10], v14
	s_wait_alu 0xfffe
	s_or_b32 exec_lo, exec_lo, s6
	s_and_saveexec_b32 s6, s0
	s_cbranch_execz .LBB265_12
.LBB265_18:                             ;   in Loop: Header=BB265_4 Depth=1
	s_wait_dscnt 0x0
	ds_bpermute_b32 v11, v17, v9
	ds_bpermute_b32 v12, v17, v10
	s_wait_dscnt 0x0
	v_add_f64_e32 v[9:10], v[9:10], v[11:12]
	ds_bpermute_b32 v11, v18, v9
	ds_bpermute_b32 v12, v18, v10
	s_wait_dscnt 0x0
	v_add_f64_e32 v[9:10], v[9:10], v[11:12]
	ds_bpermute_b32 v11, v19, v9
	ds_bpermute_b32 v12, v19, v10
	s_wait_dscnt 0x0
	v_add_f64_e32 v[9:10], v[9:10], v[11:12]
	s_wait_alu 0xfffe
	s_or_b32 exec_lo, exec_lo, s6
	s_and_saveexec_b32 s6, s5
	s_cbranch_execz .LBB265_3
.LBB265_19:                             ;   in Loop: Header=BB265_4 Depth=1
	v_add_co_u32 v0, vcc_lo, v7, s10
	s_wait_alu 0xfffd
	v_add_co_ci_u32_e64 v2, null, s11, v8, vcc_lo
	s_and_not1_b32 vcc_lo, exec_lo, s30
	s_wait_alu 0xfffe
	s_cbranch_vccnz .LBB265_2
; %bb.20:                               ;   in Loop: Header=BB265_4 Depth=1
	v_add_co_u32 v7, vcc_lo, v0, s24
	s_wait_alu 0xfffd
	v_add_co_ci_u32_e64 v8, null, s25, v2, vcc_lo
	flat_load_b64 v[7:8], v[7:8]
	s_wait_loadcnt_dscnt 0x0
	v_fma_f64 v[9:10], s[18:19], v[7:8], v[9:10]
	s_branch .LBB265_2
.LBB265_21:
	s_endpgm
	.section	.rodata,"a",@progbits
	.p2align	6, 0x0
	.amdhsa_kernel _ZL23rocblas_gemvt_sn_reduceILi256ELi8EddKPdEviT2_lPT3_lilPT1_i
		.amdhsa_group_segment_fixed_size 256
		.amdhsa_private_segment_fixed_size 0
		.amdhsa_kernarg_size 328
		.amdhsa_user_sgpr_count 2
		.amdhsa_user_sgpr_dispatch_ptr 0
		.amdhsa_user_sgpr_queue_ptr 0
		.amdhsa_user_sgpr_kernarg_segment_ptr 1
		.amdhsa_user_sgpr_dispatch_id 0
		.amdhsa_user_sgpr_private_segment_size 0
		.amdhsa_wavefront_size32 1
		.amdhsa_uses_dynamic_stack 0
		.amdhsa_enable_private_segment 0
		.amdhsa_system_sgpr_workgroup_id_x 1
		.amdhsa_system_sgpr_workgroup_id_y 1
		.amdhsa_system_sgpr_workgroup_id_z 1
		.amdhsa_system_sgpr_workgroup_info 0
		.amdhsa_system_vgpr_workitem_id 0
		.amdhsa_next_free_vgpr 37
		.amdhsa_next_free_sgpr 36
		.amdhsa_reserve_vcc 1
		.amdhsa_float_round_mode_32 0
		.amdhsa_float_round_mode_16_64 0
		.amdhsa_float_denorm_mode_32 3
		.amdhsa_float_denorm_mode_16_64 3
		.amdhsa_fp16_overflow 0
		.amdhsa_workgroup_processor_mode 1
		.amdhsa_memory_ordered 1
		.amdhsa_forward_progress 1
		.amdhsa_inst_pref_size 11
		.amdhsa_round_robin_scheduling 0
		.amdhsa_exception_fp_ieee_invalid_op 0
		.amdhsa_exception_fp_denorm_src 0
		.amdhsa_exception_fp_ieee_div_zero 0
		.amdhsa_exception_fp_ieee_overflow 0
		.amdhsa_exception_fp_ieee_underflow 0
		.amdhsa_exception_fp_ieee_inexact 0
		.amdhsa_exception_int_div_zero 0
	.end_amdhsa_kernel
	.section	.text._ZL23rocblas_gemvt_sn_reduceILi256ELi8EddKPdEviT2_lPT3_lilPT1_i,"axG",@progbits,_ZL23rocblas_gemvt_sn_reduceILi256ELi8EddKPdEviT2_lPT3_lilPT1_i,comdat
.Lfunc_end265:
	.size	_ZL23rocblas_gemvt_sn_reduceILi256ELi8EddKPdEviT2_lPT3_lilPT1_i, .Lfunc_end265-_ZL23rocblas_gemvt_sn_reduceILi256ELi8EddKPdEviT2_lPT3_lilPT1_i
                                        ; -- End function
	.set _ZL23rocblas_gemvt_sn_reduceILi256ELi8EddKPdEviT2_lPT3_lilPT1_i.num_vgpr, 37
	.set _ZL23rocblas_gemvt_sn_reduceILi256ELi8EddKPdEviT2_lPT3_lilPT1_i.num_agpr, 0
	.set _ZL23rocblas_gemvt_sn_reduceILi256ELi8EddKPdEviT2_lPT3_lilPT1_i.numbered_sgpr, 36
	.set _ZL23rocblas_gemvt_sn_reduceILi256ELi8EddKPdEviT2_lPT3_lilPT1_i.num_named_barrier, 0
	.set _ZL23rocblas_gemvt_sn_reduceILi256ELi8EddKPdEviT2_lPT3_lilPT1_i.private_seg_size, 0
	.set _ZL23rocblas_gemvt_sn_reduceILi256ELi8EddKPdEviT2_lPT3_lilPT1_i.uses_vcc, 1
	.set _ZL23rocblas_gemvt_sn_reduceILi256ELi8EddKPdEviT2_lPT3_lilPT1_i.uses_flat_scratch, 0
	.set _ZL23rocblas_gemvt_sn_reduceILi256ELi8EddKPdEviT2_lPT3_lilPT1_i.has_dyn_sized_stack, 0
	.set _ZL23rocblas_gemvt_sn_reduceILi256ELi8EddKPdEviT2_lPT3_lilPT1_i.has_recursion, 0
	.set _ZL23rocblas_gemvt_sn_reduceILi256ELi8EddKPdEviT2_lPT3_lilPT1_i.has_indirect_call, 0
	.section	.AMDGPU.csdata,"",@progbits
; Kernel info:
; codeLenInByte = 1340
; TotalNumSgprs: 38
; NumVgprs: 37
; ScratchSize: 0
; MemoryBound: 1
; FloatMode: 240
; IeeeMode: 1
; LDSByteSize: 256 bytes/workgroup (compile time only)
; SGPRBlocks: 0
; VGPRBlocks: 4
; NumSGPRsForWavesPerEU: 38
; NumVGPRsForWavesPerEU: 37
; Occupancy: 16
; WaveLimiterHint : 1
; COMPUTE_PGM_RSRC2:SCRATCH_EN: 0
; COMPUTE_PGM_RSRC2:USER_SGPR: 2
; COMPUTE_PGM_RSRC2:TRAP_HANDLER: 0
; COMPUTE_PGM_RSRC2:TGID_X_EN: 1
; COMPUTE_PGM_RSRC2:TGID_Y_EN: 1
; COMPUTE_PGM_RSRC2:TGID_Z_EN: 1
; COMPUTE_PGM_RSRC2:TIDIG_COMP_CNT: 0
	.section	.text._ZL36rocblas_gemvt_double_buffered_kernelILb0ELi128ELi4ELi16EPKdS1_KPdEviiT4_lPKT3_lilS7_lilPT5_lili,"axG",@progbits,_ZL36rocblas_gemvt_double_buffered_kernelILb0ELi128ELi4ELi16EPKdS1_KPdEviiT4_lPKT3_lilS7_lilPT5_lili,comdat
	.globl	_ZL36rocblas_gemvt_double_buffered_kernelILb0ELi128ELi4ELi16EPKdS1_KPdEviiT4_lPKT3_lilS7_lilPT5_lili ; -- Begin function _ZL36rocblas_gemvt_double_buffered_kernelILb0ELi128ELi4ELi16EPKdS1_KPdEviiT4_lPKT3_lilS7_lilPT5_lili
	.p2align	8
	.type	_ZL36rocblas_gemvt_double_buffered_kernelILb0ELi128ELi4ELi16EPKdS1_KPdEviiT4_lPKT3_lilS7_lilPT5_lili,@function
_ZL36rocblas_gemvt_double_buffered_kernelILb0ELi128ELi4ELi16EPKdS1_KPdEviiT4_lPKT3_lilS7_lilPT5_lili: ; @_ZL36rocblas_gemvt_double_buffered_kernelILb0ELi128ELi4ELi16EPKdS1_KPdEviiT4_lPKT3_lilS7_lilPT5_lili
; %bb.0:
	s_load_b32 s33, s[0:1], 0x78
	s_lshr_b32 s2, ttmp7, 16
	s_wait_kmcnt 0x0
	s_cmp_ge_u32 s2, s33
	s_cbranch_scc1 .LBB266_16
; %bb.1:
	s_clause 0x3
	s_load_b32 s3, s[0:1], 0x0
	s_load_b32 s34, s[0:1], 0x28
	;; [unrolled: 1-line block ×4, first 2 shown]
	v_dual_mov_b32 v4, 0 :: v_dual_and_b32 v7, 0x3ff, v0
	v_bfe_u32 v2, v0, 10, 10
	v_and_b32_e32 v3, 63, v0
	s_clause 0x1
	s_load_b128 s[12:15], s[0:1], 0x38
	s_load_b128 s[16:19], s[0:1], 0x58
	v_add_nc_u32_e32 v11, 1, v7
	s_load_b256 s[4:11], s[0:1], 0x8
	v_lshl_add_u32 v5, v2, 7, v7
	s_add_nc_u64 s[22:23], s[0:1], 0x80
	v_lshlrev_b32_e32 v149, 3, v3
	v_add_nc_u32_e32 v12, 4, v7
	s_lshl_b32 s30, ttmp9, 7
	v_lshrrev_b32_e32 v6, 2, v5
	v_lshlrev_b32_e32 v5, 1, v5
	s_ashr_i32 s31, s30, 31
	s_and_b32 s42, ttmp7, 0xffff
	s_wait_kmcnt 0x0
	s_ashr_i32 s0, s3, 31
	v_and_b32_e32 v8, 0x7ff0, v6
	s_lshr_b32 s0, s0, 25
	v_lshl_or_b32 v17, v6, 9, 0x1e00
	s_add_co_i32 s3, s3, s0
	v_cmp_eq_u32_e64 s0, 0, v2
	v_lshlrev_b32_e32 v2, 9, v7
	v_and_b32_e32 v6, 63, v11
	v_mad_co_i64_i32 v[9:10], null, s34, v8, v[3:4]
	v_lshlrev_b32_e32 v16, 9, v8
	v_add_nc_u32_e32 v8, 2, v7
	v_or_b32_e32 v13, v2, v149
	v_lshl_or_b32 v6, v6, 3, v2
	v_add_nc_u32_e32 v11, 3, v7
	v_xor_b32_e32 v3, 32, v3
	v_and_b32_e32 v5, 0x3ff80, v5
	s_clause 0x1
	scratch_store_b32 off, v13, off
	scratch_store_b32 off, v6, off offset:4
	v_and_b32_e32 v6, 63, v8
	v_and_b32_e32 v8, 63, v11
	;; [unrolled: 1-line block ×3, first 2 shown]
	v_add_nc_u32_e32 v12, 5, v7
	v_add_nc_u32_e32 v13, 6, v7
	v_lshl_or_b32 v6, v6, 3, v2
	v_lshl_or_b32 v182, v3, 3, v2
	s_ashr_i32 s35, s34, 31
	s_ashr_i32 s29, s28, 31
	s_wait_alu 0xfffe
	s_mul_u64 s[40:41], s[34:35], s[30:31]
	scratch_store_b32 off, v6, off offset:8 ; 4-byte Folded Spill
	v_lshl_or_b32 v6, v8, 3, v2
	v_and_b32_e32 v8, 63, v13
	v_add_nc_u32_e32 v13, 9, v7
	s_mul_u64 s[38:39], s[28:29], s[30:31]
	s_lshl_b64 s[30:31], s[30:31], 3
	scratch_store_b32 off, v6, off offset:12 ; 4-byte Folded Spill
	v_lshl_or_b32 v6, v11, 3, v2
	v_add_nc_u32_e32 v11, 7, v7
	v_add_co_u32 v15, s1, v5, s30
	s_delay_alu instid0(VALU_DEP_1)
	v_add_co_ci_u32_e64 v5, null, 0, s31, s1
	scratch_store_b32 off, v6, off offset:16 ; 4-byte Folded Spill
	v_and_b32_e32 v6, 63, v12
	v_add_nc_u32_e32 v12, 8, v7
	s_lshl_b64 s[10:11], s[10:11], 3
	v_mul_lo_u32 v18, v5, s34
	v_or_b32_e32 v14, 24, v15
	v_lshl_or_b32 v6, v6, 3, v2
	v_cvt_f64_i32_e32 v[0:1], s42
	v_lshlrev_b64_e32 v[9:10], 3, v[9:10]
	v_add_nc_u32_e32 v244, v149, v16
	v_mul_lo_u32 v19, v14, s35
	scratch_store_b32 off, v6, off offset:20 ; 4-byte Folded Spill
	v_lshl_or_b32 v6, v8, 3, v2
	v_and_b32_e32 v8, 63, v12
	v_add_nc_u32_e32 v12, 10, v7
	v_add_nc_u32_e32 v245, v149, v17
	s_ashr_i32 s21, s20, 31
	scratch_store_b32 off, v6, off offset:24 ; 4-byte Folded Spill
	v_and_b32_e32 v6, 63, v11
	v_and_b32_e32 v11, 63, v13
	v_add_nc_u32_e32 v13, 11, v7
	s_ashr_i32 s24, s3, 7
	s_mov_b32 s3, 0
	v_lshl_or_b32 v6, v6, 3, v2
	s_mul_u64 s[36:37], s[34:35], 15
	s_lshl_b64 s[26:27], s[20:21], 10
	s_mov_b32 s25, s3
	s_lshl_b64 s[14:15], s[14:15], 3
	scratch_store_b32 off, v6, off offset:28 ; 4-byte Folded Spill
	v_lshl_or_b32 v6, v8, 3, v2
	v_and_b32_e32 v8, 63, v13
	v_add_nc_u32_e32 v13, 14, v7
	s_lshl_b64 s[36:37], s[36:37], 3
	s_lshl_b64 s[18:19], s[18:19], 3
	scratch_store_b32 off, v6, off offset:32 ; 4-byte Folded Spill
	v_lshl_or_b32 v6, v11, 3, v2
	v_add_nc_u32_e32 v11, 12, v7
	s_lshl_b64 s[38:39], s[38:39], 3
	scratch_store_b32 off, v6, off offset:36 ; 4-byte Folded Spill
	v_and_b32_e32 v6, 63, v12
	v_add_nc_u32_e32 v12, 13, v7
	s_delay_alu instid0(VALU_DEP_2)
	v_lshl_or_b32 v6, v6, 3, v2
	scratch_store_b32 off, v6, off offset:40 ; 4-byte Folded Spill
	v_lshl_or_b32 v6, v8, 3, v2
	v_and_b32_e32 v8, 63, v12
	v_add_nc_u32_e32 v12, 15, v7
	scratch_store_b32 off, v6, off offset:44 ; 4-byte Folded Spill
	v_and_b32_e32 v6, 63, v11
	v_and_b32_e32 v11, 63, v13
	v_add_nc_u32_e32 v13, 16, v7
	s_delay_alu instid0(VALU_DEP_3)
	v_lshl_or_b32 v6, v6, 3, v2
	scratch_store_b32 off, v6, off offset:48 ; 4-byte Folded Spill
	v_lshl_or_b32 v6, v8, 3, v2
	v_and_b32_e32 v8, 63, v13
	v_add_nc_u32_e32 v13, 19, v7
	scratch_store_b32 off, v6, off offset:52 ; 4-byte Folded Spill
	v_lshl_or_b32 v6, v11, 3, v2
	v_add_nc_u32_e32 v11, 17, v7
	scratch_store_b32 off, v6, off offset:56 ; 4-byte Folded Spill
	v_and_b32_e32 v6, 63, v12
	v_add_nc_u32_e32 v12, 18, v7
	s_delay_alu instid0(VALU_DEP_2)
	v_lshl_or_b32 v6, v6, 3, v2
	scratch_store_b32 off, v6, off offset:60 ; 4-byte Folded Spill
	v_lshl_or_b32 v6, v8, 3, v2
	v_and_b32_e32 v8, 63, v12
	v_add_nc_u32_e32 v12, 20, v7
	scratch_store_b32 off, v6, off offset:64 ; 4-byte Folded Spill
	v_and_b32_e32 v6, 63, v11
	v_and_b32_e32 v11, 63, v13
	v_add_nc_u32_e32 v13, 21, v7
	s_delay_alu instid0(VALU_DEP_3)
	v_lshl_or_b32 v6, v6, 3, v2
	scratch_store_b32 off, v6, off offset:68 ; 4-byte Folded Spill
	v_lshl_or_b32 v6, v8, 3, v2
	v_and_b32_e32 v8, 63, v13
	v_add_nc_u32_e32 v13, 24, v7
	scratch_store_b32 off, v6, off offset:72 ; 4-byte Folded Spill
	v_lshl_or_b32 v6, v11, 3, v2
	v_add_nc_u32_e32 v11, 22, v7
	scratch_store_b32 off, v6, off offset:76 ; 4-byte Folded Spill
	v_and_b32_e32 v6, 63, v12
	v_add_nc_u32_e32 v12, 23, v7
	s_delay_alu instid0(VALU_DEP_2)
	v_lshl_or_b32 v6, v6, 3, v2
	scratch_store_b32 off, v6, off offset:80 ; 4-byte Folded Spill
	v_lshl_or_b32 v6, v8, 3, v2
	v_and_b32_e32 v8, 63, v12
	v_add_nc_u32_e32 v12, 25, v7
	scratch_store_b32 off, v6, off offset:84 ; 4-byte Folded Spill
	v_and_b32_e32 v6, 63, v11
	v_and_b32_e32 v11, 63, v13
	v_add_nc_u32_e32 v13, 26, v7
	s_delay_alu instid0(VALU_DEP_3) | instskip(NEXT) | instid1(VALU_DEP_3)
	v_lshl_or_b32 v6, v6, 3, v2
	v_lshl_or_b32 v174, v11, 3, v2
	v_add_nc_u32_e32 v11, 27, v7
	scratch_store_b32 off, v6, off offset:88 ; 4-byte Folded Spill
	v_lshl_or_b32 v6, v8, 3, v2
	v_and_b32_e32 v8, 63, v13
	v_add_nc_u32_e32 v13, 29, v7
	scratch_store_b32 off, v6, off offset:92 ; 4-byte Folded Spill
	v_and_b32_e32 v6, 63, v12
	v_add_nc_u32_e32 v12, 28, v7
	v_lshl_or_b32 v176, v8, 3, v2
	s_delay_alu instid0(VALU_DEP_3) | instskip(SKIP_1) | instid1(VALU_DEP_4)
	v_lshl_or_b32 v175, v6, 3, v2
	v_and_b32_e32 v6, 63, v11
	v_and_b32_e32 v8, 63, v12
	;; [unrolled: 1-line block ×3, first 2 shown]
	v_add_nc_u32_e32 v12, 30, v7
	v_add_nc_u32_e32 v13, 31, v7
	v_lshl_or_b32 v177, v6, 3, v2
	v_lshl_or_b32 v178, v8, 3, v2
	;; [unrolled: 1-line block ×3, first 2 shown]
	v_and_b32_e32 v6, 63, v12
	v_and_b32_e32 v8, 63, v13
	v_add_nc_u32_e32 v11, 33, v7
	v_add_nc_u32_e32 v12, 34, v7
	s_delay_alu instid0(VALU_DEP_4) | instskip(NEXT) | instid1(VALU_DEP_4)
	v_lshl_or_b32 v180, v6, 3, v2
	v_lshl_or_b32 v181, v8, 3, v2
	s_delay_alu instid0(VALU_DEP_4) | instskip(NEXT) | instid1(VALU_DEP_4)
	v_and_b32_e32 v6, 63, v11
	v_and_b32_e32 v3, 63, v12
	v_add_nc_u32_e32 v8, 35, v7
	v_add_nc_u32_e32 v11, 36, v7
	;; [unrolled: 1-line block ×3, first 2 shown]
	v_lshl_or_b32 v183, v6, 3, v2
	v_add_nc_u32_e32 v6, 37, v7
	v_lshl_or_b32 v184, v3, 3, v2
	v_and_b32_e32 v3, 63, v8
	v_and_b32_e32 v8, 63, v11
	v_add_nc_u32_e32 v11, 38, v7
	v_and_b32_e32 v6, 63, v6
	s_delay_alu instid0(VALU_DEP_4) | instskip(NEXT) | instid1(VALU_DEP_4)
	v_lshl_or_b32 v185, v3, 3, v2
	v_lshl_or_b32 v186, v8, 3, v2
	s_delay_alu instid0(VALU_DEP_4) | instskip(NEXT) | instid1(VALU_DEP_4)
	v_and_b32_e32 v3, 63, v11
	v_lshl_or_b32 v187, v6, 3, v2
	v_and_b32_e32 v6, 63, v12
	v_add_nc_u32_e32 v8, 40, v7
	v_add_nc_u32_e32 v11, 41, v7
	v_lshl_or_b32 v188, v3, 3, v2
	v_add_nc_u32_e32 v3, 42, v7
	v_lshl_or_b32 v189, v6, 3, v2
	v_and_b32_e32 v6, 63, v8
	v_and_b32_e32 v8, 63, v11
	v_add_nc_u32_e32 v11, 43, v7
	v_and_b32_e32 v3, 63, v3
	v_add_nc_u32_e32 v12, 44, v7
	v_lshl_or_b32 v190, v6, 3, v2
	v_lshl_or_b32 v191, v8, 3, v2
	v_and_b32_e32 v6, 63, v11
	v_lshl_or_b32 v192, v3, 3, v2
	v_and_b32_e32 v3, 63, v12
	v_add_nc_u32_e32 v8, 45, v7
	v_add_nc_u32_e32 v11, 46, v7
	v_lshl_or_b32 v193, v6, 3, v2
	v_add_nc_u32_e32 v6, 47, v7
	v_lshl_or_b32 v194, v3, 3, v2
	v_and_b32_e32 v3, 63, v8
	v_and_b32_e32 v8, 63, v11
	v_add_nc_u32_e32 v11, 48, v7
	v_and_b32_e32 v6, 63, v6
	v_add_nc_u32_e32 v12, 49, v7
	v_lshl_or_b32 v195, v3, 3, v2
	v_lshl_or_b32 v196, v8, 3, v2
	;; [unrolled: 15-line block ×4, first 2 shown]
	v_and_b32_e32 v3, 63, v11
	v_lshl_or_b32 v207, v6, 3, v2
	v_and_b32_e32 v6, 63, v12
	v_add_nc_u32_e32 v8, 60, v7
	v_add_nc_u32_e32 v11, 61, v7
	v_lshl_or_b32 v208, v3, 3, v2
	v_add_nc_u32_e32 v3, 62, v7
	v_lshl_or_b32 v209, v6, 3, v2
	v_and_b32_e32 v6, 63, v8
	v_and_b32_e32 v8, 63, v11
	v_add_nc_u32_e32 v11, -1, v7
	v_and_b32_e32 v3, 63, v3
	s_delay_alu instid0(VALU_DEP_4) | instskip(NEXT) | instid1(VALU_DEP_4)
	v_lshl_or_b32 v210, v6, 3, v2
	v_lshl_or_b32 v211, v8, 3, v2
	v_mul_lo_u32 v8, v15, s35
	s_delay_alu instid0(VALU_DEP_4) | instskip(SKIP_3) | instid1(VALU_DEP_3)
	v_lshl_or_b32 v212, v3, 3, v2
	v_and_b32_e32 v3, 63, v11
	v_mad_co_u64_u32 v[5:6], null, v15, s34, s[10:11]
	v_mad_co_i64_i32 v[11:12], null, s28, v7, 0
	v_lshl_or_b32 v213, v3, 3, v2
	v_or_b32_e32 v2, 8, v15
	v_or_b32_e32 v7, 16, v15
	s_lshl_b64 s[28:29], s[34:35], 3
	v_add3_u32 v6, v18, v6, v8
	s_wait_alu 0xfffe
	s_sub_nc_u64 s[30:31], 0, s[28:29]
	v_mul_lo_u32 v13, v2, s35
	v_mad_co_u64_u32 v[2:3], null, v2, s34, s[10:11]
	v_lshlrev_b64_e32 v[11:12], 3, v[11:12]
	s_delay_alu instid0(VALU_DEP_2) | instskip(SKIP_3) | instid1(VALU_DEP_1)
	v_add3_u32 v3, v18, v3, v13
	v_mul_lo_u32 v13, v7, s35
	v_mad_co_u64_u32 v[7:8], null, v7, s34, s[10:11]
	v_add_co_u32 v214, vcc_lo, 0x400, v2
	v_add_co_ci_u32_e64 v215, null, 0, v3, vcc_lo
	v_mad_co_u64_u32 v[2:3], null, v14, s34, s[10:11]
	s_delay_alu instid0(VALU_DEP_4)
	v_add3_u32 v8, v18, v8, v13
	v_or_b32_e32 v13, 32, v15
	v_add_co_u32 v216, vcc_lo, 0x400, v7
	v_or_b32_e32 v14, 40, v15
	s_wait_alu 0xfffd
	v_add_co_ci_u32_e64 v217, null, 0, v8, vcc_lo
	v_add3_u32 v3, v18, v3, v19
	v_mul_lo_u32 v19, v13, s35
	v_mad_co_u64_u32 v[7:8], null, v13, s34, s[10:11]
	v_mul_lo_u32 v20, v14, s35
	v_mad_co_u64_u32 v[13:14], null, v14, s34, s[10:11]
	v_add_co_u32 v218, vcc_lo, 0x400, v2
	s_wait_alu 0xfffd
	v_add_co_ci_u32_e64 v219, null, 0, v3, vcc_lo
	v_add3_u32 v2, v18, v8, v19
	v_or_b32_e32 v3, 48, v15
	v_add_co_u32 v220, vcc_lo, 0x400, v7
	v_add3_u32 v7, v18, v14, v20
	s_wait_alu 0xfffd
	v_add_co_ci_u32_e64 v221, null, 0, v2, vcc_lo
	v_mul_lo_u32 v14, v3, s35
	v_mad_co_u64_u32 v[2:3], null, v3, s34, s[10:11]
	v_or_b32_e32 v8, 56, v15
	v_add_co_u32 v222, vcc_lo, 0x400, v13
	s_wait_alu 0xfffd
	v_add_co_ci_u32_e64 v223, null, 0, v7, vcc_lo
	s_delay_alu instid0(VALU_DEP_3)
	v_mul_lo_u32 v13, v8, s35
	v_add3_u32 v3, v18, v3, v14
	v_or_b32_e32 v14, 64, v15
	v_mad_co_u64_u32 v[7:8], null, v8, s34, s[10:11]
	v_add_co_u32 v224, vcc_lo, 0x400, v2
	s_wait_alu 0xfffd
	v_add_co_ci_u32_e64 v225, null, 0, v3, vcc_lo
	v_or_b32_e32 v19, 0x48, v15
	v_mul_lo_u32 v20, v14, s35
	v_mad_co_u64_u32 v[2:3], null, v14, s34, s[10:11]
	v_add3_u32 v8, v18, v8, v13
	s_delay_alu instid0(VALU_DEP_4)
	v_mul_lo_u32 v21, v19, s35
	v_mad_co_u64_u32 v[13:14], null, v19, s34, s[10:11]
	v_add_co_u32 v226, vcc_lo, 0x400, v7
	v_add3_u32 v3, v18, v3, v20
	v_or_b32_e32 v7, 0x50, v15
	s_wait_alu 0xfffd
	v_add_co_ci_u32_e64 v227, null, 0, v8, vcc_lo
	v_add_co_u32 v228, vcc_lo, 0x400, v2
	s_wait_alu 0xfffd
	v_add_co_ci_u32_e64 v229, null, 0, v3, vcc_lo
	v_add3_u32 v8, v18, v14, v21
	v_mul_lo_u32 v14, v7, s35
	v_mad_co_u64_u32 v[2:3], null, v7, s34, s[10:11]
	v_or_b32_e32 v7, 0x58, v15
	v_add_co_u32 v230, vcc_lo, 0x400, v13
	s_wait_alu 0xfffd
	v_add_co_ci_u32_e64 v231, null, 0, v8, vcc_lo
	s_delay_alu instid0(VALU_DEP_3)
	v_mul_lo_u32 v13, v7, s35
	v_mad_co_u64_u32 v[7:8], null, v7, s34, s[10:11]
	v_add3_u32 v3, v18, v3, v14
	v_add_co_u32 v232, vcc_lo, 0x400, v2
	v_or_b32_e32 v14, 0x60, v15
	v_or_b32_e32 v19, 0x68, v15
	s_wait_alu 0xfffd
	v_add_co_ci_u32_e64 v233, null, 0, v3, vcc_lo
	v_add3_u32 v8, v18, v8, v13
	v_add_co_u32 v234, vcc_lo, 0x400, v7
	v_mul_lo_u32 v20, v14, s35
	v_mad_co_u64_u32 v[2:3], null, v14, s34, s[10:11]
	s_wait_alu 0xfffd
	v_add_co_ci_u32_e64 v235, null, 0, v8, vcc_lo
	v_max_num_f64_e32 v[7:8], v[0:1], v[0:1]
	v_mul_lo_u32 v21, v19, s35
	v_mad_co_u64_u32 v[13:14], null, v19, s34, s[10:11]
	v_or_b32_e32 v19, 0x70, v15
	v_or_b32_e32 v15, 0x78, v15
	v_add3_u32 v3, v18, v3, v20
	v_add_co_u32 v236, vcc_lo, 0x400, v2
	s_delay_alu instid0(VALU_DEP_4)
	v_mad_co_u64_u32 v[0:1], null, v19, s34, s[10:11]
	v_add3_u32 v20, v18, v14, v21
	v_mul_lo_u32 v21, v19, s35
	v_mul_lo_u32 v19, v15, s35
	v_mad_co_u64_u32 v[14:15], null, v15, s34, s[10:11]
	s_wait_alu 0xfffd
	v_add_co_ci_u32_e64 v237, null, 0, v3, vcc_lo
	v_add_co_u32 v238, vcc_lo, 0x400, v13
	v_add3_u32 v1, v18, v1, v21
	s_wait_alu 0xfffd
	v_add_co_ci_u32_e64 v239, null, 0, v20, vcc_lo
	v_add3_u32 v2, v18, v15, v19
	v_add_co_u32 v240, vcc_lo, 0x400, v0
	s_wait_alu 0xfffd
	v_add_co_ci_u32_e64 v241, null, 0, v1, vcc_lo
	v_add_co_u32 v242, vcc_lo, 0x400, v14
	s_wait_alu 0xfffd
	v_add_co_ci_u32_e64 v243, null, 0, v2, vcc_lo
	s_lshl_b64 s[34:35], s[40:41], 3
	s_branch .LBB266_4
.LBB266_2:                              ;   in Loop: Header=BB266_4 Depth=1
	s_wait_alu 0xfffe
	s_or_b32 exec_lo, exec_lo, s1
.LBB266_3:                              ;   in Loop: Header=BB266_4 Depth=1
	s_add_co_i32 s2, s2, 0x10000
	s_delay_alu instid0(SALU_CYCLE_1)
	s_cmp_lt_u32 s2, s33
	s_cbranch_scc0 .LBB266_16
.LBB266_4:                              ; =>This Loop Header: Depth=1
                                        ;     Child Loop BB266_8 Depth 2
                                        ;     Child Loop BB266_15 Depth 2
	s_mul_u64 s[40:41], s[6:7], s[2:3]
	s_wait_alu 0xfffe
	s_lshl_b64 s[40:41], s[40:41], 3
	s_wait_alu 0xfffe
	s_add_nc_u64 s[40:41], s[4:5], s[40:41]
	global_load_b64 v[0:1], v4, s[40:41]
	s_wait_loadcnt 0x0
	v_cmp_eq_f64_e32 vcc_lo, 0, v[0:1]
	s_cbranch_vccnz .LBB266_3
; %bb.5:                                ;   in Loop: Header=BB266_4 Depth=1
	s_load_b32 s1, s[22:23], 0x4
	s_wait_kmcnt 0x0
	s_cvt_f32_u32 s40, s1
	s_sub_co_i32 s41, 0, s1
	s_wait_alu 0xfffe
	s_delay_alu instid0(SALU_CYCLE_1) | instskip(NEXT) | instid1(TRANS32_DEP_1)
	v_rcp_iflag_f32_e32 v2, s40
	v_readfirstlane_b32 s40, v2
	s_mul_f32 s40, s40, 0x4f7ffffe
	s_wait_alu 0xfffe
	s_delay_alu instid0(SALU_CYCLE_2) | instskip(SKIP_1) | instid1(SALU_CYCLE_2)
	s_cvt_u32_f32 s40, s40
	s_wait_alu 0xfffe
	s_mul_i32 s41, s41, s40
	s_wait_alu 0xfffe
	s_mul_hi_u32 s41, s40, s41
	s_wait_alu 0xfffe
	s_add_co_i32 s40, s40, s41
	s_mov_b32 s41, s3
	s_wait_alu 0xfffe
	s_mul_u64 s[40:41], s[24:25], s[40:41]
	s_wait_alu 0xfffe
	s_mul_i32 s40, s41, s1
	s_add_co_i32 s43, s41, 1
	s_wait_alu 0xfffe
	s_sub_co_i32 s40, s24, s40
	s_wait_alu 0xfffe
	s_sub_co_i32 s44, s40, s1
	s_cmp_ge_u32 s40, s1
	s_cselect_b32 s41, s43, s41
	s_wait_alu 0xfffe
	s_cselect_b32 s40, s44, s40
	s_add_co_i32 s43, s41, 1
	s_wait_alu 0xfffe
	s_cmp_ge_u32 s40, s1
	s_cselect_b32 s43, s43, s41
	s_wait_alu 0xfffe
	s_mul_i32 s1, s43, s1
	s_wait_alu 0xfffe
	s_sub_co_i32 s44, s24, s1
	s_wait_alu 0xfffe
	s_cmp_lt_u32 s42, s44
	s_cselect_b32 s1, -1, 0
	s_wait_alu 0xfffe
	s_cmp_lg_u32 s1, 0
	s_add_co_ci_u32 s1, s43, 0
	s_wait_alu 0xfffe
	s_cmp_eq_u32 s1, 0
	s_cbranch_scc1 .LBB266_3
; %bb.6:                                ;   in Loop: Header=BB266_4 Depth=1
	s_lshl_b64 s[40:41], s[2:3], 3
	s_cmp_lt_i32 s1, 1
	s_wait_alu 0xfffe
	s_add_nc_u64 s[46:47], s[16:17], s[40:41]
	global_load_b64 v[2:3], v4, s[46:47]
	s_cbranch_scc1 .LBB266_12
; %bb.7:                                ;   in Loop: Header=BB266_4 Depth=1
	s_add_nc_u64 s[46:47], s[8:9], s[40:41]
	v_cvt_f64_u32_e32 v[13:14], s44
	global_load_b64 v[81:82], v4, s[46:47]
	s_mul_i32 s43, s43, s42
	s_add_nc_u64 s[40:41], s[12:13], s[40:41]
	s_wait_alu 0xfffe
	v_cvt_f64_u32_e32 v[15:16], s43
	global_load_b64 v[83:84], v4, s[40:41]
	v_or_b32_e32 v47, 0x200, v149
	v_mov_b32_e32 v51, 0
	v_mov_b32_e32 v67, 0
	;; [unrolled: 1-line block ×6, first 2 shown]
	v_dual_mov_b32 v73, 0 :: v_dual_mov_b32 v52, 0
	v_dual_mov_b32 v53, 0 :: v_dual_mov_b32 v68, 0
	;; [unrolled: 1-line block ×8, first 2 shown]
	v_mov_b32_e32 v70, 0
	v_mov_b32_e32 v60, 0
	;; [unrolled: 1-line block ×5, first 2 shown]
	v_dual_mov_b32 v72, 0 :: v_dual_mov_b32 v55, 0
	v_mov_b32_e32 v56, 0
	v_min_num_f64_e32 v[13:14], v[7:8], v[13:14]
	s_delay_alu instid0(VALU_DEP_1) | instskip(NEXT) | instid1(VALU_DEP_1)
	v_add_f64_e32 v[13:14], v[13:14], v[15:16]
	v_cvt_i32_f64_e32 v13, v[13:14]
	s_delay_alu instid0(VALU_DEP_1)
	v_readfirstlane_b32 s40, v13
	s_lshl_b32 s40, s40, 7
	s_wait_alu 0xfffe
	s_ashr_i32 s41, s40, 31
	s_wait_alu 0xfffe
	s_lshl_b64 s[40:41], s[40:41], 3
	s_wait_alu 0xfffe
	v_or_b32_e32 v47, s40, v47
	v_or_b32_e32 v49, s40, v149
	s_mul_i32 s43, s20, s41
	s_delay_alu instid0(VALU_DEP_2) | instskip(SKIP_1) | instid1(VALU_DEP_3)
	v_mul_lo_u32 v85, s21, v47
	v_mad_co_u64_u32 v[47:48], null, s20, v47, 0
	v_mul_lo_u32 v86, s21, v49
	v_mad_co_u64_u32 v[49:50], null, s20, v49, 0
	s_wait_alu 0xfffe
	s_delay_alu instid0(VALU_DEP_3) | instskip(NEXT) | instid1(VALU_DEP_2)
	v_add3_u32 v48, v48, s43, v85
	v_add3_u32 v50, v50, s43, v86
	s_wait_loadcnt 0x1
	v_add_co_u32 v13, vcc_lo, v81, s10
	s_wait_alu 0xfffd
	v_add_co_ci_u32_e64 v14, null, s11, v82, vcc_lo
	s_delay_alu instid0(VALU_DEP_2) | instskip(SKIP_1) | instid1(VALU_DEP_2)
	v_add_co_u32 v13, vcc_lo, v13, s34
	s_wait_alu 0xfffd
	v_add_co_ci_u32_e64 v14, null, s35, v14, vcc_lo
	s_delay_alu instid0(VALU_DEP_2) | instskip(SKIP_1) | instid1(VALU_DEP_2)
	;; [unrolled: 4-line block ×7, first 2 shown]
	v_add_co_u32 v21, vcc_lo, v19, s30
	s_wait_alu 0xfffd
	v_add_co_ci_u32_e64 v22, null, s31, v20, vcc_lo
	s_clause 0x2
	flat_load_b64 v[13:14], v[13:14]
	flat_load_b64 v[15:16], v[15:16]
	;; [unrolled: 1-line block ×3, first 2 shown]
	v_add_co_u32 v23, vcc_lo, v21, s30
	s_wait_alu 0xfffd
	v_add_co_ci_u32_e64 v24, null, s31, v22, vcc_lo
	s_delay_alu instid0(VALU_DEP_2) | instskip(SKIP_1) | instid1(VALU_DEP_2)
	v_add_co_u32 v25, vcc_lo, v23, s30
	s_wait_alu 0xfffd
	v_add_co_ci_u32_e64 v26, null, s31, v24, vcc_lo
	s_delay_alu instid0(VALU_DEP_2) | instskip(SKIP_1) | instid1(VALU_DEP_2)
	v_add_co_u32 v27, vcc_lo, v25, s30
	s_wait_alu 0xfffd
	v_add_co_ci_u32_e64 v28, null, s31, v26, vcc_lo
	s_clause 0x2
	flat_load_b64 v[21:22], v[21:22]
	flat_load_b64 v[23:24], v[23:24]
	flat_load_b64 v[25:26], v[25:26]
	v_add_co_u32 v29, vcc_lo, v27, s30
	s_wait_alu 0xfffd
	v_add_co_ci_u32_e64 v30, null, s31, v28, vcc_lo
	flat_load_b64 v[27:28], v[27:28]
	v_add_co_u32 v31, vcc_lo, v29, s30
	s_wait_alu 0xfffd
	v_add_co_ci_u32_e64 v32, null, s31, v30, vcc_lo
	flat_load_b64 v[29:30], v[29:30]
	;; [unrolled: 4-line block ×4, first 2 shown]
	v_add_co_u32 v37, vcc_lo, v35, s30
	s_wait_alu 0xfffd
	v_add_co_ci_u32_e64 v38, null, s31, v36, vcc_lo
	s_delay_alu instid0(VALU_DEP_2) | instskip(SKIP_1) | instid1(VALU_DEP_2)
	v_add_co_u32 v39, vcc_lo, v37, s30
	s_wait_alu 0xfffd
	v_add_co_ci_u32_e64 v40, null, s31, v38, vcc_lo
	s_delay_alu instid0(VALU_DEP_2) | instskip(SKIP_1) | instid1(VALU_DEP_2)
	;; [unrolled: 4-line block ×3, first 2 shown]
	v_add_co_u32 v43, vcc_lo, v41, s30
	s_wait_alu 0xfffd
	v_add_co_ci_u32_e64 v44, null, s31, v42, vcc_lo
	flat_load_b64 v[35:36], v[35:36]
	flat_load_b64 v[37:38], v[37:38]
	;; [unrolled: 1-line block ×6, first 2 shown]
	s_wait_loadcnt 0x10
	v_add_co_u32 v246, vcc_lo, v83, s14
	s_wait_alu 0xfffd
	v_add_co_ci_u32_e64 v247, null, s15, v84, vcc_lo
	v_add_co_u32 v83, vcc_lo, v81, v5
	s_wait_alu 0xfffd
	v_add_co_ci_u32_e64 v84, null, v82, v6, vcc_lo
	;; [unrolled: 3-line block ×31, first 2 shown]
	v_add_co_u32 v170, vcc_lo, v111, s40
	v_mov_b32_e32 v17, 0
	s_wait_alu 0xfffd
	v_add_co_ci_u32_e64 v171, null, s41, v112, vcc_lo
	v_add_co_u32 v172, vcc_lo, v81, s40
	v_mov_b32_e32 v18, 0
	s_wait_alu 0xfffd
	v_add_co_ci_u32_e64 v173, null, s41, v82, vcc_lo
	s_add_co_i32 s40, s1, -1
	s_mov_b32 s41, 0
	s_wait_loadcnt_dscnt 0xf0f
	v_dual_mov_b32 v82, v14 :: v_dual_mov_b32 v81, v13
	s_wait_loadcnt_dscnt 0xe0e
	v_dual_mov_b32 v110, v16 :: v_dual_mov_b32 v109, v15
	;; [unrolled: 2-line block ×16, first 2 shown]
.LBB266_8:                              ;   Parent Loop BB266_4 Depth=1
                                        ; =>  This Inner Loop Header: Depth=2
	v_add_co_u32 v147, vcc_lo, v248, v149
	s_wait_alu 0xfffd
	v_add_co_ci_u32_e64 v148, null, 0, v249, vcc_lo
	s_wait_alu 0xfffe
	s_cmp_lg_u32 s40, s41
	v_add_co_u32 v113, vcc_lo, 0x200, v147
	s_wait_alu 0xfffd
	v_add_co_ci_u32_e64 v114, null, 0, v148, vcc_lo
	s_delay_alu instid0(VALU_DEP_2) | instskip(SKIP_1) | instid1(VALU_DEP_2)
	v_add_co_u32 v137, vcc_lo, v113, s28
	s_wait_alu 0xfffd
	v_add_co_ci_u32_e64 v138, null, s29, v114, vcc_lo
	s_delay_alu instid0(VALU_DEP_2) | instskip(SKIP_1) | instid1(VALU_DEP_2)
	;; [unrolled: 4-line block ×9, first 2 shown]
	v_add_co_u32 v123, vcc_lo, v121, s28
	s_wait_alu 0xfffd
	v_add_co_ci_u32_e64 v124, null, s29, v122, vcc_lo
	v_add_co_u32 v125, vcc_lo, v246, v49
	s_wait_alu 0xfffd
	v_add_co_ci_u32_e64 v126, null, v247, v50, vcc_lo
	;; [unrolled: 3-line block ×3, first 2 shown]
	flat_load_b64 v[145:146], v[125:126]
	v_add_co_u32 v129, vcc_lo, v127, s28
	s_wait_alu 0xfffd
	v_add_co_ci_u32_e64 v130, null, s29, v128, vcc_lo
	s_clause 0x3
	flat_load_b64 v[113:114], v[113:114]
	flat_load_b64 v[115:116], v[115:116]
	;; [unrolled: 1-line block ×4, first 2 shown]
	v_add_co_u32 v131, vcc_lo, v129, s28
	s_wait_alu 0xfffd
	v_add_co_ci_u32_e64 v132, null, s29, v130, vcc_lo
	flat_load_b64 v[121:122], v[121:122]
	v_add_co_u32 v133, vcc_lo, v131, s28
	s_wait_alu 0xfffd
	v_add_co_ci_u32_e64 v134, null, s29, v132, vcc_lo
	flat_load_b64 v[123:124], v[123:124]
	;; [unrolled: 4-line block ×4, first 2 shown]
	flat_load_b64 v[129:130], v[131:132]
	flat_load_b64 v[131:132], v[133:134]
	;; [unrolled: 1-line block ×4, first 2 shown]
	s_clause 0x3
	flat_load_b64 v[137:138], v[137:138]
	flat_load_b64 v[139:140], v[139:140]
	;; [unrolled: 1-line block ×3, first 2 shown]
	flat_load_b64 v[143:144], v[147:148] offset:512
	s_cbranch_scc0 .LBB266_10
; %bb.9:                                ;   in Loop: Header=BB266_8 Depth=2
	v_add_co_u32 v83, vcc_lo, v250, v149
	s_wait_alu 0xfffd
	v_add_co_ci_u32_e64 v84, null, 0, v251, vcc_lo
	v_add_co_u32 v85, vcc_lo, v252, v149
	s_wait_alu 0xfffd
	v_add_co_ci_u32_e64 v86, null, 0, v253, vcc_lo
	;; [unrolled: 3-line block ×15, first 2 shown]
	flat_load_b64 v[81:82], v[147:148] offset:1024
	flat_load_b64 v[83:84], v[83:84]
	flat_load_b64 v[85:86], v[85:86]
	;; [unrolled: 1-line block ×15, first 2 shown]
.LBB266_10:                             ;   in Loop: Header=BB266_8 Depth=2
	s_wait_loadcnt_dscnt 0x1010
	v_fma_f64 v[13:14], v[13:14], v[145:146], v[17:18]
	v_add_co_u32 v17, vcc_lo, v246, v47
	s_wait_alu 0xfffd
	v_add_co_ci_u32_e64 v18, null, v247, v48, vcc_lo
	v_fma_f64 v[45:46], v[45:46], v[145:146], v[71:72]
	v_fma_f64 v[43:44], v[43:44], v[145:146], v[55:56]
	;; [unrolled: 1-line block ×3, first 2 shown]
	flat_load_b64 v[71:72], v[17:18]
	v_fma_f64 v[39:40], v[39:40], v[145:146], v[53:54]
	v_fma_f64 v[37:38], v[37:38], v[145:146], v[67:68]
	;; [unrolled: 1-line block ×12, first 2 shown]
	v_add_co_u32 v248, vcc_lo, 0x400, v248
	s_wait_alu 0xfffd
	v_add_co_ci_u32_e64 v249, null, 0, v249, vcc_lo
	v_add_co_u32 v250, vcc_lo, 0x400, v250
	s_wait_alu 0xfffd
	v_add_co_ci_u32_e64 v251, null, 0, v251, vcc_lo
	;; [unrolled: 3-line block ×17, first 2 shown]
	s_add_co_i32 s41, s41, 1
	s_wait_alu 0xfffe
	s_cmp_ge_i32 s41, s1
	s_wait_loadcnt_dscnt 0x0
	v_fma_f64 v[17:18], v[143:144], v[71:72], v[13:14]
	v_fma_f64 v[55:56], v[137:138], v[71:72], v[43:44]
	;; [unrolled: 1-line block ×16, first 2 shown]
	s_cbranch_scc1 .LBB266_13
; %bb.11:                               ;   in Loop: Header=BB266_8 Depth=2
	v_dual_mov_b32 v13, v81 :: v_dual_mov_b32 v14, v82
	v_dual_mov_b32 v43, v83 :: v_dual_mov_b32 v44, v84
	;; [unrolled: 1-line block ×16, first 2 shown]
	s_branch .LBB266_8
.LBB266_12:                             ;   in Loop: Header=BB266_4 Depth=1
	v_mov_b32_e32 v71, 0
	v_mov_b32_e32 v77, 0
	v_mov_b32_e32 v79, 0
	v_mov_b32_e32 v63, 0
	v_mov_b32_e32 v59, 0
	v_mov_b32_e32 v69, 0
	v_mov_b32_e32 v53, 0
	v_dual_mov_b32 v55, 0 :: v_dual_mov_b32 v72, 0
	v_dual_mov_b32 v73, 0 :: v_dual_mov_b32 v78, 0
	;; [unrolled: 1-line block ×9, first 2 shown]
	v_mov_b32_e32 v76, 0
	v_mov_b32_e32 v66, 0
	;; [unrolled: 1-line block ×7, first 2 shown]
.LBB266_13:                             ;   in Loop: Header=BB266_4 Depth=1
	ds_store_2addr_stride64_b64 v244, v[17:18], v[55:56] offset1:1
	ds_store_2addr_stride64_b64 v244, v[51:52], v[53:54] offset0:2 offset1:3
	ds_store_2addr_stride64_b64 v244, v[67:68], v[69:70] offset0:4 offset1:5
	;; [unrolled: 1-line block ×6, first 2 shown]
	ds_store_b64 v244, v[73:74] offset:7168
	ds_store_b64 v245, v[71:72]
	s_wait_storecnt 0x0
	s_wait_loadcnt_dscnt 0x0
	s_barrier_signal -1
	s_barrier_wait -1
	global_inv scope:SCOPE_SE
	s_and_saveexec_b32 s1, s0
	s_cbranch_execz .LBB266_2
; %bb.14:                               ;   in Loop: Header=BB266_4 Depth=1
	s_clause 0x4
	scratch_load_b32 v13, off, off
	scratch_load_b32 v15, off, off offset:4
	scratch_load_b32 v17, off, off offset:8
	;; [unrolled: 1-line block ×4, first 2 shown]
	v_add_co_u32 v2, vcc_lo, v2, s18
	s_wait_alu 0xfffd
	v_add_co_ci_u32_e64 v3, null, s19, v3, vcc_lo
	s_mov_b32 s40, 0
	v_add_co_u32 v2, vcc_lo, v2, s38
	s_wait_alu 0xfffd
	v_add_co_ci_u32_e64 v3, null, s39, v3, vcc_lo
	s_wait_loadcnt 0x4
	ds_load_b64 v[13:14], v13
	s_wait_loadcnt 0x3
	ds_load_b64 v[15:16], v15
	s_wait_loadcnt 0x2
	ds_load_b64 v[17:18], v17
	s_wait_loadcnt 0x1
	ds_load_b64 v[19:20], v19
	s_wait_loadcnt 0x0
	ds_load_b64 v[21:22], v21
	s_wait_dscnt 0x4
	v_add_f64_e32 v[13:14], 0, v[13:14]
	s_wait_dscnt 0x3
	s_delay_alu instid0(VALU_DEP_1)
	v_add_f64_e32 v[13:14], v[13:14], v[15:16]
	scratch_load_b32 v15, off, off offset:16 ; 4-byte Folded Reload
	s_wait_dscnt 0x2
	v_add_f64_e32 v[13:14], v[13:14], v[17:18]
	scratch_load_b32 v17, off, off offset:20 ; 4-byte Folded Reload
	s_wait_dscnt 0x1
	v_add_f64_e32 v[13:14], v[13:14], v[19:20]
	scratch_load_b32 v19, off, off offset:24 ; 4-byte Folded Reload
	s_wait_loadcnt 0x2
	ds_load_b64 v[15:16], v15
	s_wait_loadcnt 0x1
	ds_load_b64 v[17:18], v17
	;; [unrolled: 2-line block ×3, first 2 shown]
	s_wait_dscnt 0x2
	v_add_f64_e32 v[13:14], v[13:14], v[15:16]
	scratch_load_b32 v15, off, off offset:32 ; 4-byte Folded Reload
	s_wait_dscnt 0x1
	v_add_f64_e32 v[13:14], v[13:14], v[17:18]
	scratch_load_b32 v17, off, off offset:36 ; 4-byte Folded Reload
	;; [unrolled: 3-line block ×3, first 2 shown]
	v_add_f64_e32 v[13:14], v[13:14], v[21:22]
	scratch_load_b32 v21, off, off offset:44 ; 4-byte Folded Reload
	s_wait_loadcnt 0x3
	ds_load_b64 v[15:16], v15
	s_wait_loadcnt 0x2
	ds_load_b64 v[17:18], v17
	s_wait_loadcnt 0x1
	ds_load_b64 v[19:20], v19
	s_wait_loadcnt 0x0
	ds_load_b64 v[21:22], v21
	s_wait_dscnt 0x3
	v_add_f64_e32 v[13:14], v[13:14], v[15:16]
	scratch_load_b32 v15, off, off offset:48 ; 4-byte Folded Reload
	s_wait_dscnt 0x2
	v_add_f64_e32 v[13:14], v[13:14], v[17:18]
	scratch_load_b32 v17, off, off offset:52 ; 4-byte Folded Reload
	s_wait_dscnt 0x1
	v_add_f64_e32 v[13:14], v[13:14], v[19:20]
	scratch_load_b32 v19, off, off offset:56 ; 4-byte Folded Reload
	s_wait_dscnt 0x0
	v_add_f64_e32 v[13:14], v[13:14], v[21:22]
	scratch_load_b32 v21, off, off offset:60 ; 4-byte Folded Reload
	s_wait_loadcnt 0x3
	ds_load_b64 v[15:16], v15
	s_wait_loadcnt 0x2
	ds_load_b64 v[17:18], v17
	s_wait_loadcnt 0x1
	ds_load_b64 v[19:20], v19
	s_wait_loadcnt 0x0
	ds_load_b64 v[21:22], v21
	s_wait_dscnt 0x3
	v_add_f64_e32 v[13:14], v[13:14], v[15:16]
	scratch_load_b32 v15, off, off offset:64 ; 4-byte Folded Reload
	s_wait_dscnt 0x2
	v_add_f64_e32 v[13:14], v[13:14], v[17:18]
	scratch_load_b32 v17, off, off offset:68 ; 4-byte Folded Reload
	s_wait_dscnt 0x1
	v_add_f64_e32 v[13:14], v[13:14], v[19:20]
	scratch_load_b32 v19, off, off offset:72 ; 4-byte Folded Reload
	s_wait_dscnt 0x0
	;; [unrolled: 20-line block ×3, first 2 shown]
	v_add_f64_e32 v[13:14], v[13:14], v[21:22]
	scratch_load_b32 v21, off, off offset:92 ; 4-byte Folded Reload
	s_wait_loadcnt 0x3
	ds_load_b64 v[15:16], v15
	s_wait_loadcnt 0x2
	ds_load_b64 v[17:18], v17
	;; [unrolled: 2-line block ×4, first 2 shown]
	s_wait_dscnt 0x3
	v_add_f64_e32 v[13:14], v[13:14], v[15:16]
	s_wait_dscnt 0x2
	s_delay_alu instid0(VALU_DEP_1) | instskip(SKIP_1) | instid1(VALU_DEP_1)
	v_add_f64_e32 v[13:14], v[13:14], v[17:18]
	s_wait_dscnt 0x1
	v_add_f64_e32 v[13:14], v[13:14], v[19:20]
	s_wait_dscnt 0x0
	s_delay_alu instid0(VALU_DEP_1)
	v_add_f64_e32 v[13:14], v[13:14], v[21:22]
	ds_load_b64 v[15:16], v174
	ds_load_b64 v[17:18], v175
	ds_load_b64 v[19:20], v176
	ds_load_b64 v[21:22], v177
	s_wait_dscnt 0x3
	v_add_f64_e32 v[13:14], v[13:14], v[15:16]
	s_wait_dscnt 0x2
	s_delay_alu instid0(VALU_DEP_1) | instskip(SKIP_1) | instid1(VALU_DEP_1)
	v_add_f64_e32 v[13:14], v[13:14], v[17:18]
	s_wait_dscnt 0x1
	v_add_f64_e32 v[13:14], v[13:14], v[19:20]
	s_wait_dscnt 0x0
	s_delay_alu instid0(VALU_DEP_1)
	v_add_f64_e32 v[13:14], v[13:14], v[21:22]
	ds_load_b64 v[15:16], v178
	ds_load_b64 v[17:18], v179
	ds_load_b64 v[19:20], v180
	ds_load_b64 v[21:22], v181
	;; [unrolled: 14-line block ×9, first 2 shown]
	s_wait_dscnt 0x3
	v_add_f64_e32 v[15:16], v[13:14], v[15:16]
	v_add_co_u32 v13, vcc_lo, v2, v11
	s_wait_alu 0xfffd
	v_add_co_ci_u32_e64 v14, null, v3, v12, vcc_lo
	flat_load_b64 v[2:3], v[13:14]
	s_wait_dscnt 0x3
	v_add_f64_e32 v[15:16], v[15:16], v[17:18]
	s_wait_dscnt 0x2
	s_delay_alu instid0(VALU_DEP_1) | instskip(SKIP_1) | instid1(VALU_DEP_1)
	v_add_f64_e32 v[15:16], v[15:16], v[19:20]
	s_wait_dscnt 0x1
	v_add_f64_e32 v[15:16], v[15:16], v[21:22]
	ds_load_b64 v[17:18], v210
	ds_load_b64 v[19:20], v211
	;; [unrolled: 1-line block ×4, first 2 shown]
	s_wait_dscnt 0x3
	v_add_f64_e32 v[15:16], v[15:16], v[17:18]
	s_wait_dscnt 0x2
	s_delay_alu instid0(VALU_DEP_1) | instskip(SKIP_1) | instid1(VALU_DEP_1)
	v_add_f64_e32 v[15:16], v[15:16], v[19:20]
	s_wait_dscnt 0x1
	v_add_f64_e32 v[15:16], v[15:16], v[21:22]
	s_wait_dscnt 0x0
	s_delay_alu instid0(VALU_DEP_1) | instskip(NEXT) | instid1(VALU_DEP_1)
	v_add_f64_e32 v[15:16], v[15:16], v[23:24]
	v_mul_f64_e32 v[15:16], v[0:1], v[15:16]
.LBB266_15:                             ;   Parent Loop BB266_4 Depth=1
                                        ; =>  This Inner Loop Header: Depth=2
	s_wait_loadcnt 0x0
	s_delay_alu instid0(VALU_DEP_1)
	v_add_f64_e32 v[0:1], v[2:3], v[15:16]
	flat_atomic_cmpswap_b64 v[0:1], v[13:14], v[0:3] th:TH_ATOMIC_RETURN scope:SCOPE_DEV
	s_wait_loadcnt_dscnt 0x0
	v_cmp_eq_u64_e32 vcc_lo, v[0:1], v[2:3]
	v_dual_mov_b32 v3, v1 :: v_dual_mov_b32 v2, v0
	s_wait_alu 0xfffe
	s_or_b32 s40, vcc_lo, s40
	s_wait_alu 0xfffe
	s_and_not1_b32 exec_lo, exec_lo, s40
	s_cbranch_execnz .LBB266_15
	s_branch .LBB266_2
.LBB266_16:
	s_nop 0
	s_sendmsg sendmsg(MSG_DEALLOC_VGPRS)
	s_endpgm
	.section	.rodata,"a",@progbits
	.p2align	6, 0x0
	.amdhsa_kernel _ZL36rocblas_gemvt_double_buffered_kernelILb0ELi128ELi4ELi16EPKdS1_KPdEviiT4_lPKT3_lilS7_lilPT5_lili
		.amdhsa_group_segment_fixed_size 65536
		.amdhsa_private_segment_fixed_size 100
		.amdhsa_kernarg_size 384
		.amdhsa_user_sgpr_count 2
		.amdhsa_user_sgpr_dispatch_ptr 0
		.amdhsa_user_sgpr_queue_ptr 0
		.amdhsa_user_sgpr_kernarg_segment_ptr 1
		.amdhsa_user_sgpr_dispatch_id 0
		.amdhsa_user_sgpr_private_segment_size 0
		.amdhsa_wavefront_size32 1
		.amdhsa_uses_dynamic_stack 0
		.amdhsa_enable_private_segment 1
		.amdhsa_system_sgpr_workgroup_id_x 1
		.amdhsa_system_sgpr_workgroup_id_y 1
		.amdhsa_system_sgpr_workgroup_id_z 1
		.amdhsa_system_sgpr_workgroup_info 0
		.amdhsa_system_vgpr_workitem_id 1
		.amdhsa_next_free_vgpr 256
		.amdhsa_next_free_sgpr 48
		.amdhsa_reserve_vcc 1
		.amdhsa_float_round_mode_32 0
		.amdhsa_float_round_mode_16_64 0
		.amdhsa_float_denorm_mode_32 3
		.amdhsa_float_denorm_mode_16_64 3
		.amdhsa_fp16_overflow 0
		.amdhsa_workgroup_processor_mode 1
		.amdhsa_memory_ordered 1
		.amdhsa_forward_progress 1
		.amdhsa_inst_pref_size 67
		.amdhsa_round_robin_scheduling 0
		.amdhsa_exception_fp_ieee_invalid_op 0
		.amdhsa_exception_fp_denorm_src 0
		.amdhsa_exception_fp_ieee_div_zero 0
		.amdhsa_exception_fp_ieee_overflow 0
		.amdhsa_exception_fp_ieee_underflow 0
		.amdhsa_exception_fp_ieee_inexact 0
		.amdhsa_exception_int_div_zero 0
	.end_amdhsa_kernel
	.section	.text._ZL36rocblas_gemvt_double_buffered_kernelILb0ELi128ELi4ELi16EPKdS1_KPdEviiT4_lPKT3_lilS7_lilPT5_lili,"axG",@progbits,_ZL36rocblas_gemvt_double_buffered_kernelILb0ELi128ELi4ELi16EPKdS1_KPdEviiT4_lPKT3_lilS7_lilPT5_lili,comdat
.Lfunc_end266:
	.size	_ZL36rocblas_gemvt_double_buffered_kernelILb0ELi128ELi4ELi16EPKdS1_KPdEviiT4_lPKT3_lilS7_lilPT5_lili, .Lfunc_end266-_ZL36rocblas_gemvt_double_buffered_kernelILb0ELi128ELi4ELi16EPKdS1_KPdEviiT4_lPKT3_lilS7_lilPT5_lili
                                        ; -- End function
	.set _ZL36rocblas_gemvt_double_buffered_kernelILb0ELi128ELi4ELi16EPKdS1_KPdEviiT4_lPKT3_lilS7_lilPT5_lili.num_vgpr, 256
	.set _ZL36rocblas_gemvt_double_buffered_kernelILb0ELi128ELi4ELi16EPKdS1_KPdEviiT4_lPKT3_lilS7_lilPT5_lili.num_agpr, 0
	.set _ZL36rocblas_gemvt_double_buffered_kernelILb0ELi128ELi4ELi16EPKdS1_KPdEviiT4_lPKT3_lilS7_lilPT5_lili.numbered_sgpr, 48
	.set _ZL36rocblas_gemvt_double_buffered_kernelILb0ELi128ELi4ELi16EPKdS1_KPdEviiT4_lPKT3_lilS7_lilPT5_lili.num_named_barrier, 0
	.set _ZL36rocblas_gemvt_double_buffered_kernelILb0ELi128ELi4ELi16EPKdS1_KPdEviiT4_lPKT3_lilS7_lilPT5_lili.private_seg_size, 100
	.set _ZL36rocblas_gemvt_double_buffered_kernelILb0ELi128ELi4ELi16EPKdS1_KPdEviiT4_lPKT3_lilS7_lilPT5_lili.uses_vcc, 1
	.set _ZL36rocblas_gemvt_double_buffered_kernelILb0ELi128ELi4ELi16EPKdS1_KPdEviiT4_lPKT3_lilS7_lilPT5_lili.uses_flat_scratch, 1
	.set _ZL36rocblas_gemvt_double_buffered_kernelILb0ELi128ELi4ELi16EPKdS1_KPdEviiT4_lPKT3_lilS7_lilPT5_lili.has_dyn_sized_stack, 0
	.set _ZL36rocblas_gemvt_double_buffered_kernelILb0ELi128ELi4ELi16EPKdS1_KPdEviiT4_lPKT3_lilS7_lilPT5_lili.has_recursion, 0
	.set _ZL36rocblas_gemvt_double_buffered_kernelILb0ELi128ELi4ELi16EPKdS1_KPdEviiT4_lPKT3_lilS7_lilPT5_lili.has_indirect_call, 0
	.section	.AMDGPU.csdata,"",@progbits
; Kernel info:
; codeLenInByte = 8536
; TotalNumSgprs: 50
; NumVgprs: 256
; ScratchSize: 100
; MemoryBound: 0
; FloatMode: 240
; IeeeMode: 1
; LDSByteSize: 65536 bytes/workgroup (compile time only)
; SGPRBlocks: 0
; VGPRBlocks: 31
; NumSGPRsForWavesPerEU: 50
; NumVGPRsForWavesPerEU: 256
; Occupancy: 5
; WaveLimiterHint : 1
; COMPUTE_PGM_RSRC2:SCRATCH_EN: 1
; COMPUTE_PGM_RSRC2:USER_SGPR: 2
; COMPUTE_PGM_RSRC2:TRAP_HANDLER: 0
; COMPUTE_PGM_RSRC2:TGID_X_EN: 1
; COMPUTE_PGM_RSRC2:TGID_Y_EN: 1
; COMPUTE_PGM_RSRC2:TGID_Z_EN: 1
; COMPUTE_PGM_RSRC2:TIDIG_COMP_CNT: 1
	.section	.text._ZL36rocblas_gemvt_double_buffered_kernelILb0ELi128ELi4ELi16EPKddKPdEviiT4_lPKT3_lilS7_lilPT5_lili,"axG",@progbits,_ZL36rocblas_gemvt_double_buffered_kernelILb0ELi128ELi4ELi16EPKddKPdEviiT4_lPKT3_lilS7_lilPT5_lili,comdat
	.globl	_ZL36rocblas_gemvt_double_buffered_kernelILb0ELi128ELi4ELi16EPKddKPdEviiT4_lPKT3_lilS7_lilPT5_lili ; -- Begin function _ZL36rocblas_gemvt_double_buffered_kernelILb0ELi128ELi4ELi16EPKddKPdEviiT4_lPKT3_lilS7_lilPT5_lili
	.p2align	8
	.type	_ZL36rocblas_gemvt_double_buffered_kernelILb0ELi128ELi4ELi16EPKddKPdEviiT4_lPKT3_lilS7_lilPT5_lili,@function
_ZL36rocblas_gemvt_double_buffered_kernelILb0ELi128ELi4ELi16EPKddKPdEviiT4_lPKT3_lilS7_lilPT5_lili: ; @_ZL36rocblas_gemvt_double_buffered_kernelILb0ELi128ELi4ELi16EPKddKPdEviiT4_lPKT3_lilS7_lilPT5_lili
; %bb.0:
	s_load_b32 s33, s[0:1], 0x78
	s_lshr_b32 s2, ttmp7, 16
	s_wait_kmcnt 0x0
	s_cmp_ge_u32 s2, s33
	s_cbranch_scc1 .LBB267_16
; %bb.1:
	s_clause 0x2
	s_load_b32 s3, s[0:1], 0x0
	s_load_b32 s34, s[0:1], 0x28
	;; [unrolled: 1-line block ×3, first 2 shown]
	v_dual_mov_b32 v4, 0 :: v_dual_and_b32 v7, 0x3ff, v0
	v_bfe_u32 v2, v0, 10, 10
	v_and_b32_e32 v3, 63, v0
	s_clause 0x3
	s_load_b32 s24, s[0:1], 0x68
	s_load_b128 s[4:7], s[0:1], 0x18
	s_load_b128 s[8:11], s[0:1], 0x38
	;; [unrolled: 1-line block ×3, first 2 shown]
	v_add_nc_u32_e32 v11, 1, v7
	s_load_b64 s[18:19], s[0:1], 0x8
	v_lshl_add_u32 v5, v2, 7, v7
	s_add_nc_u64 s[20:21], s[0:1], 0x80
	v_lshlrev_b32_e32 v147, 3, v3
	v_add_nc_u32_e32 v12, 4, v7
	s_lshl_b32 s28, ttmp9, 7
	v_lshrrev_b32_e32 v6, 2, v5
	v_lshlrev_b32_e32 v5, 1, v5
	s_ashr_i32 s29, s28, 31
	s_and_b32 s42, ttmp7, 0xffff
	s_delay_alu instid0(VALU_DEP_2)
	v_and_b32_e32 v8, 0x7ff0, v6
	s_wait_kmcnt 0x0
	s_ashr_i32 s0, s3, 31
	v_lshl_or_b32 v19, v6, 9, 0x1e00
	s_lshr_b32 s0, s0, 25
	v_and_b32_e32 v6, 63, v11
	s_add_co_i32 s3, s3, s0
	v_cmp_eq_u32_e64 s0, 0, v2
	v_lshlrev_b32_e32 v2, 9, v7
	v_mad_co_i64_i32 v[9:10], null, s34, v8, v[3:4]
	v_lshlrev_b32_e32 v18, 9, v8
	v_add_nc_u32_e32 v8, 2, v7
	s_delay_alu instid0(VALU_DEP_4)
	v_or_b32_e32 v13, v2, v147
	v_lshl_or_b32 v6, v6, 3, v2
	v_add_nc_u32_e32 v11, 3, v7
	v_xor_b32_e32 v3, 32, v3
	v_and_b32_e32 v5, 0x3ff80, v5
	s_clause 0x1
	scratch_store_b32 off, v13, off
	scratch_store_b32 off, v6, off offset:4
	v_and_b32_e32 v6, 63, v8
	v_and_b32_e32 v8, 63, v11
	;; [unrolled: 1-line block ×3, first 2 shown]
	v_add_nc_u32_e32 v12, 5, v7
	v_add_nc_u32_e32 v13, 6, v7
	v_lshl_or_b32 v6, v6, 3, v2
	v_lshl_or_b32 v180, v3, 3, v2
	s_ashr_i32 s35, s34, 31
	s_ashr_i32 s25, s24, 31
	s_wait_alu 0xfffe
	s_mul_u64 s[40:41], s[34:35], s[28:29]
	scratch_store_b32 off, v6, off offset:8 ; 4-byte Folded Spill
	v_lshl_or_b32 v6, v8, 3, v2
	v_and_b32_e32 v8, 63, v13
	v_add_nc_u32_e32 v13, 9, v7
	s_mul_u64 s[38:39], s[24:25], s[28:29]
	s_lshl_b64 s[28:29], s[28:29], 3
	scratch_store_b32 off, v6, off offset:12 ; 4-byte Folded Spill
	v_lshl_or_b32 v6, v11, 3, v2
	v_add_nc_u32_e32 v11, 7, v7
	v_add_co_u32 v20, s1, v5, s28
	s_delay_alu instid0(VALU_DEP_1)
	v_add_co_ci_u32_e64 v5, null, 0, s29, s1
	scratch_store_b32 off, v6, off offset:16 ; 4-byte Folded Spill
	v_and_b32_e32 v6, 63, v12
	v_add_nc_u32_e32 v12, 8, v7
	s_lshl_b64 s[6:7], s[6:7], 3
	v_mul_lo_u32 v21, v5, s34
	v_or_b32_e32 v14, 24, v20
	v_lshl_or_b32 v6, v6, 3, v2
	v_cvt_f64_i32_e32 v[0:1], s42
	v_cmp_neq_f64_e64 s1, s[18:19], 0
	v_lshlrev_b64_e32 v[9:10], 3, v[9:10]
	v_mul_lo_u32 v16, v14, s35
	scratch_store_b32 off, v6, off offset:20 ; 4-byte Folded Spill
	v_lshl_or_b32 v6, v8, 3, v2
	v_and_b32_e32 v8, 63, v12
	v_add_nc_u32_e32 v12, 10, v7
	v_add_nc_u32_e32 v242, v147, v18
	;; [unrolled: 1-line block ×3, first 2 shown]
	scratch_store_b32 off, v6, off offset:24 ; 4-byte Folded Spill
	v_and_b32_e32 v6, 63, v11
	v_and_b32_e32 v11, 63, v13
	v_add_nc_u32_e32 v13, 11, v7
	s_ashr_i32 s17, s16, 31
	s_mov_b32 s25, 0
	v_lshl_or_b32 v6, v6, 3, v2
	s_mul_u64 s[36:37], s[34:35], 15
	s_lshl_b64 s[28:29], s[34:35], 3
	s_ashr_i32 s22, s3, 7
	s_lshl_b64 s[26:27], s[16:17], 10
	scratch_store_b32 off, v6, off offset:28 ; 4-byte Folded Spill
	v_lshl_or_b32 v6, v8, 3, v2
	v_and_b32_e32 v8, 63, v13
	v_add_nc_u32_e32 v13, 14, v7
	s_mov_b32 s23, s25
	s_wait_alu 0xfffe
	s_sub_nc_u64 s[30:31], 0, s[28:29]
	scratch_store_b32 off, v6, off offset:32 ; 4-byte Folded Spill
	v_lshl_or_b32 v6, v11, 3, v2
	v_add_nc_u32_e32 v11, 12, v7
	s_lshl_b64 s[10:11], s[10:11], 3
	s_lshl_b64 s[36:37], s[36:37], 3
	;; [unrolled: 1-line block ×3, first 2 shown]
	scratch_store_b32 off, v6, off offset:36 ; 4-byte Folded Spill
	v_and_b32_e32 v6, 63, v12
	v_add_nc_u32_e32 v12, 13, v7
	s_lshl_b64 s[38:39], s[38:39], 3
	s_delay_alu instid0(VALU_DEP_2)
	v_lshl_or_b32 v6, v6, 3, v2
	scratch_store_b32 off, v6, off offset:40 ; 4-byte Folded Spill
	v_lshl_or_b32 v6, v8, 3, v2
	v_and_b32_e32 v8, 63, v12
	v_add_nc_u32_e32 v12, 15, v7
	scratch_store_b32 off, v6, off offset:44 ; 4-byte Folded Spill
	v_and_b32_e32 v6, 63, v11
	v_and_b32_e32 v11, 63, v13
	v_add_nc_u32_e32 v13, 16, v7
	s_delay_alu instid0(VALU_DEP_3)
	v_lshl_or_b32 v6, v6, 3, v2
	scratch_store_b32 off, v6, off offset:48 ; 4-byte Folded Spill
	v_lshl_or_b32 v6, v8, 3, v2
	v_and_b32_e32 v8, 63, v13
	v_add_nc_u32_e32 v13, 19, v7
	scratch_store_b32 off, v6, off offset:52 ; 4-byte Folded Spill
	v_lshl_or_b32 v6, v11, 3, v2
	v_add_nc_u32_e32 v11, 17, v7
	scratch_store_b32 off, v6, off offset:56 ; 4-byte Folded Spill
	v_and_b32_e32 v6, 63, v12
	v_add_nc_u32_e32 v12, 18, v7
	s_delay_alu instid0(VALU_DEP_2)
	v_lshl_or_b32 v6, v6, 3, v2
	scratch_store_b32 off, v6, off offset:60 ; 4-byte Folded Spill
	v_lshl_or_b32 v6, v8, 3, v2
	v_and_b32_e32 v8, 63, v12
	v_add_nc_u32_e32 v12, 20, v7
	scratch_store_b32 off, v6, off offset:64 ; 4-byte Folded Spill
	v_and_b32_e32 v6, 63, v11
	v_and_b32_e32 v11, 63, v13
	v_add_nc_u32_e32 v13, 21, v7
	s_delay_alu instid0(VALU_DEP_3)
	v_lshl_or_b32 v6, v6, 3, v2
	scratch_store_b32 off, v6, off offset:68 ; 4-byte Folded Spill
	v_lshl_or_b32 v6, v8, 3, v2
	v_and_b32_e32 v8, 63, v13
	v_add_nc_u32_e32 v13, 24, v7
	scratch_store_b32 off, v6, off offset:72 ; 4-byte Folded Spill
	v_lshl_or_b32 v6, v11, 3, v2
	v_add_nc_u32_e32 v11, 22, v7
	scratch_store_b32 off, v6, off offset:76 ; 4-byte Folded Spill
	v_and_b32_e32 v6, 63, v12
	v_add_nc_u32_e32 v12, 23, v7
	s_delay_alu instid0(VALU_DEP_2)
	v_lshl_or_b32 v6, v6, 3, v2
	scratch_store_b32 off, v6, off offset:80 ; 4-byte Folded Spill
	v_lshl_or_b32 v6, v8, 3, v2
	v_and_b32_e32 v8, 63, v12
	v_add_nc_u32_e32 v12, 25, v7
	scratch_store_b32 off, v6, off offset:84 ; 4-byte Folded Spill
	v_and_b32_e32 v6, 63, v11
	v_and_b32_e32 v11, 63, v13
	v_add_nc_u32_e32 v13, 26, v7
	v_lshl_or_b32 v171, v8, 3, v2
	s_delay_alu instid0(VALU_DEP_4) | instskip(NEXT) | instid1(VALU_DEP_4)
	v_lshl_or_b32 v170, v6, 3, v2
	v_lshl_or_b32 v172, v11, 3, v2
	v_and_b32_e32 v6, 63, v12
	v_and_b32_e32 v8, 63, v13
	v_add_nc_u32_e32 v11, 27, v7
	v_add_nc_u32_e32 v12, 28, v7
	;; [unrolled: 1-line block ×3, first 2 shown]
	v_lshl_or_b32 v173, v6, 3, v2
	v_lshl_or_b32 v174, v8, 3, v2
	v_and_b32_e32 v6, 63, v11
	v_and_b32_e32 v8, 63, v12
	v_and_b32_e32 v11, 63, v13
	v_add_nc_u32_e32 v12, 30, v7
	v_add_nc_u32_e32 v13, 31, v7
	v_lshl_or_b32 v175, v6, 3, v2
	v_lshl_or_b32 v176, v8, 3, v2
	;; [unrolled: 1-line block ×3, first 2 shown]
	v_and_b32_e32 v6, 63, v12
	v_and_b32_e32 v8, 63, v13
	v_add_nc_u32_e32 v11, 33, v7
	v_add_nc_u32_e32 v12, 34, v7
	s_delay_alu instid0(VALU_DEP_4) | instskip(NEXT) | instid1(VALU_DEP_4)
	v_lshl_or_b32 v178, v6, 3, v2
	v_lshl_or_b32 v179, v8, 3, v2
	s_delay_alu instid0(VALU_DEP_4) | instskip(NEXT) | instid1(VALU_DEP_4)
	v_and_b32_e32 v6, 63, v11
	v_and_b32_e32 v3, 63, v12
	v_add_nc_u32_e32 v8, 35, v7
	v_add_nc_u32_e32 v11, 36, v7
	;; [unrolled: 1-line block ×3, first 2 shown]
	v_lshl_or_b32 v181, v6, 3, v2
	v_add_nc_u32_e32 v6, 37, v7
	v_lshl_or_b32 v182, v3, 3, v2
	v_and_b32_e32 v3, 63, v8
	v_and_b32_e32 v8, 63, v11
	v_add_nc_u32_e32 v11, 38, v7
	v_and_b32_e32 v6, 63, v6
	s_delay_alu instid0(VALU_DEP_4) | instskip(NEXT) | instid1(VALU_DEP_4)
	v_lshl_or_b32 v183, v3, 3, v2
	v_lshl_or_b32 v184, v8, 3, v2
	s_delay_alu instid0(VALU_DEP_4) | instskip(NEXT) | instid1(VALU_DEP_4)
	v_and_b32_e32 v3, 63, v11
	v_lshl_or_b32 v185, v6, 3, v2
	v_and_b32_e32 v6, 63, v12
	v_add_nc_u32_e32 v8, 40, v7
	v_add_nc_u32_e32 v11, 41, v7
	v_lshl_or_b32 v186, v3, 3, v2
	v_add_nc_u32_e32 v3, 42, v7
	v_lshl_or_b32 v187, v6, 3, v2
	v_and_b32_e32 v6, 63, v8
	v_and_b32_e32 v8, 63, v11
	v_add_nc_u32_e32 v11, 43, v7
	v_and_b32_e32 v3, 63, v3
	v_add_nc_u32_e32 v12, 44, v7
	v_lshl_or_b32 v188, v6, 3, v2
	v_lshl_or_b32 v189, v8, 3, v2
	v_and_b32_e32 v6, 63, v11
	v_lshl_or_b32 v190, v3, 3, v2
	v_and_b32_e32 v3, 63, v12
	v_add_nc_u32_e32 v8, 45, v7
	v_add_nc_u32_e32 v11, 46, v7
	v_lshl_or_b32 v191, v6, 3, v2
	v_add_nc_u32_e32 v6, 47, v7
	v_lshl_or_b32 v192, v3, 3, v2
	v_and_b32_e32 v3, 63, v8
	v_and_b32_e32 v8, 63, v11
	v_add_nc_u32_e32 v11, 48, v7
	v_and_b32_e32 v6, 63, v6
	v_add_nc_u32_e32 v12, 49, v7
	v_lshl_or_b32 v193, v3, 3, v2
	v_lshl_or_b32 v194, v8, 3, v2
	;; [unrolled: 15-line block ×4, first 2 shown]
	v_and_b32_e32 v3, 63, v11
	v_lshl_or_b32 v205, v6, 3, v2
	v_and_b32_e32 v6, 63, v12
	v_add_nc_u32_e32 v8, 60, v7
	v_add_nc_u32_e32 v11, 61, v7
	v_lshl_or_b32 v206, v3, 3, v2
	v_add_nc_u32_e32 v3, 62, v7
	v_lshl_or_b32 v207, v6, 3, v2
	v_and_b32_e32 v6, 63, v8
	v_and_b32_e32 v8, 63, v11
	v_add_nc_u32_e32 v11, -1, v7
	v_and_b32_e32 v3, 63, v3
	s_delay_alu instid0(VALU_DEP_4) | instskip(NEXT) | instid1(VALU_DEP_4)
	v_lshl_or_b32 v208, v6, 3, v2
	v_lshl_or_b32 v209, v8, 3, v2
	v_mul_lo_u32 v8, v20, s35
	s_delay_alu instid0(VALU_DEP_4) | instskip(SKIP_3) | instid1(VALU_DEP_3)
	v_lshl_or_b32 v210, v3, 3, v2
	v_and_b32_e32 v3, 63, v11
	v_mad_co_u64_u32 v[5:6], null, v20, s34, s[6:7]
	v_mad_co_i64_i32 v[11:12], null, s24, v7, 0
	v_lshl_or_b32 v211, v3, 3, v2
	v_or_b32_e32 v2, 8, v20
	v_or_b32_e32 v7, 16, v20
	v_add3_u32 v6, v21, v6, v8
	s_delay_alu instid0(VALU_DEP_3) | instskip(SKIP_1) | instid1(VALU_DEP_4)
	v_mul_lo_u32 v13, v2, s35
	v_mad_co_u64_u32 v[2:3], null, v2, s34, s[6:7]
	v_mul_lo_u32 v15, v7, s35
	v_mad_co_u64_u32 v[7:8], null, v7, s34, s[6:7]
	v_lshlrev_b64_e32 v[11:12], 3, v[11:12]
	s_delay_alu instid0(VALU_DEP_4) | instskip(SKIP_2) | instid1(VALU_DEP_1)
	v_add3_u32 v3, v21, v3, v13
	v_mad_co_u64_u32 v[13:14], null, v14, s34, s[6:7]
	v_add_co_u32 v212, vcc_lo, 0x400, v2
	v_add_co_ci_u32_e64 v213, null, 0, v3, vcc_lo
	v_add3_u32 v2, v21, v8, v15
	v_or_b32_e32 v3, 32, v20
	v_add_co_u32 v214, vcc_lo, 0x400, v7
	v_add3_u32 v7, v21, v14, v16
	s_wait_alu 0xfffd
	v_add_co_ci_u32_e64 v215, null, 0, v2, vcc_lo
	v_mul_lo_u32 v14, v3, s35
	v_mad_co_u64_u32 v[2:3], null, v3, s34, s[6:7]
	v_or_b32_e32 v8, 40, v20
	v_add_co_u32 v216, vcc_lo, 0x400, v13
	s_wait_alu 0xfffd
	v_add_co_ci_u32_e64 v217, null, 0, v7, vcc_lo
	s_delay_alu instid0(VALU_DEP_3)
	v_mul_lo_u32 v13, v8, s35
	v_add3_u32 v3, v21, v3, v14
	v_or_b32_e32 v14, 48, v20
	v_mad_co_u64_u32 v[7:8], null, v8, s34, s[6:7]
	v_add_co_u32 v218, vcc_lo, 0x400, v2
	s_wait_alu 0xfffd
	v_add_co_ci_u32_e64 v219, null, 0, v3, vcc_lo
	v_or_b32_e32 v15, 56, v20
	v_mul_lo_u32 v16, v14, s35
	v_mad_co_u64_u32 v[2:3], null, v14, s34, s[6:7]
	v_add3_u32 v8, v21, v8, v13
	s_delay_alu instid0(VALU_DEP_4)
	v_mul_lo_u32 v17, v15, s35
	v_mad_co_u64_u32 v[13:14], null, v15, s34, s[6:7]
	v_add_co_u32 v220, vcc_lo, 0x400, v7
	v_add3_u32 v3, v21, v3, v16
	v_or_b32_e32 v7, 64, v20
	s_wait_alu 0xfffd
	v_add_co_ci_u32_e64 v221, null, 0, v8, vcc_lo
	v_add_co_u32 v222, vcc_lo, 0x400, v2
	s_wait_alu 0xfffd
	v_add_co_ci_u32_e64 v223, null, 0, v3, vcc_lo
	v_add3_u32 v8, v21, v14, v17
	v_mul_lo_u32 v14, v7, s35
	v_mad_co_u64_u32 v[2:3], null, v7, s34, s[6:7]
	v_or_b32_e32 v7, 0x48, v20
	v_add_co_u32 v224, vcc_lo, 0x400, v13
	s_wait_alu 0xfffd
	v_add_co_ci_u32_e64 v225, null, 0, v8, vcc_lo
	s_delay_alu instid0(VALU_DEP_3)
	v_mul_lo_u32 v13, v7, s35
	v_mad_co_u64_u32 v[7:8], null, v7, s34, s[6:7]
	v_add3_u32 v3, v21, v3, v14
	v_or_b32_e32 v14, 0x50, v20
	v_or_b32_e32 v15, 0x58, v20
	v_add_co_u32 v226, vcc_lo, 0x400, v2
	s_wait_alu 0xfffd
	v_add_co_ci_u32_e64 v227, null, 0, v3, vcc_lo
	v_mul_lo_u32 v16, v14, s35
	v_mad_co_u64_u32 v[2:3], null, v14, s34, s[6:7]
	v_add3_u32 v8, v21, v8, v13
	v_mul_lo_u32 v17, v15, s35
	v_mad_co_u64_u32 v[13:14], null, v15, s34, s[6:7]
	v_add_co_u32 v228, vcc_lo, 0x400, v7
	v_add3_u32 v3, v21, v3, v16
	s_wait_alu 0xfffd
	v_add_co_ci_u32_e64 v229, null, 0, v8, vcc_lo
	v_or_b32_e32 v7, 0x68, v20
	v_add3_u32 v8, v21, v14, v17
	v_add_co_u32 v230, vcc_lo, 0x400, v2
	s_wait_alu 0xfffd
	v_add_co_ci_u32_e64 v231, null, 0, v3, vcc_lo
	v_add_co_u32 v232, vcc_lo, 0x400, v13
	v_mul_lo_u32 v23, v7, s35
	v_mad_co_u64_u32 v[16:17], null, v7, s34, s[6:7]
	s_wait_alu 0xfffd
	v_add_co_ci_u32_e64 v233, null, 0, v8, vcc_lo
	v_max_num_f64_e32 v[7:8], v[0:1], v[0:1]
	v_or_b32_e32 v15, 0x60, v20
	v_or_b32_e32 v2, 0x70, v20
	;; [unrolled: 1-line block ×3, first 2 shown]
	s_delay_alu instid0(VALU_DEP_3) | instskip(SKIP_1) | instid1(VALU_DEP_4)
	v_mul_lo_u32 v22, v15, s35
	v_mad_co_u64_u32 v[14:15], null, v15, s34, s[6:7]
	v_mad_co_u64_u32 v[0:1], null, v2, s34, s[6:7]
	s_delay_alu instid0(VALU_DEP_4) | instskip(NEXT) | instid1(VALU_DEP_3)
	v_mul_lo_u32 v20, v3, s35
	v_add3_u32 v13, v21, v15, v22
	v_add3_u32 v15, v21, v17, v23
	v_mul_lo_u32 v17, v2, s35
	v_mad_co_u64_u32 v[2:3], null, v3, s34, s[6:7]
	v_add_co_u32 v234, vcc_lo, 0x400, v14
	s_wait_alu 0xfffd
	v_add_co_ci_u32_e64 v235, null, 0, v13, vcc_lo
	v_add_co_u32 v236, vcc_lo, 0x400, v16
	v_add3_u32 v1, v21, v1, v17
	v_add3_u32 v3, v21, v3, v20
	s_wait_alu 0xfffd
	v_add_co_ci_u32_e64 v237, null, 0, v15, vcc_lo
	v_add_co_u32 v238, vcc_lo, 0x400, v0
	s_wait_alu 0xfffd
	v_add_co_ci_u32_e64 v239, null, 0, v1, vcc_lo
	v_add_co_u32 v240, vcc_lo, 0x400, v2
	s_wait_alu 0xfffd
	v_add_co_ci_u32_e64 v241, null, 0, v3, vcc_lo
	s_lshl_b64 s[34:35], s[40:41], 3
	s_branch .LBB267_4
.LBB267_2:                              ;   in Loop: Header=BB267_4 Depth=1
	s_wait_alu 0xfffe
	s_or_b32 exec_lo, exec_lo, s3
.LBB267_3:                              ;   in Loop: Header=BB267_4 Depth=1
	s_add_co_i32 s2, s2, 0x10000
	s_wait_alu 0xfffe
	s_cmp_lt_u32 s2, s33
	s_cbranch_scc0 .LBB267_16
.LBB267_4:                              ; =>This Loop Header: Depth=1
                                        ;     Child Loop BB267_8 Depth 2
                                        ;     Child Loop BB267_15 Depth 2
	s_and_not1_b32 vcc_lo, exec_lo, s1
	s_wait_alu 0xfffe
	s_cbranch_vccnz .LBB267_3
; %bb.5:                                ;   in Loop: Header=BB267_4 Depth=1
	s_load_b32 s3, s[20:21], 0x4
	s_wait_kmcnt 0x0
	s_cvt_f32_u32 s24, s3
	s_sub_co_i32 s40, 0, s3
	s_wait_alu 0xfffe
	s_delay_alu instid0(SALU_CYCLE_1) | instskip(NEXT) | instid1(TRANS32_DEP_1)
	v_rcp_iflag_f32_e32 v0, s24
	v_readfirstlane_b32 s24, v0
	s_mul_f32 s24, s24, 0x4f7ffffe
	s_wait_alu 0xfffe
	s_delay_alu instid0(SALU_CYCLE_2) | instskip(SKIP_1) | instid1(SALU_CYCLE_2)
	s_cvt_u32_f32 s24, s24
	s_wait_alu 0xfffe
	s_mul_i32 s40, s40, s24
	s_wait_alu 0xfffe
	s_mul_hi_u32 s40, s24, s40
	s_wait_alu 0xfffe
	s_add_co_i32 s24, s24, s40
	s_wait_alu 0xfffe
	s_mul_u64 s[40:41], s[22:23], s[24:25]
	s_wait_alu 0xfffe
	s_mul_i32 s24, s41, s3
	s_add_co_i32 s40, s41, 1
	s_wait_alu 0xfffe
	s_sub_co_i32 s24, s22, s24
	s_wait_alu 0xfffe
	s_sub_co_i32 s43, s24, s3
	s_cmp_ge_u32 s24, s3
	s_cselect_b32 s40, s40, s41
	s_wait_alu 0xfffe
	s_cselect_b32 s24, s43, s24
	s_add_co_i32 s41, s40, 1
	s_wait_alu 0xfffe
	s_cmp_ge_u32 s24, s3
	s_cselect_b32 s43, s41, s40
	s_wait_alu 0xfffe
	s_mul_i32 s3, s43, s3
	s_wait_alu 0xfffe
	s_sub_co_i32 s44, s22, s3
	s_wait_alu 0xfffe
	s_cmp_lt_u32 s42, s44
	s_cselect_b32 s3, -1, 0
	s_wait_alu 0xfffe
	s_cmp_lg_u32 s3, 0
	s_add_co_ci_u32 s24, s43, 0
	s_wait_alu 0xfffe
	s_cmp_eq_u32 s24, 0
	s_cbranch_scc1 .LBB267_3
; %bb.6:                                ;   in Loop: Header=BB267_4 Depth=1
	s_mov_b32 s3, s25
	s_wait_alu 0xfffe
	s_lshl_b64 s[40:41], s[2:3], 3
	s_cmp_lt_i32 s24, 1
	s_wait_alu 0xfffe
	s_add_nc_u64 s[46:47], s[12:13], s[40:41]
	global_load_b64 v[0:1], v4, s[46:47]
	s_cbranch_scc1 .LBB267_12
; %bb.7:                                ;   in Loop: Header=BB267_4 Depth=1
	s_add_nc_u64 s[46:47], s[4:5], s[40:41]
	v_cvt_f64_u32_e32 v[2:3], s44
	global_load_b64 v[79:80], v4, s[46:47]
	s_mul_i32 s43, s43, s42
	s_add_nc_u64 s[40:41], s[8:9], s[40:41]
	s_wait_alu 0xfffe
	v_cvt_f64_u32_e32 v[13:14], s43
	global_load_b64 v[81:82], v4, s[40:41]
	v_or_b32_e32 v45, 0x200, v147
	v_mov_b32_e32 v49, 0
	v_mov_b32_e32 v65, 0
	;; [unrolled: 1-line block ×6, first 2 shown]
	v_dual_mov_b32 v71, 0 :: v_dual_mov_b32 v50, 0
	v_dual_mov_b32 v51, 0 :: v_dual_mov_b32 v66, 0
	;; [unrolled: 1-line block ×8, first 2 shown]
	v_mov_b32_e32 v68, 0
	v_mov_b32_e32 v58, 0
	;; [unrolled: 1-line block ×5, first 2 shown]
	v_dual_mov_b32 v70, 0 :: v_dual_mov_b32 v53, 0
	v_mov_b32_e32 v54, 0
	v_min_num_f64_e32 v[2:3], v[7:8], v[2:3]
	s_delay_alu instid0(VALU_DEP_1) | instskip(NEXT) | instid1(VALU_DEP_1)
	v_add_f64_e32 v[2:3], v[2:3], v[13:14]
	v_cvt_i32_f64_e32 v2, v[2:3]
	s_delay_alu instid0(VALU_DEP_1)
	v_readfirstlane_b32 s3, v2
	s_lshl_b32 s40, s3, 7
	s_wait_alu 0xfffe
	s_ashr_i32 s41, s40, 31
	s_wait_alu 0xfffe
	s_lshl_b64 s[40:41], s[40:41], 3
	s_wait_alu 0xfffe
	v_or_b32_e32 v45, s40, v45
	v_or_b32_e32 v47, s40, v147
	s_mul_i32 s3, s16, s41
	s_delay_alu instid0(VALU_DEP_2) | instskip(SKIP_1) | instid1(VALU_DEP_3)
	v_mul_lo_u32 v83, s17, v45
	v_mad_co_u64_u32 v[45:46], null, s16, v45, 0
	v_mul_lo_u32 v84, s17, v47
	v_mad_co_u64_u32 v[47:48], null, s16, v47, 0
	s_wait_alu 0xfffe
	s_delay_alu instid0(VALU_DEP_3) | instskip(NEXT) | instid1(VALU_DEP_2)
	v_add3_u32 v46, v46, s3, v83
	v_add3_u32 v48, v48, s3, v84
	s_add_co_i32 s3, s24, -1
	s_wait_loadcnt 0x1
	v_add_co_u32 v2, vcc_lo, v79, s6
	s_wait_alu 0xfffd
	v_add_co_ci_u32_e64 v3, null, s7, v80, vcc_lo
	s_delay_alu instid0(VALU_DEP_2) | instskip(SKIP_1) | instid1(VALU_DEP_2)
	v_add_co_u32 v2, vcc_lo, v2, s34
	s_wait_alu 0xfffd
	v_add_co_ci_u32_e64 v3, null, s35, v3, vcc_lo
	s_delay_alu instid0(VALU_DEP_2) | instskip(SKIP_1) | instid1(VALU_DEP_2)
	;; [unrolled: 4-line block ×7, first 2 shown]
	v_add_co_u32 v19, vcc_lo, v17, s30
	s_wait_alu 0xfffd
	v_add_co_ci_u32_e64 v20, null, s31, v18, vcc_lo
	s_clause 0x2
	flat_load_b64 v[2:3], v[2:3]
	flat_load_b64 v[13:14], v[13:14]
	;; [unrolled: 1-line block ×3, first 2 shown]
	v_add_co_u32 v21, vcc_lo, v19, s30
	s_wait_alu 0xfffd
	v_add_co_ci_u32_e64 v22, null, s31, v20, vcc_lo
	s_delay_alu instid0(VALU_DEP_2) | instskip(SKIP_1) | instid1(VALU_DEP_2)
	v_add_co_u32 v23, vcc_lo, v21, s30
	s_wait_alu 0xfffd
	v_add_co_ci_u32_e64 v24, null, s31, v22, vcc_lo
	s_delay_alu instid0(VALU_DEP_2) | instskip(SKIP_1) | instid1(VALU_DEP_2)
	v_add_co_u32 v25, vcc_lo, v23, s30
	s_wait_alu 0xfffd
	v_add_co_ci_u32_e64 v26, null, s31, v24, vcc_lo
	s_clause 0x2
	flat_load_b64 v[19:20], v[19:20]
	flat_load_b64 v[21:22], v[21:22]
	;; [unrolled: 1-line block ×3, first 2 shown]
	v_add_co_u32 v27, vcc_lo, v25, s30
	s_wait_alu 0xfffd
	v_add_co_ci_u32_e64 v28, null, s31, v26, vcc_lo
	flat_load_b64 v[25:26], v[25:26]
	v_add_co_u32 v29, vcc_lo, v27, s30
	s_wait_alu 0xfffd
	v_add_co_ci_u32_e64 v30, null, s31, v28, vcc_lo
	flat_load_b64 v[27:28], v[27:28]
	;; [unrolled: 4-line block ×4, first 2 shown]
	v_add_co_u32 v35, vcc_lo, v33, s30
	s_wait_alu 0xfffd
	v_add_co_ci_u32_e64 v36, null, s31, v34, vcc_lo
	s_delay_alu instid0(VALU_DEP_2) | instskip(SKIP_1) | instid1(VALU_DEP_2)
	v_add_co_u32 v37, vcc_lo, v35, s30
	s_wait_alu 0xfffd
	v_add_co_ci_u32_e64 v38, null, s31, v36, vcc_lo
	s_delay_alu instid0(VALU_DEP_2) | instskip(SKIP_1) | instid1(VALU_DEP_2)
	;; [unrolled: 4-line block ×3, first 2 shown]
	v_add_co_u32 v41, vcc_lo, v39, s30
	s_wait_alu 0xfffd
	v_add_co_ci_u32_e64 v42, null, s31, v40, vcc_lo
	flat_load_b64 v[33:34], v[33:34]
	flat_load_b64 v[35:36], v[35:36]
	;; [unrolled: 1-line block ×6, first 2 shown]
	s_wait_loadcnt 0x10
	v_add_co_u32 v244, vcc_lo, v81, s10
	s_wait_alu 0xfffd
	v_add_co_ci_u32_e64 v245, null, s11, v82, vcc_lo
	v_add_co_u32 v81, vcc_lo, v79, v5
	s_wait_alu 0xfffd
	v_add_co_ci_u32_e64 v82, null, v80, v6, vcc_lo
	;; [unrolled: 3-line block ×31, first 2 shown]
	v_add_co_u32 v166, vcc_lo, v109, s40
	v_mov_b32_e32 v15, 0
	s_wait_alu 0xfffd
	v_add_co_ci_u32_e64 v167, null, s41, v110, vcc_lo
	v_add_co_u32 v168, vcc_lo, v79, s40
	v_mov_b32_e32 v16, 0
	s_wait_alu 0xfffd
	v_add_co_ci_u32_e64 v169, null, s41, v80, vcc_lo
	s_mov_b32 s40, 0
	s_wait_loadcnt_dscnt 0xf0f
	v_dual_mov_b32 v80, v3 :: v_dual_mov_b32 v79, v2
	s_wait_loadcnt_dscnt 0xe0e
	v_dual_mov_b32 v108, v14 :: v_dual_mov_b32 v107, v13
	;; [unrolled: 2-line block ×16, first 2 shown]
.LBB267_8:                              ;   Parent Loop BB267_4 Depth=1
                                        ; =>  This Inner Loop Header: Depth=2
	v_add_co_u32 v145, vcc_lo, v246, v147
	s_wait_alu 0xfffd
	v_add_co_ci_u32_e64 v146, null, 0, v247, vcc_lo
	s_wait_alu 0xfffe
	s_cmp_lg_u32 s3, s40
	v_add_co_u32 v111, vcc_lo, 0x200, v145
	s_wait_alu 0xfffd
	v_add_co_ci_u32_e64 v112, null, 0, v146, vcc_lo
	s_delay_alu instid0(VALU_DEP_2) | instskip(SKIP_1) | instid1(VALU_DEP_2)
	v_add_co_u32 v135, vcc_lo, v111, s28
	s_wait_alu 0xfffd
	v_add_co_ci_u32_e64 v136, null, s29, v112, vcc_lo
	s_delay_alu instid0(VALU_DEP_2) | instskip(SKIP_1) | instid1(VALU_DEP_2)
	;; [unrolled: 4-line block ×9, first 2 shown]
	v_add_co_u32 v121, vcc_lo, v119, s28
	s_wait_alu 0xfffd
	v_add_co_ci_u32_e64 v122, null, s29, v120, vcc_lo
	v_add_co_u32 v123, vcc_lo, v244, v47
	s_wait_alu 0xfffd
	v_add_co_ci_u32_e64 v124, null, v245, v48, vcc_lo
	;; [unrolled: 3-line block ×3, first 2 shown]
	flat_load_b64 v[143:144], v[123:124]
	v_add_co_u32 v127, vcc_lo, v125, s28
	s_wait_alu 0xfffd
	v_add_co_ci_u32_e64 v128, null, s29, v126, vcc_lo
	s_clause 0x3
	flat_load_b64 v[111:112], v[111:112]
	flat_load_b64 v[113:114], v[113:114]
	;; [unrolled: 1-line block ×4, first 2 shown]
	v_add_co_u32 v129, vcc_lo, v127, s28
	s_wait_alu 0xfffd
	v_add_co_ci_u32_e64 v130, null, s29, v128, vcc_lo
	flat_load_b64 v[119:120], v[119:120]
	v_add_co_u32 v131, vcc_lo, v129, s28
	s_wait_alu 0xfffd
	v_add_co_ci_u32_e64 v132, null, s29, v130, vcc_lo
	flat_load_b64 v[121:122], v[121:122]
	v_add_co_u32 v133, vcc_lo, v131, s28
	s_wait_alu 0xfffd
	v_add_co_ci_u32_e64 v134, null, s29, v132, vcc_lo
	flat_load_b64 v[123:124], v[125:126]
	v_add_co_u32 v141, vcc_lo, v133, s28
	s_wait_alu 0xfffd
	v_add_co_ci_u32_e64 v142, null, s29, v134, vcc_lo
	flat_load_b64 v[125:126], v[127:128]
	flat_load_b64 v[127:128], v[129:130]
	flat_load_b64 v[129:130], v[131:132]
	;; [unrolled: 1-line block ×4, first 2 shown]
	s_clause 0x3
	flat_load_b64 v[135:136], v[135:136]
	flat_load_b64 v[137:138], v[137:138]
	;; [unrolled: 1-line block ×3, first 2 shown]
	flat_load_b64 v[141:142], v[145:146] offset:512
	s_cbranch_scc0 .LBB267_10
; %bb.9:                                ;   in Loop: Header=BB267_8 Depth=2
	v_add_co_u32 v81, vcc_lo, v248, v147
	s_wait_alu 0xfffd
	v_add_co_ci_u32_e64 v82, null, 0, v249, vcc_lo
	v_add_co_u32 v83, vcc_lo, v250, v147
	s_wait_alu 0xfffd
	v_add_co_ci_u32_e64 v84, null, 0, v251, vcc_lo
	;; [unrolled: 3-line block ×15, first 2 shown]
	flat_load_b64 v[79:80], v[145:146] offset:1024
	flat_load_b64 v[81:82], v[81:82]
	flat_load_b64 v[83:84], v[83:84]
	;; [unrolled: 1-line block ×15, first 2 shown]
.LBB267_10:                             ;   in Loop: Header=BB267_8 Depth=2
	s_wait_loadcnt_dscnt 0x1010
	v_fma_f64 v[2:3], v[2:3], v[143:144], v[15:16]
	v_add_co_u32 v15, vcc_lo, v244, v45
	s_wait_alu 0xfffd
	v_add_co_ci_u32_e64 v16, null, v245, v46, vcc_lo
	v_fma_f64 v[43:44], v[43:44], v[143:144], v[69:70]
	v_fma_f64 v[41:42], v[41:42], v[143:144], v[53:54]
	;; [unrolled: 1-line block ×3, first 2 shown]
	flat_load_b64 v[69:70], v[15:16]
	v_fma_f64 v[37:38], v[37:38], v[143:144], v[51:52]
	v_fma_f64 v[35:36], v[35:36], v[143:144], v[65:66]
	;; [unrolled: 1-line block ×12, first 2 shown]
	v_add_co_u32 v246, vcc_lo, 0x400, v246
	s_wait_alu 0xfffd
	v_add_co_ci_u32_e64 v247, null, 0, v247, vcc_lo
	v_add_co_u32 v248, vcc_lo, 0x400, v248
	s_wait_alu 0xfffd
	v_add_co_ci_u32_e64 v249, null, 0, v249, vcc_lo
	v_add_co_u32 v250, vcc_lo, 0x400, v250
	s_wait_alu 0xfffd
	v_add_co_ci_u32_e64 v251, null, 0, v251, vcc_lo
	v_add_co_u32 v252, vcc_lo, 0x400, v252
	s_wait_alu 0xfffd
	v_add_co_ci_u32_e64 v253, null, 0, v253, vcc_lo
	v_add_co_u32 v254, vcc_lo, 0x400, v254
	s_wait_alu 0xfffd
	v_add_co_ci_u32_e64 v255, null, 0, v255, vcc_lo
	v_add_co_u32 v148, vcc_lo, 0x400, v148
	s_wait_alu 0xfffd
	v_add_co_ci_u32_e64 v149, null, 0, v149, vcc_lo
	v_add_co_u32 v150, vcc_lo, 0x400, v150
	s_wait_alu 0xfffd
	v_add_co_ci_u32_e64 v151, null, 0, v151, vcc_lo
	v_add_co_u32 v152, vcc_lo, 0x400, v152
	s_wait_alu 0xfffd
	v_add_co_ci_u32_e64 v153, null, 0, v153, vcc_lo
	v_add_co_u32 v154, vcc_lo, 0x400, v154
	s_wait_alu 0xfffd
	v_add_co_ci_u32_e64 v155, null, 0, v155, vcc_lo
	v_add_co_u32 v156, vcc_lo, 0x400, v156
	s_wait_alu 0xfffd
	v_add_co_ci_u32_e64 v157, null, 0, v157, vcc_lo
	v_add_co_u32 v158, vcc_lo, 0x400, v158
	s_wait_alu 0xfffd
	v_add_co_ci_u32_e64 v159, null, 0, v159, vcc_lo
	v_add_co_u32 v160, vcc_lo, 0x400, v160
	s_wait_alu 0xfffd
	v_add_co_ci_u32_e64 v161, null, 0, v161, vcc_lo
	v_add_co_u32 v162, vcc_lo, 0x400, v162
	s_wait_alu 0xfffd
	v_add_co_ci_u32_e64 v163, null, 0, v163, vcc_lo
	v_add_co_u32 v164, vcc_lo, 0x400, v164
	s_wait_alu 0xfffd
	v_add_co_ci_u32_e64 v165, null, 0, v165, vcc_lo
	v_add_co_u32 v166, vcc_lo, 0x400, v166
	s_wait_alu 0xfffd
	v_add_co_ci_u32_e64 v167, null, 0, v167, vcc_lo
	v_add_co_u32 v168, vcc_lo, 0x400, v168
	s_wait_alu 0xfffd
	v_add_co_ci_u32_e64 v169, null, 0, v169, vcc_lo
	v_add_co_u32 v244, vcc_lo, v244, s26
	s_wait_alu 0xfffd
	v_add_co_ci_u32_e64 v245, null, s27, v245, vcc_lo
	s_add_co_i32 s40, s40, 1
	s_wait_alu 0xfffe
	s_cmp_ge_i32 s40, s24
	s_wait_loadcnt_dscnt 0x0
	v_fma_f64 v[15:16], v[141:142], v[69:70], v[2:3]
	v_fma_f64 v[53:54], v[135:136], v[69:70], v[41:42]
	;; [unrolled: 1-line block ×16, first 2 shown]
	s_cbranch_scc1 .LBB267_13
; %bb.11:                               ;   in Loop: Header=BB267_8 Depth=2
	v_dual_mov_b32 v2, v79 :: v_dual_mov_b32 v3, v80
	v_dual_mov_b32 v41, v81 :: v_dual_mov_b32 v42, v82
	v_dual_mov_b32 v39, v83 :: v_dual_mov_b32 v40, v84
	v_dual_mov_b32 v37, v85 :: v_dual_mov_b32 v38, v86
	v_dual_mov_b32 v35, v87 :: v_dual_mov_b32 v36, v88
	v_dual_mov_b32 v33, v89 :: v_dual_mov_b32 v34, v90
	v_dual_mov_b32 v31, v91 :: v_dual_mov_b32 v32, v92
	v_dual_mov_b32 v29, v93 :: v_dual_mov_b32 v30, v94
	v_dual_mov_b32 v27, v95 :: v_dual_mov_b32 v28, v96
	v_dual_mov_b32 v25, v97 :: v_dual_mov_b32 v26, v98
	v_dual_mov_b32 v23, v99 :: v_dual_mov_b32 v24, v100
	v_dual_mov_b32 v21, v101 :: v_dual_mov_b32 v22, v102
	v_dual_mov_b32 v19, v103 :: v_dual_mov_b32 v20, v104
	v_dual_mov_b32 v17, v105 :: v_dual_mov_b32 v18, v106
	v_dual_mov_b32 v13, v107 :: v_dual_mov_b32 v14, v108
	v_dual_mov_b32 v43, v109 :: v_dual_mov_b32 v44, v110
	s_branch .LBB267_8
.LBB267_12:                             ;   in Loop: Header=BB267_4 Depth=1
	v_mov_b32_e32 v69, 0
	v_mov_b32_e32 v75, 0
	;; [unrolled: 1-line block ×7, first 2 shown]
	v_dual_mov_b32 v53, 0 :: v_dual_mov_b32 v70, 0
	v_dual_mov_b32 v71, 0 :: v_dual_mov_b32 v76, 0
	;; [unrolled: 1-line block ×9, first 2 shown]
	v_mov_b32_e32 v74, 0
	v_mov_b32_e32 v64, 0
	;; [unrolled: 1-line block ×7, first 2 shown]
.LBB267_13:                             ;   in Loop: Header=BB267_4 Depth=1
	ds_store_2addr_stride64_b64 v242, v[15:16], v[53:54] offset1:1
	ds_store_2addr_stride64_b64 v242, v[49:50], v[51:52] offset0:2 offset1:3
	ds_store_2addr_stride64_b64 v242, v[65:66], v[67:68] offset0:4 offset1:5
	;; [unrolled: 1-line block ×6, first 2 shown]
	ds_store_b64 v242, v[71:72] offset:7168
	ds_store_b64 v243, v[69:70]
	s_wait_storecnt 0x0
	s_wait_loadcnt_dscnt 0x0
	s_barrier_signal -1
	s_barrier_wait -1
	global_inv scope:SCOPE_SE
	s_and_saveexec_b32 s3, s0
	s_cbranch_execz .LBB267_2
; %bb.14:                               ;   in Loop: Header=BB267_4 Depth=1
	s_clause 0x4
	scratch_load_b32 v2, off, off
	scratch_load_b32 v13, off, off offset:4
	scratch_load_b32 v15, off, off offset:8
	scratch_load_b32 v17, off, off offset:12
	scratch_load_b32 v19, off, off offset:28
	v_add_co_u32 v0, vcc_lo, v0, s14
	s_wait_alu 0xfffd
	v_add_co_ci_u32_e64 v1, null, s15, v1, vcc_lo
	s_mov_b32 s24, 0
	v_add_co_u32 v0, vcc_lo, v0, s38
	s_wait_alu 0xfffd
	v_add_co_ci_u32_e64 v1, null, s39, v1, vcc_lo
	s_wait_loadcnt 0x4
	ds_load_b64 v[2:3], v2
	s_wait_loadcnt 0x3
	ds_load_b64 v[13:14], v13
	;; [unrolled: 2-line block ×5, first 2 shown]
	s_wait_dscnt 0x4
	v_add_f64_e32 v[2:3], 0, v[2:3]
	s_wait_dscnt 0x3
	s_delay_alu instid0(VALU_DEP_1)
	v_add_f64_e32 v[2:3], v[2:3], v[13:14]
	scratch_load_b32 v13, off, off offset:16 ; 4-byte Folded Reload
	s_wait_dscnt 0x2
	v_add_f64_e32 v[2:3], v[2:3], v[15:16]
	scratch_load_b32 v15, off, off offset:20 ; 4-byte Folded Reload
	s_wait_dscnt 0x1
	v_add_f64_e32 v[2:3], v[2:3], v[17:18]
	scratch_load_b32 v17, off, off offset:24 ; 4-byte Folded Reload
	s_wait_loadcnt 0x2
	ds_load_b64 v[13:14], v13
	s_wait_loadcnt 0x1
	ds_load_b64 v[15:16], v15
	;; [unrolled: 2-line block ×3, first 2 shown]
	s_wait_dscnt 0x2
	v_add_f64_e32 v[2:3], v[2:3], v[13:14]
	scratch_load_b32 v13, off, off offset:32 ; 4-byte Folded Reload
	s_wait_dscnt 0x1
	v_add_f64_e32 v[2:3], v[2:3], v[15:16]
	scratch_load_b32 v15, off, off offset:36 ; 4-byte Folded Reload
	;; [unrolled: 3-line block ×3, first 2 shown]
	v_add_f64_e32 v[2:3], v[2:3], v[19:20]
	scratch_load_b32 v19, off, off offset:44 ; 4-byte Folded Reload
	s_wait_loadcnt 0x3
	ds_load_b64 v[13:14], v13
	s_wait_loadcnt 0x2
	ds_load_b64 v[15:16], v15
	;; [unrolled: 2-line block ×4, first 2 shown]
	s_wait_dscnt 0x3
	v_add_f64_e32 v[2:3], v[2:3], v[13:14]
	scratch_load_b32 v13, off, off offset:48 ; 4-byte Folded Reload
	s_wait_dscnt 0x2
	v_add_f64_e32 v[2:3], v[2:3], v[15:16]
	scratch_load_b32 v15, off, off offset:52 ; 4-byte Folded Reload
	;; [unrolled: 3-line block ×4, first 2 shown]
	s_wait_loadcnt 0x3
	ds_load_b64 v[13:14], v13
	s_wait_loadcnt 0x2
	ds_load_b64 v[15:16], v15
	;; [unrolled: 2-line block ×4, first 2 shown]
	s_wait_dscnt 0x3
	v_add_f64_e32 v[2:3], v[2:3], v[13:14]
	scratch_load_b32 v13, off, off offset:64 ; 4-byte Folded Reload
	s_wait_dscnt 0x2
	v_add_f64_e32 v[2:3], v[2:3], v[15:16]
	scratch_load_b32 v15, off, off offset:68 ; 4-byte Folded Reload
	;; [unrolled: 3-line block ×4, first 2 shown]
	s_wait_loadcnt 0x3
	ds_load_b64 v[13:14], v13
	s_wait_loadcnt 0x2
	ds_load_b64 v[15:16], v15
	;; [unrolled: 2-line block ×4, first 2 shown]
	s_wait_dscnt 0x3
	v_add_f64_e32 v[2:3], v[2:3], v[13:14]
	scratch_load_b32 v13, off, off offset:80 ; 4-byte Folded Reload
	s_wait_dscnt 0x2
	v_add_f64_e32 v[2:3], v[2:3], v[15:16]
	scratch_load_b32 v15, off, off offset:84 ; 4-byte Folded Reload
	s_wait_loadcnt 0x1
	ds_load_b64 v[13:14], v13
	s_wait_dscnt 0x2
	v_add_f64_e32 v[2:3], v[2:3], v[17:18]
	s_wait_dscnt 0x1
	s_delay_alu instid0(VALU_DEP_1)
	v_add_f64_e32 v[2:3], v[2:3], v[19:20]
	s_wait_loadcnt 0x0
	ds_load_b64 v[15:16], v15
	ds_load_b64 v[17:18], v170
	ds_load_b64 v[19:20], v171
	s_wait_dscnt 0x3
	v_add_f64_e32 v[2:3], v[2:3], v[13:14]
	s_wait_dscnt 0x2
	s_delay_alu instid0(VALU_DEP_1) | instskip(SKIP_1) | instid1(VALU_DEP_1)
	v_add_f64_e32 v[2:3], v[2:3], v[15:16]
	s_wait_dscnt 0x1
	v_add_f64_e32 v[2:3], v[2:3], v[17:18]
	s_wait_dscnt 0x0
	s_delay_alu instid0(VALU_DEP_1)
	v_add_f64_e32 v[2:3], v[2:3], v[19:20]
	ds_load_b64 v[13:14], v172
	ds_load_b64 v[15:16], v173
	ds_load_b64 v[17:18], v174
	ds_load_b64 v[19:20], v175
	s_wait_dscnt 0x3
	v_add_f64_e32 v[2:3], v[2:3], v[13:14]
	s_wait_dscnt 0x2
	s_delay_alu instid0(VALU_DEP_1) | instskip(SKIP_1) | instid1(VALU_DEP_1)
	v_add_f64_e32 v[2:3], v[2:3], v[15:16]
	s_wait_dscnt 0x1
	v_add_f64_e32 v[2:3], v[2:3], v[17:18]
	s_wait_dscnt 0x0
	s_delay_alu instid0(VALU_DEP_1)
	v_add_f64_e32 v[2:3], v[2:3], v[19:20]
	ds_load_b64 v[13:14], v176
	;; [unrolled: 14-line block ×9, first 2 shown]
	ds_load_b64 v[15:16], v205
	ds_load_b64 v[17:18], v206
	;; [unrolled: 1-line block ×3, first 2 shown]
	s_wait_dscnt 0x3
	v_add_f64_e32 v[21:22], v[2:3], v[13:14]
	v_add_co_u32 v13, vcc_lo, v0, v11
	s_wait_alu 0xfffd
	v_add_co_ci_u32_e64 v14, null, v1, v12, vcc_lo
	flat_load_b64 v[2:3], v[13:14]
	s_wait_dscnt 0x3
	v_add_f64_e32 v[0:1], v[21:22], v[15:16]
	s_wait_dscnt 0x2
	s_delay_alu instid0(VALU_DEP_1) | instskip(SKIP_1) | instid1(VALU_DEP_1)
	v_add_f64_e32 v[0:1], v[0:1], v[17:18]
	s_wait_dscnt 0x1
	v_add_f64_e32 v[0:1], v[0:1], v[19:20]
	ds_load_b64 v[15:16], v208
	ds_load_b64 v[17:18], v209
	;; [unrolled: 1-line block ×4, first 2 shown]
	s_wait_dscnt 0x3
	v_add_f64_e32 v[0:1], v[0:1], v[15:16]
	s_wait_dscnt 0x2
	s_delay_alu instid0(VALU_DEP_1) | instskip(SKIP_1) | instid1(VALU_DEP_1)
	v_add_f64_e32 v[0:1], v[0:1], v[17:18]
	s_wait_dscnt 0x1
	v_add_f64_e32 v[0:1], v[0:1], v[19:20]
	s_wait_dscnt 0x0
	s_delay_alu instid0(VALU_DEP_1) | instskip(NEXT) | instid1(VALU_DEP_1)
	v_add_f64_e32 v[0:1], v[0:1], v[21:22]
	v_mul_f64_e32 v[15:16], s[18:19], v[0:1]
.LBB267_15:                             ;   Parent Loop BB267_4 Depth=1
                                        ; =>  This Inner Loop Header: Depth=2
	s_wait_loadcnt 0x0
	s_delay_alu instid0(VALU_DEP_1)
	v_add_f64_e32 v[0:1], v[2:3], v[15:16]
	flat_atomic_cmpswap_b64 v[0:1], v[13:14], v[0:3] th:TH_ATOMIC_RETURN scope:SCOPE_DEV
	s_wait_loadcnt_dscnt 0x0
	v_cmp_eq_u64_e32 vcc_lo, v[0:1], v[2:3]
	v_dual_mov_b32 v3, v1 :: v_dual_mov_b32 v2, v0
	s_wait_alu 0xfffe
	s_or_b32 s24, vcc_lo, s24
	s_wait_alu 0xfffe
	s_and_not1_b32 exec_lo, exec_lo, s24
	s_cbranch_execnz .LBB267_15
	s_branch .LBB267_2
.LBB267_16:
	s_nop 0
	s_sendmsg sendmsg(MSG_DEALLOC_VGPRS)
	s_endpgm
	.section	.rodata,"a",@progbits
	.p2align	6, 0x0
	.amdhsa_kernel _ZL36rocblas_gemvt_double_buffered_kernelILb0ELi128ELi4ELi16EPKddKPdEviiT4_lPKT3_lilS7_lilPT5_lili
		.amdhsa_group_segment_fixed_size 65536
		.amdhsa_private_segment_fixed_size 92
		.amdhsa_kernarg_size 384
		.amdhsa_user_sgpr_count 2
		.amdhsa_user_sgpr_dispatch_ptr 0
		.amdhsa_user_sgpr_queue_ptr 0
		.amdhsa_user_sgpr_kernarg_segment_ptr 1
		.amdhsa_user_sgpr_dispatch_id 0
		.amdhsa_user_sgpr_private_segment_size 0
		.amdhsa_wavefront_size32 1
		.amdhsa_uses_dynamic_stack 0
		.amdhsa_enable_private_segment 1
		.amdhsa_system_sgpr_workgroup_id_x 1
		.amdhsa_system_sgpr_workgroup_id_y 1
		.amdhsa_system_sgpr_workgroup_id_z 1
		.amdhsa_system_sgpr_workgroup_info 0
		.amdhsa_system_vgpr_workitem_id 1
		.amdhsa_next_free_vgpr 256
		.amdhsa_next_free_sgpr 48
		.amdhsa_reserve_vcc 1
		.amdhsa_float_round_mode_32 0
		.amdhsa_float_round_mode_16_64 0
		.amdhsa_float_denorm_mode_32 3
		.amdhsa_float_denorm_mode_16_64 3
		.amdhsa_fp16_overflow 0
		.amdhsa_workgroup_processor_mode 1
		.amdhsa_memory_ordered 1
		.amdhsa_forward_progress 1
		.amdhsa_inst_pref_size 67
		.amdhsa_round_robin_scheduling 0
		.amdhsa_exception_fp_ieee_invalid_op 0
		.amdhsa_exception_fp_denorm_src 0
		.amdhsa_exception_fp_ieee_div_zero 0
		.amdhsa_exception_fp_ieee_overflow 0
		.amdhsa_exception_fp_ieee_underflow 0
		.amdhsa_exception_fp_ieee_inexact 0
		.amdhsa_exception_int_div_zero 0
	.end_amdhsa_kernel
	.section	.text._ZL36rocblas_gemvt_double_buffered_kernelILb0ELi128ELi4ELi16EPKddKPdEviiT4_lPKT3_lilS7_lilPT5_lili,"axG",@progbits,_ZL36rocblas_gemvt_double_buffered_kernelILb0ELi128ELi4ELi16EPKddKPdEviiT4_lPKT3_lilS7_lilPT5_lili,comdat
.Lfunc_end267:
	.size	_ZL36rocblas_gemvt_double_buffered_kernelILb0ELi128ELi4ELi16EPKddKPdEviiT4_lPKT3_lilS7_lilPT5_lili, .Lfunc_end267-_ZL36rocblas_gemvt_double_buffered_kernelILb0ELi128ELi4ELi16EPKddKPdEviiT4_lPKT3_lilS7_lilPT5_lili
                                        ; -- End function
	.set _ZL36rocblas_gemvt_double_buffered_kernelILb0ELi128ELi4ELi16EPKddKPdEviiT4_lPKT3_lilS7_lilPT5_lili.num_vgpr, 256
	.set _ZL36rocblas_gemvt_double_buffered_kernelILb0ELi128ELi4ELi16EPKddKPdEviiT4_lPKT3_lilS7_lilPT5_lili.num_agpr, 0
	.set _ZL36rocblas_gemvt_double_buffered_kernelILb0ELi128ELi4ELi16EPKddKPdEviiT4_lPKT3_lilS7_lilPT5_lili.numbered_sgpr, 48
	.set _ZL36rocblas_gemvt_double_buffered_kernelILb0ELi128ELi4ELi16EPKddKPdEviiT4_lPKT3_lilS7_lilPT5_lili.num_named_barrier, 0
	.set _ZL36rocblas_gemvt_double_buffered_kernelILb0ELi128ELi4ELi16EPKddKPdEviiT4_lPKT3_lilS7_lilPT5_lili.private_seg_size, 92
	.set _ZL36rocblas_gemvt_double_buffered_kernelILb0ELi128ELi4ELi16EPKddKPdEviiT4_lPKT3_lilS7_lilPT5_lili.uses_vcc, 1
	.set _ZL36rocblas_gemvt_double_buffered_kernelILb0ELi128ELi4ELi16EPKddKPdEviiT4_lPKT3_lilS7_lilPT5_lili.uses_flat_scratch, 1
	.set _ZL36rocblas_gemvt_double_buffered_kernelILb0ELi128ELi4ELi16EPKddKPdEviiT4_lPKT3_lilS7_lilPT5_lili.has_dyn_sized_stack, 0
	.set _ZL36rocblas_gemvt_double_buffered_kernelILb0ELi128ELi4ELi16EPKddKPdEviiT4_lPKT3_lilS7_lilPT5_lili.has_recursion, 0
	.set _ZL36rocblas_gemvt_double_buffered_kernelILb0ELi128ELi4ELi16EPKddKPdEviiT4_lPKT3_lilS7_lilPT5_lili.has_indirect_call, 0
	.section	.AMDGPU.csdata,"",@progbits
; Kernel info:
; codeLenInByte = 8480
; TotalNumSgprs: 50
; NumVgprs: 256
; ScratchSize: 92
; MemoryBound: 0
; FloatMode: 240
; IeeeMode: 1
; LDSByteSize: 65536 bytes/workgroup (compile time only)
; SGPRBlocks: 0
; VGPRBlocks: 31
; NumSGPRsForWavesPerEU: 50
; NumVGPRsForWavesPerEU: 256
; Occupancy: 5
; WaveLimiterHint : 1
; COMPUTE_PGM_RSRC2:SCRATCH_EN: 1
; COMPUTE_PGM_RSRC2:USER_SGPR: 2
; COMPUTE_PGM_RSRC2:TRAP_HANDLER: 0
; COMPUTE_PGM_RSRC2:TGID_X_EN: 1
; COMPUTE_PGM_RSRC2:TGID_Y_EN: 1
; COMPUTE_PGM_RSRC2:TGID_Z_EN: 1
; COMPUTE_PGM_RSRC2:TIDIG_COMP_CNT: 1
	.section	.text._ZL32rocblas_gemvt_warp_reduce_kernelILb0ELi256EiPKdS1_KPdEviiT3_lPKT2_lT1_lS7_lS8_lS4_lPT4_lS8_li,"axG",@progbits,_ZL32rocblas_gemvt_warp_reduce_kernelILb0ELi256EiPKdS1_KPdEviiT3_lPKT2_lT1_lS7_lS8_lS4_lPT4_lS8_li,comdat
	.globl	_ZL32rocblas_gemvt_warp_reduce_kernelILb0ELi256EiPKdS1_KPdEviiT3_lPKT2_lT1_lS7_lS8_lS4_lPT4_lS8_li ; -- Begin function _ZL32rocblas_gemvt_warp_reduce_kernelILb0ELi256EiPKdS1_KPdEviiT3_lPKT2_lT1_lS7_lS8_lS4_lPT4_lS8_li
	.p2align	8
	.type	_ZL32rocblas_gemvt_warp_reduce_kernelILb0ELi256EiPKdS1_KPdEviiT3_lPKT2_lT1_lS7_lS8_lS4_lPT4_lS8_li,@function
_ZL32rocblas_gemvt_warp_reduce_kernelILb0ELi256EiPKdS1_KPdEviiT3_lPKT2_lT1_lS7_lS8_lS4_lPT4_lS8_li: ; @_ZL32rocblas_gemvt_warp_reduce_kernelILb0ELi256EiPKdS1_KPdEviiT3_lPKT2_lT1_lS7_lS8_lS4_lPT4_lS8_li
; %bb.0:
	s_load_b32 s33, s[0:1], 0x88
	s_lshr_b32 s28, ttmp7, 16
	s_wait_kmcnt 0x0
	s_cmp_ge_u32 s28, s33
	s_cbranch_scc1 .LBB268_37
; %bb.1:
	s_clause 0x6
	s_load_b32 s5, s[0:1], 0x0
	s_load_b256 s[8:15], s[0:1], 0x8
	s_load_b32 s4, s[0:1], 0x78
	s_load_b32 s7, s[0:1], 0x28
	s_load_b128 s[24:27], s[0:1], 0x38
	s_load_b32 s31, s[0:1], 0x48
	s_load_b256 s[16:23], s[0:1], 0x58
	v_lshrrev_b32_e32 v3, 2, v0
	v_dual_mov_b32 v1, 0 :: v_dual_and_b32 v2, 31, v0
	v_mbcnt_lo_u32_b32 v22, -1, 0
	v_cmp_eq_u32_e64 s0, 0, v0
	s_delay_alu instid0(VALU_DEP_4)
	v_and_b32_e32 v20, 56, v3
	v_cmp_gt_u32_e64 s1, 32, v0
	v_cmp_gt_u32_e64 s2, 8, v0
	v_lshl_or_b32 v24, v22, 2, 64
	s_mov_b32 s29, 0
	s_wait_kmcnt 0x0
	s_ashr_i32 s3, s5, 31
	v_cmp_gt_i32_e32 vcc_lo, s5, v0
	s_lshr_b32 s3, s3, 24
	v_lshlrev_b32_e32 v19, 3, v2
	s_add_co_i32 s6, s5, s3
	v_cmp_eq_u32_e64 s3, 0, v2
	s_and_b32 s30, s6, 0xffffff00
	v_cndmask_b32_e32 v4, 0, v0, vcc_lo
	v_or_b32_e32 v3, s30, v0
	v_mul_lo_u32 v21, v0, s31
	s_mul_i32 s6, s4, ttmp9
	s_mul_i32 s36, s7, ttmp9
	v_lshlrev_b32_e32 v23, 3, v4
	v_mul_lo_u32 v2, s31, v3
	v_cmp_gt_i32_e64 s5, s5, v3
	v_cmp_gt_i32_e64 s4, s30, v0
	s_lshl_b32 s40, s31, 8
	s_ashr_i32 s7, s6, 31
	s_ashr_i32 s37, s36, 31
	;; [unrolled: 1-line block ×3, first 2 shown]
	s_lshl_b64 s[14:15], s[14:15], 3
	v_ashrrev_i32_e32 v3, 31, v2
	s_lshl_b64 s[26:27], s[26:27], 3
	s_lshl_b64 s[22:23], s[22:23], 3
	;; [unrolled: 1-line block ×4, first 2 shown]
	v_lshlrev_b64_e32 v[3:4], 3, v[2:3]
	s_wait_alu 0xfffe
	s_lshl_b64 s[38:39], s[30:31], 3
	s_branch .LBB268_4
.LBB268_2:                              ;   in Loop: Header=BB268_4 Depth=1
	s_or_b32 exec_lo, exec_lo, s6
.LBB268_3:                              ;   in Loop: Header=BB268_4 Depth=1
	s_add_co_i32 s28, s28, 0x10000
	s_delay_alu instid0(SALU_CYCLE_1)
	s_cmp_lt_u32 s28, s33
	s_cbranch_scc0 .LBB268_37
.LBB268_4:                              ; =>This Loop Header: Depth=1
                                        ;     Child Loop BB268_26 Depth 2
	s_mul_u64 s[6:7], s[10:11], s[28:29]
	s_mul_u64 s[42:43], s[18:19], s[28:29]
	s_lshl_b64 s[6:7], s[6:7], 3
	s_lshl_b64 s[42:43], s[42:43], 3
	s_add_nc_u64 s[6:7], s[8:9], s[6:7]
	s_add_nc_u64 s[42:43], s[16:17], s[42:43]
	s_clause 0x1
	global_load_b64 v[7:8], v1, s[6:7]
	global_load_b64 v[5:6], v1, s[42:43]
	s_wait_loadcnt 0x1
	v_cmp_eq_f64_e64 s6, 0, v[7:8]
	s_wait_loadcnt 0x0
	v_cmp_eq_f64_e32 vcc_lo, 1.0, v[5:6]
	s_and_b32 s7, s6, vcc_lo
	s_delay_alu instid0(SALU_CYCLE_1)
	s_and_b32 vcc_lo, exec_lo, s7
	s_wait_alu 0xfffe
	s_cbranch_vccnz .LBB268_3
; %bb.5:                                ;   in Loop: Header=BB268_4 Depth=1
	v_cmp_neq_f64_e64 s7, 0, v[7:8]
	s_wait_dscnt 0x0
	v_mov_b32_e32 v9, 0
	v_dual_mov_b32 v10, 0 :: v_dual_mov_b32 v11, 0
	v_mov_b32_e32 v12, 0
	s_and_b32 vcc_lo, exec_lo, s6
	s_wait_alu 0xfffe
	s_cbranch_vccnz .LBB268_7
; %bb.6:                                ;   in Loop: Header=BB268_4 Depth=1
	s_lshl_b64 s[42:43], s[28:29], 3
	s_delay_alu instid0(SALU_CYCLE_1)
	s_add_nc_u64 s[42:43], s[12:13], s[42:43]
	global_load_b64 v[11:12], v1, s[42:43]
	s_wait_loadcnt 0x0
	v_add_co_u32 v11, vcc_lo, v11, s14
	s_wait_alu 0xfffd
	v_add_co_ci_u32_e64 v12, null, s15, v12, vcc_lo
.LBB268_7:                              ;   in Loop: Header=BB268_4 Depth=1
	s_and_not1_b32 vcc_lo, exec_lo, s7
	s_wait_alu 0xfffe
	s_cbranch_vccnz .LBB268_9
; %bb.8:                                ;   in Loop: Header=BB268_4 Depth=1
	s_lshl_b64 s[42:43], s[28:29], 3
	s_delay_alu instid0(SALU_CYCLE_1)
	s_add_nc_u64 s[42:43], s[24:25], s[42:43]
	global_load_b64 v[9:10], v1, s[42:43]
	s_wait_loadcnt 0x0
	v_add_co_u32 v9, vcc_lo, v9, s26
	s_wait_alu 0xfffd
	v_add_co_ci_u32_e64 v10, null, s27, v10, vcc_lo
.LBB268_9:                              ;   in Loop: Header=BB268_4 Depth=1
	s_lshl_b64 s[42:43], s[28:29], 3
	s_delay_alu instid0(SALU_CYCLE_1)
	s_add_nc_u64 s[42:43], s[20:21], s[42:43]
	global_load_b64 v[13:14], v1, s[42:43]
	s_wait_loadcnt 0x0
	v_add_co_u32 v25, vcc_lo, v13, s22
	s_wait_alu 0xfffd
	v_add_co_ci_u32_e64 v26, null, s23, v14, vcc_lo
	s_and_not1_b32 vcc_lo, exec_lo, s6
	s_wait_alu 0xfffe
	s_cbranch_vccnz .LBB268_14
; %bb.10:                               ;   in Loop: Header=BB268_4 Depth=1
	s_mov_b32 s6, 0
	s_mov_b32 s7, 0
                                        ; implicit-def: $vgpr13_vgpr14
	s_and_saveexec_b32 s31, s0
	s_cbranch_execz .LBB268_15
; %bb.11:                               ;   in Loop: Header=BB268_4 Depth=1
	v_cmp_eq_f64_e32 vcc_lo, 0, v[5:6]
	v_mov_b32_e32 v13, 0
	v_mov_b32_e32 v14, 0
	s_cbranch_vccnz .LBB268_13
; %bb.12:                               ;   in Loop: Header=BB268_4 Depth=1
	v_add_co_u32 v13, vcc_lo, v25, s34
	s_wait_alu 0xfffd
	v_add_co_ci_u32_e64 v14, null, s35, v26, vcc_lo
	flat_load_b64 v[13:14], v[13:14]
	s_wait_loadcnt_dscnt 0x0
	v_mul_f64_e32 v[13:14], v[5:6], v[13:14]
.LBB268_13:                             ;   in Loop: Header=BB268_4 Depth=1
	s_mov_b32 s7, exec_lo
	s_wait_alu 0xfffe
	s_or_b32 exec_lo, exec_lo, s31
	s_delay_alu instid0(SALU_CYCLE_1)
	s_and_b32 vcc_lo, exec_lo, s6
	s_wait_alu 0xfffe
	s_cbranch_vccnz .LBB268_16
	s_branch .LBB268_35
.LBB268_14:                             ;   in Loop: Header=BB268_4 Depth=1
	s_mov_b32 s7, 0
                                        ; implicit-def: $vgpr13_vgpr14
	s_cbranch_execnz .LBB268_16
	s_branch .LBB268_35
.LBB268_15:                             ;   in Loop: Header=BB268_4 Depth=1
	s_wait_alu 0xfffe
	s_or_b32 exec_lo, exec_lo, s31
	s_delay_alu instid0(SALU_CYCLE_1)
	s_and_b32 vcc_lo, exec_lo, s6
	s_wait_alu 0xfffe
	s_cbranch_vccz .LBB268_35
.LBB268_16:                             ;   in Loop: Header=BB268_4 Depth=1
	v_add_co_u32 v2, vcc_lo, v11, v23
	s_wait_alu 0xfffd
	v_add_co_ci_u32_e64 v14, null, 0, v12, vcc_lo
	v_mov_b32_e32 v11, 0
	s_delay_alu instid0(VALU_DEP_3)
	v_add_co_u32 v13, vcc_lo, v2, s36
	v_mov_b32_e32 v12, 0
	s_wait_alu 0xfffd
	v_add_co_ci_u32_e64 v14, null, s37, v14, vcc_lo
	s_and_saveexec_b32 s31, s4
	s_cbranch_execnz .LBB268_25
; %bb.17:                               ;   in Loop: Header=BB268_4 Depth=1
	s_wait_alu 0xfffe
	s_or_b32 exec_lo, exec_lo, s31
	s_and_saveexec_b32 s6, s5
	s_cbranch_execnz .LBB268_28
.LBB268_18:                             ;   in Loop: Header=BB268_4 Depth=1
	s_or_b32 exec_lo, exec_lo, s6
	s_and_saveexec_b32 s6, s1
.LBB268_19:                             ;   in Loop: Header=BB268_4 Depth=1
	v_mov_b32_e32 v2, v1
	ds_store_b64 v19, v[1:2]
.LBB268_20:                             ;   in Loop: Header=BB268_4 Depth=1
	s_or_b32 exec_lo, exec_lo, s6
	ds_bpermute_b32 v9, v24, v11
	ds_bpermute_b32 v10, v24, v12
	v_cmp_gt_u32_e32 vcc_lo, 24, v22
	s_wait_dscnt 0x0
	s_barrier_signal -1
	s_barrier_wait -1
	global_inv scope:SCOPE_SE
	s_wait_alu 0xfffd
	v_cndmask_b32_e64 v2, 0, 8, vcc_lo
	v_cmp_gt_u32_e32 vcc_lo, 28, v22
	s_delay_alu instid0(VALU_DEP_2)
	v_add_lshl_u32 v2, v2, v22, 2
	v_add_f64_e32 v[9:10], v[11:12], v[9:10]
	ds_bpermute_b32 v11, v2, v9
	ds_bpermute_b32 v12, v2, v10
	s_wait_alu 0xfffd
	v_cndmask_b32_e64 v2, 0, 4, vcc_lo
	v_cmp_gt_u32_e32 vcc_lo, 30, v22
	s_delay_alu instid0(VALU_DEP_2)
	v_add_lshl_u32 v2, v2, v22, 2
	s_wait_dscnt 0x0
	v_add_f64_e32 v[9:10], v[9:10], v[11:12]
	ds_bpermute_b32 v11, v2, v9
	ds_bpermute_b32 v12, v2, v10
	s_wait_dscnt 0x0
	v_add_f64_e32 v[9:10], v[9:10], v[11:12]
	s_wait_alu 0xfffd
	v_cndmask_b32_e64 v11, 0, 2, vcc_lo
	v_cmp_ne_u32_e32 vcc_lo, 31, v22
	s_delay_alu instid0(VALU_DEP_2)
	v_add_lshl_u32 v13, v11, v22, 2
	ds_bpermute_b32 v11, v13, v9
	ds_bpermute_b32 v12, v13, v10
	s_wait_dscnt 0x0
	v_add_f64_e32 v[9:10], v[9:10], v[11:12]
	s_wait_alu 0xfffd
	v_add_co_ci_u32_e64 v11, null, 0, v22, vcc_lo
	s_delay_alu instid0(VALU_DEP_1)
	v_lshlrev_b32_e32 v14, 2, v11
	ds_bpermute_b32 v11, v14, v9
	ds_bpermute_b32 v12, v14, v10
	s_and_saveexec_b32 s6, s3
	s_cbranch_execz .LBB268_22
; %bb.21:                               ;   in Loop: Header=BB268_4 Depth=1
	s_wait_dscnt 0x0
	v_add_f64_e32 v[9:10], v[9:10], v[11:12]
	ds_store_b64 v20, v[9:10]
.LBB268_22:                             ;   in Loop: Header=BB268_4 Depth=1
	s_or_b32 exec_lo, exec_lo, s6
	v_mov_b32_e32 v9, 0
	v_mov_b32_e32 v10, 0
	s_wait_loadcnt_dscnt 0x0
	s_barrier_signal -1
	s_barrier_wait -1
	global_inv scope:SCOPE_SE
	s_and_saveexec_b32 s6, s2
	s_cbranch_execnz .LBB268_29
; %bb.23:                               ;   in Loop: Header=BB268_4 Depth=1
	s_or_b32 exec_lo, exec_lo, s6
	s_and_saveexec_b32 s6, s1
	s_cbranch_execnz .LBB268_30
.LBB268_24:                             ;   in Loop: Header=BB268_4 Depth=1
	s_or_b32 exec_lo, exec_lo, s6
                                        ; implicit-def: $vgpr13_vgpr14
	s_and_saveexec_b32 s6, s0
	s_cbranch_execnz .LBB268_31
	s_branch .LBB268_34
.LBB268_25:                             ;   in Loop: Header=BB268_4 Depth=1
	v_dual_mov_b32 v11, 0 :: v_dual_mov_b32 v18, v14
	v_dual_mov_b32 v12, 0 :: v_dual_mov_b32 v15, v21
	;; [unrolled: 1-line block ×3, first 2 shown]
	s_mov_b32 s41, 0
.LBB268_26:                             ;   Parent Loop BB268_4 Depth=1
                                        ; =>  This Inner Loop Header: Depth=2
	s_delay_alu instid0(VALU_DEP_2) | instskip(NEXT) | instid1(VALU_DEP_2)
	v_ashrrev_i32_e32 v16, 31, v15
	v_add_nc_u32_e32 v2, 0x100, v2
	s_delay_alu instid0(VALU_DEP_2) | instskip(NEXT) | instid1(VALU_DEP_2)
	v_lshlrev_b64_e32 v[27:28], 3, v[15:16]
	v_cmp_le_i32_e64 s6, s30, v2
	v_add_nc_u32_e32 v15, s40, v15
	s_wait_alu 0xfffe
	s_or_b32 s41, s6, s41
	v_add_co_u32 v27, vcc_lo, v9, v27
	s_wait_alu 0xfffd
	v_add_co_ci_u32_e64 v28, null, v10, v28, vcc_lo
	flat_load_b64 v[29:30], v[17:18]
	flat_load_b64 v[27:28], v[27:28]
	v_add_co_u32 v17, vcc_lo, 0x800, v17
	s_wait_alu 0xfffd
	v_add_co_ci_u32_e64 v18, null, 0, v18, vcc_lo
	s_wait_loadcnt_dscnt 0x0
	v_fma_f64 v[11:12], v[29:30], v[27:28], v[11:12]
	s_wait_alu 0xfffe
	s_and_not1_b32 exec_lo, exec_lo, s41
	s_cbranch_execnz .LBB268_26
; %bb.27:                               ;   in Loop: Header=BB268_4 Depth=1
	s_or_b32 exec_lo, exec_lo, s41
	s_delay_alu instid0(SALU_CYCLE_1)
	s_or_b32 exec_lo, exec_lo, s31
	s_and_saveexec_b32 s6, s5
	s_cbranch_execz .LBB268_18
.LBB268_28:                             ;   in Loop: Header=BB268_4 Depth=1
	v_add_co_u32 v13, vcc_lo, v13, s38
	s_wait_alu 0xfffd
	v_add_co_ci_u32_e64 v14, null, s39, v14, vcc_lo
	v_add_co_u32 v9, vcc_lo, v9, v3
	s_wait_alu 0xfffd
	v_add_co_ci_u32_e64 v10, null, v10, v4, vcc_lo
	flat_load_b64 v[13:14], v[13:14]
	flat_load_b64 v[9:10], v[9:10]
	s_wait_loadcnt_dscnt 0x0
	v_fma_f64 v[11:12], v[13:14], v[9:10], v[11:12]
	s_or_b32 exec_lo, exec_lo, s6
	s_and_saveexec_b32 s6, s1
	s_cbranch_execnz .LBB268_19
	s_branch .LBB268_20
.LBB268_29:                             ;   in Loop: Header=BB268_4 Depth=1
	ds_load_b64 v[9:10], v19
	s_or_b32 exec_lo, exec_lo, s6
	s_and_saveexec_b32 s6, s1
	s_cbranch_execz .LBB268_24
.LBB268_30:                             ;   in Loop: Header=BB268_4 Depth=1
	s_wait_dscnt 0x0
	ds_bpermute_b32 v11, v2, v9
	ds_bpermute_b32 v12, v2, v10
	s_wait_dscnt 0x0
	v_add_f64_e32 v[9:10], v[9:10], v[11:12]
	ds_bpermute_b32 v11, v13, v9
	ds_bpermute_b32 v12, v13, v10
	s_wait_dscnt 0x0
	v_add_f64_e32 v[9:10], v[9:10], v[11:12]
	;; [unrolled: 4-line block ×3, first 2 shown]
	s_or_b32 exec_lo, exec_lo, s6
                                        ; implicit-def: $vgpr13_vgpr14
	s_and_saveexec_b32 s6, s0
	s_cbranch_execz .LBB268_34
.LBB268_31:                             ;   in Loop: Header=BB268_4 Depth=1
	v_cmp_eq_f64_e32 vcc_lo, 0, v[5:6]
	s_wait_dscnt 0x0
	s_delay_alu instid0(VALU_DEP_2)
	v_mul_f64_e32 v[13:14], v[7:8], v[9:10]
	s_cbranch_vccnz .LBB268_33
; %bb.32:                               ;   in Loop: Header=BB268_4 Depth=1
	v_add_co_u32 v7, vcc_lo, v25, s34
	s_wait_alu 0xfffd
	v_add_co_ci_u32_e64 v8, null, s35, v26, vcc_lo
	flat_load_b64 v[7:8], v[7:8]
	s_wait_loadcnt_dscnt 0x0
	v_fma_f64 v[13:14], v[5:6], v[7:8], v[13:14]
.LBB268_33:                             ;   in Loop: Header=BB268_4 Depth=1
	s_or_b32 s7, s7, exec_lo
.LBB268_34:                             ;   in Loop: Header=BB268_4 Depth=1
	s_or_b32 exec_lo, exec_lo, s6
.LBB268_35:                             ;   in Loop: Header=BB268_4 Depth=1
	s_and_saveexec_b32 s6, s7
	s_cbranch_execz .LBB268_2
; %bb.36:                               ;   in Loop: Header=BB268_4 Depth=1
	v_add_co_u32 v5, vcc_lo, v25, s34
	s_wait_alu 0xfffd
	v_add_co_ci_u32_e64 v6, null, s35, v26, vcc_lo
	flat_store_b64 v[5:6], v[13:14]
	s_branch .LBB268_2
.LBB268_37:
	s_endpgm
	.section	.rodata,"a",@progbits
	.p2align	6, 0x0
	.amdhsa_kernel _ZL32rocblas_gemvt_warp_reduce_kernelILb0ELi256EiPKdS1_KPdEviiT3_lPKT2_lT1_lS7_lS8_lS4_lPT4_lS8_li
		.amdhsa_group_segment_fixed_size 256
		.amdhsa_private_segment_fixed_size 0
		.amdhsa_kernarg_size 140
		.amdhsa_user_sgpr_count 2
		.amdhsa_user_sgpr_dispatch_ptr 0
		.amdhsa_user_sgpr_queue_ptr 0
		.amdhsa_user_sgpr_kernarg_segment_ptr 1
		.amdhsa_user_sgpr_dispatch_id 0
		.amdhsa_user_sgpr_private_segment_size 0
		.amdhsa_wavefront_size32 1
		.amdhsa_uses_dynamic_stack 0
		.amdhsa_enable_private_segment 0
		.amdhsa_system_sgpr_workgroup_id_x 1
		.amdhsa_system_sgpr_workgroup_id_y 0
		.amdhsa_system_sgpr_workgroup_id_z 1
		.amdhsa_system_sgpr_workgroup_info 0
		.amdhsa_system_vgpr_workitem_id 0
		.amdhsa_next_free_vgpr 31
		.amdhsa_next_free_sgpr 44
		.amdhsa_reserve_vcc 1
		.amdhsa_float_round_mode_32 0
		.amdhsa_float_round_mode_16_64 0
		.amdhsa_float_denorm_mode_32 3
		.amdhsa_float_denorm_mode_16_64 3
		.amdhsa_fp16_overflow 0
		.amdhsa_workgroup_processor_mode 1
		.amdhsa_memory_ordered 1
		.amdhsa_forward_progress 1
		.amdhsa_inst_pref_size 14
		.amdhsa_round_robin_scheduling 0
		.amdhsa_exception_fp_ieee_invalid_op 0
		.amdhsa_exception_fp_denorm_src 0
		.amdhsa_exception_fp_ieee_div_zero 0
		.amdhsa_exception_fp_ieee_overflow 0
		.amdhsa_exception_fp_ieee_underflow 0
		.amdhsa_exception_fp_ieee_inexact 0
		.amdhsa_exception_int_div_zero 0
	.end_amdhsa_kernel
	.section	.text._ZL32rocblas_gemvt_warp_reduce_kernelILb0ELi256EiPKdS1_KPdEviiT3_lPKT2_lT1_lS7_lS8_lS4_lPT4_lS8_li,"axG",@progbits,_ZL32rocblas_gemvt_warp_reduce_kernelILb0ELi256EiPKdS1_KPdEviiT3_lPKT2_lT1_lS7_lS8_lS4_lPT4_lS8_li,comdat
.Lfunc_end268:
	.size	_ZL32rocblas_gemvt_warp_reduce_kernelILb0ELi256EiPKdS1_KPdEviiT3_lPKT2_lT1_lS7_lS8_lS4_lPT4_lS8_li, .Lfunc_end268-_ZL32rocblas_gemvt_warp_reduce_kernelILb0ELi256EiPKdS1_KPdEviiT3_lPKT2_lT1_lS7_lS8_lS4_lPT4_lS8_li
                                        ; -- End function
	.set _ZL32rocblas_gemvt_warp_reduce_kernelILb0ELi256EiPKdS1_KPdEviiT3_lPKT2_lT1_lS7_lS8_lS4_lPT4_lS8_li.num_vgpr, 31
	.set _ZL32rocblas_gemvt_warp_reduce_kernelILb0ELi256EiPKdS1_KPdEviiT3_lPKT2_lT1_lS7_lS8_lS4_lPT4_lS8_li.num_agpr, 0
	.set _ZL32rocblas_gemvt_warp_reduce_kernelILb0ELi256EiPKdS1_KPdEviiT3_lPKT2_lT1_lS7_lS8_lS4_lPT4_lS8_li.numbered_sgpr, 44
	.set _ZL32rocblas_gemvt_warp_reduce_kernelILb0ELi256EiPKdS1_KPdEviiT3_lPKT2_lT1_lS7_lS8_lS4_lPT4_lS8_li.num_named_barrier, 0
	.set _ZL32rocblas_gemvt_warp_reduce_kernelILb0ELi256EiPKdS1_KPdEviiT3_lPKT2_lT1_lS7_lS8_lS4_lPT4_lS8_li.private_seg_size, 0
	.set _ZL32rocblas_gemvt_warp_reduce_kernelILb0ELi256EiPKdS1_KPdEviiT3_lPKT2_lT1_lS7_lS8_lS4_lPT4_lS8_li.uses_vcc, 1
	.set _ZL32rocblas_gemvt_warp_reduce_kernelILb0ELi256EiPKdS1_KPdEviiT3_lPKT2_lT1_lS7_lS8_lS4_lPT4_lS8_li.uses_flat_scratch, 0
	.set _ZL32rocblas_gemvt_warp_reduce_kernelILb0ELi256EiPKdS1_KPdEviiT3_lPKT2_lT1_lS7_lS8_lS4_lPT4_lS8_li.has_dyn_sized_stack, 0
	.set _ZL32rocblas_gemvt_warp_reduce_kernelILb0ELi256EiPKdS1_KPdEviiT3_lPKT2_lT1_lS7_lS8_lS4_lPT4_lS8_li.has_recursion, 0
	.set _ZL32rocblas_gemvt_warp_reduce_kernelILb0ELi256EiPKdS1_KPdEviiT3_lPKT2_lT1_lS7_lS8_lS4_lPT4_lS8_li.has_indirect_call, 0
	.section	.AMDGPU.csdata,"",@progbits
; Kernel info:
; codeLenInByte = 1700
; TotalNumSgprs: 46
; NumVgprs: 31
; ScratchSize: 0
; MemoryBound: 1
; FloatMode: 240
; IeeeMode: 1
; LDSByteSize: 256 bytes/workgroup (compile time only)
; SGPRBlocks: 0
; VGPRBlocks: 3
; NumSGPRsForWavesPerEU: 46
; NumVGPRsForWavesPerEU: 31
; Occupancy: 16
; WaveLimiterHint : 1
; COMPUTE_PGM_RSRC2:SCRATCH_EN: 0
; COMPUTE_PGM_RSRC2:USER_SGPR: 2
; COMPUTE_PGM_RSRC2:TRAP_HANDLER: 0
; COMPUTE_PGM_RSRC2:TGID_X_EN: 1
; COMPUTE_PGM_RSRC2:TGID_Y_EN: 0
; COMPUTE_PGM_RSRC2:TGID_Z_EN: 1
; COMPUTE_PGM_RSRC2:TIDIG_COMP_CNT: 0
	.section	.text._ZL32rocblas_gemvt_warp_reduce_kernelILb0ELi256ElPKdS1_KPdEviiT3_lPKT2_lT1_lS7_lS8_lS4_lPT4_lS8_li,"axG",@progbits,_ZL32rocblas_gemvt_warp_reduce_kernelILb0ELi256ElPKdS1_KPdEviiT3_lPKT2_lT1_lS7_lS8_lS4_lPT4_lS8_li,comdat
	.globl	_ZL32rocblas_gemvt_warp_reduce_kernelILb0ELi256ElPKdS1_KPdEviiT3_lPKT2_lT1_lS7_lS8_lS4_lPT4_lS8_li ; -- Begin function _ZL32rocblas_gemvt_warp_reduce_kernelILb0ELi256ElPKdS1_KPdEviiT3_lPKT2_lT1_lS7_lS8_lS4_lPT4_lS8_li
	.p2align	8
	.type	_ZL32rocblas_gemvt_warp_reduce_kernelILb0ELi256ElPKdS1_KPdEviiT3_lPKT2_lT1_lS7_lS8_lS4_lPT4_lS8_li,@function
_ZL32rocblas_gemvt_warp_reduce_kernelILb0ELi256ElPKdS1_KPdEviiT3_lPKT2_lT1_lS7_lS8_lS4_lPT4_lS8_li: ; @_ZL32rocblas_gemvt_warp_reduce_kernelILb0ELi256ElPKdS1_KPdEviiT3_lPKT2_lT1_lS7_lS8_lS4_lPT4_lS8_li
; %bb.0:
	s_load_b32 s33, s[0:1], 0x88
	s_lshr_b32 s28, ttmp7, 16
	s_wait_kmcnt 0x0
	s_cmp_ge_u32 s28, s33
	s_cbranch_scc1 .LBB269_37
; %bb.1:
	s_clause 0x6
	s_load_b32 s40, s[0:1], 0x0
	s_load_b64 s[6:7], s[0:1], 0x48
	s_load_b256 s[8:15], s[0:1], 0x8
	s_load_b64 s[34:35], s[0:1], 0x28
	s_load_b128 s[24:27], s[0:1], 0x38
	s_load_b64 s[36:37], s[0:1], 0x78
	s_load_b256 s[16:23], s[0:1], 0x58
	v_dual_mov_b32 v1, 0 :: v_dual_and_b32 v4, 31, v0
	v_lshrrev_b32_e32 v5, 2, v0
	s_mov_b32 s4, ttmp9
	s_ashr_i32 s5, ttmp9, 31
	v_mbcnt_lo_u32_b32 v21, -1, 0
	v_lshlrev_b32_e32 v22, 3, v4
	v_cmp_eq_u32_e64 s0, 0, v0
	v_cmp_gt_u32_e64 s1, 32, v0
	v_cmp_gt_u32_e64 s2, 8, v0
	v_lshl_or_b32 v25, v21, 2, 64
	s_mov_b32 s29, 0
	s_wait_kmcnt 0x0
	s_ashr_i32 s3, s40, 31
	v_mad_co_u64_u32 v[2:3], null, s6, v0, 0
	s_lshr_b32 s30, s3, 24
	v_cmp_eq_u32_e64 s3, 0, v4
	s_add_co_i32 s30, s40, s30
	v_cmp_gt_i32_e32 vcc_lo, s40, v0
	s_and_b32 s30, s30, 0xffffff00
	v_and_b32_e32 v23, 56, v5
	v_or_b32_e32 v7, s30, v0
	v_mad_co_u64_u32 v[3:4], null, s7, v0, v[3:4]
	s_ashr_i32 s31, s30, 31
	s_mul_u64 s[36:37], s[36:37], s[4:5]
	v_mul_lo_u32 v4, s7, v7
	v_mad_co_u64_u32 v[5:6], null, s6, v7, 0
	s_mul_u64 s[38:39], s[34:35], s[4:5]
	s_wait_alu 0xfffe
	s_mul_i32 s5, s6, s31
	v_cndmask_b32_e32 v8, 0, v0, vcc_lo
	v_cmp_gt_i32_e64 s4, s30, v0
	s_lshl_b64 s[34:35], s[6:7], 11
	s_lshl_b64 s[14:15], s[14:15], 3
	v_add3_u32 v6, v6, s5, v4
	v_lshlrev_b64_e32 v[3:4], 3, v[2:3]
	v_cmp_gt_i32_e64 s5, s40, v7
	v_lshlrev_b32_e32 v24, 3, v8
	s_lshl_b64 s[26:27], s[26:27], 3
	v_lshlrev_b64_e32 v[5:6], 3, v[5:6]
	s_lshl_b64 s[22:23], s[22:23], 3
	s_lshl_b64 s[36:37], s[36:37], 3
	;; [unrolled: 1-line block ×4, first 2 shown]
	s_branch .LBB269_4
.LBB269_2:                              ;   in Loop: Header=BB269_4 Depth=1
	s_wait_alu 0xfffe
	s_or_b32 exec_lo, exec_lo, s6
.LBB269_3:                              ;   in Loop: Header=BB269_4 Depth=1
	s_add_co_i32 s28, s28, 0x10000
	s_delay_alu instid0(SALU_CYCLE_1)
	s_cmp_lt_u32 s28, s33
	s_cbranch_scc0 .LBB269_37
.LBB269_4:                              ; =>This Loop Header: Depth=1
                                        ;     Child Loop BB269_26 Depth 2
	s_mul_u64 s[6:7], s[10:11], s[28:29]
	s_mul_u64 s[42:43], s[18:19], s[28:29]
	s_wait_alu 0xfffe
	s_lshl_b64 s[6:7], s[6:7], 3
	s_lshl_b64 s[42:43], s[42:43], 3
	s_wait_alu 0xfffe
	s_add_nc_u64 s[6:7], s[8:9], s[6:7]
	s_add_nc_u64 s[42:43], s[16:17], s[42:43]
	s_clause 0x1
	global_load_b64 v[9:10], v1, s[6:7]
	global_load_b64 v[7:8], v1, s[42:43]
	s_wait_loadcnt 0x1
	v_cmp_eq_f64_e64 s6, 0, v[9:10]
	s_wait_loadcnt 0x0
	v_cmp_eq_f64_e32 vcc_lo, 1.0, v[7:8]
	s_wait_alu 0xfffe
	s_and_b32 s7, s6, vcc_lo
	s_wait_alu 0xfffe
	s_and_b32 vcc_lo, exec_lo, s7
	s_wait_alu 0xfffe
	s_cbranch_vccnz .LBB269_3
; %bb.5:                                ;   in Loop: Header=BB269_4 Depth=1
	v_cmp_neq_f64_e64 s7, 0, v[9:10]
	s_wait_dscnt 0x0
	v_mov_b32_e32 v11, 0
	v_dual_mov_b32 v12, 0 :: v_dual_mov_b32 v13, 0
	v_mov_b32_e32 v14, 0
	s_and_b32 vcc_lo, exec_lo, s6
	s_wait_alu 0xfffe
	s_cbranch_vccnz .LBB269_7
; %bb.6:                                ;   in Loop: Header=BB269_4 Depth=1
	s_lshl_b64 s[42:43], s[28:29], 3
	s_delay_alu instid0(SALU_CYCLE_1)
	s_add_nc_u64 s[42:43], s[12:13], s[42:43]
	global_load_b64 v[13:14], v1, s[42:43]
	s_wait_loadcnt 0x0
	v_add_co_u32 v13, vcc_lo, v13, s14
	s_wait_alu 0xfffd
	v_add_co_ci_u32_e64 v14, null, s15, v14, vcc_lo
.LBB269_7:                              ;   in Loop: Header=BB269_4 Depth=1
	s_and_not1_b32 vcc_lo, exec_lo, s7
	s_wait_alu 0xfffe
	s_cbranch_vccnz .LBB269_9
; %bb.8:                                ;   in Loop: Header=BB269_4 Depth=1
	s_lshl_b64 s[42:43], s[28:29], 3
	s_delay_alu instid0(SALU_CYCLE_1)
	s_add_nc_u64 s[42:43], s[24:25], s[42:43]
	global_load_b64 v[11:12], v1, s[42:43]
	s_wait_loadcnt 0x0
	v_add_co_u32 v11, vcc_lo, v11, s26
	s_wait_alu 0xfffd
	v_add_co_ci_u32_e64 v12, null, s27, v12, vcc_lo
.LBB269_9:                              ;   in Loop: Header=BB269_4 Depth=1
	s_lshl_b64 s[42:43], s[28:29], 3
	s_delay_alu instid0(SALU_CYCLE_1)
	s_add_nc_u64 s[42:43], s[20:21], s[42:43]
	global_load_b64 v[15:16], v1, s[42:43]
	s_wait_loadcnt 0x0
	v_add_co_u32 v26, vcc_lo, v15, s22
	s_wait_alu 0xfffd
	v_add_co_ci_u32_e64 v27, null, s23, v16, vcc_lo
	s_and_not1_b32 vcc_lo, exec_lo, s6
	s_wait_alu 0xfffe
	s_cbranch_vccnz .LBB269_14
; %bb.10:                               ;   in Loop: Header=BB269_4 Depth=1
	s_mov_b32 s6, 0
	s_mov_b32 s7, 0
                                        ; implicit-def: $vgpr15_vgpr16
	s_and_saveexec_b32 s31, s0
	s_cbranch_execz .LBB269_15
; %bb.11:                               ;   in Loop: Header=BB269_4 Depth=1
	v_cmp_eq_f64_e32 vcc_lo, 0, v[7:8]
	v_mov_b32_e32 v15, 0
	v_mov_b32_e32 v16, 0
	s_cbranch_vccnz .LBB269_13
; %bb.12:                               ;   in Loop: Header=BB269_4 Depth=1
	v_add_co_u32 v15, vcc_lo, v26, s36
	s_wait_alu 0xfffd
	v_add_co_ci_u32_e64 v16, null, s37, v27, vcc_lo
	flat_load_b64 v[15:16], v[15:16]
	s_wait_loadcnt_dscnt 0x0
	v_mul_f64_e32 v[15:16], v[7:8], v[15:16]
.LBB269_13:                             ;   in Loop: Header=BB269_4 Depth=1
	s_mov_b32 s7, exec_lo
	s_wait_alu 0xfffe
	s_or_b32 exec_lo, exec_lo, s31
	s_delay_alu instid0(SALU_CYCLE_1)
	s_and_b32 vcc_lo, exec_lo, s6
	s_wait_alu 0xfffe
	s_cbranch_vccnz .LBB269_16
	s_branch .LBB269_35
.LBB269_14:                             ;   in Loop: Header=BB269_4 Depth=1
	s_mov_b32 s7, 0
                                        ; implicit-def: $vgpr15_vgpr16
	s_cbranch_execnz .LBB269_16
	s_branch .LBB269_35
.LBB269_15:                             ;   in Loop: Header=BB269_4 Depth=1
	s_wait_alu 0xfffe
	s_or_b32 exec_lo, exec_lo, s31
	s_delay_alu instid0(SALU_CYCLE_1)
	s_and_b32 vcc_lo, exec_lo, s6
	s_wait_alu 0xfffe
	s_cbranch_vccz .LBB269_35
.LBB269_16:                             ;   in Loop: Header=BB269_4 Depth=1
	v_add_co_u32 v2, vcc_lo, v13, v24
	s_wait_alu 0xfffd
	v_add_co_ci_u32_e64 v16, null, 0, v14, vcc_lo
	v_mov_b32_e32 v13, 0
	s_delay_alu instid0(VALU_DEP_3)
	v_add_co_u32 v15, vcc_lo, v2, s38
	v_mov_b32_e32 v14, 0
	s_wait_alu 0xfffd
	v_add_co_ci_u32_e64 v16, null, s39, v16, vcc_lo
	s_and_saveexec_b32 s31, s4
	s_cbranch_execnz .LBB269_25
; %bb.17:                               ;   in Loop: Header=BB269_4 Depth=1
	s_wait_alu 0xfffe
	s_or_b32 exec_lo, exec_lo, s31
	s_and_saveexec_b32 s6, s5
	s_cbranch_execnz .LBB269_28
.LBB269_18:                             ;   in Loop: Header=BB269_4 Depth=1
	s_wait_alu 0xfffe
	s_or_b32 exec_lo, exec_lo, s6
	s_and_saveexec_b32 s6, s1
.LBB269_19:                             ;   in Loop: Header=BB269_4 Depth=1
	v_mov_b32_e32 v2, v1
	ds_store_b64 v22, v[1:2]
.LBB269_20:                             ;   in Loop: Header=BB269_4 Depth=1
	s_wait_alu 0xfffe
	s_or_b32 exec_lo, exec_lo, s6
	ds_bpermute_b32 v11, v25, v13
	ds_bpermute_b32 v12, v25, v14
	v_cmp_gt_u32_e32 vcc_lo, 24, v21
	s_wait_dscnt 0x0
	s_barrier_signal -1
	s_barrier_wait -1
	global_inv scope:SCOPE_SE
	s_wait_alu 0xfffd
	v_cndmask_b32_e64 v2, 0, 8, vcc_lo
	v_cmp_gt_u32_e32 vcc_lo, 28, v21
	s_delay_alu instid0(VALU_DEP_2)
	v_add_lshl_u32 v2, v2, v21, 2
	v_add_f64_e32 v[11:12], v[13:14], v[11:12]
	ds_bpermute_b32 v13, v2, v11
	ds_bpermute_b32 v14, v2, v12
	s_wait_alu 0xfffd
	v_cndmask_b32_e64 v2, 0, 4, vcc_lo
	v_cmp_gt_u32_e32 vcc_lo, 30, v21
	s_delay_alu instid0(VALU_DEP_2)
	v_add_lshl_u32 v2, v2, v21, 2
	s_wait_dscnt 0x0
	v_add_f64_e32 v[11:12], v[11:12], v[13:14]
	ds_bpermute_b32 v13, v2, v11
	ds_bpermute_b32 v14, v2, v12
	s_wait_dscnt 0x0
	v_add_f64_e32 v[11:12], v[11:12], v[13:14]
	s_wait_alu 0xfffd
	v_cndmask_b32_e64 v13, 0, 2, vcc_lo
	v_cmp_ne_u32_e32 vcc_lo, 31, v21
	s_delay_alu instid0(VALU_DEP_2)
	v_add_lshl_u32 v15, v13, v21, 2
	ds_bpermute_b32 v13, v15, v11
	ds_bpermute_b32 v14, v15, v12
	s_wait_dscnt 0x0
	v_add_f64_e32 v[11:12], v[11:12], v[13:14]
	s_wait_alu 0xfffd
	v_add_co_ci_u32_e64 v13, null, 0, v21, vcc_lo
	s_delay_alu instid0(VALU_DEP_1)
	v_lshlrev_b32_e32 v16, 2, v13
	ds_bpermute_b32 v13, v16, v11
	ds_bpermute_b32 v14, v16, v12
	s_and_saveexec_b32 s6, s3
	s_cbranch_execz .LBB269_22
; %bb.21:                               ;   in Loop: Header=BB269_4 Depth=1
	s_wait_dscnt 0x0
	v_add_f64_e32 v[11:12], v[11:12], v[13:14]
	ds_store_b64 v23, v[11:12]
.LBB269_22:                             ;   in Loop: Header=BB269_4 Depth=1
	s_wait_alu 0xfffe
	s_or_b32 exec_lo, exec_lo, s6
	v_mov_b32_e32 v11, 0
	v_mov_b32_e32 v12, 0
	s_wait_loadcnt_dscnt 0x0
	s_barrier_signal -1
	s_barrier_wait -1
	global_inv scope:SCOPE_SE
	s_and_saveexec_b32 s6, s2
	s_cbranch_execnz .LBB269_29
; %bb.23:                               ;   in Loop: Header=BB269_4 Depth=1
	s_wait_alu 0xfffe
	s_or_b32 exec_lo, exec_lo, s6
	s_and_saveexec_b32 s6, s1
	s_cbranch_execnz .LBB269_30
.LBB269_24:                             ;   in Loop: Header=BB269_4 Depth=1
	s_wait_alu 0xfffe
	s_or_b32 exec_lo, exec_lo, s6
                                        ; implicit-def: $vgpr15_vgpr16
	s_and_saveexec_b32 s6, s0
	s_cbranch_execnz .LBB269_31
	s_branch .LBB269_34
.LBB269_25:                             ;   in Loop: Header=BB269_4 Depth=1
	v_add_co_u32 v17, vcc_lo, v11, v3
	v_dual_mov_b32 v13, 0 :: v_dual_mov_b32 v20, v16
	s_wait_alu 0xfffd
	v_add_co_ci_u32_e64 v18, null, v12, v4, vcc_lo
	v_dual_mov_b32 v14, 0 :: v_dual_mov_b32 v19, v15
	v_mov_b32_e32 v2, v0
	s_mov_b32 s42, 0
.LBB269_26:                             ;   Parent Loop BB269_4 Depth=1
                                        ; =>  This Inner Loop Header: Depth=2
	flat_load_b64 v[28:29], v[19:20]
	flat_load_b64 v[30:31], v[17:18]
	v_add_nc_u32_e32 v2, 0x100, v2
	v_add_co_u32 v19, vcc_lo, 0x800, v19
	s_wait_alu 0xfffd
	v_add_co_ci_u32_e64 v20, null, 0, v20, vcc_lo
	s_delay_alu instid0(VALU_DEP_3)
	v_cmp_le_i32_e32 vcc_lo, s30, v2
	v_add_co_u32 v17, s6, v17, s34
	s_wait_alu 0xf1ff
	v_add_co_ci_u32_e64 v18, null, s35, v18, s6
	s_or_b32 s42, vcc_lo, s42
	s_wait_loadcnt_dscnt 0x0
	v_fma_f64 v[13:14], v[28:29], v[30:31], v[13:14]
	s_and_not1_b32 exec_lo, exec_lo, s42
	s_cbranch_execnz .LBB269_26
; %bb.27:                               ;   in Loop: Header=BB269_4 Depth=1
	s_or_b32 exec_lo, exec_lo, s42
	s_wait_alu 0xfffe
	s_or_b32 exec_lo, exec_lo, s31
	s_and_saveexec_b32 s6, s5
	s_cbranch_execz .LBB269_18
.LBB269_28:                             ;   in Loop: Header=BB269_4 Depth=1
	v_add_co_u32 v15, vcc_lo, v15, s40
	s_wait_alu 0xfffd
	v_add_co_ci_u32_e64 v16, null, s41, v16, vcc_lo
	v_add_co_u32 v11, vcc_lo, v11, v5
	s_wait_alu 0xfffd
	v_add_co_ci_u32_e64 v12, null, v12, v6, vcc_lo
	flat_load_b64 v[15:16], v[15:16]
	flat_load_b64 v[11:12], v[11:12]
	s_wait_loadcnt_dscnt 0x0
	v_fma_f64 v[13:14], v[15:16], v[11:12], v[13:14]
	s_wait_alu 0xfffe
	s_or_b32 exec_lo, exec_lo, s6
	s_and_saveexec_b32 s6, s1
	s_cbranch_execnz .LBB269_19
	s_branch .LBB269_20
.LBB269_29:                             ;   in Loop: Header=BB269_4 Depth=1
	ds_load_b64 v[11:12], v22
	s_wait_alu 0xfffe
	s_or_b32 exec_lo, exec_lo, s6
	s_and_saveexec_b32 s6, s1
	s_cbranch_execz .LBB269_24
.LBB269_30:                             ;   in Loop: Header=BB269_4 Depth=1
	s_wait_dscnt 0x0
	ds_bpermute_b32 v13, v2, v11
	ds_bpermute_b32 v14, v2, v12
	s_wait_dscnt 0x0
	v_add_f64_e32 v[11:12], v[11:12], v[13:14]
	ds_bpermute_b32 v13, v15, v11
	ds_bpermute_b32 v14, v15, v12
	s_wait_dscnt 0x0
	v_add_f64_e32 v[11:12], v[11:12], v[13:14]
	;; [unrolled: 4-line block ×3, first 2 shown]
	s_wait_alu 0xfffe
	s_or_b32 exec_lo, exec_lo, s6
                                        ; implicit-def: $vgpr15_vgpr16
	s_and_saveexec_b32 s6, s0
	s_cbranch_execz .LBB269_34
.LBB269_31:                             ;   in Loop: Header=BB269_4 Depth=1
	v_cmp_eq_f64_e32 vcc_lo, 0, v[7:8]
	s_wait_dscnt 0x0
	s_delay_alu instid0(VALU_DEP_2)
	v_mul_f64_e32 v[15:16], v[9:10], v[11:12]
	s_cbranch_vccnz .LBB269_33
; %bb.32:                               ;   in Loop: Header=BB269_4 Depth=1
	v_add_co_u32 v9, vcc_lo, v26, s36
	s_wait_alu 0xfffd
	v_add_co_ci_u32_e64 v10, null, s37, v27, vcc_lo
	flat_load_b64 v[9:10], v[9:10]
	s_wait_loadcnt_dscnt 0x0
	v_fma_f64 v[15:16], v[7:8], v[9:10], v[15:16]
.LBB269_33:                             ;   in Loop: Header=BB269_4 Depth=1
	s_or_b32 s7, s7, exec_lo
.LBB269_34:                             ;   in Loop: Header=BB269_4 Depth=1
	s_wait_alu 0xfffe
	s_or_b32 exec_lo, exec_lo, s6
.LBB269_35:                             ;   in Loop: Header=BB269_4 Depth=1
	s_wait_alu 0xfffe
	s_and_saveexec_b32 s6, s7
	s_cbranch_execz .LBB269_2
; %bb.36:                               ;   in Loop: Header=BB269_4 Depth=1
	v_add_co_u32 v7, vcc_lo, v26, s36
	s_wait_alu 0xfffd
	v_add_co_ci_u32_e64 v8, null, s37, v27, vcc_lo
	flat_store_b64 v[7:8], v[15:16]
	s_branch .LBB269_2
.LBB269_37:
	s_endpgm
	.section	.rodata,"a",@progbits
	.p2align	6, 0x0
	.amdhsa_kernel _ZL32rocblas_gemvt_warp_reduce_kernelILb0ELi256ElPKdS1_KPdEviiT3_lPKT2_lT1_lS7_lS8_lS4_lPT4_lS8_li
		.amdhsa_group_segment_fixed_size 256
		.amdhsa_private_segment_fixed_size 0
		.amdhsa_kernarg_size 140
		.amdhsa_user_sgpr_count 2
		.amdhsa_user_sgpr_dispatch_ptr 0
		.amdhsa_user_sgpr_queue_ptr 0
		.amdhsa_user_sgpr_kernarg_segment_ptr 1
		.amdhsa_user_sgpr_dispatch_id 0
		.amdhsa_user_sgpr_private_segment_size 0
		.amdhsa_wavefront_size32 1
		.amdhsa_uses_dynamic_stack 0
		.amdhsa_enable_private_segment 0
		.amdhsa_system_sgpr_workgroup_id_x 1
		.amdhsa_system_sgpr_workgroup_id_y 0
		.amdhsa_system_sgpr_workgroup_id_z 1
		.amdhsa_system_sgpr_workgroup_info 0
		.amdhsa_system_vgpr_workitem_id 0
		.amdhsa_next_free_vgpr 32
		.amdhsa_next_free_sgpr 44
		.amdhsa_reserve_vcc 1
		.amdhsa_float_round_mode_32 0
		.amdhsa_float_round_mode_16_64 0
		.amdhsa_float_denorm_mode_32 3
		.amdhsa_float_denorm_mode_16_64 3
		.amdhsa_fp16_overflow 0
		.amdhsa_workgroup_processor_mode 1
		.amdhsa_memory_ordered 1
		.amdhsa_forward_progress 1
		.amdhsa_inst_pref_size 14
		.amdhsa_round_robin_scheduling 0
		.amdhsa_exception_fp_ieee_invalid_op 0
		.amdhsa_exception_fp_denorm_src 0
		.amdhsa_exception_fp_ieee_div_zero 0
		.amdhsa_exception_fp_ieee_overflow 0
		.amdhsa_exception_fp_ieee_underflow 0
		.amdhsa_exception_fp_ieee_inexact 0
		.amdhsa_exception_int_div_zero 0
	.end_amdhsa_kernel
	.section	.text._ZL32rocblas_gemvt_warp_reduce_kernelILb0ELi256ElPKdS1_KPdEviiT3_lPKT2_lT1_lS7_lS8_lS4_lPT4_lS8_li,"axG",@progbits,_ZL32rocblas_gemvt_warp_reduce_kernelILb0ELi256ElPKdS1_KPdEviiT3_lPKT2_lT1_lS7_lS8_lS4_lPT4_lS8_li,comdat
.Lfunc_end269:
	.size	_ZL32rocblas_gemvt_warp_reduce_kernelILb0ELi256ElPKdS1_KPdEviiT3_lPKT2_lT1_lS7_lS8_lS4_lPT4_lS8_li, .Lfunc_end269-_ZL32rocblas_gemvt_warp_reduce_kernelILb0ELi256ElPKdS1_KPdEviiT3_lPKT2_lT1_lS7_lS8_lS4_lPT4_lS8_li
                                        ; -- End function
	.set _ZL32rocblas_gemvt_warp_reduce_kernelILb0ELi256ElPKdS1_KPdEviiT3_lPKT2_lT1_lS7_lS8_lS4_lPT4_lS8_li.num_vgpr, 32
	.set _ZL32rocblas_gemvt_warp_reduce_kernelILb0ELi256ElPKdS1_KPdEviiT3_lPKT2_lT1_lS7_lS8_lS4_lPT4_lS8_li.num_agpr, 0
	.set _ZL32rocblas_gemvt_warp_reduce_kernelILb0ELi256ElPKdS1_KPdEviiT3_lPKT2_lT1_lS7_lS8_lS4_lPT4_lS8_li.numbered_sgpr, 44
	.set _ZL32rocblas_gemvt_warp_reduce_kernelILb0ELi256ElPKdS1_KPdEviiT3_lPKT2_lT1_lS7_lS8_lS4_lPT4_lS8_li.num_named_barrier, 0
	.set _ZL32rocblas_gemvt_warp_reduce_kernelILb0ELi256ElPKdS1_KPdEviiT3_lPKT2_lT1_lS7_lS8_lS4_lPT4_lS8_li.private_seg_size, 0
	.set _ZL32rocblas_gemvt_warp_reduce_kernelILb0ELi256ElPKdS1_KPdEviiT3_lPKT2_lT1_lS7_lS8_lS4_lPT4_lS8_li.uses_vcc, 1
	.set _ZL32rocblas_gemvt_warp_reduce_kernelILb0ELi256ElPKdS1_KPdEviiT3_lPKT2_lT1_lS7_lS8_lS4_lPT4_lS8_li.uses_flat_scratch, 0
	.set _ZL32rocblas_gemvt_warp_reduce_kernelILb0ELi256ElPKdS1_KPdEviiT3_lPKT2_lT1_lS7_lS8_lS4_lPT4_lS8_li.has_dyn_sized_stack, 0
	.set _ZL32rocblas_gemvt_warp_reduce_kernelILb0ELi256ElPKdS1_KPdEviiT3_lPKT2_lT1_lS7_lS8_lS4_lPT4_lS8_li.has_recursion, 0
	.set _ZL32rocblas_gemvt_warp_reduce_kernelILb0ELi256ElPKdS1_KPdEviiT3_lPKT2_lT1_lS7_lS8_lS4_lPT4_lS8_li.has_indirect_call, 0
	.section	.AMDGPU.csdata,"",@progbits
; Kernel info:
; codeLenInByte = 1768
; TotalNumSgprs: 46
; NumVgprs: 32
; ScratchSize: 0
; MemoryBound: 1
; FloatMode: 240
; IeeeMode: 1
; LDSByteSize: 256 bytes/workgroup (compile time only)
; SGPRBlocks: 0
; VGPRBlocks: 3
; NumSGPRsForWavesPerEU: 46
; NumVGPRsForWavesPerEU: 32
; Occupancy: 16
; WaveLimiterHint : 1
; COMPUTE_PGM_RSRC2:SCRATCH_EN: 0
; COMPUTE_PGM_RSRC2:USER_SGPR: 2
; COMPUTE_PGM_RSRC2:TRAP_HANDLER: 0
; COMPUTE_PGM_RSRC2:TGID_X_EN: 1
; COMPUTE_PGM_RSRC2:TGID_Y_EN: 0
; COMPUTE_PGM_RSRC2:TGID_Z_EN: 1
; COMPUTE_PGM_RSRC2:TIDIG_COMP_CNT: 0
	.section	.text._ZL32rocblas_gemvt_warp_reduce_kernelILb0ELi256EiPKddKPdEviiT3_lPKT2_lT1_lS7_lS8_lS4_lPT4_lS8_li,"axG",@progbits,_ZL32rocblas_gemvt_warp_reduce_kernelILb0ELi256EiPKddKPdEviiT3_lPKT2_lT1_lS7_lS8_lS4_lPT4_lS8_li,comdat
	.globl	_ZL32rocblas_gemvt_warp_reduce_kernelILb0ELi256EiPKddKPdEviiT3_lPKT2_lT1_lS7_lS8_lS4_lPT4_lS8_li ; -- Begin function _ZL32rocblas_gemvt_warp_reduce_kernelILb0ELi256EiPKddKPdEviiT3_lPKT2_lT1_lS7_lS8_lS4_lPT4_lS8_li
	.p2align	8
	.type	_ZL32rocblas_gemvt_warp_reduce_kernelILb0ELi256EiPKddKPdEviiT3_lPKT2_lT1_lS7_lS8_lS4_lPT4_lS8_li,@function
_ZL32rocblas_gemvt_warp_reduce_kernelILb0ELi256EiPKddKPdEviiT3_lPKT2_lT1_lS7_lS8_lS4_lPT4_lS8_li: ; @_ZL32rocblas_gemvt_warp_reduce_kernelILb0ELi256EiPKddKPdEviiT3_lPKT2_lT1_lS7_lS8_lS4_lPT4_lS8_li
; %bb.0:
	s_load_b32 s7, s[0:1], 0x88
	s_lshr_b32 s20, ttmp7, 16
	s_wait_kmcnt 0x0
	s_cmp_ge_u32 s20, s7
	s_cbranch_scc1 .LBB270_41
; %bb.1:
	s_clause 0x8
	s_load_b64 s[22:23], s[0:1], 0x58
	s_load_b64 s[24:25], s[0:1], 0x8
	s_load_b32 s5, s[0:1], 0x0
	s_load_b32 s4, s[0:1], 0x78
	s_load_b128 s[8:11], s[0:1], 0x18
	s_load_b32 s6, s[0:1], 0x28
	s_load_b128 s[12:15], s[0:1], 0x38
	;; [unrolled: 2-line block ×3, first 2 shown]
	v_dual_mov_b32 v1, 0 :: v_dual_and_b32 v2, 31, v0
	v_lshrrev_b32_e32 v3, 2, v0
	v_mbcnt_lo_u32_b32 v15, -1, 0
	v_cmp_eq_u32_e64 s0, 0, v0
	v_cmp_gt_u32_e64 s1, 32, v0
	v_lshlrev_b32_e32 v16, 3, v2
	v_cmp_eq_u32_e64 s3, 0, v2
	v_cmp_gt_u32_e64 s2, 8, v0
	v_lshl_or_b32 v21, v15, 2, 64
	s_mov_b32 s21, 0
	s_wait_kmcnt 0x0
	v_cmp_neq_f64_e64 s34, s[22:23], 1.0
	v_cmp_neq_f64_e64 s35, s[24:25], 0
	v_cmp_eq_f64_e64 s36, s[24:25], 0
	v_cmp_neq_f64_e64 s37, s[22:23], 0
	s_ashr_i32 s26, s5, 31
	s_mul_i32 s28, s4, ttmp9
	s_lshr_b32 s4, s26, 24
	v_cmp_gt_i32_e32 vcc_lo, s5, v0
	s_add_co_i32 s4, s5, s4
	v_and_b32_e32 v17, 56, v3
	s_wait_alu 0xfffe
	s_and_b32 s26, s4, 0xffffff00
	v_mul_lo_u32 v18, v0, s27
	v_or_b32_e32 v5, s26, v0
	v_cndmask_b32_e32 v4, 0, v0, vcc_lo
	s_mul_i32 s30, s6, ttmp9
	v_cmp_gt_i32_e64 s4, s26, v0
	s_lshl_b32 s33, s27, 8
	v_mul_lo_u32 v2, s27, v5
	v_lshlrev_b32_e32 v20, 3, v4
	v_cmp_gt_i32_e64 s5, s5, v5
	s_ashr_i32 s29, s28, 31
	s_ashr_i32 s31, s30, 31
	s_ashr_i32 s27, s26, 31
	s_lshl_b64 s[10:11], s[10:11], 3
	s_lshl_b64 s[14:15], s[14:15], 3
	v_ashrrev_i32_e32 v3, 31, v2
	s_lshl_b64 s[18:19], s[18:19], 3
	s_lshl_b64 s[28:29], s[28:29], 3
	;; [unrolled: 1-line block ×3, first 2 shown]
	s_delay_alu instid0(VALU_DEP_1)
	v_lshlrev_b64_e32 v[3:4], 3, v[2:3]
	v_cndmask_b32_e64 v19, 0, 1, s35
	s_or_b32 s38, s35, s34
	s_wait_alu 0xfffe
	s_lshl_b64 s[34:35], s[26:27], 3
	s_branch .LBB270_4
.LBB270_2:                              ;   in Loop: Header=BB270_4 Depth=1
	s_or_b32 exec_lo, exec_lo, s6
.LBB270_3:                              ;   in Loop: Header=BB270_4 Depth=1
	s_add_co_i32 s20, s20, 0x10000
	s_delay_alu instid0(SALU_CYCLE_1)
	s_cmp_lt_u32 s20, s7
	s_cbranch_scc0 .LBB270_41
.LBB270_4:                              ; =>This Loop Header: Depth=1
                                        ;     Child Loop BB270_30 Depth 2
	s_and_not1_b32 vcc_lo, exec_lo, s38
	s_wait_alu 0xfffe
	s_cbranch_vccnz .LBB270_3
; %bb.5:                                ;   in Loop: Header=BB270_4 Depth=1
	s_and_not1_b32 vcc_lo, exec_lo, s36
	s_wait_alu 0xfffe
	s_cbranch_vccnz .LBB270_7
; %bb.6:                                ;   in Loop: Header=BB270_4 Depth=1
	s_mov_b32 s6, 0
	s_branch .LBB270_8
.LBB270_7:                              ;   in Loop: Header=BB270_4 Depth=1
	s_mov_b32 s6, -1
.LBB270_8:                              ;   in Loop: Header=BB270_4 Depth=1
	s_wait_dscnt 0x0
	v_mov_b32_e32 v5, 0
	v_dual_mov_b32 v6, 0 :: v_dual_mov_b32 v7, 0
	v_mov_b32_e32 v8, 0
	s_and_not1_b32 vcc_lo, exec_lo, s6
	s_wait_alu 0xfffe
	s_cbranch_vccnz .LBB270_10
; %bb.9:                                ;   in Loop: Header=BB270_4 Depth=1
	s_lshl_b64 s[40:41], s[20:21], 3
	s_delay_alu instid0(SALU_CYCLE_1)
	s_add_nc_u64 s[40:41], s[8:9], s[40:41]
	global_load_b64 v[7:8], v1, s[40:41]
	s_wait_loadcnt 0x0
	v_add_co_u32 v7, vcc_lo, v7, s10
	s_wait_alu 0xfffd
	v_add_co_ci_u32_e64 v8, null, s11, v8, vcc_lo
.LBB270_10:                             ;   in Loop: Header=BB270_4 Depth=1
	v_cmp_ne_u32_e32 vcc_lo, 1, v19
	s_cbranch_vccnz .LBB270_12
; %bb.11:                               ;   in Loop: Header=BB270_4 Depth=1
	s_lshl_b64 s[40:41], s[20:21], 3
	s_delay_alu instid0(SALU_CYCLE_1)
	s_add_nc_u64 s[40:41], s[12:13], s[40:41]
	global_load_b64 v[5:6], v1, s[40:41]
	s_wait_loadcnt 0x0
	v_add_co_u32 v5, vcc_lo, v5, s14
	s_wait_alu 0xfffd
	v_add_co_ci_u32_e64 v6, null, s15, v6, vcc_lo
.LBB270_12:                             ;   in Loop: Header=BB270_4 Depth=1
	s_lshl_b64 s[40:41], s[20:21], 3
	s_delay_alu instid0(SALU_CYCLE_1)
	s_add_nc_u64 s[40:41], s[16:17], s[40:41]
	global_load_b64 v[9:10], v1, s[40:41]
	s_wait_loadcnt 0x0
	v_add_co_u32 v22, vcc_lo, v9, s18
	s_wait_alu 0xfffd
	v_add_co_ci_u32_e64 v23, null, s19, v10, vcc_lo
	s_and_not1_b32 vcc_lo, exec_lo, s36
	s_wait_alu 0xfffe
	s_cbranch_vccnz .LBB270_16
; %bb.13:                               ;   in Loop: Header=BB270_4 Depth=1
	s_mov_b32 s6, 0
	s_mov_b32 s27, 0
                                        ; implicit-def: $vgpr9_vgpr10
	s_and_saveexec_b32 s39, s0
	s_cbranch_execz .LBB270_17
; %bb.14:                               ;   in Loop: Header=BB270_4 Depth=1
	s_and_not1_b32 vcc_lo, exec_lo, s37
	s_wait_alu 0xfffe
	s_cbranch_vccnz .LBB270_18
; %bb.15:                               ;   in Loop: Header=BB270_4 Depth=1
	v_add_co_u32 v9, vcc_lo, v22, s28
	s_wait_alu 0xfffd
	v_add_co_ci_u32_e64 v10, null, s29, v23, vcc_lo
	flat_load_b64 v[9:10], v[9:10]
	s_wait_loadcnt_dscnt 0x0
	v_mul_f64_e32 v[9:10], s[22:23], v[9:10]
	s_branch .LBB270_19
.LBB270_16:                             ;   in Loop: Header=BB270_4 Depth=1
	s_mov_b32 s27, 0
                                        ; implicit-def: $vgpr9_vgpr10
	s_cbranch_execnz .LBB270_20
	s_branch .LBB270_39
.LBB270_17:                             ;   in Loop: Header=BB270_4 Depth=1
	s_or_b32 exec_lo, exec_lo, s39
	s_delay_alu instid0(SALU_CYCLE_1)
	s_and_b32 vcc_lo, exec_lo, s6
	s_wait_alu 0xfffe
	s_cbranch_vccnz .LBB270_20
	s_branch .LBB270_39
.LBB270_18:                             ;   in Loop: Header=BB270_4 Depth=1
	v_mov_b32_e32 v9, 0
	v_mov_b32_e32 v10, 0
.LBB270_19:                             ;   in Loop: Header=BB270_4 Depth=1
	s_mov_b32 s27, exec_lo
	s_or_b32 exec_lo, exec_lo, s39
	s_delay_alu instid0(SALU_CYCLE_1)
	s_and_b32 vcc_lo, exec_lo, s6
	s_wait_alu 0xfffe
	s_cbranch_vccz .LBB270_39
.LBB270_20:                             ;   in Loop: Header=BB270_4 Depth=1
	v_add_co_u32 v2, vcc_lo, v7, v20
	s_wait_alu 0xfffd
	v_add_co_ci_u32_e64 v10, null, 0, v8, vcc_lo
	v_mov_b32_e32 v7, 0
	s_delay_alu instid0(VALU_DEP_3)
	v_add_co_u32 v9, vcc_lo, v2, s30
	v_mov_b32_e32 v8, 0
	s_wait_alu 0xfffd
	v_add_co_ci_u32_e64 v10, null, s31, v10, vcc_lo
	s_and_saveexec_b32 s39, s4
	s_cbranch_execnz .LBB270_29
; %bb.21:                               ;   in Loop: Header=BB270_4 Depth=1
	s_or_b32 exec_lo, exec_lo, s39
	s_and_saveexec_b32 s6, s5
	s_cbranch_execnz .LBB270_32
.LBB270_22:                             ;   in Loop: Header=BB270_4 Depth=1
	s_or_b32 exec_lo, exec_lo, s6
	s_and_saveexec_b32 s6, s1
.LBB270_23:                             ;   in Loop: Header=BB270_4 Depth=1
	v_mov_b32_e32 v2, v1
	ds_store_b64 v16, v[1:2]
.LBB270_24:                             ;   in Loop: Header=BB270_4 Depth=1
	s_or_b32 exec_lo, exec_lo, s6
	ds_bpermute_b32 v5, v21, v7
	ds_bpermute_b32 v6, v21, v8
	v_cmp_gt_u32_e32 vcc_lo, 24, v15
	s_wait_dscnt 0x0
	s_barrier_signal -1
	s_barrier_wait -1
	global_inv scope:SCOPE_SE
	s_wait_alu 0xfffd
	v_cndmask_b32_e64 v2, 0, 8, vcc_lo
	v_cmp_gt_u32_e32 vcc_lo, 28, v15
	s_delay_alu instid0(VALU_DEP_2)
	v_add_lshl_u32 v2, v2, v15, 2
	v_add_f64_e32 v[5:6], v[7:8], v[5:6]
	ds_bpermute_b32 v7, v2, v5
	ds_bpermute_b32 v8, v2, v6
	s_wait_alu 0xfffd
	v_cndmask_b32_e64 v2, 0, 4, vcc_lo
	v_cmp_gt_u32_e32 vcc_lo, 30, v15
	s_delay_alu instid0(VALU_DEP_2)
	v_add_lshl_u32 v2, v2, v15, 2
	s_wait_dscnt 0x0
	v_add_f64_e32 v[5:6], v[5:6], v[7:8]
	ds_bpermute_b32 v7, v2, v5
	ds_bpermute_b32 v8, v2, v6
	s_wait_dscnt 0x0
	v_add_f64_e32 v[5:6], v[5:6], v[7:8]
	s_wait_alu 0xfffd
	v_cndmask_b32_e64 v7, 0, 2, vcc_lo
	v_cmp_ne_u32_e32 vcc_lo, 31, v15
	s_delay_alu instid0(VALU_DEP_2)
	v_add_lshl_u32 v9, v7, v15, 2
	ds_bpermute_b32 v7, v9, v5
	ds_bpermute_b32 v8, v9, v6
	s_wait_dscnt 0x0
	v_add_f64_e32 v[5:6], v[5:6], v[7:8]
	s_wait_alu 0xfffd
	v_add_co_ci_u32_e64 v7, null, 0, v15, vcc_lo
	s_delay_alu instid0(VALU_DEP_1)
	v_lshlrev_b32_e32 v10, 2, v7
	ds_bpermute_b32 v7, v10, v5
	ds_bpermute_b32 v8, v10, v6
	s_and_saveexec_b32 s6, s3
	s_cbranch_execz .LBB270_26
; %bb.25:                               ;   in Loop: Header=BB270_4 Depth=1
	s_wait_dscnt 0x0
	v_add_f64_e32 v[5:6], v[5:6], v[7:8]
	ds_store_b64 v17, v[5:6]
.LBB270_26:                             ;   in Loop: Header=BB270_4 Depth=1
	s_or_b32 exec_lo, exec_lo, s6
	v_mov_b32_e32 v5, 0
	v_mov_b32_e32 v6, 0
	s_wait_loadcnt_dscnt 0x0
	s_barrier_signal -1
	s_barrier_wait -1
	global_inv scope:SCOPE_SE
	s_and_saveexec_b32 s6, s2
	s_cbranch_execnz .LBB270_33
; %bb.27:                               ;   in Loop: Header=BB270_4 Depth=1
	s_or_b32 exec_lo, exec_lo, s6
	s_and_saveexec_b32 s6, s1
	s_cbranch_execnz .LBB270_34
.LBB270_28:                             ;   in Loop: Header=BB270_4 Depth=1
	s_or_b32 exec_lo, exec_lo, s6
                                        ; implicit-def: $vgpr9_vgpr10
	s_and_saveexec_b32 s6, s0
	s_cbranch_execnz .LBB270_35
	s_branch .LBB270_38
.LBB270_29:                             ;   in Loop: Header=BB270_4 Depth=1
	v_dual_mov_b32 v7, 0 :: v_dual_mov_b32 v14, v10
	v_dual_mov_b32 v8, 0 :: v_dual_mov_b32 v11, v18
	;; [unrolled: 1-line block ×3, first 2 shown]
	s_mov_b32 s40, 0
.LBB270_30:                             ;   Parent Loop BB270_4 Depth=1
                                        ; =>  This Inner Loop Header: Depth=2
	s_delay_alu instid0(VALU_DEP_2) | instskip(NEXT) | instid1(VALU_DEP_2)
	v_ashrrev_i32_e32 v12, 31, v11
	v_add_nc_u32_e32 v2, 0x100, v2
	s_delay_alu instid0(VALU_DEP_2) | instskip(NEXT) | instid1(VALU_DEP_2)
	v_lshlrev_b64_e32 v[24:25], 3, v[11:12]
	v_cmp_le_i32_e64 s6, s26, v2
	v_add_nc_u32_e32 v11, s33, v11
	s_or_b32 s40, s6, s40
	v_add_co_u32 v24, vcc_lo, v5, v24
	s_wait_alu 0xfffd
	v_add_co_ci_u32_e64 v25, null, v6, v25, vcc_lo
	flat_load_b64 v[26:27], v[13:14]
	flat_load_b64 v[24:25], v[24:25]
	v_add_co_u32 v13, vcc_lo, 0x800, v13
	s_wait_alu 0xfffd
	v_add_co_ci_u32_e64 v14, null, 0, v14, vcc_lo
	s_wait_loadcnt_dscnt 0x0
	v_fma_f64 v[7:8], v[26:27], v[24:25], v[7:8]
	s_and_not1_b32 exec_lo, exec_lo, s40
	s_cbranch_execnz .LBB270_30
; %bb.31:                               ;   in Loop: Header=BB270_4 Depth=1
	s_or_b32 exec_lo, exec_lo, s40
	s_delay_alu instid0(SALU_CYCLE_1)
	s_or_b32 exec_lo, exec_lo, s39
	s_and_saveexec_b32 s6, s5
	s_cbranch_execz .LBB270_22
.LBB270_32:                             ;   in Loop: Header=BB270_4 Depth=1
	v_add_co_u32 v9, vcc_lo, v9, s34
	s_wait_alu 0xfffd
	v_add_co_ci_u32_e64 v10, null, s35, v10, vcc_lo
	v_add_co_u32 v5, vcc_lo, v5, v3
	s_wait_alu 0xfffd
	v_add_co_ci_u32_e64 v6, null, v6, v4, vcc_lo
	flat_load_b64 v[9:10], v[9:10]
	flat_load_b64 v[5:6], v[5:6]
	s_wait_loadcnt_dscnt 0x0
	v_fma_f64 v[7:8], v[9:10], v[5:6], v[7:8]
	s_or_b32 exec_lo, exec_lo, s6
	s_and_saveexec_b32 s6, s1
	s_cbranch_execnz .LBB270_23
	s_branch .LBB270_24
.LBB270_33:                             ;   in Loop: Header=BB270_4 Depth=1
	ds_load_b64 v[5:6], v16
	s_or_b32 exec_lo, exec_lo, s6
	s_and_saveexec_b32 s6, s1
	s_cbranch_execz .LBB270_28
.LBB270_34:                             ;   in Loop: Header=BB270_4 Depth=1
	s_wait_dscnt 0x0
	ds_bpermute_b32 v7, v2, v5
	ds_bpermute_b32 v8, v2, v6
	s_wait_dscnt 0x0
	v_add_f64_e32 v[5:6], v[5:6], v[7:8]
	ds_bpermute_b32 v7, v9, v5
	ds_bpermute_b32 v8, v9, v6
	s_wait_dscnt 0x0
	v_add_f64_e32 v[5:6], v[5:6], v[7:8]
	;; [unrolled: 4-line block ×3, first 2 shown]
	s_or_b32 exec_lo, exec_lo, s6
                                        ; implicit-def: $vgpr9_vgpr10
	s_and_saveexec_b32 s6, s0
	s_cbranch_execz .LBB270_38
.LBB270_35:                             ;   in Loop: Header=BB270_4 Depth=1
	s_wait_dscnt 0x0
	s_delay_alu instid0(VALU_DEP_1)
	v_mul_f64_e32 v[9:10], s[24:25], v[5:6]
	s_and_not1_b32 vcc_lo, exec_lo, s37
	s_wait_alu 0xfffe
	s_cbranch_vccnz .LBB270_37
; %bb.36:                               ;   in Loop: Header=BB270_4 Depth=1
	v_add_co_u32 v5, vcc_lo, v22, s28
	s_wait_alu 0xfffd
	v_add_co_ci_u32_e64 v6, null, s29, v23, vcc_lo
	flat_load_b64 v[5:6], v[5:6]
	s_wait_loadcnt_dscnt 0x0
	v_fma_f64 v[9:10], s[22:23], v[5:6], v[9:10]
.LBB270_37:                             ;   in Loop: Header=BB270_4 Depth=1
	s_or_b32 s27, s27, exec_lo
.LBB270_38:                             ;   in Loop: Header=BB270_4 Depth=1
	s_or_b32 exec_lo, exec_lo, s6
.LBB270_39:                             ;   in Loop: Header=BB270_4 Depth=1
	s_wait_alu 0xfffe
	s_and_saveexec_b32 s6, s27
	s_cbranch_execz .LBB270_2
; %bb.40:                               ;   in Loop: Header=BB270_4 Depth=1
	s_wait_dscnt 0x0
	v_add_co_u32 v5, vcc_lo, v22, s28
	s_wait_alu 0xfffd
	v_add_co_ci_u32_e64 v6, null, s29, v23, vcc_lo
	flat_store_b64 v[5:6], v[9:10]
	s_branch .LBB270_2
.LBB270_41:
	s_endpgm
	.section	.rodata,"a",@progbits
	.p2align	6, 0x0
	.amdhsa_kernel _ZL32rocblas_gemvt_warp_reduce_kernelILb0ELi256EiPKddKPdEviiT3_lPKT2_lT1_lS7_lS8_lS4_lPT4_lS8_li
		.amdhsa_group_segment_fixed_size 256
		.amdhsa_private_segment_fixed_size 0
		.amdhsa_kernarg_size 140
		.amdhsa_user_sgpr_count 2
		.amdhsa_user_sgpr_dispatch_ptr 0
		.amdhsa_user_sgpr_queue_ptr 0
		.amdhsa_user_sgpr_kernarg_segment_ptr 1
		.amdhsa_user_sgpr_dispatch_id 0
		.amdhsa_user_sgpr_private_segment_size 0
		.amdhsa_wavefront_size32 1
		.amdhsa_uses_dynamic_stack 0
		.amdhsa_enable_private_segment 0
		.amdhsa_system_sgpr_workgroup_id_x 1
		.amdhsa_system_sgpr_workgroup_id_y 0
		.amdhsa_system_sgpr_workgroup_id_z 1
		.amdhsa_system_sgpr_workgroup_info 0
		.amdhsa_system_vgpr_workitem_id 0
		.amdhsa_next_free_vgpr 28
		.amdhsa_next_free_sgpr 42
		.amdhsa_reserve_vcc 1
		.amdhsa_float_round_mode_32 0
		.amdhsa_float_round_mode_16_64 0
		.amdhsa_float_denorm_mode_32 3
		.amdhsa_float_denorm_mode_16_64 3
		.amdhsa_fp16_overflow 0
		.amdhsa_workgroup_processor_mode 1
		.amdhsa_memory_ordered 1
		.amdhsa_forward_progress 1
		.amdhsa_inst_pref_size 14
		.amdhsa_round_robin_scheduling 0
		.amdhsa_exception_fp_ieee_invalid_op 0
		.amdhsa_exception_fp_denorm_src 0
		.amdhsa_exception_fp_ieee_div_zero 0
		.amdhsa_exception_fp_ieee_overflow 0
		.amdhsa_exception_fp_ieee_underflow 0
		.amdhsa_exception_fp_ieee_inexact 0
		.amdhsa_exception_int_div_zero 0
	.end_amdhsa_kernel
	.section	.text._ZL32rocblas_gemvt_warp_reduce_kernelILb0ELi256EiPKddKPdEviiT3_lPKT2_lT1_lS7_lS8_lS4_lPT4_lS8_li,"axG",@progbits,_ZL32rocblas_gemvt_warp_reduce_kernelILb0ELi256EiPKddKPdEviiT3_lPKT2_lT1_lS7_lS8_lS4_lPT4_lS8_li,comdat
.Lfunc_end270:
	.size	_ZL32rocblas_gemvt_warp_reduce_kernelILb0ELi256EiPKddKPdEviiT3_lPKT2_lT1_lS7_lS8_lS4_lPT4_lS8_li, .Lfunc_end270-_ZL32rocblas_gemvt_warp_reduce_kernelILb0ELi256EiPKddKPdEviiT3_lPKT2_lT1_lS7_lS8_lS4_lPT4_lS8_li
                                        ; -- End function
	.set _ZL32rocblas_gemvt_warp_reduce_kernelILb0ELi256EiPKddKPdEviiT3_lPKT2_lT1_lS7_lS8_lS4_lPT4_lS8_li.num_vgpr, 28
	.set _ZL32rocblas_gemvt_warp_reduce_kernelILb0ELi256EiPKddKPdEviiT3_lPKT2_lT1_lS7_lS8_lS4_lPT4_lS8_li.num_agpr, 0
	.set _ZL32rocblas_gemvt_warp_reduce_kernelILb0ELi256EiPKddKPdEviiT3_lPKT2_lT1_lS7_lS8_lS4_lPT4_lS8_li.numbered_sgpr, 42
	.set _ZL32rocblas_gemvt_warp_reduce_kernelILb0ELi256EiPKddKPdEviiT3_lPKT2_lT1_lS7_lS8_lS4_lPT4_lS8_li.num_named_barrier, 0
	.set _ZL32rocblas_gemvt_warp_reduce_kernelILb0ELi256EiPKddKPdEviiT3_lPKT2_lT1_lS7_lS8_lS4_lPT4_lS8_li.private_seg_size, 0
	.set _ZL32rocblas_gemvt_warp_reduce_kernelILb0ELi256EiPKddKPdEviiT3_lPKT2_lT1_lS7_lS8_lS4_lPT4_lS8_li.uses_vcc, 1
	.set _ZL32rocblas_gemvt_warp_reduce_kernelILb0ELi256EiPKddKPdEviiT3_lPKT2_lT1_lS7_lS8_lS4_lPT4_lS8_li.uses_flat_scratch, 0
	.set _ZL32rocblas_gemvt_warp_reduce_kernelILb0ELi256EiPKddKPdEviiT3_lPKT2_lT1_lS7_lS8_lS4_lPT4_lS8_li.has_dyn_sized_stack, 0
	.set _ZL32rocblas_gemvt_warp_reduce_kernelILb0ELi256EiPKddKPdEviiT3_lPKT2_lT1_lS7_lS8_lS4_lPT4_lS8_li.has_recursion, 0
	.set _ZL32rocblas_gemvt_warp_reduce_kernelILb0ELi256EiPKddKPdEviiT3_lPKT2_lT1_lS7_lS8_lS4_lPT4_lS8_li.has_indirect_call, 0
	.section	.AMDGPU.csdata,"",@progbits
; Kernel info:
; codeLenInByte = 1696
; TotalNumSgprs: 44
; NumVgprs: 28
; ScratchSize: 0
; MemoryBound: 1
; FloatMode: 240
; IeeeMode: 1
; LDSByteSize: 256 bytes/workgroup (compile time only)
; SGPRBlocks: 0
; VGPRBlocks: 3
; NumSGPRsForWavesPerEU: 44
; NumVGPRsForWavesPerEU: 28
; Occupancy: 16
; WaveLimiterHint : 1
; COMPUTE_PGM_RSRC2:SCRATCH_EN: 0
; COMPUTE_PGM_RSRC2:USER_SGPR: 2
; COMPUTE_PGM_RSRC2:TRAP_HANDLER: 0
; COMPUTE_PGM_RSRC2:TGID_X_EN: 1
; COMPUTE_PGM_RSRC2:TGID_Y_EN: 0
; COMPUTE_PGM_RSRC2:TGID_Z_EN: 1
; COMPUTE_PGM_RSRC2:TIDIG_COMP_CNT: 0
	.section	.text._ZL32rocblas_gemvt_warp_reduce_kernelILb0ELi256ElPKddKPdEviiT3_lPKT2_lT1_lS7_lS8_lS4_lPT4_lS8_li,"axG",@progbits,_ZL32rocblas_gemvt_warp_reduce_kernelILb0ELi256ElPKddKPdEviiT3_lPKT2_lT1_lS7_lS8_lS4_lPT4_lS8_li,comdat
	.globl	_ZL32rocblas_gemvt_warp_reduce_kernelILb0ELi256ElPKddKPdEviiT3_lPKT2_lT1_lS7_lS8_lS4_lPT4_lS8_li ; -- Begin function _ZL32rocblas_gemvt_warp_reduce_kernelILb0ELi256ElPKddKPdEviiT3_lPKT2_lT1_lS7_lS8_lS4_lPT4_lS8_li
	.p2align	8
	.type	_ZL32rocblas_gemvt_warp_reduce_kernelILb0ELi256ElPKddKPdEviiT3_lPKT2_lT1_lS7_lS8_lS4_lPT4_lS8_li,@function
_ZL32rocblas_gemvt_warp_reduce_kernelILb0ELi256ElPKddKPdEviiT3_lPKT2_lT1_lS7_lS8_lS4_lPT4_lS8_li: ; @_ZL32rocblas_gemvt_warp_reduce_kernelILb0ELi256ElPKddKPdEviiT3_lPKT2_lT1_lS7_lS8_lS4_lPT4_lS8_li
; %bb.0:
	s_load_b32 s7, s[0:1], 0x88
	s_lshr_b32 s20, ttmp7, 16
	s_wait_kmcnt 0x0
	s_cmp_ge_u32 s20, s7
	s_cbranch_scc1 .LBB271_41
; %bb.1:
	s_clause 0x8
	s_load_b64 s[22:23], s[0:1], 0x58
	s_load_b64 s[24:25], s[0:1], 0x8
	s_load_b32 s6, s[0:1], 0x0
	s_load_b64 s[26:27], s[0:1], 0x78
	s_load_b128 s[8:11], s[0:1], 0x18
	s_load_b64 s[28:29], s[0:1], 0x28
	s_load_b128 s[12:15], s[0:1], 0x38
	;; [unrolled: 2-line block ×3, first 2 shown]
	s_mov_b32 s4, ttmp9
	s_ashr_i32 s5, ttmp9, 31
	v_dual_mov_b32 v1, 0 :: v_dual_and_b32 v2, 31, v0
	v_lshrrev_b32_e32 v3, 2, v0
	v_mbcnt_lo_u32_b32 v17, -1, 0
	v_cmp_eq_u32_e64 s0, 0, v0
	v_cmp_gt_u32_e64 s1, 32, v0
	v_cmp_eq_u32_e64 s3, 0, v2
	v_and_b32_e32 v19, 56, v3
	v_cmp_gt_u32_e64 s2, 8, v0
	s_wait_kmcnt 0x0
	v_cmp_neq_f64_e64 s39, s[22:23], 1.0
	v_cmp_neq_f64_e64 s40, s[24:25], 0
	v_cmp_eq_f64_e64 s33, s[24:25], 0
	v_cmp_neq_f64_e64 s38, s[22:23], 0
	s_mul_u64 s[34:35], s[26:27], s[4:5]
	s_mul_u64 s[36:37], s[28:29], s[4:5]
	s_ashr_i32 s4, s6, 31
	v_cmp_gt_i32_e32 vcc_lo, s6, v0
	s_lshr_b32 s4, s4, 24
	v_lshlrev_b32_e32 v18, 3, v2
	v_mad_co_u64_u32 v[2:3], null, s30, v0, 0
	s_add_co_i32 s4, s6, s4
	s_lshl_b64 s[26:27], s[30:31], 11
	s_and_b32 s28, s4, 0xffffff00
	v_cndmask_b32_e32 v7, 0, v0, vcc_lo
	v_or_b32_e32 v8, s28, v0
	s_ashr_i32 s29, s28, 31
	v_mad_co_u64_u32 v[3:4], null, s31, v0, v[3:4]
	v_cmp_gt_i32_e64 s4, s28, v0
	s_delay_alu instid0(VALU_DEP_3)
	v_mul_lo_u32 v4, s31, v8
	v_mad_co_u64_u32 v[5:6], null, s30, v8, 0
	s_wait_alu 0xfffe
	s_mul_i32 s30, s30, s29
	v_cmp_gt_i32_e64 s5, s6, v8
	v_lshlrev_b32_e32 v21, 3, v7
	v_lshl_or_b32 v22, v17, 2, 64
	s_mov_b32 s21, 0
	s_lshl_b64 s[10:11], s[10:11], 3
	s_wait_alu 0xfffe
	v_add3_u32 v6, v6, s30, v4
	v_lshlrev_b64_e32 v[3:4], 3, v[2:3]
	s_lshl_b64 s[14:15], s[14:15], 3
	s_lshl_b64 s[18:19], s[18:19], 3
	;; [unrolled: 1-line block ×3, first 2 shown]
	v_lshlrev_b64_e32 v[5:6], 3, v[5:6]
	s_lshl_b64 s[34:35], s[36:37], 3
	s_lshl_b64 s[36:37], s[28:29], 3
	v_cndmask_b32_e64 v20, 0, 1, s40
	s_or_b32 s39, s40, s39
	s_branch .LBB271_4
.LBB271_2:                              ;   in Loop: Header=BB271_4 Depth=1
	s_wait_alu 0xfffe
	s_or_b32 exec_lo, exec_lo, s6
.LBB271_3:                              ;   in Loop: Header=BB271_4 Depth=1
	s_add_co_i32 s20, s20, 0x10000
	s_delay_alu instid0(SALU_CYCLE_1)
	s_cmp_lt_u32 s20, s7
	s_cbranch_scc0 .LBB271_41
.LBB271_4:                              ; =>This Loop Header: Depth=1
                                        ;     Child Loop BB271_30 Depth 2
	s_and_not1_b32 vcc_lo, exec_lo, s39
	s_wait_alu 0xfffe
	s_cbranch_vccnz .LBB271_3
; %bb.5:                                ;   in Loop: Header=BB271_4 Depth=1
	s_and_not1_b32 vcc_lo, exec_lo, s33
	s_wait_alu 0xfffe
	s_cbranch_vccnz .LBB271_7
; %bb.6:                                ;   in Loop: Header=BB271_4 Depth=1
	s_mov_b32 s6, 0
	s_branch .LBB271_8
.LBB271_7:                              ;   in Loop: Header=BB271_4 Depth=1
	s_mov_b32 s6, -1
.LBB271_8:                              ;   in Loop: Header=BB271_4 Depth=1
	s_wait_dscnt 0x0
	v_mov_b32_e32 v7, 0
	v_dual_mov_b32 v8, 0 :: v_dual_mov_b32 v9, 0
	v_mov_b32_e32 v10, 0
	s_wait_alu 0xfffe
	s_and_not1_b32 vcc_lo, exec_lo, s6
	s_wait_alu 0xfffe
	s_cbranch_vccnz .LBB271_10
; %bb.9:                                ;   in Loop: Header=BB271_4 Depth=1
	s_lshl_b64 s[40:41], s[20:21], 3
	s_wait_alu 0xfffe
	s_add_nc_u64 s[40:41], s[8:9], s[40:41]
	global_load_b64 v[9:10], v1, s[40:41]
	s_wait_loadcnt 0x0
	v_add_co_u32 v9, vcc_lo, v9, s10
	s_wait_alu 0xfffd
	v_add_co_ci_u32_e64 v10, null, s11, v10, vcc_lo
.LBB271_10:                             ;   in Loop: Header=BB271_4 Depth=1
	v_cmp_ne_u32_e32 vcc_lo, 1, v20
	s_cbranch_vccnz .LBB271_12
; %bb.11:                               ;   in Loop: Header=BB271_4 Depth=1
	s_lshl_b64 s[40:41], s[20:21], 3
	s_wait_alu 0xfffe
	s_add_nc_u64 s[40:41], s[12:13], s[40:41]
	global_load_b64 v[7:8], v1, s[40:41]
	s_wait_loadcnt 0x0
	v_add_co_u32 v7, vcc_lo, v7, s14
	s_wait_alu 0xfffd
	v_add_co_ci_u32_e64 v8, null, s15, v8, vcc_lo
.LBB271_12:                             ;   in Loop: Header=BB271_4 Depth=1
	s_lshl_b64 s[40:41], s[20:21], 3
	s_wait_alu 0xfffe
	s_add_nc_u64 s[40:41], s[16:17], s[40:41]
	global_load_b64 v[11:12], v1, s[40:41]
	s_wait_loadcnt 0x0
	v_add_co_u32 v23, vcc_lo, v11, s18
	s_wait_alu 0xfffd
	v_add_co_ci_u32_e64 v24, null, s19, v12, vcc_lo
	s_and_not1_b32 vcc_lo, exec_lo, s33
	s_wait_alu 0xfffe
	s_cbranch_vccnz .LBB271_16
; %bb.13:                               ;   in Loop: Header=BB271_4 Depth=1
	s_mov_b32 s6, 0
	s_mov_b32 s29, 0
                                        ; implicit-def: $vgpr11_vgpr12
	s_and_saveexec_b32 s40, s0
	s_cbranch_execz .LBB271_17
; %bb.14:                               ;   in Loop: Header=BB271_4 Depth=1
	s_and_not1_b32 vcc_lo, exec_lo, s38
	s_wait_alu 0xfffe
	s_cbranch_vccnz .LBB271_18
; %bb.15:                               ;   in Loop: Header=BB271_4 Depth=1
	v_add_co_u32 v11, vcc_lo, v23, s30
	s_wait_alu 0xfffd
	v_add_co_ci_u32_e64 v12, null, s31, v24, vcc_lo
	flat_load_b64 v[11:12], v[11:12]
	s_wait_loadcnt_dscnt 0x0
	v_mul_f64_e32 v[11:12], s[22:23], v[11:12]
	s_branch .LBB271_19
.LBB271_16:                             ;   in Loop: Header=BB271_4 Depth=1
	s_mov_b32 s29, 0
                                        ; implicit-def: $vgpr11_vgpr12
	s_cbranch_execnz .LBB271_20
	s_branch .LBB271_39
.LBB271_17:                             ;   in Loop: Header=BB271_4 Depth=1
	s_wait_alu 0xfffe
	s_or_b32 exec_lo, exec_lo, s40
	s_delay_alu instid0(SALU_CYCLE_1)
	s_and_b32 vcc_lo, exec_lo, s6
	s_wait_alu 0xfffe
	s_cbranch_vccnz .LBB271_20
	s_branch .LBB271_39
.LBB271_18:                             ;   in Loop: Header=BB271_4 Depth=1
	v_mov_b32_e32 v11, 0
	v_mov_b32_e32 v12, 0
.LBB271_19:                             ;   in Loop: Header=BB271_4 Depth=1
	s_mov_b32 s29, exec_lo
	s_or_b32 exec_lo, exec_lo, s40
	s_delay_alu instid0(SALU_CYCLE_1)
	s_and_b32 vcc_lo, exec_lo, s6
	s_wait_alu 0xfffe
	s_cbranch_vccz .LBB271_39
.LBB271_20:                             ;   in Loop: Header=BB271_4 Depth=1
	v_add_co_u32 v2, vcc_lo, v9, v21
	s_wait_alu 0xfffd
	v_add_co_ci_u32_e64 v12, null, 0, v10, vcc_lo
	v_mov_b32_e32 v9, 0
	s_delay_alu instid0(VALU_DEP_3)
	v_add_co_u32 v11, vcc_lo, v2, s34
	v_mov_b32_e32 v10, 0
	s_wait_alu 0xfffd
	v_add_co_ci_u32_e64 v12, null, s35, v12, vcc_lo
	s_and_saveexec_b32 s40, s4
	s_cbranch_execnz .LBB271_29
; %bb.21:                               ;   in Loop: Header=BB271_4 Depth=1
	s_wait_alu 0xfffe
	s_or_b32 exec_lo, exec_lo, s40
	s_and_saveexec_b32 s6, s5
	s_cbranch_execnz .LBB271_32
.LBB271_22:                             ;   in Loop: Header=BB271_4 Depth=1
	s_wait_alu 0xfffe
	s_or_b32 exec_lo, exec_lo, s6
	s_and_saveexec_b32 s6, s1
.LBB271_23:                             ;   in Loop: Header=BB271_4 Depth=1
	v_mov_b32_e32 v2, v1
	ds_store_b64 v18, v[1:2]
.LBB271_24:                             ;   in Loop: Header=BB271_4 Depth=1
	s_wait_alu 0xfffe
	s_or_b32 exec_lo, exec_lo, s6
	ds_bpermute_b32 v7, v22, v9
	ds_bpermute_b32 v8, v22, v10
	v_cmp_gt_u32_e32 vcc_lo, 24, v17
	s_wait_dscnt 0x0
	s_barrier_signal -1
	s_barrier_wait -1
	global_inv scope:SCOPE_SE
	s_wait_alu 0xfffd
	v_cndmask_b32_e64 v2, 0, 8, vcc_lo
	v_cmp_gt_u32_e32 vcc_lo, 28, v17
	s_delay_alu instid0(VALU_DEP_2)
	v_add_lshl_u32 v2, v2, v17, 2
	v_add_f64_e32 v[7:8], v[9:10], v[7:8]
	ds_bpermute_b32 v9, v2, v7
	ds_bpermute_b32 v10, v2, v8
	s_wait_alu 0xfffd
	v_cndmask_b32_e64 v2, 0, 4, vcc_lo
	v_cmp_gt_u32_e32 vcc_lo, 30, v17
	s_delay_alu instid0(VALU_DEP_2)
	v_add_lshl_u32 v2, v2, v17, 2
	s_wait_dscnt 0x0
	v_add_f64_e32 v[7:8], v[7:8], v[9:10]
	ds_bpermute_b32 v9, v2, v7
	ds_bpermute_b32 v10, v2, v8
	s_wait_dscnt 0x0
	v_add_f64_e32 v[7:8], v[7:8], v[9:10]
	s_wait_alu 0xfffd
	v_cndmask_b32_e64 v9, 0, 2, vcc_lo
	v_cmp_ne_u32_e32 vcc_lo, 31, v17
	s_delay_alu instid0(VALU_DEP_2)
	v_add_lshl_u32 v11, v9, v17, 2
	ds_bpermute_b32 v9, v11, v7
	ds_bpermute_b32 v10, v11, v8
	s_wait_dscnt 0x0
	v_add_f64_e32 v[7:8], v[7:8], v[9:10]
	s_wait_alu 0xfffd
	v_add_co_ci_u32_e64 v9, null, 0, v17, vcc_lo
	s_delay_alu instid0(VALU_DEP_1)
	v_lshlrev_b32_e32 v12, 2, v9
	ds_bpermute_b32 v9, v12, v7
	ds_bpermute_b32 v10, v12, v8
	s_and_saveexec_b32 s6, s3
	s_cbranch_execz .LBB271_26
; %bb.25:                               ;   in Loop: Header=BB271_4 Depth=1
	s_wait_dscnt 0x0
	v_add_f64_e32 v[7:8], v[7:8], v[9:10]
	ds_store_b64 v19, v[7:8]
.LBB271_26:                             ;   in Loop: Header=BB271_4 Depth=1
	s_wait_alu 0xfffe
	s_or_b32 exec_lo, exec_lo, s6
	v_mov_b32_e32 v7, 0
	v_mov_b32_e32 v8, 0
	s_wait_loadcnt_dscnt 0x0
	s_barrier_signal -1
	s_barrier_wait -1
	global_inv scope:SCOPE_SE
	s_and_saveexec_b32 s6, s2
	s_cbranch_execnz .LBB271_33
; %bb.27:                               ;   in Loop: Header=BB271_4 Depth=1
	s_wait_alu 0xfffe
	s_or_b32 exec_lo, exec_lo, s6
	s_and_saveexec_b32 s6, s1
	s_cbranch_execnz .LBB271_34
.LBB271_28:                             ;   in Loop: Header=BB271_4 Depth=1
	s_wait_alu 0xfffe
	s_or_b32 exec_lo, exec_lo, s6
                                        ; implicit-def: $vgpr11_vgpr12
	s_and_saveexec_b32 s6, s0
	s_cbranch_execnz .LBB271_35
	s_branch .LBB271_38
.LBB271_29:                             ;   in Loop: Header=BB271_4 Depth=1
	v_add_co_u32 v13, vcc_lo, v7, v3
	v_dual_mov_b32 v9, 0 :: v_dual_mov_b32 v16, v12
	s_wait_alu 0xfffd
	v_add_co_ci_u32_e64 v14, null, v8, v4, vcc_lo
	v_dual_mov_b32 v10, 0 :: v_dual_mov_b32 v15, v11
	v_mov_b32_e32 v2, v0
	s_mov_b32 s41, 0
.LBB271_30:                             ;   Parent Loop BB271_4 Depth=1
                                        ; =>  This Inner Loop Header: Depth=2
	flat_load_b64 v[25:26], v[15:16]
	flat_load_b64 v[27:28], v[13:14]
	v_add_nc_u32_e32 v2, 0x100, v2
	v_add_co_u32 v15, vcc_lo, 0x800, v15
	s_wait_alu 0xfffd
	v_add_co_ci_u32_e64 v16, null, 0, v16, vcc_lo
	s_delay_alu instid0(VALU_DEP_3)
	v_cmp_le_i32_e32 vcc_lo, s28, v2
	v_add_co_u32 v13, s6, v13, s26
	s_wait_alu 0xf1ff
	v_add_co_ci_u32_e64 v14, null, s27, v14, s6
	s_wait_alu 0xfffe
	s_or_b32 s41, vcc_lo, s41
	s_wait_loadcnt_dscnt 0x0
	v_fma_f64 v[9:10], v[25:26], v[27:28], v[9:10]
	s_wait_alu 0xfffe
	s_and_not1_b32 exec_lo, exec_lo, s41
	s_cbranch_execnz .LBB271_30
; %bb.31:                               ;   in Loop: Header=BB271_4 Depth=1
	s_or_b32 exec_lo, exec_lo, s41
	s_delay_alu instid0(SALU_CYCLE_1)
	s_or_b32 exec_lo, exec_lo, s40
	s_and_saveexec_b32 s6, s5
	s_cbranch_execz .LBB271_22
.LBB271_32:                             ;   in Loop: Header=BB271_4 Depth=1
	v_add_co_u32 v11, vcc_lo, v11, s36
	s_wait_alu 0xfffd
	v_add_co_ci_u32_e64 v12, null, s37, v12, vcc_lo
	v_add_co_u32 v7, vcc_lo, v7, v5
	s_wait_alu 0xfffd
	v_add_co_ci_u32_e64 v8, null, v8, v6, vcc_lo
	flat_load_b64 v[11:12], v[11:12]
	flat_load_b64 v[7:8], v[7:8]
	s_wait_loadcnt_dscnt 0x0
	v_fma_f64 v[9:10], v[11:12], v[7:8], v[9:10]
	s_wait_alu 0xfffe
	s_or_b32 exec_lo, exec_lo, s6
	s_and_saveexec_b32 s6, s1
	s_cbranch_execnz .LBB271_23
	s_branch .LBB271_24
.LBB271_33:                             ;   in Loop: Header=BB271_4 Depth=1
	ds_load_b64 v[7:8], v18
	s_wait_alu 0xfffe
	s_or_b32 exec_lo, exec_lo, s6
	s_and_saveexec_b32 s6, s1
	s_cbranch_execz .LBB271_28
.LBB271_34:                             ;   in Loop: Header=BB271_4 Depth=1
	s_wait_dscnt 0x0
	ds_bpermute_b32 v9, v2, v7
	ds_bpermute_b32 v10, v2, v8
	s_wait_dscnt 0x0
	v_add_f64_e32 v[7:8], v[7:8], v[9:10]
	ds_bpermute_b32 v9, v11, v7
	ds_bpermute_b32 v10, v11, v8
	s_wait_dscnt 0x0
	v_add_f64_e32 v[7:8], v[7:8], v[9:10]
	;; [unrolled: 4-line block ×3, first 2 shown]
	s_wait_alu 0xfffe
	s_or_b32 exec_lo, exec_lo, s6
                                        ; implicit-def: $vgpr11_vgpr12
	s_and_saveexec_b32 s6, s0
	s_cbranch_execz .LBB271_38
.LBB271_35:                             ;   in Loop: Header=BB271_4 Depth=1
	s_wait_dscnt 0x0
	s_delay_alu instid0(VALU_DEP_1)
	v_mul_f64_e32 v[11:12], s[24:25], v[7:8]
	s_and_not1_b32 vcc_lo, exec_lo, s38
	s_wait_alu 0xfffe
	s_cbranch_vccnz .LBB271_37
; %bb.36:                               ;   in Loop: Header=BB271_4 Depth=1
	v_add_co_u32 v7, vcc_lo, v23, s30
	s_wait_alu 0xfffd
	v_add_co_ci_u32_e64 v8, null, s31, v24, vcc_lo
	flat_load_b64 v[7:8], v[7:8]
	s_wait_loadcnt_dscnt 0x0
	v_fma_f64 v[11:12], s[22:23], v[7:8], v[11:12]
.LBB271_37:                             ;   in Loop: Header=BB271_4 Depth=1
	s_or_b32 s29, s29, exec_lo
.LBB271_38:                             ;   in Loop: Header=BB271_4 Depth=1
	s_wait_alu 0xfffe
	s_or_b32 exec_lo, exec_lo, s6
.LBB271_39:                             ;   in Loop: Header=BB271_4 Depth=1
	s_wait_alu 0xfffe
	s_and_saveexec_b32 s6, s29
	s_cbranch_execz .LBB271_2
; %bb.40:                               ;   in Loop: Header=BB271_4 Depth=1
	s_wait_dscnt 0x0
	v_add_co_u32 v7, vcc_lo, v23, s30
	s_wait_alu 0xfffd
	v_add_co_ci_u32_e64 v8, null, s31, v24, vcc_lo
	flat_store_b64 v[7:8], v[11:12]
	s_branch .LBB271_2
.LBB271_41:
	s_endpgm
	.section	.rodata,"a",@progbits
	.p2align	6, 0x0
	.amdhsa_kernel _ZL32rocblas_gemvt_warp_reduce_kernelILb0ELi256ElPKddKPdEviiT3_lPKT2_lT1_lS7_lS8_lS4_lPT4_lS8_li
		.amdhsa_group_segment_fixed_size 256
		.amdhsa_private_segment_fixed_size 0
		.amdhsa_kernarg_size 140
		.amdhsa_user_sgpr_count 2
		.amdhsa_user_sgpr_dispatch_ptr 0
		.amdhsa_user_sgpr_queue_ptr 0
		.amdhsa_user_sgpr_kernarg_segment_ptr 1
		.amdhsa_user_sgpr_dispatch_id 0
		.amdhsa_user_sgpr_private_segment_size 0
		.amdhsa_wavefront_size32 1
		.amdhsa_uses_dynamic_stack 0
		.amdhsa_enable_private_segment 0
		.amdhsa_system_sgpr_workgroup_id_x 1
		.amdhsa_system_sgpr_workgroup_id_y 0
		.amdhsa_system_sgpr_workgroup_id_z 1
		.amdhsa_system_sgpr_workgroup_info 0
		.amdhsa_system_vgpr_workitem_id 0
		.amdhsa_next_free_vgpr 29
		.amdhsa_next_free_sgpr 42
		.amdhsa_reserve_vcc 1
		.amdhsa_float_round_mode_32 0
		.amdhsa_float_round_mode_16_64 0
		.amdhsa_float_denorm_mode_32 3
		.amdhsa_float_denorm_mode_16_64 3
		.amdhsa_fp16_overflow 0
		.amdhsa_workgroup_processor_mode 1
		.amdhsa_memory_ordered 1
		.amdhsa_forward_progress 1
		.amdhsa_inst_pref_size 14
		.amdhsa_round_robin_scheduling 0
		.amdhsa_exception_fp_ieee_invalid_op 0
		.amdhsa_exception_fp_denorm_src 0
		.amdhsa_exception_fp_ieee_div_zero 0
		.amdhsa_exception_fp_ieee_overflow 0
		.amdhsa_exception_fp_ieee_underflow 0
		.amdhsa_exception_fp_ieee_inexact 0
		.amdhsa_exception_int_div_zero 0
	.end_amdhsa_kernel
	.section	.text._ZL32rocblas_gemvt_warp_reduce_kernelILb0ELi256ElPKddKPdEviiT3_lPKT2_lT1_lS7_lS8_lS4_lPT4_lS8_li,"axG",@progbits,_ZL32rocblas_gemvt_warp_reduce_kernelILb0ELi256ElPKddKPdEviiT3_lPKT2_lT1_lS7_lS8_lS4_lPT4_lS8_li,comdat
.Lfunc_end271:
	.size	_ZL32rocblas_gemvt_warp_reduce_kernelILb0ELi256ElPKddKPdEviiT3_lPKT2_lT1_lS7_lS8_lS4_lPT4_lS8_li, .Lfunc_end271-_ZL32rocblas_gemvt_warp_reduce_kernelILb0ELi256ElPKddKPdEviiT3_lPKT2_lT1_lS7_lS8_lS4_lPT4_lS8_li
                                        ; -- End function
	.set _ZL32rocblas_gemvt_warp_reduce_kernelILb0ELi256ElPKddKPdEviiT3_lPKT2_lT1_lS7_lS8_lS4_lPT4_lS8_li.num_vgpr, 29
	.set _ZL32rocblas_gemvt_warp_reduce_kernelILb0ELi256ElPKddKPdEviiT3_lPKT2_lT1_lS7_lS8_lS4_lPT4_lS8_li.num_agpr, 0
	.set _ZL32rocblas_gemvt_warp_reduce_kernelILb0ELi256ElPKddKPdEviiT3_lPKT2_lT1_lS7_lS8_lS4_lPT4_lS8_li.numbered_sgpr, 42
	.set _ZL32rocblas_gemvt_warp_reduce_kernelILb0ELi256ElPKddKPdEviiT3_lPKT2_lT1_lS7_lS8_lS4_lPT4_lS8_li.num_named_barrier, 0
	.set _ZL32rocblas_gemvt_warp_reduce_kernelILb0ELi256ElPKddKPdEviiT3_lPKT2_lT1_lS7_lS8_lS4_lPT4_lS8_li.private_seg_size, 0
	.set _ZL32rocblas_gemvt_warp_reduce_kernelILb0ELi256ElPKddKPdEviiT3_lPKT2_lT1_lS7_lS8_lS4_lPT4_lS8_li.uses_vcc, 1
	.set _ZL32rocblas_gemvt_warp_reduce_kernelILb0ELi256ElPKddKPdEviiT3_lPKT2_lT1_lS7_lS8_lS4_lPT4_lS8_li.uses_flat_scratch, 0
	.set _ZL32rocblas_gemvt_warp_reduce_kernelILb0ELi256ElPKddKPdEviiT3_lPKT2_lT1_lS7_lS8_lS4_lPT4_lS8_li.has_dyn_sized_stack, 0
	.set _ZL32rocblas_gemvt_warp_reduce_kernelILb0ELi256ElPKddKPdEviiT3_lPKT2_lT1_lS7_lS8_lS4_lPT4_lS8_li.has_recursion, 0
	.set _ZL32rocblas_gemvt_warp_reduce_kernelILb0ELi256ElPKddKPdEviiT3_lPKT2_lT1_lS7_lS8_lS4_lPT4_lS8_li.has_indirect_call, 0
	.section	.AMDGPU.csdata,"",@progbits
; Kernel info:
; codeLenInByte = 1780
; TotalNumSgprs: 44
; NumVgprs: 29
; ScratchSize: 0
; MemoryBound: 1
; FloatMode: 240
; IeeeMode: 1
; LDSByteSize: 256 bytes/workgroup (compile time only)
; SGPRBlocks: 0
; VGPRBlocks: 3
; NumSGPRsForWavesPerEU: 44
; NumVGPRsForWavesPerEU: 29
; Occupancy: 16
; WaveLimiterHint : 1
; COMPUTE_PGM_RSRC2:SCRATCH_EN: 0
; COMPUTE_PGM_RSRC2:USER_SGPR: 2
; COMPUTE_PGM_RSRC2:TRAP_HANDLER: 0
; COMPUTE_PGM_RSRC2:TGID_X_EN: 1
; COMPUTE_PGM_RSRC2:TGID_Y_EN: 0
; COMPUTE_PGM_RSRC2:TGID_Z_EN: 1
; COMPUTE_PGM_RSRC2:TIDIG_COMP_CNT: 0
	.section	.text._ZL20rocblas_gemvt_kernelILb0ELi256EPKdS1_KPdEviiT2_lPKT1_lilS7_lilS4_lPT3_lili,"axG",@progbits,_ZL20rocblas_gemvt_kernelILb0ELi256EPKdS1_KPdEviiT2_lPKT1_lilS7_lilS4_lPT3_lili,comdat
	.globl	_ZL20rocblas_gemvt_kernelILb0ELi256EPKdS1_KPdEviiT2_lPKT1_lilS7_lilS4_lPT3_lili ; -- Begin function _ZL20rocblas_gemvt_kernelILb0ELi256EPKdS1_KPdEviiT2_lPKT1_lilS7_lilS4_lPT3_lili
	.p2align	8
	.type	_ZL20rocblas_gemvt_kernelILb0ELi256EPKdS1_KPdEviiT2_lPKT1_lilS7_lilS4_lPT3_lili,@function
_ZL20rocblas_gemvt_kernelILb0ELi256EPKdS1_KPdEviiT2_lPKT1_lilS7_lilS4_lPT3_lili: ; @_ZL20rocblas_gemvt_kernelILb0ELi256EPKdS1_KPdEviiT2_lPKT1_lilS7_lilS4_lPT3_lili
; %bb.0:
	s_load_b32 s11, s[0:1], 0x88
	s_lshr_b32 s34, ttmp7, 16
	s_wait_kmcnt 0x0
	s_cmp_ge_u32 s34, s11
	s_cbranch_scc1 .LBB272_44
; %bb.1:
	s_clause 0x6
	s_load_b32 s4, s[0:1], 0x28
	s_load_b32 s38, s[0:1], 0x48
	;; [unrolled: 1-line block ×4, first 2 shown]
	s_load_b128 s[28:31], s[0:1], 0x38
	s_load_b256 s[12:19], s[0:1], 0x8
	s_load_b256 s[20:27], s[0:1], 0x58
	s_mov_b32 s2, ttmp9
	s_ashr_i32 s3, ttmp9, 31
	v_cmp_eq_u32_e64 s0, 0, v0
	v_dual_mov_b32 v18, 0 :: v_dual_lshlrev_b32 v19, 3, v0
	v_cmp_gt_u32_e64 s1, 0x80, v0
	s_mov_b32 s35, 0
	s_wait_kmcnt 0x0
	s_ashr_i32 s5, s4, 31
	v_mad_co_i64_i32 v[1:2], null, s38, v0, 0
	s_ashr_i32 s9, s8, 31
	s_ashr_i32 s7, s6, 31
	s_lshr_b32 s9, s9, 24
	v_cmp_gt_i32_e32 vcc_lo, s8, v0
	s_add_co_i32 s9, s8, s9
	s_mul_u64 s[40:41], s[6:7], s[2:3]
	s_wait_alu 0xfffe
	s_and_b32 s36, s9, 0xffffff00
	s_mul_u64 s[42:43], s[4:5], s[2:3]
	v_or_b32_e32 v3, s36, v0
	v_cndmask_b32_e32 v5, 0, v0, vcc_lo
	s_ashr_i32 s39, s38, 31
	s_cmp_gt_i32 s8, 0xff
	v_cmp_gt_u32_e64 s3, 64, v0
	v_cmp_gt_i32_e64 s2, s8, v3
	v_mad_co_i64_i32 v[3:4], null, s38, v3, 0
	v_cmp_gt_u32_e64 s4, 32, v0
	v_cmp_gt_u32_e64 s5, 16, v0
	;; [unrolled: 1-line block ×5, first 2 shown]
	v_lshlrev_b64_e32 v[0:1], 3, v[1:2]
	v_lshlrev_b64_e32 v[2:3], 3, v[3:4]
	v_lshlrev_b32_e32 v20, 3, v5
	s_cselect_b32 s33, -1, 0
	s_ashr_i32 s37, s36, 31
	s_wait_alu 0xfffe
	s_lshl_b64 s[38:39], s[38:39], 11
	s_lshl_b64 s[18:19], s[18:19], 3
	;; [unrolled: 1-line block ×7, first 2 shown]
	s_branch .LBB272_4
.LBB272_2:                              ;   in Loop: Header=BB272_4 Depth=1
	s_or_b32 exec_lo, exec_lo, s10
.LBB272_3:                              ;   in Loop: Header=BB272_4 Depth=1
	s_add_co_i32 s34, s34, 0x10000
	s_delay_alu instid0(SALU_CYCLE_1)
	s_cmp_lt_u32 s34, s11
	s_cbranch_scc0 .LBB272_44
.LBB272_4:                              ; =>This Loop Header: Depth=1
                                        ;     Child Loop BB272_18 Depth 2
	s_mul_u64 s[46:47], s[14:15], s[34:35]
	s_mul_u64 s[48:49], s[22:23], s[34:35]
	s_lshl_b64 s[46:47], s[46:47], 3
	s_lshl_b64 s[48:49], s[48:49], 3
	s_add_nc_u64 s[46:47], s[12:13], s[46:47]
	s_add_nc_u64 s[48:49], s[20:21], s[48:49]
	s_clause 0x1
	global_load_b64 v[6:7], v18, s[46:47]
	global_load_b64 v[4:5], v18, s[48:49]
	s_wait_loadcnt 0x1
	v_cmp_eq_f64_e64 s9, 0, v[6:7]
	s_wait_loadcnt 0x0
	v_cmp_eq_f64_e32 vcc_lo, 1.0, v[4:5]
	s_and_b32 s10, s9, vcc_lo
	s_delay_alu instid0(SALU_CYCLE_1)
	s_and_b32 vcc_lo, exec_lo, s10
	s_wait_alu 0xfffe
	s_cbranch_vccnz .LBB272_3
; %bb.5:                                ;   in Loop: Header=BB272_4 Depth=1
	v_cmp_neq_f64_e64 s10, 0, v[6:7]
	v_mov_b32_e32 v8, 0
	v_dual_mov_b32 v9, 0 :: v_dual_mov_b32 v10, 0
	v_mov_b32_e32 v11, 0
	s_and_b32 vcc_lo, exec_lo, s9
	s_wait_alu 0xfffe
	s_cbranch_vccnz .LBB272_7
; %bb.6:                                ;   in Loop: Header=BB272_4 Depth=1
	s_lshl_b64 s[46:47], s[34:35], 3
	s_delay_alu instid0(SALU_CYCLE_1)
	s_add_nc_u64 s[46:47], s[16:17], s[46:47]
	global_load_b64 v[10:11], v18, s[46:47]
	s_wait_loadcnt 0x0
	v_add_co_u32 v10, vcc_lo, v10, s18
	s_wait_alu 0xfffd
	v_add_co_ci_u32_e64 v11, null, s19, v11, vcc_lo
.LBB272_7:                              ;   in Loop: Header=BB272_4 Depth=1
	s_and_not1_b32 vcc_lo, exec_lo, s10
	s_wait_alu 0xfffe
	s_cbranch_vccnz .LBB272_9
; %bb.8:                                ;   in Loop: Header=BB272_4 Depth=1
	s_lshl_b64 s[46:47], s[34:35], 3
	s_delay_alu instid0(SALU_CYCLE_1)
	s_add_nc_u64 s[46:47], s[28:29], s[46:47]
	global_load_b64 v[8:9], v18, s[46:47]
	s_wait_loadcnt 0x0
	v_add_co_u32 v8, vcc_lo, v8, s30
	s_wait_alu 0xfffd
	v_add_co_ci_u32_e64 v9, null, s31, v9, vcc_lo
.LBB272_9:                              ;   in Loop: Header=BB272_4 Depth=1
	s_lshl_b64 s[46:47], s[34:35], 3
	s_delay_alu instid0(SALU_CYCLE_1)
	s_add_nc_u64 s[46:47], s[24:25], s[46:47]
	global_load_b64 v[12:13], v18, s[46:47]
	s_wait_loadcnt 0x0
	v_add_co_u32 v21, vcc_lo, v12, s26
	s_wait_alu 0xfffd
	v_add_co_ci_u32_e64 v22, null, s27, v13, vcc_lo
	s_and_not1_b32 vcc_lo, exec_lo, s9
	s_wait_alu 0xfffe
	s_cbranch_vccnz .LBB272_14
; %bb.10:                               ;   in Loop: Header=BB272_4 Depth=1
	s_mov_b32 s10, 0
	s_mov_b32 s9, 0
                                        ; implicit-def: $vgpr12_vgpr13
	s_and_saveexec_b32 s37, s0
	s_cbranch_execz .LBB272_15
; %bb.11:                               ;   in Loop: Header=BB272_4 Depth=1
	v_cmp_eq_f64_e32 vcc_lo, 0, v[4:5]
	v_mov_b32_e32 v12, 0
	v_mov_b32_e32 v13, 0
	s_cbranch_vccnz .LBB272_13
; %bb.12:                               ;   in Loop: Header=BB272_4 Depth=1
	v_add_co_u32 v12, vcc_lo, v21, s40
	s_wait_alu 0xfffd
	v_add_co_ci_u32_e64 v13, null, s41, v22, vcc_lo
	flat_load_b64 v[12:13], v[12:13]
	s_wait_loadcnt_dscnt 0x0
	v_mul_f64_e32 v[12:13], v[4:5], v[12:13]
.LBB272_13:                             ;   in Loop: Header=BB272_4 Depth=1
	s_mov_b32 s9, exec_lo
	s_wait_alu 0xfffe
	s_or_b32 exec_lo, exec_lo, s37
	s_delay_alu instid0(SALU_CYCLE_1)
	s_and_b32 vcc_lo, exec_lo, s10
	s_wait_alu 0xfffe
	s_cbranch_vccnz .LBB272_16
	s_branch .LBB272_42
.LBB272_14:                             ;   in Loop: Header=BB272_4 Depth=1
	s_mov_b32 s9, 0
                                        ; implicit-def: $vgpr12_vgpr13
	s_cbranch_execnz .LBB272_16
	s_branch .LBB272_42
.LBB272_15:                             ;   in Loop: Header=BB272_4 Depth=1
	s_wait_alu 0xfffe
	s_or_b32 exec_lo, exec_lo, s37
	s_delay_alu instid0(SALU_CYCLE_1)
	s_and_b32 vcc_lo, exec_lo, s10
	s_wait_alu 0xfffe
	s_cbranch_vccz .LBB272_42
.LBB272_16:                             ;   in Loop: Header=BB272_4 Depth=1
	v_add_co_u32 v12, vcc_lo, v10, v20
	s_wait_alu 0xfffd
	v_add_co_ci_u32_e64 v13, null, 0, v11, vcc_lo
	v_mov_b32_e32 v10, 0
	s_delay_alu instid0(VALU_DEP_3)
	v_add_co_u32 v12, vcc_lo, v12, s42
	v_mov_b32_e32 v11, 0
	s_wait_alu 0xfffd
	v_add_co_ci_u32_e64 v13, null, s43, v13, vcc_lo
	s_and_not1_b32 vcc_lo, exec_lo, s33
	s_wait_alu 0xfffe
	s_cbranch_vccnz .LBB272_19
; %bb.17:                               ;   in Loop: Header=BB272_4 Depth=1
	v_add_co_u32 v14, vcc_lo, v8, v0
	v_dual_mov_b32 v10, 0 :: v_dual_mov_b32 v17, v13
	s_wait_alu 0xfffd
	v_add_co_ci_u32_e64 v15, null, v9, v1, vcc_lo
	v_dual_mov_b32 v11, 0 :: v_dual_mov_b32 v16, v12
	s_mov_b32 s10, 0
.LBB272_18:                             ;   Parent Loop BB272_4 Depth=1
                                        ; =>  This Inner Loop Header: Depth=2
	flat_load_b64 v[23:24], v[16:17]
	flat_load_b64 v[25:26], v[14:15]
	v_add_co_u32 v14, vcc_lo, v14, s38
	s_wait_alu 0xfffd
	v_add_co_ci_u32_e64 v15, null, s39, v15, vcc_lo
	v_add_co_u32 v16, vcc_lo, 0x800, v16
	s_wait_alu 0xfffd
	v_add_co_ci_u32_e64 v17, null, 0, v17, vcc_lo
	s_addk_co_i32 s10, 0x100
	s_delay_alu instid0(SALU_CYCLE_1)
	s_cmp_ge_i32 s10, s36
	s_wait_loadcnt_dscnt 0x0
	v_fma_f64 v[10:11], v[23:24], v[25:26], v[10:11]
	s_cbranch_scc0 .LBB272_18
.LBB272_19:                             ;   in Loop: Header=BB272_4 Depth=1
	s_and_saveexec_b32 s10, s2
	s_cbranch_execz .LBB272_21
; %bb.20:                               ;   in Loop: Header=BB272_4 Depth=1
	v_add_co_u32 v12, vcc_lo, v12, s44
	s_wait_alu 0xfffd
	v_add_co_ci_u32_e64 v13, null, s45, v13, vcc_lo
	v_add_co_u32 v8, vcc_lo, v8, v2
	s_wait_alu 0xfffd
	v_add_co_ci_u32_e64 v9, null, v9, v3, vcc_lo
	flat_load_b64 v[12:13], v[12:13]
	flat_load_b64 v[8:9], v[8:9]
	s_wait_loadcnt_dscnt 0x0
	v_fma_f64 v[10:11], v[12:13], v[8:9], v[10:11]
.LBB272_21:                             ;   in Loop: Header=BB272_4 Depth=1
	s_or_b32 exec_lo, exec_lo, s10
	ds_store_b64 v19, v[10:11]
	s_wait_dscnt 0x0
	s_barrier_signal -1
	s_barrier_wait -1
	global_inv scope:SCOPE_SE
	s_and_saveexec_b32 s10, s1
	s_cbranch_execz .LBB272_23
; %bb.22:                               ;   in Loop: Header=BB272_4 Depth=1
	ds_load_2addr_stride64_b64 v[8:11], v19 offset1:2
	s_wait_dscnt 0x0
	v_add_f64_e32 v[8:9], v[10:11], v[8:9]
	ds_store_b64 v19, v[8:9]
.LBB272_23:                             ;   in Loop: Header=BB272_4 Depth=1
	s_or_b32 exec_lo, exec_lo, s10
	s_wait_loadcnt_dscnt 0x0
	s_barrier_signal -1
	s_barrier_wait -1
	global_inv scope:SCOPE_SE
	s_and_saveexec_b32 s10, s3
	s_cbranch_execz .LBB272_25
; %bb.24:                               ;   in Loop: Header=BB272_4 Depth=1
	ds_load_2addr_stride64_b64 v[8:11], v19 offset1:1
	s_wait_dscnt 0x0
	v_add_f64_e32 v[8:9], v[10:11], v[8:9]
	ds_store_b64 v19, v[8:9]
.LBB272_25:                             ;   in Loop: Header=BB272_4 Depth=1
	s_or_b32 exec_lo, exec_lo, s10
	s_wait_loadcnt_dscnt 0x0
	s_barrier_signal -1
	s_barrier_wait -1
	global_inv scope:SCOPE_SE
	s_and_saveexec_b32 s10, s4
	s_cbranch_execz .LBB272_27
; %bb.26:                               ;   in Loop: Header=BB272_4 Depth=1
	ds_load_2addr_b64 v[8:11], v19 offset1:32
	s_wait_dscnt 0x0
	v_add_f64_e32 v[8:9], v[10:11], v[8:9]
	ds_store_b64 v19, v[8:9]
.LBB272_27:                             ;   in Loop: Header=BB272_4 Depth=1
	s_or_b32 exec_lo, exec_lo, s10
	s_wait_loadcnt_dscnt 0x0
	s_barrier_signal -1
	s_barrier_wait -1
	global_inv scope:SCOPE_SE
	s_and_saveexec_b32 s10, s5
	s_cbranch_execz .LBB272_29
; %bb.28:                               ;   in Loop: Header=BB272_4 Depth=1
	ds_load_2addr_b64 v[8:11], v19 offset1:16
	s_wait_dscnt 0x0
	v_add_f64_e32 v[8:9], v[10:11], v[8:9]
	ds_store_b64 v19, v[8:9]
.LBB272_29:                             ;   in Loop: Header=BB272_4 Depth=1
	;; [unrolled: 13-line block ×5, first 2 shown]
	s_or_b32 exec_lo, exec_lo, s10
	s_wait_loadcnt_dscnt 0x0
	s_barrier_signal -1
	s_barrier_wait -1
	global_inv scope:SCOPE_SE
	s_and_saveexec_b32 s10, s0
	s_cbranch_execz .LBB272_37
; %bb.36:                               ;   in Loop: Header=BB272_4 Depth=1
	ds_load_b128 v[8:11], v18
	s_wait_dscnt 0x0
	v_add_f64_e32 v[8:9], v[10:11], v[8:9]
	ds_store_b64 v18, v[8:9]
.LBB272_37:                             ;   in Loop: Header=BB272_4 Depth=1
	s_or_b32 exec_lo, exec_lo, s10
	s_wait_loadcnt_dscnt 0x0
	s_barrier_signal -1
	s_barrier_wait -1
	global_inv scope:SCOPE_SE
                                        ; implicit-def: $vgpr12_vgpr13
	s_and_saveexec_b32 s10, s0
	s_cbranch_execz .LBB272_41
; %bb.38:                               ;   in Loop: Header=BB272_4 Depth=1
	ds_load_b64 v[8:9], v18
	v_cmp_eq_f64_e32 vcc_lo, 0, v[4:5]
	s_wait_dscnt 0x0
	v_mul_f64_e32 v[12:13], v[6:7], v[8:9]
	s_cbranch_vccnz .LBB272_40
; %bb.39:                               ;   in Loop: Header=BB272_4 Depth=1
	v_add_co_u32 v6, vcc_lo, v21, s40
	s_wait_alu 0xfffd
	v_add_co_ci_u32_e64 v7, null, s41, v22, vcc_lo
	flat_load_b64 v[6:7], v[6:7]
	s_wait_loadcnt_dscnt 0x0
	v_fma_f64 v[12:13], v[4:5], v[6:7], v[12:13]
.LBB272_40:                             ;   in Loop: Header=BB272_4 Depth=1
	s_or_b32 s9, s9, exec_lo
.LBB272_41:                             ;   in Loop: Header=BB272_4 Depth=1
	s_or_b32 exec_lo, exec_lo, s10
.LBB272_42:                             ;   in Loop: Header=BB272_4 Depth=1
	s_wait_alu 0xfffe
	s_and_saveexec_b32 s10, s9
	s_cbranch_execz .LBB272_2
; %bb.43:                               ;   in Loop: Header=BB272_4 Depth=1
	v_add_co_u32 v4, vcc_lo, v21, s40
	s_wait_alu 0xfffd
	v_add_co_ci_u32_e64 v5, null, s41, v22, vcc_lo
	flat_store_b64 v[4:5], v[12:13]
	s_branch .LBB272_2
.LBB272_44:
	s_endpgm
	.section	.rodata,"a",@progbits
	.p2align	6, 0x0
	.amdhsa_kernel _ZL20rocblas_gemvt_kernelILb0ELi256EPKdS1_KPdEviiT2_lPKT1_lilS7_lilS4_lPT3_lili
		.amdhsa_group_segment_fixed_size 2048
		.amdhsa_private_segment_fixed_size 0
		.amdhsa_kernarg_size 140
		.amdhsa_user_sgpr_count 2
		.amdhsa_user_sgpr_dispatch_ptr 0
		.amdhsa_user_sgpr_queue_ptr 0
		.amdhsa_user_sgpr_kernarg_segment_ptr 1
		.amdhsa_user_sgpr_dispatch_id 0
		.amdhsa_user_sgpr_private_segment_size 0
		.amdhsa_wavefront_size32 1
		.amdhsa_uses_dynamic_stack 0
		.amdhsa_enable_private_segment 0
		.amdhsa_system_sgpr_workgroup_id_x 1
		.amdhsa_system_sgpr_workgroup_id_y 0
		.amdhsa_system_sgpr_workgroup_id_z 1
		.amdhsa_system_sgpr_workgroup_info 0
		.amdhsa_system_vgpr_workitem_id 0
		.amdhsa_next_free_vgpr 27
		.amdhsa_next_free_sgpr 50
		.amdhsa_reserve_vcc 1
		.amdhsa_float_round_mode_32 0
		.amdhsa_float_round_mode_16_64 0
		.amdhsa_float_denorm_mode_32 3
		.amdhsa_float_denorm_mode_16_64 3
		.amdhsa_fp16_overflow 0
		.amdhsa_workgroup_processor_mode 1
		.amdhsa_memory_ordered 1
		.amdhsa_forward_progress 1
		.amdhsa_inst_pref_size 14
		.amdhsa_round_robin_scheduling 0
		.amdhsa_exception_fp_ieee_invalid_op 0
		.amdhsa_exception_fp_denorm_src 0
		.amdhsa_exception_fp_ieee_div_zero 0
		.amdhsa_exception_fp_ieee_overflow 0
		.amdhsa_exception_fp_ieee_underflow 0
		.amdhsa_exception_fp_ieee_inexact 0
		.amdhsa_exception_int_div_zero 0
	.end_amdhsa_kernel
	.section	.text._ZL20rocblas_gemvt_kernelILb0ELi256EPKdS1_KPdEviiT2_lPKT1_lilS7_lilS4_lPT3_lili,"axG",@progbits,_ZL20rocblas_gemvt_kernelILb0ELi256EPKdS1_KPdEviiT2_lPKT1_lilS7_lilS4_lPT3_lili,comdat
.Lfunc_end272:
	.size	_ZL20rocblas_gemvt_kernelILb0ELi256EPKdS1_KPdEviiT2_lPKT1_lilS7_lilS4_lPT3_lili, .Lfunc_end272-_ZL20rocblas_gemvt_kernelILb0ELi256EPKdS1_KPdEviiT2_lPKT1_lilS7_lilS4_lPT3_lili
                                        ; -- End function
	.set _ZL20rocblas_gemvt_kernelILb0ELi256EPKdS1_KPdEviiT2_lPKT1_lilS7_lilS4_lPT3_lili.num_vgpr, 27
	.set _ZL20rocblas_gemvt_kernelILb0ELi256EPKdS1_KPdEviiT2_lPKT1_lilS7_lilS4_lPT3_lili.num_agpr, 0
	.set _ZL20rocblas_gemvt_kernelILb0ELi256EPKdS1_KPdEviiT2_lPKT1_lilS7_lilS4_lPT3_lili.numbered_sgpr, 50
	.set _ZL20rocblas_gemvt_kernelILb0ELi256EPKdS1_KPdEviiT2_lPKT1_lilS7_lilS4_lPT3_lili.num_named_barrier, 0
	.set _ZL20rocblas_gemvt_kernelILb0ELi256EPKdS1_KPdEviiT2_lPKT1_lilS7_lilS4_lPT3_lili.private_seg_size, 0
	.set _ZL20rocblas_gemvt_kernelILb0ELi256EPKdS1_KPdEviiT2_lPKT1_lilS7_lilS4_lPT3_lili.uses_vcc, 1
	.set _ZL20rocblas_gemvt_kernelILb0ELi256EPKdS1_KPdEviiT2_lPKT1_lilS7_lilS4_lPT3_lili.uses_flat_scratch, 0
	.set _ZL20rocblas_gemvt_kernelILb0ELi256EPKdS1_KPdEviiT2_lPKT1_lilS7_lilS4_lPT3_lili.has_dyn_sized_stack, 0
	.set _ZL20rocblas_gemvt_kernelILb0ELi256EPKdS1_KPdEviiT2_lPKT1_lilS7_lilS4_lPT3_lili.has_recursion, 0
	.set _ZL20rocblas_gemvt_kernelILb0ELi256EPKdS1_KPdEviiT2_lPKT1_lilS7_lilS4_lPT3_lili.has_indirect_call, 0
	.section	.AMDGPU.csdata,"",@progbits
; Kernel info:
; codeLenInByte = 1716
; TotalNumSgprs: 52
; NumVgprs: 27
; ScratchSize: 0
; MemoryBound: 1
; FloatMode: 240
; IeeeMode: 1
; LDSByteSize: 2048 bytes/workgroup (compile time only)
; SGPRBlocks: 0
; VGPRBlocks: 3
; NumSGPRsForWavesPerEU: 52
; NumVGPRsForWavesPerEU: 27
; Occupancy: 16
; WaveLimiterHint : 1
; COMPUTE_PGM_RSRC2:SCRATCH_EN: 0
; COMPUTE_PGM_RSRC2:USER_SGPR: 2
; COMPUTE_PGM_RSRC2:TRAP_HANDLER: 0
; COMPUTE_PGM_RSRC2:TGID_X_EN: 1
; COMPUTE_PGM_RSRC2:TGID_Y_EN: 0
; COMPUTE_PGM_RSRC2:TGID_Z_EN: 1
; COMPUTE_PGM_RSRC2:TIDIG_COMP_CNT: 0
	.section	.text._ZL20rocblas_gemvt_kernelILb0ELi256EPKddKPdEviiT2_lPKT1_lilS7_lilS4_lPT3_lili,"axG",@progbits,_ZL20rocblas_gemvt_kernelILb0ELi256EPKddKPdEviiT2_lPKT1_lilS7_lilS4_lPT3_lili,comdat
	.globl	_ZL20rocblas_gemvt_kernelILb0ELi256EPKddKPdEviiT2_lPKT1_lilS7_lilS4_lPT3_lili ; -- Begin function _ZL20rocblas_gemvt_kernelILb0ELi256EPKddKPdEviiT2_lPKT1_lilS7_lilS4_lPT3_lili
	.p2align	8
	.type	_ZL20rocblas_gemvt_kernelILb0ELi256EPKddKPdEviiT2_lPKT1_lilS7_lilS4_lPT3_lili,@function
_ZL20rocblas_gemvt_kernelILb0ELi256EPKddKPdEviiT2_lPKT1_lilS7_lilS4_lPT3_lili: ; @_ZL20rocblas_gemvt_kernelILb0ELi256EPKddKPdEviiT2_lPKT1_lilS7_lilS4_lPT3_lili
; %bb.0:
	s_load_b32 s9, s[0:1], 0x88
	s_lshr_b32 s10, ttmp7, 16
	s_wait_kmcnt 0x0
	s_cmp_ge_u32 s10, s9
	s_cbranch_scc1 .LBB273_48
; %bb.1:
	s_clause 0x8
	s_load_b64 s[24:25], s[0:1], 0x58
	s_load_b64 s[26:27], s[0:1], 0x8
	s_load_b32 s29, s[0:1], 0x0
	s_load_b32 s34, s[0:1], 0x28
	s_load_b128 s[12:15], s[0:1], 0x18
	s_load_b32 s36, s[0:1], 0x48
	s_load_b128 s[16:19], s[0:1], 0x38
	;; [unrolled: 2-line block ×3, first 2 shown]
	s_ashr_i32 s31, ttmp9, 31
	s_mov_b32 s30, ttmp9
	v_cmp_eq_u32_e64 s0, 0, v0
	v_dual_mov_b32 v14, 0 :: v_dual_lshlrev_b32 v15, 3, v0
	v_cmp_gt_u32_e64 s1, 0x80, v0
	v_cmp_gt_u32_e64 s2, 64, v0
	;; [unrolled: 1-line block ×6, first 2 shown]
	s_wait_kmcnt 0x0
	v_cmp_neq_f64_e64 s41, s[24:25], 1.0
	v_cmp_neq_f64_e64 s42, s[26:27], 0
	v_cmp_eq_f64_e64 s33, s[26:27], 0
	v_cmp_neq_f64_e64 s40, s[24:25], 0
	s_ashr_i32 s8, s29, 31
	v_cmp_gt_i32_e32 vcc_lo, s29, v0
	s_lshr_b32 s8, s8, 24
	v_mad_co_i64_i32 v[1:2], null, s36, v0, 0
	s_add_co_i32 s8, s29, s8
	v_cndmask_b32_e32 v5, 0, v0, vcc_lo
	s_and_b32 s28, s8, 0xffffff00
	s_ashr_i32 s35, s34, 31
	s_wait_alu 0xfffe
	v_or_b32_e32 v6, s28, v0
	s_ashr_i32 s37, s36, 31
	s_ashr_i32 s39, s38, 31
	v_cmp_gt_u32_e64 s7, 2, v0
	v_lshlrev_b64_e32 v[0:1], 3, v[1:2]
	v_mad_co_i64_i32 v[3:4], null, s36, v6, 0
	v_lshlrev_b32_e32 v17, 3, v5
	v_cmp_gt_i32_e64 s8, s29, v6
	s_mul_u64 s[38:39], s[38:39], s[30:31]
	s_mul_u64 s[44:45], s[34:35], s[30:31]
	s_mov_b32 s11, 0
	v_lshlrev_b64_e32 v[2:3], 3, v[3:4]
	s_or_b32 s41, s42, s41
	s_cmp_gt_i32 s29, 0xff
	v_cndmask_b32_e64 v16, 0, 1, s42
	s_cselect_b32 s42, -1, 0
	s_ashr_i32 s29, s28, 31
	s_wait_alu 0xfffe
	s_lshl_b64 s[30:31], s[36:37], 11
	s_lshl_b64 s[14:15], s[14:15], 3
	;; [unrolled: 1-line block ×7, first 2 shown]
	s_branch .LBB273_4
.LBB273_2:                              ;   in Loop: Header=BB273_4 Depth=1
	s_wait_alu 0xfffe
	s_or_b32 exec_lo, exec_lo, s43
.LBB273_3:                              ;   in Loop: Header=BB273_4 Depth=1
	s_add_co_i32 s10, s10, 0x10000
	s_delay_alu instid0(SALU_CYCLE_1)
	s_cmp_lt_u32 s10, s9
	s_cbranch_scc0 .LBB273_48
.LBB273_4:                              ; =>This Loop Header: Depth=1
                                        ;     Child Loop BB273_22 Depth 2
	s_and_not1_b32 vcc_lo, exec_lo, s41
	s_wait_alu 0xfffe
	s_cbranch_vccnz .LBB273_3
; %bb.5:                                ;   in Loop: Header=BB273_4 Depth=1
	s_and_not1_b32 vcc_lo, exec_lo, s33
	s_wait_alu 0xfffe
	s_cbranch_vccnz .LBB273_7
; %bb.6:                                ;   in Loop: Header=BB273_4 Depth=1
	s_mov_b32 s29, 0
	s_branch .LBB273_8
.LBB273_7:                              ;   in Loop: Header=BB273_4 Depth=1
	s_mov_b32 s29, -1
.LBB273_8:                              ;   in Loop: Header=BB273_4 Depth=1
	v_mov_b32_e32 v4, 0
	v_dual_mov_b32 v5, 0 :: v_dual_mov_b32 v6, 0
	v_mov_b32_e32 v7, 0
	s_wait_alu 0xfffe
	s_and_not1_b32 vcc_lo, exec_lo, s29
	s_wait_alu 0xfffe
	s_cbranch_vccnz .LBB273_10
; %bb.9:                                ;   in Loop: Header=BB273_4 Depth=1
	s_lshl_b64 s[44:45], s[10:11], 3
	s_delay_alu instid0(SALU_CYCLE_1)
	s_add_nc_u64 s[44:45], s[12:13], s[44:45]
	global_load_b64 v[6:7], v14, s[44:45]
	s_wait_loadcnt 0x0
	v_add_co_u32 v6, vcc_lo, v6, s14
	s_wait_alu 0xfffd
	v_add_co_ci_u32_e64 v7, null, s15, v7, vcc_lo
.LBB273_10:                             ;   in Loop: Header=BB273_4 Depth=1
	v_cmp_ne_u32_e32 vcc_lo, 1, v16
	s_cbranch_vccnz .LBB273_12
; %bb.11:                               ;   in Loop: Header=BB273_4 Depth=1
	s_lshl_b64 s[44:45], s[10:11], 3
	s_delay_alu instid0(SALU_CYCLE_1)
	s_add_nc_u64 s[44:45], s[16:17], s[44:45]
	global_load_b64 v[4:5], v14, s[44:45]
	s_wait_loadcnt 0x0
	v_add_co_u32 v4, vcc_lo, v4, s18
	s_wait_alu 0xfffd
	v_add_co_ci_u32_e64 v5, null, s19, v5, vcc_lo
.LBB273_12:                             ;   in Loop: Header=BB273_4 Depth=1
	s_lshl_b64 s[44:45], s[10:11], 3
	s_delay_alu instid0(SALU_CYCLE_1)
	s_add_nc_u64 s[44:45], s[20:21], s[44:45]
	global_load_b64 v[8:9], v14, s[44:45]
	s_wait_loadcnt 0x0
	v_add_co_u32 v18, vcc_lo, v8, s22
	s_wait_alu 0xfffd
	v_add_co_ci_u32_e64 v19, null, s23, v9, vcc_lo
	s_and_not1_b32 vcc_lo, exec_lo, s33
	s_wait_alu 0xfffe
	s_cbranch_vccnz .LBB273_16
; %bb.13:                               ;   in Loop: Header=BB273_4 Depth=1
	s_mov_b32 s43, 0
	s_mov_b32 s29, 0
                                        ; implicit-def: $vgpr8_vgpr9
	s_and_saveexec_b32 s44, s0
	s_cbranch_execz .LBB273_17
; %bb.14:                               ;   in Loop: Header=BB273_4 Depth=1
	s_and_not1_b32 vcc_lo, exec_lo, s40
	s_wait_alu 0xfffe
	s_cbranch_vccnz .LBB273_18
; %bb.15:                               ;   in Loop: Header=BB273_4 Depth=1
	v_add_co_u32 v8, vcc_lo, v18, s34
	s_wait_alu 0xfffd
	v_add_co_ci_u32_e64 v9, null, s35, v19, vcc_lo
	flat_load_b64 v[8:9], v[8:9]
	s_wait_loadcnt_dscnt 0x0
	v_mul_f64_e32 v[8:9], s[24:25], v[8:9]
	s_branch .LBB273_19
.LBB273_16:                             ;   in Loop: Header=BB273_4 Depth=1
	s_mov_b32 s29, 0
                                        ; implicit-def: $vgpr8_vgpr9
	s_cbranch_execnz .LBB273_20
	s_branch .LBB273_46
.LBB273_17:                             ;   in Loop: Header=BB273_4 Depth=1
	s_or_b32 exec_lo, exec_lo, s44
	s_wait_alu 0xfffe
	s_and_b32 vcc_lo, exec_lo, s43
	s_wait_alu 0xfffe
	s_cbranch_vccnz .LBB273_20
	s_branch .LBB273_46
.LBB273_18:                             ;   in Loop: Header=BB273_4 Depth=1
	v_mov_b32_e32 v8, 0
	v_mov_b32_e32 v9, 0
.LBB273_19:                             ;   in Loop: Header=BB273_4 Depth=1
	s_mov_b32 s29, exec_lo
	s_or_b32 exec_lo, exec_lo, s44
	s_delay_alu instid0(SALU_CYCLE_1)
	s_and_b32 vcc_lo, exec_lo, s43
	s_wait_alu 0xfffe
	s_cbranch_vccz .LBB273_46
.LBB273_20:                             ;   in Loop: Header=BB273_4 Depth=1
	v_add_co_u32 v8, vcc_lo, v6, v17
	s_wait_alu 0xfffd
	v_add_co_ci_u32_e64 v9, null, 0, v7, vcc_lo
	v_mov_b32_e32 v6, 0
	s_delay_alu instid0(VALU_DEP_3)
	v_add_co_u32 v8, vcc_lo, v8, s36
	v_mov_b32_e32 v7, 0
	s_wait_alu 0xfffd
	v_add_co_ci_u32_e64 v9, null, s37, v9, vcc_lo
	s_and_not1_b32 vcc_lo, exec_lo, s42
	s_wait_alu 0xfffe
	s_cbranch_vccnz .LBB273_23
; %bb.21:                               ;   in Loop: Header=BB273_4 Depth=1
	v_add_co_u32 v10, vcc_lo, v4, v0
	v_dual_mov_b32 v6, 0 :: v_dual_mov_b32 v13, v9
	s_wait_alu 0xfffd
	v_add_co_ci_u32_e64 v11, null, v5, v1, vcc_lo
	v_dual_mov_b32 v7, 0 :: v_dual_mov_b32 v12, v8
	s_mov_b32 s43, 0
.LBB273_22:                             ;   Parent Loop BB273_4 Depth=1
                                        ; =>  This Inner Loop Header: Depth=2
	flat_load_b64 v[20:21], v[12:13]
	flat_load_b64 v[22:23], v[10:11]
	v_add_co_u32 v10, vcc_lo, v10, s30
	s_wait_alu 0xfffd
	v_add_co_ci_u32_e64 v11, null, s31, v11, vcc_lo
	v_add_co_u32 v12, vcc_lo, 0x800, v12
	s_wait_alu 0xfffd
	v_add_co_ci_u32_e64 v13, null, 0, v13, vcc_lo
	s_wait_alu 0xfffe
	s_addk_co_i32 s43, 0x100
	s_wait_alu 0xfffe
	s_cmp_ge_i32 s43, s28
	s_wait_loadcnt_dscnt 0x0
	v_fma_f64 v[6:7], v[20:21], v[22:23], v[6:7]
	s_cbranch_scc0 .LBB273_22
.LBB273_23:                             ;   in Loop: Header=BB273_4 Depth=1
	s_and_saveexec_b32 s43, s8
	s_cbranch_execz .LBB273_25
; %bb.24:                               ;   in Loop: Header=BB273_4 Depth=1
	v_add_co_u32 v8, vcc_lo, v8, s38
	s_wait_alu 0xfffd
	v_add_co_ci_u32_e64 v9, null, s39, v9, vcc_lo
	v_add_co_u32 v4, vcc_lo, v4, v2
	s_wait_alu 0xfffd
	v_add_co_ci_u32_e64 v5, null, v5, v3, vcc_lo
	flat_load_b64 v[8:9], v[8:9]
	flat_load_b64 v[4:5], v[4:5]
	s_wait_loadcnt_dscnt 0x0
	v_fma_f64 v[6:7], v[8:9], v[4:5], v[6:7]
.LBB273_25:                             ;   in Loop: Header=BB273_4 Depth=1
	s_wait_alu 0xfffe
	s_or_b32 exec_lo, exec_lo, s43
	ds_store_b64 v15, v[6:7]
	s_wait_dscnt 0x0
	s_barrier_signal -1
	s_barrier_wait -1
	global_inv scope:SCOPE_SE
	s_and_saveexec_b32 s43, s1
	s_cbranch_execz .LBB273_27
; %bb.26:                               ;   in Loop: Header=BB273_4 Depth=1
	ds_load_2addr_stride64_b64 v[4:7], v15 offset1:2
	s_wait_dscnt 0x0
	v_add_f64_e32 v[4:5], v[6:7], v[4:5]
	ds_store_b64 v15, v[4:5]
.LBB273_27:                             ;   in Loop: Header=BB273_4 Depth=1
	s_wait_alu 0xfffe
	s_or_b32 exec_lo, exec_lo, s43
	s_wait_loadcnt_dscnt 0x0
	s_barrier_signal -1
	s_barrier_wait -1
	global_inv scope:SCOPE_SE
	s_and_saveexec_b32 s43, s2
	s_cbranch_execz .LBB273_29
; %bb.28:                               ;   in Loop: Header=BB273_4 Depth=1
	ds_load_2addr_stride64_b64 v[4:7], v15 offset1:1
	s_wait_dscnt 0x0
	v_add_f64_e32 v[4:5], v[6:7], v[4:5]
	ds_store_b64 v15, v[4:5]
.LBB273_29:                             ;   in Loop: Header=BB273_4 Depth=1
	s_wait_alu 0xfffe
	s_or_b32 exec_lo, exec_lo, s43
	s_wait_loadcnt_dscnt 0x0
	s_barrier_signal -1
	s_barrier_wait -1
	global_inv scope:SCOPE_SE
	s_and_saveexec_b32 s43, s3
	s_cbranch_execz .LBB273_31
; %bb.30:                               ;   in Loop: Header=BB273_4 Depth=1
	ds_load_2addr_b64 v[4:7], v15 offset1:32
	s_wait_dscnt 0x0
	v_add_f64_e32 v[4:5], v[6:7], v[4:5]
	ds_store_b64 v15, v[4:5]
.LBB273_31:                             ;   in Loop: Header=BB273_4 Depth=1
	s_wait_alu 0xfffe
	s_or_b32 exec_lo, exec_lo, s43
	s_wait_loadcnt_dscnt 0x0
	s_barrier_signal -1
	s_barrier_wait -1
	global_inv scope:SCOPE_SE
	s_and_saveexec_b32 s43, s4
	s_cbranch_execz .LBB273_33
; %bb.32:                               ;   in Loop: Header=BB273_4 Depth=1
	ds_load_2addr_b64 v[4:7], v15 offset1:16
	s_wait_dscnt 0x0
	v_add_f64_e32 v[4:5], v[6:7], v[4:5]
	ds_store_b64 v15, v[4:5]
.LBB273_33:                             ;   in Loop: Header=BB273_4 Depth=1
	;; [unrolled: 14-line block ×5, first 2 shown]
	s_wait_alu 0xfffe
	s_or_b32 exec_lo, exec_lo, s43
	s_wait_loadcnt_dscnt 0x0
	s_barrier_signal -1
	s_barrier_wait -1
	global_inv scope:SCOPE_SE
	s_and_saveexec_b32 s43, s0
	s_cbranch_execz .LBB273_41
; %bb.40:                               ;   in Loop: Header=BB273_4 Depth=1
	ds_load_b128 v[4:7], v14
	s_wait_dscnt 0x0
	v_add_f64_e32 v[4:5], v[6:7], v[4:5]
	ds_store_b64 v14, v[4:5]
.LBB273_41:                             ;   in Loop: Header=BB273_4 Depth=1
	s_wait_alu 0xfffe
	s_or_b32 exec_lo, exec_lo, s43
	s_wait_loadcnt_dscnt 0x0
	s_barrier_signal -1
	s_barrier_wait -1
	global_inv scope:SCOPE_SE
                                        ; implicit-def: $vgpr8_vgpr9
	s_and_saveexec_b32 s43, s0
	s_cbranch_execz .LBB273_45
; %bb.42:                               ;   in Loop: Header=BB273_4 Depth=1
	ds_load_b64 v[4:5], v14
	s_and_not1_b32 vcc_lo, exec_lo, s40
	s_wait_dscnt 0x0
	v_mul_f64_e32 v[8:9], s[26:27], v[4:5]
	s_wait_alu 0xfffe
	s_cbranch_vccnz .LBB273_44
; %bb.43:                               ;   in Loop: Header=BB273_4 Depth=1
	v_add_co_u32 v4, vcc_lo, v18, s34
	s_wait_alu 0xfffd
	v_add_co_ci_u32_e64 v5, null, s35, v19, vcc_lo
	flat_load_b64 v[4:5], v[4:5]
	s_wait_loadcnt_dscnt 0x0
	v_fma_f64 v[8:9], s[24:25], v[4:5], v[8:9]
.LBB273_44:                             ;   in Loop: Header=BB273_4 Depth=1
	s_or_b32 s29, s29, exec_lo
.LBB273_45:                             ;   in Loop: Header=BB273_4 Depth=1
	s_wait_alu 0xfffe
	s_or_b32 exec_lo, exec_lo, s43
.LBB273_46:                             ;   in Loop: Header=BB273_4 Depth=1
	s_wait_alu 0xfffe
	s_and_saveexec_b32 s43, s29
	s_cbranch_execz .LBB273_2
; %bb.47:                               ;   in Loop: Header=BB273_4 Depth=1
	v_add_co_u32 v4, vcc_lo, v18, s34
	s_wait_alu 0xfffd
	v_add_co_ci_u32_e64 v5, null, s35, v19, vcc_lo
	flat_store_b64 v[4:5], v[8:9]
	s_branch .LBB273_2
.LBB273_48:
	s_endpgm
	.section	.rodata,"a",@progbits
	.p2align	6, 0x0
	.amdhsa_kernel _ZL20rocblas_gemvt_kernelILb0ELi256EPKddKPdEviiT2_lPKT1_lilS7_lilS4_lPT3_lili
		.amdhsa_group_segment_fixed_size 2048
		.amdhsa_private_segment_fixed_size 0
		.amdhsa_kernarg_size 140
		.amdhsa_user_sgpr_count 2
		.amdhsa_user_sgpr_dispatch_ptr 0
		.amdhsa_user_sgpr_queue_ptr 0
		.amdhsa_user_sgpr_kernarg_segment_ptr 1
		.amdhsa_user_sgpr_dispatch_id 0
		.amdhsa_user_sgpr_private_segment_size 0
		.amdhsa_wavefront_size32 1
		.amdhsa_uses_dynamic_stack 0
		.amdhsa_enable_private_segment 0
		.amdhsa_system_sgpr_workgroup_id_x 1
		.amdhsa_system_sgpr_workgroup_id_y 0
		.amdhsa_system_sgpr_workgroup_id_z 1
		.amdhsa_system_sgpr_workgroup_info 0
		.amdhsa_system_vgpr_workitem_id 0
		.amdhsa_next_free_vgpr 24
		.amdhsa_next_free_sgpr 46
		.amdhsa_reserve_vcc 1
		.amdhsa_float_round_mode_32 0
		.amdhsa_float_round_mode_16_64 0
		.amdhsa_float_denorm_mode_32 3
		.amdhsa_float_denorm_mode_16_64 3
		.amdhsa_fp16_overflow 0
		.amdhsa_workgroup_processor_mode 1
		.amdhsa_memory_ordered 1
		.amdhsa_forward_progress 1
		.amdhsa_inst_pref_size 14
		.amdhsa_round_robin_scheduling 0
		.amdhsa_exception_fp_ieee_invalid_op 0
		.amdhsa_exception_fp_denorm_src 0
		.amdhsa_exception_fp_ieee_div_zero 0
		.amdhsa_exception_fp_ieee_overflow 0
		.amdhsa_exception_fp_ieee_underflow 0
		.amdhsa_exception_fp_ieee_inexact 0
		.amdhsa_exception_int_div_zero 0
	.end_amdhsa_kernel
	.section	.text._ZL20rocblas_gemvt_kernelILb0ELi256EPKddKPdEviiT2_lPKT1_lilS7_lilS4_lPT3_lili,"axG",@progbits,_ZL20rocblas_gemvt_kernelILb0ELi256EPKddKPdEviiT2_lPKT1_lilS7_lilS4_lPT3_lili,comdat
.Lfunc_end273:
	.size	_ZL20rocblas_gemvt_kernelILb0ELi256EPKddKPdEviiT2_lPKT1_lilS7_lilS4_lPT3_lili, .Lfunc_end273-_ZL20rocblas_gemvt_kernelILb0ELi256EPKddKPdEviiT2_lPKT1_lilS7_lilS4_lPT3_lili
                                        ; -- End function
	.set _ZL20rocblas_gemvt_kernelILb0ELi256EPKddKPdEviiT2_lPKT1_lilS7_lilS4_lPT3_lili.num_vgpr, 24
	.set _ZL20rocblas_gemvt_kernelILb0ELi256EPKddKPdEviiT2_lPKT1_lilS7_lilS4_lPT3_lili.num_agpr, 0
	.set _ZL20rocblas_gemvt_kernelILb0ELi256EPKddKPdEviiT2_lPKT1_lilS7_lilS4_lPT3_lili.numbered_sgpr, 46
	.set _ZL20rocblas_gemvt_kernelILb0ELi256EPKddKPdEviiT2_lPKT1_lilS7_lilS4_lPT3_lili.num_named_barrier, 0
	.set _ZL20rocblas_gemvt_kernelILb0ELi256EPKddKPdEviiT2_lPKT1_lilS7_lilS4_lPT3_lili.private_seg_size, 0
	.set _ZL20rocblas_gemvt_kernelILb0ELi256EPKddKPdEviiT2_lPKT1_lilS7_lilS4_lPT3_lili.uses_vcc, 1
	.set _ZL20rocblas_gemvt_kernelILb0ELi256EPKddKPdEviiT2_lPKT1_lilS7_lilS4_lPT3_lili.uses_flat_scratch, 0
	.set _ZL20rocblas_gemvt_kernelILb0ELi256EPKddKPdEviiT2_lPKT1_lilS7_lilS4_lPT3_lili.has_dyn_sized_stack, 0
	.set _ZL20rocblas_gemvt_kernelILb0ELi256EPKddKPdEviiT2_lPKT1_lilS7_lilS4_lPT3_lili.has_recursion, 0
	.set _ZL20rocblas_gemvt_kernelILb0ELi256EPKddKPdEviiT2_lPKT1_lilS7_lilS4_lPT3_lili.has_indirect_call, 0
	.section	.AMDGPU.csdata,"",@progbits
; Kernel info:
; codeLenInByte = 1764
; TotalNumSgprs: 48
; NumVgprs: 24
; ScratchSize: 0
; MemoryBound: 1
; FloatMode: 240
; IeeeMode: 1
; LDSByteSize: 2048 bytes/workgroup (compile time only)
; SGPRBlocks: 0
; VGPRBlocks: 2
; NumSGPRsForWavesPerEU: 48
; NumVGPRsForWavesPerEU: 24
; Occupancy: 16
; WaveLimiterHint : 1
; COMPUTE_PGM_RSRC2:SCRATCH_EN: 0
; COMPUTE_PGM_RSRC2:USER_SGPR: 2
; COMPUTE_PGM_RSRC2:TRAP_HANDLER: 0
; COMPUTE_PGM_RSRC2:TGID_X_EN: 1
; COMPUTE_PGM_RSRC2:TGID_Y_EN: 0
; COMPUTE_PGM_RSRC2:TGID_Z_EN: 1
; COMPUTE_PGM_RSRC2:TIDIG_COMP_CNT: 0
	.section	.text._ZL32rocblas_gemvt_warp_reduce_kernelILb0ELi1024EiPKdS1_KPdEviiT3_lPKT2_lT1_lS7_lS8_lS4_lPT4_lS8_li,"axG",@progbits,_ZL32rocblas_gemvt_warp_reduce_kernelILb0ELi1024EiPKdS1_KPdEviiT3_lPKT2_lT1_lS7_lS8_lS4_lPT4_lS8_li,comdat
	.globl	_ZL32rocblas_gemvt_warp_reduce_kernelILb0ELi1024EiPKdS1_KPdEviiT3_lPKT2_lT1_lS7_lS8_lS4_lPT4_lS8_li ; -- Begin function _ZL32rocblas_gemvt_warp_reduce_kernelILb0ELi1024EiPKdS1_KPdEviiT3_lPKT2_lT1_lS7_lS8_lS4_lPT4_lS8_li
	.p2align	8
	.type	_ZL32rocblas_gemvt_warp_reduce_kernelILb0ELi1024EiPKdS1_KPdEviiT3_lPKT2_lT1_lS7_lS8_lS4_lPT4_lS8_li,@function
_ZL32rocblas_gemvt_warp_reduce_kernelILb0ELi1024EiPKdS1_KPdEviiT3_lPKT2_lT1_lS7_lS8_lS4_lPT4_lS8_li: ; @_ZL32rocblas_gemvt_warp_reduce_kernelILb0ELi1024EiPKdS1_KPdEviiT3_lPKT2_lT1_lS7_lS8_lS4_lPT4_lS8_li
; %bb.0:
	s_load_b32 s7, s[0:1], 0x88
	s_lshr_b32 s28, ttmp7, 16
	s_wait_kmcnt 0x0
	s_cmp_ge_u32 s28, s7
	s_cbranch_scc1 .LBB274_37
; %bb.1:
	s_clause 0x6
	s_load_b32 s4, s[0:1], 0x0
	s_load_b32 s3, s[0:1], 0x78
	s_load_b256 s[8:15], s[0:1], 0x8
	s_load_b32 s5, s[0:1], 0x28
	s_load_b128 s[24:27], s[0:1], 0x38
	s_load_b32 s6, s[0:1], 0x48
	s_load_b256 s[16:23], s[0:1], 0x58
	v_lshrrev_b32_e32 v3, 2, v0
	v_dual_mov_b32 v1, 0 :: v_dual_and_b32 v2, 31, v0
	v_mbcnt_lo_u32_b32 v22, -1, 0
	v_cmp_eq_u32_e64 s0, 0, v0
	s_delay_alu instid0(VALU_DEP_4)
	v_and_b32_e32 v20, 0xf8, v3
	v_cmp_gt_u32_e64 s1, 32, v0
	s_mov_b32 s29, 0
	v_lshl_or_b32 v24, v22, 2, 64
	s_wait_kmcnt 0x0
	s_ashr_i32 s2, s4, 31
	v_cmp_gt_i32_e32 vcc_lo, s4, v0
	s_lshr_b32 s2, s2, 22
	v_lshlrev_b32_e32 v19, 3, v2
	s_add_co_i32 s30, s4, s2
	v_cmp_eq_u32_e64 s2, 0, v2
	s_and_b32 s30, s30, 0xfffffc00
	v_cndmask_b32_e32 v4, 0, v0, vcc_lo
	v_or_b32_e32 v3, s30, v0
	v_mul_lo_u32 v21, v0, s6
	s_mul_i32 s34, s3, ttmp9
	s_mul_i32 s36, s5, ttmp9
	v_lshlrev_b32_e32 v23, 3, v4
	v_mul_lo_u32 v2, s6, v3
	v_cmp_gt_i32_e64 s4, s4, v3
	v_cmp_gt_i32_e64 s3, s30, v0
	s_ashr_i32 s35, s34, 31
	s_ashr_i32 s37, s36, 31
	;; [unrolled: 1-line block ×3, first 2 shown]
	s_lshl_b32 s33, s6, 10
	s_lshl_b64 s[14:15], s[14:15], 3
	v_ashrrev_i32_e32 v3, 31, v2
	s_lshl_b64 s[26:27], s[26:27], 3
	s_lshl_b64 s[22:23], s[22:23], 3
	;; [unrolled: 1-line block ×4, first 2 shown]
	v_lshlrev_b64_e32 v[3:4], 3, v[2:3]
	s_wait_alu 0xfffe
	s_lshl_b64 s[38:39], s[30:31], 3
	s_branch .LBB274_4
.LBB274_2:                              ;   in Loop: Header=BB274_4 Depth=1
	s_wait_alu 0xfffe
	s_or_b32 exec_lo, exec_lo, s5
.LBB274_3:                              ;   in Loop: Header=BB274_4 Depth=1
	s_add_co_i32 s28, s28, 0x10000
	s_delay_alu instid0(SALU_CYCLE_1)
	s_cmp_lt_u32 s28, s7
	s_cbranch_scc0 .LBB274_37
.LBB274_4:                              ; =>This Loop Header: Depth=1
                                        ;     Child Loop BB274_26 Depth 2
	s_mul_u64 s[40:41], s[10:11], s[28:29]
	s_mul_u64 s[42:43], s[18:19], s[28:29]
	s_lshl_b64 s[40:41], s[40:41], 3
	s_lshl_b64 s[42:43], s[42:43], 3
	s_add_nc_u64 s[40:41], s[8:9], s[40:41]
	s_add_nc_u64 s[42:43], s[16:17], s[42:43]
	s_clause 0x1
	global_load_b64 v[7:8], v1, s[40:41]
	global_load_b64 v[5:6], v1, s[42:43]
	s_wait_loadcnt 0x1
	v_cmp_eq_f64_e64 s5, 0, v[7:8]
	s_wait_loadcnt 0x0
	v_cmp_eq_f64_e32 vcc_lo, 1.0, v[5:6]
	s_and_b32 s6, s5, vcc_lo
	s_wait_alu 0xfffe
	s_and_b32 vcc_lo, exec_lo, s6
	s_wait_alu 0xfffe
	s_cbranch_vccnz .LBB274_3
; %bb.5:                                ;   in Loop: Header=BB274_4 Depth=1
	v_cmp_neq_f64_e64 s6, 0, v[7:8]
	s_wait_dscnt 0x0
	v_mov_b32_e32 v9, 0
	v_dual_mov_b32 v10, 0 :: v_dual_mov_b32 v11, 0
	v_mov_b32_e32 v12, 0
	s_and_b32 vcc_lo, exec_lo, s5
	s_wait_alu 0xfffe
	s_cbranch_vccnz .LBB274_7
; %bb.6:                                ;   in Loop: Header=BB274_4 Depth=1
	s_lshl_b64 s[40:41], s[28:29], 3
	s_delay_alu instid0(SALU_CYCLE_1)
	s_add_nc_u64 s[40:41], s[12:13], s[40:41]
	global_load_b64 v[11:12], v1, s[40:41]
	s_wait_loadcnt 0x0
	v_add_co_u32 v11, vcc_lo, v11, s14
	s_wait_alu 0xfffd
	v_add_co_ci_u32_e64 v12, null, s15, v12, vcc_lo
.LBB274_7:                              ;   in Loop: Header=BB274_4 Depth=1
	s_and_not1_b32 vcc_lo, exec_lo, s6
	s_wait_alu 0xfffe
	s_cbranch_vccnz .LBB274_9
; %bb.8:                                ;   in Loop: Header=BB274_4 Depth=1
	s_lshl_b64 s[40:41], s[28:29], 3
	s_delay_alu instid0(SALU_CYCLE_1)
	s_add_nc_u64 s[40:41], s[24:25], s[40:41]
	global_load_b64 v[9:10], v1, s[40:41]
	s_wait_loadcnt 0x0
	v_add_co_u32 v9, vcc_lo, v9, s26
	s_wait_alu 0xfffd
	v_add_co_ci_u32_e64 v10, null, s27, v10, vcc_lo
.LBB274_9:                              ;   in Loop: Header=BB274_4 Depth=1
	s_lshl_b64 s[40:41], s[28:29], 3
	s_delay_alu instid0(SALU_CYCLE_1)
	s_add_nc_u64 s[40:41], s[20:21], s[40:41]
	global_load_b64 v[13:14], v1, s[40:41]
	s_wait_loadcnt 0x0
	v_add_co_u32 v25, vcc_lo, v13, s22
	s_wait_alu 0xfffd
	v_add_co_ci_u32_e64 v26, null, s23, v14, vcc_lo
	s_and_not1_b32 vcc_lo, exec_lo, s5
	s_wait_alu 0xfffe
	s_cbranch_vccnz .LBB274_14
; %bb.10:                               ;   in Loop: Header=BB274_4 Depth=1
	s_mov_b32 s5, 0
	s_mov_b32 s6, 0
                                        ; implicit-def: $vgpr13_vgpr14
	s_and_saveexec_b32 s31, s0
	s_cbranch_execz .LBB274_15
; %bb.11:                               ;   in Loop: Header=BB274_4 Depth=1
	v_cmp_eq_f64_e32 vcc_lo, 0, v[5:6]
	v_mov_b32_e32 v13, 0
	v_mov_b32_e32 v14, 0
	s_cbranch_vccnz .LBB274_13
; %bb.12:                               ;   in Loop: Header=BB274_4 Depth=1
	v_add_co_u32 v13, vcc_lo, v25, s34
	s_wait_alu 0xfffd
	v_add_co_ci_u32_e64 v14, null, s35, v26, vcc_lo
	flat_load_b64 v[13:14], v[13:14]
	s_wait_loadcnt_dscnt 0x0
	v_mul_f64_e32 v[13:14], v[5:6], v[13:14]
.LBB274_13:                             ;   in Loop: Header=BB274_4 Depth=1
	s_mov_b32 s6, exec_lo
	s_wait_alu 0xfffe
	s_or_b32 exec_lo, exec_lo, s31
	s_delay_alu instid0(SALU_CYCLE_1)
	s_and_b32 vcc_lo, exec_lo, s5
	s_wait_alu 0xfffe
	s_cbranch_vccnz .LBB274_16
	s_branch .LBB274_35
.LBB274_14:                             ;   in Loop: Header=BB274_4 Depth=1
	s_mov_b32 s6, 0
                                        ; implicit-def: $vgpr13_vgpr14
	s_cbranch_execnz .LBB274_16
	s_branch .LBB274_35
.LBB274_15:                             ;   in Loop: Header=BB274_4 Depth=1
	s_wait_alu 0xfffe
	s_or_b32 exec_lo, exec_lo, s31
	s_delay_alu instid0(SALU_CYCLE_1)
	s_and_b32 vcc_lo, exec_lo, s5
	s_wait_alu 0xfffe
	s_cbranch_vccz .LBB274_35
.LBB274_16:                             ;   in Loop: Header=BB274_4 Depth=1
	v_add_co_u32 v2, vcc_lo, v11, v23
	s_wait_alu 0xfffd
	v_add_co_ci_u32_e64 v14, null, 0, v12, vcc_lo
	v_mov_b32_e32 v11, 0
	s_delay_alu instid0(VALU_DEP_3)
	v_add_co_u32 v13, vcc_lo, v2, s36
	v_mov_b32_e32 v12, 0
	s_wait_alu 0xfffd
	v_add_co_ci_u32_e64 v14, null, s37, v14, vcc_lo
	s_and_saveexec_b32 s31, s3
	s_cbranch_execnz .LBB274_25
; %bb.17:                               ;   in Loop: Header=BB274_4 Depth=1
	s_wait_alu 0xfffe
	s_or_b32 exec_lo, exec_lo, s31
	s_and_saveexec_b32 s5, s4
	s_cbranch_execnz .LBB274_28
.LBB274_18:                             ;   in Loop: Header=BB274_4 Depth=1
	s_wait_alu 0xfffe
	s_or_b32 exec_lo, exec_lo, s5
	s_and_saveexec_b32 s5, s1
.LBB274_19:                             ;   in Loop: Header=BB274_4 Depth=1
	v_mov_b32_e32 v2, v1
	ds_store_b64 v19, v[1:2]
.LBB274_20:                             ;   in Loop: Header=BB274_4 Depth=1
	s_wait_alu 0xfffe
	s_or_b32 exec_lo, exec_lo, s5
	ds_bpermute_b32 v9, v24, v11
	ds_bpermute_b32 v10, v24, v12
	v_cmp_gt_u32_e32 vcc_lo, 24, v22
	s_wait_dscnt 0x0
	s_barrier_signal -1
	s_barrier_wait -1
	global_inv scope:SCOPE_SE
	s_wait_alu 0xfffd
	v_cndmask_b32_e64 v2, 0, 8, vcc_lo
	v_cmp_gt_u32_e32 vcc_lo, 28, v22
	s_delay_alu instid0(VALU_DEP_2)
	v_add_lshl_u32 v2, v2, v22, 2
	v_add_f64_e32 v[9:10], v[11:12], v[9:10]
	ds_bpermute_b32 v11, v2, v9
	ds_bpermute_b32 v12, v2, v10
	s_wait_dscnt 0x0
	v_add_f64_e32 v[9:10], v[9:10], v[11:12]
	s_wait_alu 0xfffd
	v_cndmask_b32_e64 v11, 0, 4, vcc_lo
	v_cmp_gt_u32_e32 vcc_lo, 30, v22
	s_delay_alu instid0(VALU_DEP_2)
	v_add_lshl_u32 v13, v11, v22, 2
	ds_bpermute_b32 v11, v13, v9
	ds_bpermute_b32 v12, v13, v10
	s_wait_dscnt 0x0
	v_add_f64_e32 v[9:10], v[9:10], v[11:12]
	s_wait_alu 0xfffd
	v_cndmask_b32_e64 v11, 0, 2, vcc_lo
	v_cmp_ne_u32_e32 vcc_lo, 31, v22
	s_delay_alu instid0(VALU_DEP_2)
	v_add_lshl_u32 v14, v11, v22, 2
	ds_bpermute_b32 v11, v14, v9
	ds_bpermute_b32 v12, v14, v10
	s_wait_dscnt 0x0
	v_add_f64_e32 v[9:10], v[9:10], v[11:12]
	s_wait_alu 0xfffd
	v_add_co_ci_u32_e64 v11, null, 0, v22, vcc_lo
	s_delay_alu instid0(VALU_DEP_1)
	v_lshlrev_b32_e32 v15, 2, v11
	ds_bpermute_b32 v11, v15, v9
	ds_bpermute_b32 v12, v15, v10
	s_and_saveexec_b32 s5, s2
	s_cbranch_execz .LBB274_22
; %bb.21:                               ;   in Loop: Header=BB274_4 Depth=1
	s_wait_dscnt 0x0
	v_add_f64_e32 v[9:10], v[9:10], v[11:12]
	ds_store_b64 v20, v[9:10]
.LBB274_22:                             ;   in Loop: Header=BB274_4 Depth=1
	s_wait_alu 0xfffe
	s_or_b32 exec_lo, exec_lo, s5
	v_mov_b32_e32 v9, 0
	v_mov_b32_e32 v10, 0
	s_wait_loadcnt_dscnt 0x0
	s_barrier_signal -1
	s_barrier_wait -1
	global_inv scope:SCOPE_SE
	s_and_saveexec_b32 s5, s1
	s_cbranch_execnz .LBB274_29
; %bb.23:                               ;   in Loop: Header=BB274_4 Depth=1
	s_wait_alu 0xfffe
	s_or_b32 exec_lo, exec_lo, s5
	s_and_saveexec_b32 s5, s1
	s_cbranch_execnz .LBB274_30
.LBB274_24:                             ;   in Loop: Header=BB274_4 Depth=1
	s_wait_alu 0xfffe
	s_or_b32 exec_lo, exec_lo, s5
                                        ; implicit-def: $vgpr13_vgpr14
	s_and_saveexec_b32 s5, s0
	s_cbranch_execnz .LBB274_31
	s_branch .LBB274_34
.LBB274_25:                             ;   in Loop: Header=BB274_4 Depth=1
	v_dual_mov_b32 v11, 0 :: v_dual_mov_b32 v16, v14
	v_dual_mov_b32 v12, 0 :: v_dual_mov_b32 v15, v13
	;; [unrolled: 1-line block ×3, first 2 shown]
	s_mov_b32 s40, 0
.LBB274_26:                             ;   Parent Loop BB274_4 Depth=1
                                        ; =>  This Inner Loop Header: Depth=2
	s_delay_alu instid0(VALU_DEP_1) | instskip(NEXT) | instid1(VALU_DEP_2)
	v_ashrrev_i32_e32 v18, 31, v17
	v_add_nc_u32_e32 v2, 0x400, v2
	s_delay_alu instid0(VALU_DEP_2) | instskip(NEXT) | instid1(VALU_DEP_2)
	v_lshlrev_b64_e32 v[27:28], 3, v[17:18]
	v_cmp_le_i32_e64 s5, s30, v2
	v_add_nc_u32_e32 v17, s33, v17
	s_or_b32 s40, s5, s40
	v_add_co_u32 v27, vcc_lo, v9, v27
	s_wait_alu 0xfffd
	v_add_co_ci_u32_e64 v28, null, v10, v28, vcc_lo
	flat_load_b64 v[29:30], v[15:16]
	flat_load_b64 v[27:28], v[27:28]
	v_add_co_u32 v15, vcc_lo, 0x2000, v15
	s_wait_alu 0xfffd
	v_add_co_ci_u32_e64 v16, null, 0, v16, vcc_lo
	s_wait_loadcnt_dscnt 0x0
	v_fma_f64 v[11:12], v[29:30], v[27:28], v[11:12]
	s_and_not1_b32 exec_lo, exec_lo, s40
	s_cbranch_execnz .LBB274_26
; %bb.27:                               ;   in Loop: Header=BB274_4 Depth=1
	s_or_b32 exec_lo, exec_lo, s40
	s_wait_alu 0xfffe
	s_or_b32 exec_lo, exec_lo, s31
	s_and_saveexec_b32 s5, s4
	s_cbranch_execz .LBB274_18
.LBB274_28:                             ;   in Loop: Header=BB274_4 Depth=1
	v_add_co_u32 v13, vcc_lo, v13, s38
	s_wait_alu 0xfffd
	v_add_co_ci_u32_e64 v14, null, s39, v14, vcc_lo
	v_add_co_u32 v9, vcc_lo, v9, v3
	s_wait_alu 0xfffd
	v_add_co_ci_u32_e64 v10, null, v10, v4, vcc_lo
	flat_load_b64 v[13:14], v[13:14]
	flat_load_b64 v[9:10], v[9:10]
	s_wait_loadcnt_dscnt 0x0
	v_fma_f64 v[11:12], v[13:14], v[9:10], v[11:12]
	s_wait_alu 0xfffe
	s_or_b32 exec_lo, exec_lo, s5
	s_and_saveexec_b32 s5, s1
	s_cbranch_execnz .LBB274_19
	s_branch .LBB274_20
.LBB274_29:                             ;   in Loop: Header=BB274_4 Depth=1
	ds_load_b64 v[9:10], v19
	s_wait_alu 0xfffe
	s_or_b32 exec_lo, exec_lo, s5
	s_and_saveexec_b32 s5, s1
	s_cbranch_execz .LBB274_24
.LBB274_30:                             ;   in Loop: Header=BB274_4 Depth=1
	s_wait_dscnt 0x0
	ds_bpermute_b32 v11, v24, v9
	ds_bpermute_b32 v12, v24, v10
	s_wait_dscnt 0x0
	v_add_f64_e32 v[9:10], v[9:10], v[11:12]
	ds_bpermute_b32 v11, v2, v9
	ds_bpermute_b32 v12, v2, v10
	s_wait_dscnt 0x0
	v_add_f64_e32 v[9:10], v[9:10], v[11:12]
	;; [unrolled: 4-line block ×5, first 2 shown]
	s_wait_alu 0xfffe
	s_or_b32 exec_lo, exec_lo, s5
                                        ; implicit-def: $vgpr13_vgpr14
	s_and_saveexec_b32 s5, s0
	s_cbranch_execz .LBB274_34
.LBB274_31:                             ;   in Loop: Header=BB274_4 Depth=1
	v_cmp_eq_f64_e32 vcc_lo, 0, v[5:6]
	s_wait_dscnt 0x0
	s_delay_alu instid0(VALU_DEP_2)
	v_mul_f64_e32 v[13:14], v[7:8], v[9:10]
	s_cbranch_vccnz .LBB274_33
; %bb.32:                               ;   in Loop: Header=BB274_4 Depth=1
	v_add_co_u32 v7, vcc_lo, v25, s34
	s_wait_alu 0xfffd
	v_add_co_ci_u32_e64 v8, null, s35, v26, vcc_lo
	flat_load_b64 v[7:8], v[7:8]
	s_wait_loadcnt_dscnt 0x0
	v_fma_f64 v[13:14], v[5:6], v[7:8], v[13:14]
.LBB274_33:                             ;   in Loop: Header=BB274_4 Depth=1
	s_or_b32 s6, s6, exec_lo
.LBB274_34:                             ;   in Loop: Header=BB274_4 Depth=1
	s_wait_alu 0xfffe
	s_or_b32 exec_lo, exec_lo, s5
.LBB274_35:                             ;   in Loop: Header=BB274_4 Depth=1
	s_wait_alu 0xfffe
	s_and_saveexec_b32 s5, s6
	s_cbranch_execz .LBB274_2
; %bb.36:                               ;   in Loop: Header=BB274_4 Depth=1
	v_add_co_u32 v5, vcc_lo, v25, s34
	s_wait_alu 0xfffd
	v_add_co_ci_u32_e64 v6, null, s35, v26, vcc_lo
	flat_store_b64 v[5:6], v[13:14]
	s_branch .LBB274_2
.LBB274_37:
	s_endpgm
	.section	.rodata,"a",@progbits
	.p2align	6, 0x0
	.amdhsa_kernel _ZL32rocblas_gemvt_warp_reduce_kernelILb0ELi1024EiPKdS1_KPdEviiT3_lPKT2_lT1_lS7_lS8_lS4_lPT4_lS8_li
		.amdhsa_group_segment_fixed_size 256
		.amdhsa_private_segment_fixed_size 0
		.amdhsa_kernarg_size 140
		.amdhsa_user_sgpr_count 2
		.amdhsa_user_sgpr_dispatch_ptr 0
		.amdhsa_user_sgpr_queue_ptr 0
		.amdhsa_user_sgpr_kernarg_segment_ptr 1
		.amdhsa_user_sgpr_dispatch_id 0
		.amdhsa_user_sgpr_private_segment_size 0
		.amdhsa_wavefront_size32 1
		.amdhsa_uses_dynamic_stack 0
		.amdhsa_enable_private_segment 0
		.amdhsa_system_sgpr_workgroup_id_x 1
		.amdhsa_system_sgpr_workgroup_id_y 0
		.amdhsa_system_sgpr_workgroup_id_z 1
		.amdhsa_system_sgpr_workgroup_info 0
		.amdhsa_system_vgpr_workitem_id 0
		.amdhsa_next_free_vgpr 31
		.amdhsa_next_free_sgpr 44
		.amdhsa_reserve_vcc 1
		.amdhsa_float_round_mode_32 0
		.amdhsa_float_round_mode_16_64 0
		.amdhsa_float_denorm_mode_32 3
		.amdhsa_float_denorm_mode_16_64 3
		.amdhsa_fp16_overflow 0
		.amdhsa_workgroup_processor_mode 1
		.amdhsa_memory_ordered 1
		.amdhsa_forward_progress 1
		.amdhsa_inst_pref_size 14
		.amdhsa_round_robin_scheduling 0
		.amdhsa_exception_fp_ieee_invalid_op 0
		.amdhsa_exception_fp_denorm_src 0
		.amdhsa_exception_fp_ieee_div_zero 0
		.amdhsa_exception_fp_ieee_overflow 0
		.amdhsa_exception_fp_ieee_underflow 0
		.amdhsa_exception_fp_ieee_inexact 0
		.amdhsa_exception_int_div_zero 0
	.end_amdhsa_kernel
	.section	.text._ZL32rocblas_gemvt_warp_reduce_kernelILb0ELi1024EiPKdS1_KPdEviiT3_lPKT2_lT1_lS7_lS8_lS4_lPT4_lS8_li,"axG",@progbits,_ZL32rocblas_gemvt_warp_reduce_kernelILb0ELi1024EiPKdS1_KPdEviiT3_lPKT2_lT1_lS7_lS8_lS4_lPT4_lS8_li,comdat
.Lfunc_end274:
	.size	_ZL32rocblas_gemvt_warp_reduce_kernelILb0ELi1024EiPKdS1_KPdEviiT3_lPKT2_lT1_lS7_lS8_lS4_lPT4_lS8_li, .Lfunc_end274-_ZL32rocblas_gemvt_warp_reduce_kernelILb0ELi1024EiPKdS1_KPdEviiT3_lPKT2_lT1_lS7_lS8_lS4_lPT4_lS8_li
                                        ; -- End function
	.set _ZL32rocblas_gemvt_warp_reduce_kernelILb0ELi1024EiPKdS1_KPdEviiT3_lPKT2_lT1_lS7_lS8_lS4_lPT4_lS8_li.num_vgpr, 31
	.set _ZL32rocblas_gemvt_warp_reduce_kernelILb0ELi1024EiPKdS1_KPdEviiT3_lPKT2_lT1_lS7_lS8_lS4_lPT4_lS8_li.num_agpr, 0
	.set _ZL32rocblas_gemvt_warp_reduce_kernelILb0ELi1024EiPKdS1_KPdEviiT3_lPKT2_lT1_lS7_lS8_lS4_lPT4_lS8_li.numbered_sgpr, 44
	.set _ZL32rocblas_gemvt_warp_reduce_kernelILb0ELi1024EiPKdS1_KPdEviiT3_lPKT2_lT1_lS7_lS8_lS4_lPT4_lS8_li.num_named_barrier, 0
	.set _ZL32rocblas_gemvt_warp_reduce_kernelILb0ELi1024EiPKdS1_KPdEviiT3_lPKT2_lT1_lS7_lS8_lS4_lPT4_lS8_li.private_seg_size, 0
	.set _ZL32rocblas_gemvt_warp_reduce_kernelILb0ELi1024EiPKdS1_KPdEviiT3_lPKT2_lT1_lS7_lS8_lS4_lPT4_lS8_li.uses_vcc, 1
	.set _ZL32rocblas_gemvt_warp_reduce_kernelILb0ELi1024EiPKdS1_KPdEviiT3_lPKT2_lT1_lS7_lS8_lS4_lPT4_lS8_li.uses_flat_scratch, 0
	.set _ZL32rocblas_gemvt_warp_reduce_kernelILb0ELi1024EiPKdS1_KPdEviiT3_lPKT2_lT1_lS7_lS8_lS4_lPT4_lS8_li.has_dyn_sized_stack, 0
	.set _ZL32rocblas_gemvt_warp_reduce_kernelILb0ELi1024EiPKdS1_KPdEviiT3_lPKT2_lT1_lS7_lS8_lS4_lPT4_lS8_li.has_recursion, 0
	.set _ZL32rocblas_gemvt_warp_reduce_kernelILb0ELi1024EiPKdS1_KPdEviiT3_lPKT2_lT1_lS7_lS8_lS4_lPT4_lS8_li.has_indirect_call, 0
	.section	.AMDGPU.csdata,"",@progbits
; Kernel info:
; codeLenInByte = 1780
; TotalNumSgprs: 46
; NumVgprs: 31
; ScratchSize: 0
; MemoryBound: 1
; FloatMode: 240
; IeeeMode: 1
; LDSByteSize: 256 bytes/workgroup (compile time only)
; SGPRBlocks: 0
; VGPRBlocks: 3
; NumSGPRsForWavesPerEU: 46
; NumVGPRsForWavesPerEU: 31
; Occupancy: 16
; WaveLimiterHint : 1
; COMPUTE_PGM_RSRC2:SCRATCH_EN: 0
; COMPUTE_PGM_RSRC2:USER_SGPR: 2
; COMPUTE_PGM_RSRC2:TRAP_HANDLER: 0
; COMPUTE_PGM_RSRC2:TGID_X_EN: 1
; COMPUTE_PGM_RSRC2:TGID_Y_EN: 0
; COMPUTE_PGM_RSRC2:TGID_Z_EN: 1
; COMPUTE_PGM_RSRC2:TIDIG_COMP_CNT: 0
	.section	.text._ZL32rocblas_gemvt_warp_reduce_kernelILb0ELi1024ElPKdS1_KPdEviiT3_lPKT2_lT1_lS7_lS8_lS4_lPT4_lS8_li,"axG",@progbits,_ZL32rocblas_gemvt_warp_reduce_kernelILb0ELi1024ElPKdS1_KPdEviiT3_lPKT2_lT1_lS7_lS8_lS4_lPT4_lS8_li,comdat
	.globl	_ZL32rocblas_gemvt_warp_reduce_kernelILb0ELi1024ElPKdS1_KPdEviiT3_lPKT2_lT1_lS7_lS8_lS4_lPT4_lS8_li ; -- Begin function _ZL32rocblas_gemvt_warp_reduce_kernelILb0ELi1024ElPKdS1_KPdEviiT3_lPKT2_lT1_lS7_lS8_lS4_lPT4_lS8_li
	.p2align	8
	.type	_ZL32rocblas_gemvt_warp_reduce_kernelILb0ELi1024ElPKdS1_KPdEviiT3_lPKT2_lT1_lS7_lS8_lS4_lPT4_lS8_li,@function
_ZL32rocblas_gemvt_warp_reduce_kernelILb0ELi1024ElPKdS1_KPdEviiT3_lPKT2_lT1_lS7_lS8_lS4_lPT4_lS8_li: ; @_ZL32rocblas_gemvt_warp_reduce_kernelILb0ELi1024ElPKdS1_KPdEviiT3_lPKT2_lT1_lS7_lS8_lS4_lPT4_lS8_li
; %bb.0:
	s_load_b32 s7, s[0:1], 0x88
	s_lshr_b32 s28, ttmp7, 16
	s_wait_kmcnt 0x0
	s_cmp_ge_u32 s28, s7
	s_cbranch_scc1 .LBB275_37
; %bb.1:
	s_clause 0x6
	s_load_b32 s6, s[0:1], 0x0
	s_load_b64 s[36:37], s[0:1], 0x48
	s_load_b256 s[8:15], s[0:1], 0x8
	s_load_b64 s[34:35], s[0:1], 0x78
	s_load_b64 s[38:39], s[0:1], 0x28
	s_load_b128 s[24:27], s[0:1], 0x38
	s_load_b256 s[16:23], s[0:1], 0x58
	v_lshrrev_b32_e32 v5, 2, v0
	v_dual_mov_b32 v1, 0 :: v_dual_and_b32 v4, 31, v0
	v_mbcnt_lo_u32_b32 v21, -1, 0
	s_mov_b32 s4, ttmp9
	s_ashr_i32 s5, ttmp9, 31
	s_delay_alu instid0(VALU_DEP_2)
	v_lshlrev_b32_e32 v22, 3, v4
	v_cmp_eq_u32_e64 s0, 0, v0
	v_cmp_gt_u32_e64 s1, 32, v0
	v_lshl_or_b32 v25, v21, 2, 64
	s_mov_b32 s29, 0
	s_wait_kmcnt 0x0
	s_ashr_i32 s2, s6, 31
	v_mad_co_u64_u32 v[2:3], null, s36, v0, 0
	s_lshr_b32 s3, s2, 22
	v_cmp_gt_i32_e32 vcc_lo, s6, v0
	s_add_co_i32 s3, s6, s3
	v_and_b32_e32 v23, 0xf8, v5
	s_and_b32 s30, s3, 0xfffffc00
	v_cmp_eq_u32_e64 s2, 0, v4
	v_or_b32_e32 v7, s30, v0
	s_ashr_i32 s31, s30, 31
	v_mad_co_u64_u32 v[3:4], null, s37, v0, v[3:4]
	s_wait_alu 0xfffe
	s_mul_i32 s3, s36, s31
	v_mul_lo_u32 v9, s37, v7
	v_mad_co_u64_u32 v[5:6], null, s36, v7, 0
	v_cndmask_b32_e32 v8, 0, v0, vcc_lo
	s_mul_u64 s[40:41], s[34:35], s[4:5]
	s_delay_alu instid0(VALU_DEP_4)
	v_lshlrev_b64_e32 v[3:4], 3, v[2:3]
	s_mul_u64 s[38:39], s[38:39], s[4:5]
	v_cmp_gt_i32_e64 s4, s6, v7
	v_lshlrev_b32_e32 v24, 3, v8
	v_add3_u32 v6, v6, s3, v9
	v_cmp_gt_i32_e64 s3, s30, v0
	s_lshl_b64 s[34:35], s[36:37], 13
	s_lshl_b64 s[14:15], s[14:15], 3
	;; [unrolled: 1-line block ×3, first 2 shown]
	v_lshlrev_b64_e32 v[5:6], 3, v[5:6]
	s_lshl_b64 s[22:23], s[22:23], 3
	s_lshl_b64 s[36:37], s[40:41], 3
	;; [unrolled: 1-line block ×4, first 2 shown]
	s_branch .LBB275_4
.LBB275_2:                              ;   in Loop: Header=BB275_4 Depth=1
	s_wait_alu 0xfffe
	s_or_b32 exec_lo, exec_lo, s5
.LBB275_3:                              ;   in Loop: Header=BB275_4 Depth=1
	s_add_co_i32 s28, s28, 0x10000
	s_delay_alu instid0(SALU_CYCLE_1)
	s_cmp_lt_u32 s28, s7
	s_cbranch_scc0 .LBB275_37
.LBB275_4:                              ; =>This Loop Header: Depth=1
                                        ;     Child Loop BB275_26 Depth 2
	s_mul_u64 s[42:43], s[10:11], s[28:29]
	s_mul_u64 s[44:45], s[18:19], s[28:29]
	s_lshl_b64 s[42:43], s[42:43], 3
	s_lshl_b64 s[44:45], s[44:45], 3
	s_add_nc_u64 s[42:43], s[8:9], s[42:43]
	s_add_nc_u64 s[44:45], s[16:17], s[44:45]
	s_clause 0x1
	global_load_b64 v[9:10], v1, s[42:43]
	global_load_b64 v[7:8], v1, s[44:45]
	s_wait_loadcnt 0x1
	v_cmp_eq_f64_e64 s5, 0, v[9:10]
	s_wait_loadcnt 0x0
	v_cmp_eq_f64_e32 vcc_lo, 1.0, v[7:8]
	s_and_b32 s6, s5, vcc_lo
	s_wait_alu 0xfffe
	s_and_b32 vcc_lo, exec_lo, s6
	s_wait_alu 0xfffe
	s_cbranch_vccnz .LBB275_3
; %bb.5:                                ;   in Loop: Header=BB275_4 Depth=1
	v_cmp_neq_f64_e64 s6, 0, v[9:10]
	s_wait_dscnt 0x0
	v_mov_b32_e32 v11, 0
	v_dual_mov_b32 v12, 0 :: v_dual_mov_b32 v13, 0
	v_mov_b32_e32 v14, 0
	s_and_b32 vcc_lo, exec_lo, s5
	s_wait_alu 0xfffe
	s_cbranch_vccnz .LBB275_7
; %bb.6:                                ;   in Loop: Header=BB275_4 Depth=1
	s_lshl_b64 s[42:43], s[28:29], 3
	s_delay_alu instid0(SALU_CYCLE_1)
	s_add_nc_u64 s[42:43], s[12:13], s[42:43]
	global_load_b64 v[13:14], v1, s[42:43]
	s_wait_loadcnt 0x0
	v_add_co_u32 v13, vcc_lo, v13, s14
	s_wait_alu 0xfffd
	v_add_co_ci_u32_e64 v14, null, s15, v14, vcc_lo
.LBB275_7:                              ;   in Loop: Header=BB275_4 Depth=1
	s_and_not1_b32 vcc_lo, exec_lo, s6
	s_wait_alu 0xfffe
	s_cbranch_vccnz .LBB275_9
; %bb.8:                                ;   in Loop: Header=BB275_4 Depth=1
	s_lshl_b64 s[42:43], s[28:29], 3
	s_delay_alu instid0(SALU_CYCLE_1)
	s_add_nc_u64 s[42:43], s[24:25], s[42:43]
	global_load_b64 v[11:12], v1, s[42:43]
	s_wait_loadcnt 0x0
	v_add_co_u32 v11, vcc_lo, v11, s26
	s_wait_alu 0xfffd
	v_add_co_ci_u32_e64 v12, null, s27, v12, vcc_lo
.LBB275_9:                              ;   in Loop: Header=BB275_4 Depth=1
	s_lshl_b64 s[42:43], s[28:29], 3
	s_delay_alu instid0(SALU_CYCLE_1)
	s_add_nc_u64 s[42:43], s[20:21], s[42:43]
	global_load_b64 v[15:16], v1, s[42:43]
	s_wait_loadcnt 0x0
	v_add_co_u32 v26, vcc_lo, v15, s22
	s_wait_alu 0xfffd
	v_add_co_ci_u32_e64 v27, null, s23, v16, vcc_lo
	s_and_not1_b32 vcc_lo, exec_lo, s5
	s_wait_alu 0xfffe
	s_cbranch_vccnz .LBB275_14
; %bb.10:                               ;   in Loop: Header=BB275_4 Depth=1
	s_mov_b32 s5, 0
	s_mov_b32 s6, 0
                                        ; implicit-def: $vgpr15_vgpr16
	s_and_saveexec_b32 s31, s0
	s_cbranch_execz .LBB275_15
; %bb.11:                               ;   in Loop: Header=BB275_4 Depth=1
	v_cmp_eq_f64_e32 vcc_lo, 0, v[7:8]
	v_mov_b32_e32 v15, 0
	v_mov_b32_e32 v16, 0
	s_cbranch_vccnz .LBB275_13
; %bb.12:                               ;   in Loop: Header=BB275_4 Depth=1
	v_add_co_u32 v15, vcc_lo, v26, s36
	s_wait_alu 0xfffd
	v_add_co_ci_u32_e64 v16, null, s37, v27, vcc_lo
	flat_load_b64 v[15:16], v[15:16]
	s_wait_loadcnt_dscnt 0x0
	v_mul_f64_e32 v[15:16], v[7:8], v[15:16]
.LBB275_13:                             ;   in Loop: Header=BB275_4 Depth=1
	s_mov_b32 s6, exec_lo
	s_wait_alu 0xfffe
	s_or_b32 exec_lo, exec_lo, s31
	s_delay_alu instid0(SALU_CYCLE_1)
	s_and_b32 vcc_lo, exec_lo, s5
	s_wait_alu 0xfffe
	s_cbranch_vccnz .LBB275_16
	s_branch .LBB275_35
.LBB275_14:                             ;   in Loop: Header=BB275_4 Depth=1
	s_mov_b32 s6, 0
                                        ; implicit-def: $vgpr15_vgpr16
	s_cbranch_execnz .LBB275_16
	s_branch .LBB275_35
.LBB275_15:                             ;   in Loop: Header=BB275_4 Depth=1
	s_wait_alu 0xfffe
	s_or_b32 exec_lo, exec_lo, s31
	s_delay_alu instid0(SALU_CYCLE_1)
	s_and_b32 vcc_lo, exec_lo, s5
	s_wait_alu 0xfffe
	s_cbranch_vccz .LBB275_35
.LBB275_16:                             ;   in Loop: Header=BB275_4 Depth=1
	v_add_co_u32 v2, vcc_lo, v13, v24
	s_wait_alu 0xfffd
	v_add_co_ci_u32_e64 v16, null, 0, v14, vcc_lo
	v_mov_b32_e32 v13, 0
	s_delay_alu instid0(VALU_DEP_3)
	v_add_co_u32 v15, vcc_lo, v2, s38
	v_mov_b32_e32 v14, 0
	s_wait_alu 0xfffd
	v_add_co_ci_u32_e64 v16, null, s39, v16, vcc_lo
	s_and_saveexec_b32 s31, s3
	s_cbranch_execnz .LBB275_25
; %bb.17:                               ;   in Loop: Header=BB275_4 Depth=1
	s_wait_alu 0xfffe
	s_or_b32 exec_lo, exec_lo, s31
	s_and_saveexec_b32 s5, s4
	s_cbranch_execnz .LBB275_28
.LBB275_18:                             ;   in Loop: Header=BB275_4 Depth=1
	s_wait_alu 0xfffe
	s_or_b32 exec_lo, exec_lo, s5
	s_and_saveexec_b32 s5, s1
.LBB275_19:                             ;   in Loop: Header=BB275_4 Depth=1
	v_mov_b32_e32 v2, v1
	ds_store_b64 v22, v[1:2]
.LBB275_20:                             ;   in Loop: Header=BB275_4 Depth=1
	s_wait_alu 0xfffe
	s_or_b32 exec_lo, exec_lo, s5
	ds_bpermute_b32 v11, v25, v13
	ds_bpermute_b32 v12, v25, v14
	v_cmp_gt_u32_e32 vcc_lo, 24, v21
	s_wait_dscnt 0x0
	s_barrier_signal -1
	s_barrier_wait -1
	global_inv scope:SCOPE_SE
	s_wait_alu 0xfffd
	v_cndmask_b32_e64 v2, 0, 8, vcc_lo
	v_cmp_gt_u32_e32 vcc_lo, 28, v21
	s_delay_alu instid0(VALU_DEP_2)
	v_add_lshl_u32 v2, v2, v21, 2
	v_add_f64_e32 v[11:12], v[13:14], v[11:12]
	ds_bpermute_b32 v13, v2, v11
	ds_bpermute_b32 v14, v2, v12
	s_wait_dscnt 0x0
	v_add_f64_e32 v[11:12], v[11:12], v[13:14]
	s_wait_alu 0xfffd
	v_cndmask_b32_e64 v13, 0, 4, vcc_lo
	v_cmp_gt_u32_e32 vcc_lo, 30, v21
	s_delay_alu instid0(VALU_DEP_2)
	v_add_lshl_u32 v15, v13, v21, 2
	ds_bpermute_b32 v13, v15, v11
	ds_bpermute_b32 v14, v15, v12
	s_wait_dscnt 0x0
	v_add_f64_e32 v[11:12], v[11:12], v[13:14]
	s_wait_alu 0xfffd
	v_cndmask_b32_e64 v13, 0, 2, vcc_lo
	v_cmp_ne_u32_e32 vcc_lo, 31, v21
	s_delay_alu instid0(VALU_DEP_2)
	v_add_lshl_u32 v16, v13, v21, 2
	ds_bpermute_b32 v13, v16, v11
	ds_bpermute_b32 v14, v16, v12
	s_wait_dscnt 0x0
	v_add_f64_e32 v[11:12], v[11:12], v[13:14]
	s_wait_alu 0xfffd
	v_add_co_ci_u32_e64 v13, null, 0, v21, vcc_lo
	s_delay_alu instid0(VALU_DEP_1)
	v_lshlrev_b32_e32 v17, 2, v13
	ds_bpermute_b32 v13, v17, v11
	ds_bpermute_b32 v14, v17, v12
	s_and_saveexec_b32 s5, s2
	s_cbranch_execz .LBB275_22
; %bb.21:                               ;   in Loop: Header=BB275_4 Depth=1
	s_wait_dscnt 0x0
	v_add_f64_e32 v[11:12], v[11:12], v[13:14]
	ds_store_b64 v23, v[11:12]
.LBB275_22:                             ;   in Loop: Header=BB275_4 Depth=1
	s_wait_alu 0xfffe
	s_or_b32 exec_lo, exec_lo, s5
	v_mov_b32_e32 v11, 0
	v_mov_b32_e32 v12, 0
	s_wait_loadcnt_dscnt 0x0
	s_barrier_signal -1
	s_barrier_wait -1
	global_inv scope:SCOPE_SE
	s_and_saveexec_b32 s5, s1
	s_cbranch_execnz .LBB275_29
; %bb.23:                               ;   in Loop: Header=BB275_4 Depth=1
	s_wait_alu 0xfffe
	s_or_b32 exec_lo, exec_lo, s5
	s_and_saveexec_b32 s5, s1
	s_cbranch_execnz .LBB275_30
.LBB275_24:                             ;   in Loop: Header=BB275_4 Depth=1
	s_wait_alu 0xfffe
	s_or_b32 exec_lo, exec_lo, s5
                                        ; implicit-def: $vgpr15_vgpr16
	s_and_saveexec_b32 s5, s0
	s_cbranch_execnz .LBB275_31
	s_branch .LBB275_34
.LBB275_25:                             ;   in Loop: Header=BB275_4 Depth=1
	v_add_co_u32 v17, vcc_lo, v11, v3
	v_dual_mov_b32 v13, 0 :: v_dual_mov_b32 v20, v16
	s_wait_alu 0xfffd
	v_add_co_ci_u32_e64 v18, null, v12, v4, vcc_lo
	v_dual_mov_b32 v14, 0 :: v_dual_mov_b32 v19, v15
	v_mov_b32_e32 v2, v0
	s_mov_b32 s33, 0
.LBB275_26:                             ;   Parent Loop BB275_4 Depth=1
                                        ; =>  This Inner Loop Header: Depth=2
	flat_load_b64 v[28:29], v[19:20]
	flat_load_b64 v[30:31], v[17:18]
	v_add_nc_u32_e32 v2, 0x400, v2
	v_add_co_u32 v19, vcc_lo, 0x2000, v19
	s_wait_alu 0xfffd
	v_add_co_ci_u32_e64 v20, null, 0, v20, vcc_lo
	s_delay_alu instid0(VALU_DEP_3)
	v_cmp_le_i32_e32 vcc_lo, s30, v2
	v_add_co_u32 v17, s5, v17, s34
	s_wait_alu 0xf1ff
	v_add_co_ci_u32_e64 v18, null, s35, v18, s5
	s_or_b32 s33, vcc_lo, s33
	s_wait_loadcnt_dscnt 0x0
	v_fma_f64 v[13:14], v[28:29], v[30:31], v[13:14]
	s_and_not1_b32 exec_lo, exec_lo, s33
	s_cbranch_execnz .LBB275_26
; %bb.27:                               ;   in Loop: Header=BB275_4 Depth=1
	s_or_b32 exec_lo, exec_lo, s33
	s_wait_alu 0xfffe
	s_or_b32 exec_lo, exec_lo, s31
	s_and_saveexec_b32 s5, s4
	s_cbranch_execz .LBB275_18
.LBB275_28:                             ;   in Loop: Header=BB275_4 Depth=1
	v_add_co_u32 v15, vcc_lo, v15, s40
	s_wait_alu 0xfffd
	v_add_co_ci_u32_e64 v16, null, s41, v16, vcc_lo
	v_add_co_u32 v11, vcc_lo, v11, v5
	s_wait_alu 0xfffd
	v_add_co_ci_u32_e64 v12, null, v12, v6, vcc_lo
	flat_load_b64 v[15:16], v[15:16]
	flat_load_b64 v[11:12], v[11:12]
	s_wait_loadcnt_dscnt 0x0
	v_fma_f64 v[13:14], v[15:16], v[11:12], v[13:14]
	s_wait_alu 0xfffe
	s_or_b32 exec_lo, exec_lo, s5
	s_and_saveexec_b32 s5, s1
	s_cbranch_execnz .LBB275_19
	s_branch .LBB275_20
.LBB275_29:                             ;   in Loop: Header=BB275_4 Depth=1
	ds_load_b64 v[11:12], v22
	s_wait_alu 0xfffe
	s_or_b32 exec_lo, exec_lo, s5
	s_and_saveexec_b32 s5, s1
	s_cbranch_execz .LBB275_24
.LBB275_30:                             ;   in Loop: Header=BB275_4 Depth=1
	s_wait_dscnt 0x0
	ds_bpermute_b32 v13, v25, v11
	ds_bpermute_b32 v14, v25, v12
	s_wait_dscnt 0x0
	v_add_f64_e32 v[11:12], v[11:12], v[13:14]
	ds_bpermute_b32 v13, v2, v11
	ds_bpermute_b32 v14, v2, v12
	s_wait_dscnt 0x0
	v_add_f64_e32 v[11:12], v[11:12], v[13:14]
	;; [unrolled: 4-line block ×5, first 2 shown]
	s_wait_alu 0xfffe
	s_or_b32 exec_lo, exec_lo, s5
                                        ; implicit-def: $vgpr15_vgpr16
	s_and_saveexec_b32 s5, s0
	s_cbranch_execz .LBB275_34
.LBB275_31:                             ;   in Loop: Header=BB275_4 Depth=1
	v_cmp_eq_f64_e32 vcc_lo, 0, v[7:8]
	s_wait_dscnt 0x0
	s_delay_alu instid0(VALU_DEP_2)
	v_mul_f64_e32 v[15:16], v[9:10], v[11:12]
	s_cbranch_vccnz .LBB275_33
; %bb.32:                               ;   in Loop: Header=BB275_4 Depth=1
	v_add_co_u32 v9, vcc_lo, v26, s36
	s_wait_alu 0xfffd
	v_add_co_ci_u32_e64 v10, null, s37, v27, vcc_lo
	flat_load_b64 v[9:10], v[9:10]
	s_wait_loadcnt_dscnt 0x0
	v_fma_f64 v[15:16], v[7:8], v[9:10], v[15:16]
.LBB275_33:                             ;   in Loop: Header=BB275_4 Depth=1
	s_or_b32 s6, s6, exec_lo
.LBB275_34:                             ;   in Loop: Header=BB275_4 Depth=1
	s_wait_alu 0xfffe
	s_or_b32 exec_lo, exec_lo, s5
.LBB275_35:                             ;   in Loop: Header=BB275_4 Depth=1
	s_wait_alu 0xfffe
	s_and_saveexec_b32 s5, s6
	s_cbranch_execz .LBB275_2
; %bb.36:                               ;   in Loop: Header=BB275_4 Depth=1
	v_add_co_u32 v7, vcc_lo, v26, s36
	s_wait_alu 0xfffd
	v_add_co_ci_u32_e64 v8, null, s37, v27, vcc_lo
	flat_store_b64 v[7:8], v[15:16]
	s_branch .LBB275_2
.LBB275_37:
	s_endpgm
	.section	.rodata,"a",@progbits
	.p2align	6, 0x0
	.amdhsa_kernel _ZL32rocblas_gemvt_warp_reduce_kernelILb0ELi1024ElPKdS1_KPdEviiT3_lPKT2_lT1_lS7_lS8_lS4_lPT4_lS8_li
		.amdhsa_group_segment_fixed_size 256
		.amdhsa_private_segment_fixed_size 0
		.amdhsa_kernarg_size 140
		.amdhsa_user_sgpr_count 2
		.amdhsa_user_sgpr_dispatch_ptr 0
		.amdhsa_user_sgpr_queue_ptr 0
		.amdhsa_user_sgpr_kernarg_segment_ptr 1
		.amdhsa_user_sgpr_dispatch_id 0
		.amdhsa_user_sgpr_private_segment_size 0
		.amdhsa_wavefront_size32 1
		.amdhsa_uses_dynamic_stack 0
		.amdhsa_enable_private_segment 0
		.amdhsa_system_sgpr_workgroup_id_x 1
		.amdhsa_system_sgpr_workgroup_id_y 0
		.amdhsa_system_sgpr_workgroup_id_z 1
		.amdhsa_system_sgpr_workgroup_info 0
		.amdhsa_system_vgpr_workitem_id 0
		.amdhsa_next_free_vgpr 32
		.amdhsa_next_free_sgpr 46
		.amdhsa_reserve_vcc 1
		.amdhsa_float_round_mode_32 0
		.amdhsa_float_round_mode_16_64 0
		.amdhsa_float_denorm_mode_32 3
		.amdhsa_float_denorm_mode_16_64 3
		.amdhsa_fp16_overflow 0
		.amdhsa_workgroup_processor_mode 1
		.amdhsa_memory_ordered 1
		.amdhsa_forward_progress 1
		.amdhsa_inst_pref_size 15
		.amdhsa_round_robin_scheduling 0
		.amdhsa_exception_fp_ieee_invalid_op 0
		.amdhsa_exception_fp_denorm_src 0
		.amdhsa_exception_fp_ieee_div_zero 0
		.amdhsa_exception_fp_ieee_overflow 0
		.amdhsa_exception_fp_ieee_underflow 0
		.amdhsa_exception_fp_ieee_inexact 0
		.amdhsa_exception_int_div_zero 0
	.end_amdhsa_kernel
	.section	.text._ZL32rocblas_gemvt_warp_reduce_kernelILb0ELi1024ElPKdS1_KPdEviiT3_lPKT2_lT1_lS7_lS8_lS4_lPT4_lS8_li,"axG",@progbits,_ZL32rocblas_gemvt_warp_reduce_kernelILb0ELi1024ElPKdS1_KPdEviiT3_lPKT2_lT1_lS7_lS8_lS4_lPT4_lS8_li,comdat
.Lfunc_end275:
	.size	_ZL32rocblas_gemvt_warp_reduce_kernelILb0ELi1024ElPKdS1_KPdEviiT3_lPKT2_lT1_lS7_lS8_lS4_lPT4_lS8_li, .Lfunc_end275-_ZL32rocblas_gemvt_warp_reduce_kernelILb0ELi1024ElPKdS1_KPdEviiT3_lPKT2_lT1_lS7_lS8_lS4_lPT4_lS8_li
                                        ; -- End function
	.set _ZL32rocblas_gemvt_warp_reduce_kernelILb0ELi1024ElPKdS1_KPdEviiT3_lPKT2_lT1_lS7_lS8_lS4_lPT4_lS8_li.num_vgpr, 32
	.set _ZL32rocblas_gemvt_warp_reduce_kernelILb0ELi1024ElPKdS1_KPdEviiT3_lPKT2_lT1_lS7_lS8_lS4_lPT4_lS8_li.num_agpr, 0
	.set _ZL32rocblas_gemvt_warp_reduce_kernelILb0ELi1024ElPKdS1_KPdEviiT3_lPKT2_lT1_lS7_lS8_lS4_lPT4_lS8_li.numbered_sgpr, 46
	.set _ZL32rocblas_gemvt_warp_reduce_kernelILb0ELi1024ElPKdS1_KPdEviiT3_lPKT2_lT1_lS7_lS8_lS4_lPT4_lS8_li.num_named_barrier, 0
	.set _ZL32rocblas_gemvt_warp_reduce_kernelILb0ELi1024ElPKdS1_KPdEviiT3_lPKT2_lT1_lS7_lS8_lS4_lPT4_lS8_li.private_seg_size, 0
	.set _ZL32rocblas_gemvt_warp_reduce_kernelILb0ELi1024ElPKdS1_KPdEviiT3_lPKT2_lT1_lS7_lS8_lS4_lPT4_lS8_li.uses_vcc, 1
	.set _ZL32rocblas_gemvt_warp_reduce_kernelILb0ELi1024ElPKdS1_KPdEviiT3_lPKT2_lT1_lS7_lS8_lS4_lPT4_lS8_li.uses_flat_scratch, 0
	.set _ZL32rocblas_gemvt_warp_reduce_kernelILb0ELi1024ElPKdS1_KPdEviiT3_lPKT2_lT1_lS7_lS8_lS4_lPT4_lS8_li.has_dyn_sized_stack, 0
	.set _ZL32rocblas_gemvt_warp_reduce_kernelILb0ELi1024ElPKdS1_KPdEviiT3_lPKT2_lT1_lS7_lS8_lS4_lPT4_lS8_li.has_recursion, 0
	.set _ZL32rocblas_gemvt_warp_reduce_kernelILb0ELi1024ElPKdS1_KPdEviiT3_lPKT2_lT1_lS7_lS8_lS4_lPT4_lS8_li.has_indirect_call, 0
	.section	.AMDGPU.csdata,"",@progbits
; Kernel info:
; codeLenInByte = 1808
; TotalNumSgprs: 48
; NumVgprs: 32
; ScratchSize: 0
; MemoryBound: 1
; FloatMode: 240
; IeeeMode: 1
; LDSByteSize: 256 bytes/workgroup (compile time only)
; SGPRBlocks: 0
; VGPRBlocks: 3
; NumSGPRsForWavesPerEU: 48
; NumVGPRsForWavesPerEU: 32
; Occupancy: 16
; WaveLimiterHint : 1
; COMPUTE_PGM_RSRC2:SCRATCH_EN: 0
; COMPUTE_PGM_RSRC2:USER_SGPR: 2
; COMPUTE_PGM_RSRC2:TRAP_HANDLER: 0
; COMPUTE_PGM_RSRC2:TGID_X_EN: 1
; COMPUTE_PGM_RSRC2:TGID_Y_EN: 0
; COMPUTE_PGM_RSRC2:TGID_Z_EN: 1
; COMPUTE_PGM_RSRC2:TIDIG_COMP_CNT: 0
	.section	.text._ZL32rocblas_gemvt_warp_reduce_kernelILb0ELi1024EiPKddKPdEviiT3_lPKT2_lT1_lS7_lS8_lS4_lPT4_lS8_li,"axG",@progbits,_ZL32rocblas_gemvt_warp_reduce_kernelILb0ELi1024EiPKddKPdEviiT3_lPKT2_lT1_lS7_lS8_lS4_lPT4_lS8_li,comdat
	.globl	_ZL32rocblas_gemvt_warp_reduce_kernelILb0ELi1024EiPKddKPdEviiT3_lPKT2_lT1_lS7_lS8_lS4_lPT4_lS8_li ; -- Begin function _ZL32rocblas_gemvt_warp_reduce_kernelILb0ELi1024EiPKddKPdEviiT3_lPKT2_lT1_lS7_lS8_lS4_lPT4_lS8_li
	.p2align	8
	.type	_ZL32rocblas_gemvt_warp_reduce_kernelILb0ELi1024EiPKddKPdEviiT3_lPKT2_lT1_lS7_lS8_lS4_lPT4_lS8_li,@function
_ZL32rocblas_gemvt_warp_reduce_kernelILb0ELi1024EiPKddKPdEviiT3_lPKT2_lT1_lS7_lS8_lS4_lPT4_lS8_li: ; @_ZL32rocblas_gemvt_warp_reduce_kernelILb0ELi1024EiPKddKPdEviiT3_lPKT2_lT1_lS7_lS8_lS4_lPT4_lS8_li
; %bb.0:
	s_load_b32 s33, s[0:1], 0x88
	s_lshr_b32 s6, ttmp7, 16
	s_wait_kmcnt 0x0
	s_cmp_ge_u32 s6, s33
	s_cbranch_scc1 .LBB276_41
; %bb.1:
	s_clause 0x8
	s_load_b64 s[20:21], s[0:1], 0x58
	s_load_b64 s[22:23], s[0:1], 0x8
	s_load_b32 s4, s[0:1], 0x0
	s_load_b32 s3, s[0:1], 0x78
	s_load_b128 s[8:11], s[0:1], 0x18
	s_load_b32 s5, s[0:1], 0x28
	s_load_b128 s[12:15], s[0:1], 0x38
	;; [unrolled: 2-line block ×3, first 2 shown]
	v_dual_mov_b32 v1, 0 :: v_dual_and_b32 v2, 31, v0
	v_lshrrev_b32_e32 v3, 2, v0
	v_mbcnt_lo_u32_b32 v15, -1, 0
	v_cmp_eq_u32_e64 s0, 0, v0
	s_delay_alu instid0(VALU_DEP_4)
	v_lshlrev_b32_e32 v16, 3, v2
	v_cmp_eq_u32_e64 s2, 0, v2
	v_cmp_gt_u32_e64 s1, 32, v0
	v_lshl_or_b32 v21, v15, 2, 64
	s_mov_b32 s7, 0
	s_wait_kmcnt 0x0
	v_cmp_neq_f64_e64 s30, s[20:21], 1.0
	v_cmp_neq_f64_e64 s31, s[22:23], 0
	v_cmp_eq_f64_e64 s35, s[22:23], 0
	v_cmp_neq_f64_e64 s36, s[20:21], 0
	s_ashr_i32 s24, s4, 31
	s_mul_i32 s26, s3, ttmp9
	s_lshr_b32 s3, s24, 22
	v_cmp_gt_i32_e32 vcc_lo, s4, v0
	s_add_co_i32 s3, s4, s3
	v_and_b32_e32 v17, 0xf8, v3
	s_and_b32 s24, s3, 0xfffffc00
	v_mul_lo_u32 v18, v0, s25
	v_or_b32_e32 v5, s24, v0
	v_cndmask_b32_e32 v4, 0, v0, vcc_lo
	s_mul_i32 s28, s5, ttmp9
	v_cmp_gt_i32_e64 s3, s24, v0
	s_lshl_b32 s34, s25, 10
	v_mul_lo_u32 v2, s25, v5
	v_lshlrev_b32_e32 v20, 3, v4
	v_cmp_gt_i32_e64 s4, s4, v5
	s_ashr_i32 s27, s26, 31
	s_ashr_i32 s29, s28, 31
	;; [unrolled: 1-line block ×3, first 2 shown]
	s_lshl_b64 s[10:11], s[10:11], 3
	s_lshl_b64 s[14:15], s[14:15], 3
	v_ashrrev_i32_e32 v3, 31, v2
	s_lshl_b64 s[18:19], s[18:19], 3
	s_lshl_b64 s[26:27], s[26:27], 3
	;; [unrolled: 1-line block ×3, first 2 shown]
	s_delay_alu instid0(VALU_DEP_1)
	v_lshlrev_b64_e32 v[3:4], 3, v[2:3]
	v_cndmask_b32_e64 v19, 0, 1, s31
	s_or_b32 s37, s31, s30
	s_wait_alu 0xfffe
	s_lshl_b64 s[30:31], s[24:25], 3
	s_branch .LBB276_4
.LBB276_2:                              ;   in Loop: Header=BB276_4 Depth=1
	s_wait_alu 0xfffe
	s_or_b32 exec_lo, exec_lo, s5
.LBB276_3:                              ;   in Loop: Header=BB276_4 Depth=1
	s_add_co_i32 s6, s6, 0x10000
	s_delay_alu instid0(SALU_CYCLE_1)
	s_cmp_lt_u32 s6, s33
	s_cbranch_scc0 .LBB276_41
.LBB276_4:                              ; =>This Loop Header: Depth=1
                                        ;     Child Loop BB276_30 Depth 2
	s_and_not1_b32 vcc_lo, exec_lo, s37
	s_wait_alu 0xfffe
	s_cbranch_vccnz .LBB276_3
; %bb.5:                                ;   in Loop: Header=BB276_4 Depth=1
	s_and_not1_b32 vcc_lo, exec_lo, s35
	s_wait_alu 0xfffe
	s_cbranch_vccnz .LBB276_7
; %bb.6:                                ;   in Loop: Header=BB276_4 Depth=1
	s_mov_b32 s5, 0
	s_branch .LBB276_8
.LBB276_7:                              ;   in Loop: Header=BB276_4 Depth=1
	s_mov_b32 s5, -1
.LBB276_8:                              ;   in Loop: Header=BB276_4 Depth=1
	s_wait_dscnt 0x0
	v_mov_b32_e32 v5, 0
	v_dual_mov_b32 v6, 0 :: v_dual_mov_b32 v7, 0
	v_mov_b32_e32 v8, 0
	s_wait_alu 0xfffe
	s_and_not1_b32 vcc_lo, exec_lo, s5
	s_wait_alu 0xfffe
	s_cbranch_vccnz .LBB276_10
; %bb.9:                                ;   in Loop: Header=BB276_4 Depth=1
	s_lshl_b64 s[38:39], s[6:7], 3
	s_delay_alu instid0(SALU_CYCLE_1)
	s_add_nc_u64 s[38:39], s[8:9], s[38:39]
	global_load_b64 v[7:8], v1, s[38:39]
	s_wait_loadcnt 0x0
	v_add_co_u32 v7, vcc_lo, v7, s10
	s_wait_alu 0xfffd
	v_add_co_ci_u32_e64 v8, null, s11, v8, vcc_lo
.LBB276_10:                             ;   in Loop: Header=BB276_4 Depth=1
	v_cmp_ne_u32_e32 vcc_lo, 1, v19
	s_cbranch_vccnz .LBB276_12
; %bb.11:                               ;   in Loop: Header=BB276_4 Depth=1
	s_lshl_b64 s[38:39], s[6:7], 3
	s_delay_alu instid0(SALU_CYCLE_1)
	s_add_nc_u64 s[38:39], s[12:13], s[38:39]
	global_load_b64 v[5:6], v1, s[38:39]
	s_wait_loadcnt 0x0
	v_add_co_u32 v5, vcc_lo, v5, s14
	s_wait_alu 0xfffd
	v_add_co_ci_u32_e64 v6, null, s15, v6, vcc_lo
.LBB276_12:                             ;   in Loop: Header=BB276_4 Depth=1
	s_lshl_b64 s[38:39], s[6:7], 3
	s_delay_alu instid0(SALU_CYCLE_1)
	s_add_nc_u64 s[38:39], s[16:17], s[38:39]
	global_load_b64 v[9:10], v1, s[38:39]
	s_wait_loadcnt 0x0
	v_add_co_u32 v22, vcc_lo, v9, s18
	s_wait_alu 0xfffd
	v_add_co_ci_u32_e64 v23, null, s19, v10, vcc_lo
	s_and_not1_b32 vcc_lo, exec_lo, s35
	s_wait_alu 0xfffe
	s_cbranch_vccnz .LBB276_16
; %bb.13:                               ;   in Loop: Header=BB276_4 Depth=1
	s_mov_b32 s5, 0
	s_mov_b32 s25, 0
                                        ; implicit-def: $vgpr9_vgpr10
	s_and_saveexec_b32 s38, s0
	s_cbranch_execz .LBB276_17
; %bb.14:                               ;   in Loop: Header=BB276_4 Depth=1
	s_and_not1_b32 vcc_lo, exec_lo, s36
	s_wait_alu 0xfffe
	s_cbranch_vccnz .LBB276_18
; %bb.15:                               ;   in Loop: Header=BB276_4 Depth=1
	v_add_co_u32 v9, vcc_lo, v22, s26
	s_wait_alu 0xfffd
	v_add_co_ci_u32_e64 v10, null, s27, v23, vcc_lo
	flat_load_b64 v[9:10], v[9:10]
	s_wait_loadcnt_dscnt 0x0
	v_mul_f64_e32 v[9:10], s[20:21], v[9:10]
	s_branch .LBB276_19
.LBB276_16:                             ;   in Loop: Header=BB276_4 Depth=1
	s_mov_b32 s25, 0
                                        ; implicit-def: $vgpr9_vgpr10
	s_cbranch_execnz .LBB276_20
	s_branch .LBB276_39
.LBB276_17:                             ;   in Loop: Header=BB276_4 Depth=1
	s_or_b32 exec_lo, exec_lo, s38
	s_wait_alu 0xfffe
	s_and_b32 vcc_lo, exec_lo, s5
	s_wait_alu 0xfffe
	s_cbranch_vccnz .LBB276_20
	s_branch .LBB276_39
.LBB276_18:                             ;   in Loop: Header=BB276_4 Depth=1
	v_mov_b32_e32 v9, 0
	v_mov_b32_e32 v10, 0
.LBB276_19:                             ;   in Loop: Header=BB276_4 Depth=1
	s_mov_b32 s25, exec_lo
	s_or_b32 exec_lo, exec_lo, s38
	s_delay_alu instid0(SALU_CYCLE_1)
	s_and_b32 vcc_lo, exec_lo, s5
	s_wait_alu 0xfffe
	s_cbranch_vccz .LBB276_39
.LBB276_20:                             ;   in Loop: Header=BB276_4 Depth=1
	v_add_co_u32 v2, vcc_lo, v7, v20
	s_wait_alu 0xfffd
	v_add_co_ci_u32_e64 v10, null, 0, v8, vcc_lo
	v_mov_b32_e32 v7, 0
	s_delay_alu instid0(VALU_DEP_3)
	v_add_co_u32 v9, vcc_lo, v2, s28
	v_mov_b32_e32 v8, 0
	s_wait_alu 0xfffd
	v_add_co_ci_u32_e64 v10, null, s29, v10, vcc_lo
	s_and_saveexec_b32 s38, s3
	s_cbranch_execnz .LBB276_29
; %bb.21:                               ;   in Loop: Header=BB276_4 Depth=1
	s_or_b32 exec_lo, exec_lo, s38
	s_and_saveexec_b32 s5, s4
	s_cbranch_execnz .LBB276_32
.LBB276_22:                             ;   in Loop: Header=BB276_4 Depth=1
	s_wait_alu 0xfffe
	s_or_b32 exec_lo, exec_lo, s5
	s_and_saveexec_b32 s5, s1
.LBB276_23:                             ;   in Loop: Header=BB276_4 Depth=1
	v_mov_b32_e32 v2, v1
	ds_store_b64 v16, v[1:2]
.LBB276_24:                             ;   in Loop: Header=BB276_4 Depth=1
	s_wait_alu 0xfffe
	s_or_b32 exec_lo, exec_lo, s5
	ds_bpermute_b32 v5, v21, v7
	ds_bpermute_b32 v6, v21, v8
	v_cmp_gt_u32_e32 vcc_lo, 24, v15
	s_wait_dscnt 0x0
	s_barrier_signal -1
	s_barrier_wait -1
	global_inv scope:SCOPE_SE
	s_wait_alu 0xfffd
	v_cndmask_b32_e64 v2, 0, 8, vcc_lo
	v_cmp_gt_u32_e32 vcc_lo, 28, v15
	s_delay_alu instid0(VALU_DEP_2)
	v_add_lshl_u32 v2, v2, v15, 2
	v_add_f64_e32 v[5:6], v[7:8], v[5:6]
	ds_bpermute_b32 v7, v2, v5
	ds_bpermute_b32 v8, v2, v6
	s_wait_dscnt 0x0
	v_add_f64_e32 v[5:6], v[5:6], v[7:8]
	s_wait_alu 0xfffd
	v_cndmask_b32_e64 v7, 0, 4, vcc_lo
	v_cmp_gt_u32_e32 vcc_lo, 30, v15
	s_delay_alu instid0(VALU_DEP_2)
	v_add_lshl_u32 v9, v7, v15, 2
	ds_bpermute_b32 v7, v9, v5
	ds_bpermute_b32 v8, v9, v6
	s_wait_dscnt 0x0
	v_add_f64_e32 v[5:6], v[5:6], v[7:8]
	s_wait_alu 0xfffd
	v_cndmask_b32_e64 v7, 0, 2, vcc_lo
	v_cmp_ne_u32_e32 vcc_lo, 31, v15
	s_delay_alu instid0(VALU_DEP_2)
	v_add_lshl_u32 v10, v7, v15, 2
	ds_bpermute_b32 v7, v10, v5
	ds_bpermute_b32 v8, v10, v6
	s_wait_dscnt 0x0
	v_add_f64_e32 v[5:6], v[5:6], v[7:8]
	s_wait_alu 0xfffd
	v_add_co_ci_u32_e64 v7, null, 0, v15, vcc_lo
	s_delay_alu instid0(VALU_DEP_1)
	v_lshlrev_b32_e32 v11, 2, v7
	ds_bpermute_b32 v7, v11, v5
	ds_bpermute_b32 v8, v11, v6
	s_and_saveexec_b32 s5, s2
	s_cbranch_execz .LBB276_26
; %bb.25:                               ;   in Loop: Header=BB276_4 Depth=1
	s_wait_dscnt 0x0
	v_add_f64_e32 v[5:6], v[5:6], v[7:8]
	ds_store_b64 v17, v[5:6]
.LBB276_26:                             ;   in Loop: Header=BB276_4 Depth=1
	s_wait_alu 0xfffe
	s_or_b32 exec_lo, exec_lo, s5
	v_mov_b32_e32 v5, 0
	v_mov_b32_e32 v6, 0
	s_wait_loadcnt_dscnt 0x0
	s_barrier_signal -1
	s_barrier_wait -1
	global_inv scope:SCOPE_SE
	s_and_saveexec_b32 s5, s1
	s_cbranch_execnz .LBB276_33
; %bb.27:                               ;   in Loop: Header=BB276_4 Depth=1
	s_wait_alu 0xfffe
	s_or_b32 exec_lo, exec_lo, s5
	s_and_saveexec_b32 s5, s1
	s_cbranch_execnz .LBB276_34
.LBB276_28:                             ;   in Loop: Header=BB276_4 Depth=1
	s_wait_alu 0xfffe
	s_or_b32 exec_lo, exec_lo, s5
                                        ; implicit-def: $vgpr9_vgpr10
	s_and_saveexec_b32 s5, s0
	s_cbranch_execnz .LBB276_35
	s_branch .LBB276_38
.LBB276_29:                             ;   in Loop: Header=BB276_4 Depth=1
	v_dual_mov_b32 v7, 0 :: v_dual_mov_b32 v12, v10
	v_dual_mov_b32 v8, 0 :: v_dual_mov_b32 v11, v9
	;; [unrolled: 1-line block ×3, first 2 shown]
	s_mov_b32 s39, 0
.LBB276_30:                             ;   Parent Loop BB276_4 Depth=1
                                        ; =>  This Inner Loop Header: Depth=2
	s_delay_alu instid0(VALU_DEP_1) | instskip(NEXT) | instid1(VALU_DEP_2)
	v_ashrrev_i32_e32 v14, 31, v13
	v_add_nc_u32_e32 v2, 0x400, v2
	s_delay_alu instid0(VALU_DEP_2) | instskip(NEXT) | instid1(VALU_DEP_2)
	v_lshlrev_b64_e32 v[24:25], 3, v[13:14]
	v_cmp_le_i32_e64 s5, s24, v2
	v_add_nc_u32_e32 v13, s34, v13
	s_or_b32 s39, s5, s39
	v_add_co_u32 v24, vcc_lo, v5, v24
	s_wait_alu 0xfffd
	v_add_co_ci_u32_e64 v25, null, v6, v25, vcc_lo
	flat_load_b64 v[26:27], v[11:12]
	flat_load_b64 v[24:25], v[24:25]
	v_add_co_u32 v11, vcc_lo, 0x2000, v11
	s_wait_alu 0xfffd
	v_add_co_ci_u32_e64 v12, null, 0, v12, vcc_lo
	s_wait_loadcnt_dscnt 0x0
	v_fma_f64 v[7:8], v[26:27], v[24:25], v[7:8]
	s_and_not1_b32 exec_lo, exec_lo, s39
	s_cbranch_execnz .LBB276_30
; %bb.31:                               ;   in Loop: Header=BB276_4 Depth=1
	s_or_b32 exec_lo, exec_lo, s39
	s_delay_alu instid0(SALU_CYCLE_1)
	s_or_b32 exec_lo, exec_lo, s38
	s_and_saveexec_b32 s5, s4
	s_cbranch_execz .LBB276_22
.LBB276_32:                             ;   in Loop: Header=BB276_4 Depth=1
	v_add_co_u32 v9, vcc_lo, v9, s30
	s_wait_alu 0xfffd
	v_add_co_ci_u32_e64 v10, null, s31, v10, vcc_lo
	v_add_co_u32 v5, vcc_lo, v5, v3
	s_wait_alu 0xfffd
	v_add_co_ci_u32_e64 v6, null, v6, v4, vcc_lo
	flat_load_b64 v[9:10], v[9:10]
	flat_load_b64 v[5:6], v[5:6]
	s_wait_loadcnt_dscnt 0x0
	v_fma_f64 v[7:8], v[9:10], v[5:6], v[7:8]
	s_wait_alu 0xfffe
	s_or_b32 exec_lo, exec_lo, s5
	s_and_saveexec_b32 s5, s1
	s_cbranch_execnz .LBB276_23
	s_branch .LBB276_24
.LBB276_33:                             ;   in Loop: Header=BB276_4 Depth=1
	ds_load_b64 v[5:6], v16
	s_wait_alu 0xfffe
	s_or_b32 exec_lo, exec_lo, s5
	s_and_saveexec_b32 s5, s1
	s_cbranch_execz .LBB276_28
.LBB276_34:                             ;   in Loop: Header=BB276_4 Depth=1
	s_wait_dscnt 0x0
	ds_bpermute_b32 v7, v21, v5
	ds_bpermute_b32 v8, v21, v6
	s_wait_dscnt 0x0
	v_add_f64_e32 v[5:6], v[5:6], v[7:8]
	ds_bpermute_b32 v7, v2, v5
	ds_bpermute_b32 v8, v2, v6
	s_wait_dscnt 0x0
	v_add_f64_e32 v[5:6], v[5:6], v[7:8]
	;; [unrolled: 4-line block ×5, first 2 shown]
	s_wait_alu 0xfffe
	s_or_b32 exec_lo, exec_lo, s5
                                        ; implicit-def: $vgpr9_vgpr10
	s_and_saveexec_b32 s5, s0
	s_cbranch_execz .LBB276_38
.LBB276_35:                             ;   in Loop: Header=BB276_4 Depth=1
	s_wait_dscnt 0x0
	s_delay_alu instid0(VALU_DEP_1)
	v_mul_f64_e32 v[9:10], s[22:23], v[5:6]
	s_and_not1_b32 vcc_lo, exec_lo, s36
	s_wait_alu 0xfffe
	s_cbranch_vccnz .LBB276_37
; %bb.36:                               ;   in Loop: Header=BB276_4 Depth=1
	v_add_co_u32 v5, vcc_lo, v22, s26
	s_wait_alu 0xfffd
	v_add_co_ci_u32_e64 v6, null, s27, v23, vcc_lo
	flat_load_b64 v[5:6], v[5:6]
	s_wait_loadcnt_dscnt 0x0
	v_fma_f64 v[9:10], s[20:21], v[5:6], v[9:10]
.LBB276_37:                             ;   in Loop: Header=BB276_4 Depth=1
	s_or_b32 s25, s25, exec_lo
.LBB276_38:                             ;   in Loop: Header=BB276_4 Depth=1
	s_wait_alu 0xfffe
	s_or_b32 exec_lo, exec_lo, s5
.LBB276_39:                             ;   in Loop: Header=BB276_4 Depth=1
	s_wait_alu 0xfffe
	s_and_saveexec_b32 s5, s25
	s_cbranch_execz .LBB276_2
; %bb.40:                               ;   in Loop: Header=BB276_4 Depth=1
	s_wait_dscnt 0x0
	v_add_co_u32 v5, vcc_lo, v22, s26
	s_wait_alu 0xfffd
	v_add_co_ci_u32_e64 v6, null, s27, v23, vcc_lo
	flat_store_b64 v[5:6], v[9:10]
	s_branch .LBB276_2
.LBB276_41:
	s_endpgm
	.section	.rodata,"a",@progbits
	.p2align	6, 0x0
	.amdhsa_kernel _ZL32rocblas_gemvt_warp_reduce_kernelILb0ELi1024EiPKddKPdEviiT3_lPKT2_lT1_lS7_lS8_lS4_lPT4_lS8_li
		.amdhsa_group_segment_fixed_size 256
		.amdhsa_private_segment_fixed_size 0
		.amdhsa_kernarg_size 140
		.amdhsa_user_sgpr_count 2
		.amdhsa_user_sgpr_dispatch_ptr 0
		.amdhsa_user_sgpr_queue_ptr 0
		.amdhsa_user_sgpr_kernarg_segment_ptr 1
		.amdhsa_user_sgpr_dispatch_id 0
		.amdhsa_user_sgpr_private_segment_size 0
		.amdhsa_wavefront_size32 1
		.amdhsa_uses_dynamic_stack 0
		.amdhsa_enable_private_segment 0
		.amdhsa_system_sgpr_workgroup_id_x 1
		.amdhsa_system_sgpr_workgroup_id_y 0
		.amdhsa_system_sgpr_workgroup_id_z 1
		.amdhsa_system_sgpr_workgroup_info 0
		.amdhsa_system_vgpr_workitem_id 0
		.amdhsa_next_free_vgpr 28
		.amdhsa_next_free_sgpr 40
		.amdhsa_reserve_vcc 1
		.amdhsa_float_round_mode_32 0
		.amdhsa_float_round_mode_16_64 0
		.amdhsa_float_denorm_mode_32 3
		.amdhsa_float_denorm_mode_16_64 3
		.amdhsa_fp16_overflow 0
		.amdhsa_workgroup_processor_mode 1
		.amdhsa_memory_ordered 1
		.amdhsa_forward_progress 1
		.amdhsa_inst_pref_size 14
		.amdhsa_round_robin_scheduling 0
		.amdhsa_exception_fp_ieee_invalid_op 0
		.amdhsa_exception_fp_denorm_src 0
		.amdhsa_exception_fp_ieee_div_zero 0
		.amdhsa_exception_fp_ieee_overflow 0
		.amdhsa_exception_fp_ieee_underflow 0
		.amdhsa_exception_fp_ieee_inexact 0
		.amdhsa_exception_int_div_zero 0
	.end_amdhsa_kernel
	.section	.text._ZL32rocblas_gemvt_warp_reduce_kernelILb0ELi1024EiPKddKPdEviiT3_lPKT2_lT1_lS7_lS8_lS4_lPT4_lS8_li,"axG",@progbits,_ZL32rocblas_gemvt_warp_reduce_kernelILb0ELi1024EiPKddKPdEviiT3_lPKT2_lT1_lS7_lS8_lS4_lPT4_lS8_li,comdat
.Lfunc_end276:
	.size	_ZL32rocblas_gemvt_warp_reduce_kernelILb0ELi1024EiPKddKPdEviiT3_lPKT2_lT1_lS7_lS8_lS4_lPT4_lS8_li, .Lfunc_end276-_ZL32rocblas_gemvt_warp_reduce_kernelILb0ELi1024EiPKddKPdEviiT3_lPKT2_lT1_lS7_lS8_lS4_lPT4_lS8_li
                                        ; -- End function
	.set _ZL32rocblas_gemvt_warp_reduce_kernelILb0ELi1024EiPKddKPdEviiT3_lPKT2_lT1_lS7_lS8_lS4_lPT4_lS8_li.num_vgpr, 28
	.set _ZL32rocblas_gemvt_warp_reduce_kernelILb0ELi1024EiPKddKPdEviiT3_lPKT2_lT1_lS7_lS8_lS4_lPT4_lS8_li.num_agpr, 0
	.set _ZL32rocblas_gemvt_warp_reduce_kernelILb0ELi1024EiPKddKPdEviiT3_lPKT2_lT1_lS7_lS8_lS4_lPT4_lS8_li.numbered_sgpr, 40
	.set _ZL32rocblas_gemvt_warp_reduce_kernelILb0ELi1024EiPKddKPdEviiT3_lPKT2_lT1_lS7_lS8_lS4_lPT4_lS8_li.num_named_barrier, 0
	.set _ZL32rocblas_gemvt_warp_reduce_kernelILb0ELi1024EiPKddKPdEviiT3_lPKT2_lT1_lS7_lS8_lS4_lPT4_lS8_li.private_seg_size, 0
	.set _ZL32rocblas_gemvt_warp_reduce_kernelILb0ELi1024EiPKddKPdEviiT3_lPKT2_lT1_lS7_lS8_lS4_lPT4_lS8_li.uses_vcc, 1
	.set _ZL32rocblas_gemvt_warp_reduce_kernelILb0ELi1024EiPKddKPdEviiT3_lPKT2_lT1_lS7_lS8_lS4_lPT4_lS8_li.uses_flat_scratch, 0
	.set _ZL32rocblas_gemvt_warp_reduce_kernelILb0ELi1024EiPKddKPdEviiT3_lPKT2_lT1_lS7_lS8_lS4_lPT4_lS8_li.has_dyn_sized_stack, 0
	.set _ZL32rocblas_gemvt_warp_reduce_kernelILb0ELi1024EiPKddKPdEviiT3_lPKT2_lT1_lS7_lS8_lS4_lPT4_lS8_li.has_recursion, 0
	.set _ZL32rocblas_gemvt_warp_reduce_kernelILb0ELi1024EiPKddKPdEviiT3_lPKT2_lT1_lS7_lS8_lS4_lPT4_lS8_li.has_indirect_call, 0
	.section	.AMDGPU.csdata,"",@progbits
; Kernel info:
; codeLenInByte = 1784
; TotalNumSgprs: 42
; NumVgprs: 28
; ScratchSize: 0
; MemoryBound: 1
; FloatMode: 240
; IeeeMode: 1
; LDSByteSize: 256 bytes/workgroup (compile time only)
; SGPRBlocks: 0
; VGPRBlocks: 3
; NumSGPRsForWavesPerEU: 42
; NumVGPRsForWavesPerEU: 28
; Occupancy: 16
; WaveLimiterHint : 1
; COMPUTE_PGM_RSRC2:SCRATCH_EN: 0
; COMPUTE_PGM_RSRC2:USER_SGPR: 2
; COMPUTE_PGM_RSRC2:TRAP_HANDLER: 0
; COMPUTE_PGM_RSRC2:TGID_X_EN: 1
; COMPUTE_PGM_RSRC2:TGID_Y_EN: 0
; COMPUTE_PGM_RSRC2:TGID_Z_EN: 1
; COMPUTE_PGM_RSRC2:TIDIG_COMP_CNT: 0
	.section	.text._ZL32rocblas_gemvt_warp_reduce_kernelILb0ELi1024ElPKddKPdEviiT3_lPKT2_lT1_lS7_lS8_lS4_lPT4_lS8_li,"axG",@progbits,_ZL32rocblas_gemvt_warp_reduce_kernelILb0ELi1024ElPKddKPdEviiT3_lPKT2_lT1_lS7_lS8_lS4_lPT4_lS8_li,comdat
	.globl	_ZL32rocblas_gemvt_warp_reduce_kernelILb0ELi1024ElPKddKPdEviiT3_lPKT2_lT1_lS7_lS8_lS4_lPT4_lS8_li ; -- Begin function _ZL32rocblas_gemvt_warp_reduce_kernelILb0ELi1024ElPKddKPdEviiT3_lPKT2_lT1_lS7_lS8_lS4_lPT4_lS8_li
	.p2align	8
	.type	_ZL32rocblas_gemvt_warp_reduce_kernelILb0ELi1024ElPKddKPdEviiT3_lPKT2_lT1_lS7_lS8_lS4_lPT4_lS8_li,@function
_ZL32rocblas_gemvt_warp_reduce_kernelILb0ELi1024ElPKddKPdEviiT3_lPKT2_lT1_lS7_lS8_lS4_lPT4_lS8_li: ; @_ZL32rocblas_gemvt_warp_reduce_kernelILb0ELi1024ElPKddKPdEviiT3_lPKT2_lT1_lS7_lS8_lS4_lPT4_lS8_li
; %bb.0:
	s_load_b32 s33, s[0:1], 0x88
	s_lshr_b32 s6, ttmp7, 16
	s_wait_kmcnt 0x0
	s_cmp_ge_u32 s6, s33
	s_cbranch_scc1 .LBB277_41
; %bb.1:
	s_clause 0x8
	s_load_b64 s[20:21], s[0:1], 0x58
	s_load_b64 s[22:23], s[0:1], 0x8
	;; [unrolled: 1-line block ×3, first 2 shown]
	s_load_b32 s38, s[0:1], 0x0
	s_load_b128 s[8:11], s[0:1], 0x18
	s_load_b64 s[26:27], s[0:1], 0x28
	s_load_b128 s[12:15], s[0:1], 0x38
	s_load_b64 s[28:29], s[0:1], 0x48
	s_load_b128 s[16:19], s[0:1], 0x68
	v_dual_mov_b32 v1, 0 :: v_dual_and_b32 v2, 31, v0
	v_lshrrev_b32_e32 v3, 2, v0
	s_mov_b32 s4, ttmp9
	s_ashr_i32 s5, ttmp9, 31
	v_mbcnt_lo_u32_b32 v17, -1, 0
	v_cmp_eq_u32_e64 s2, 0, v2
	v_and_b32_e32 v19, 0xf8, v3
	v_cmp_eq_u32_e64 s0, 0, v0
	v_cmp_gt_u32_e64 s1, 32, v0
	v_lshl_or_b32 v22, v17, 2, 64
	s_wait_kmcnt 0x0
	v_cmp_neq_f64_e64 s39, s[20:21], 1.0
	v_cmp_neq_f64_e64 s40, s[22:23], 0
	v_cmp_eq_f64_e64 s36, s[22:23], 0
	v_cmp_neq_f64_e64 s37, s[20:21], 0
	s_ashr_i32 s3, s38, 31
	v_cmp_gt_i32_e32 vcc_lo, s38, v0
	s_lshr_b32 s3, s3, 22
	v_lshlrev_b32_e32 v18, 3, v2
	v_mad_co_u64_u32 v[2:3], null, s28, v0, 0
	s_add_co_i32 s3, s38, s3
	s_mul_u64 s[34:35], s[26:27], s[4:5]
	s_and_b32 s26, s3, 0xfffffc00
	s_mul_u64 s[30:31], s[24:25], s[4:5]
	v_or_b32_e32 v8, s26, v0
	s_ashr_i32 s27, s26, 31
	v_mad_co_u64_u32 v[3:4], null, s29, v0, v[3:4]
	s_wait_alu 0xfffe
	s_mul_i32 s4, s28, s27
	v_mul_lo_u32 v4, s29, v8
	v_mad_co_u64_u32 v[5:6], null, s28, v8, 0
	v_cndmask_b32_e32 v7, 0, v0, vcc_lo
	v_cmp_gt_i32_e64 s3, s26, v0
	s_mov_b32 s7, 0
	s_lshl_b64 s[24:25], s[28:29], 13
	s_lshl_b64 s[10:11], s[10:11], 3
	v_lshlrev_b32_e32 v21, 3, v7
	v_add3_u32 v6, v6, s4, v4
	v_lshlrev_b64_e32 v[3:4], 3, v[2:3]
	v_cmp_gt_i32_e64 s4, s38, v8
	s_lshl_b64 s[14:15], s[14:15], 3
	s_lshl_b64 s[18:19], s[18:19], 3
	v_lshlrev_b64_e32 v[5:6], 3, v[5:6]
	s_lshl_b64 s[28:29], s[30:31], 3
	s_lshl_b64 s[30:31], s[34:35], 3
	;; [unrolled: 1-line block ×3, first 2 shown]
	v_cndmask_b32_e64 v20, 0, 1, s40
	s_or_b32 s38, s40, s39
	s_branch .LBB277_4
.LBB277_2:                              ;   in Loop: Header=BB277_4 Depth=1
	s_wait_alu 0xfffe
	s_or_b32 exec_lo, exec_lo, s5
.LBB277_3:                              ;   in Loop: Header=BB277_4 Depth=1
	s_add_co_i32 s6, s6, 0x10000
	s_delay_alu instid0(SALU_CYCLE_1)
	s_cmp_lt_u32 s6, s33
	s_cbranch_scc0 .LBB277_41
.LBB277_4:                              ; =>This Loop Header: Depth=1
                                        ;     Child Loop BB277_30 Depth 2
	s_wait_alu 0xfffe
	s_and_not1_b32 vcc_lo, exec_lo, s38
	s_wait_alu 0xfffe
	s_cbranch_vccnz .LBB277_3
; %bb.5:                                ;   in Loop: Header=BB277_4 Depth=1
	s_and_not1_b32 vcc_lo, exec_lo, s36
	s_wait_alu 0xfffe
	s_cbranch_vccnz .LBB277_7
; %bb.6:                                ;   in Loop: Header=BB277_4 Depth=1
	s_mov_b32 s5, 0
	s_branch .LBB277_8
.LBB277_7:                              ;   in Loop: Header=BB277_4 Depth=1
	s_mov_b32 s5, -1
.LBB277_8:                              ;   in Loop: Header=BB277_4 Depth=1
	s_wait_dscnt 0x0
	v_mov_b32_e32 v7, 0
	v_dual_mov_b32 v8, 0 :: v_dual_mov_b32 v9, 0
	v_mov_b32_e32 v10, 0
	s_wait_alu 0xfffe
	s_and_not1_b32 vcc_lo, exec_lo, s5
	s_wait_alu 0xfffe
	s_cbranch_vccnz .LBB277_10
; %bb.9:                                ;   in Loop: Header=BB277_4 Depth=1
	s_lshl_b64 s[40:41], s[6:7], 3
	s_wait_alu 0xfffe
	s_add_nc_u64 s[40:41], s[8:9], s[40:41]
	global_load_b64 v[9:10], v1, s[40:41]
	s_wait_loadcnt 0x0
	v_add_co_u32 v9, vcc_lo, v9, s10
	s_wait_alu 0xfffd
	v_add_co_ci_u32_e64 v10, null, s11, v10, vcc_lo
.LBB277_10:                             ;   in Loop: Header=BB277_4 Depth=1
	v_cmp_ne_u32_e32 vcc_lo, 1, v20
	s_cbranch_vccnz .LBB277_12
; %bb.11:                               ;   in Loop: Header=BB277_4 Depth=1
	s_lshl_b64 s[40:41], s[6:7], 3
	s_wait_alu 0xfffe
	s_add_nc_u64 s[40:41], s[12:13], s[40:41]
	global_load_b64 v[7:8], v1, s[40:41]
	s_wait_loadcnt 0x0
	v_add_co_u32 v7, vcc_lo, v7, s14
	s_wait_alu 0xfffd
	v_add_co_ci_u32_e64 v8, null, s15, v8, vcc_lo
.LBB277_12:                             ;   in Loop: Header=BB277_4 Depth=1
	s_lshl_b64 s[40:41], s[6:7], 3
	s_wait_alu 0xfffe
	s_add_nc_u64 s[40:41], s[16:17], s[40:41]
	global_load_b64 v[11:12], v1, s[40:41]
	s_wait_loadcnt 0x0
	v_add_co_u32 v23, vcc_lo, v11, s18
	s_wait_alu 0xfffd
	v_add_co_ci_u32_e64 v24, null, s19, v12, vcc_lo
	s_and_not1_b32 vcc_lo, exec_lo, s36
	s_wait_alu 0xfffe
	s_cbranch_vccnz .LBB277_16
; %bb.13:                               ;   in Loop: Header=BB277_4 Depth=1
	s_mov_b32 s5, 0
	s_mov_b32 s27, 0
                                        ; implicit-def: $vgpr11_vgpr12
	s_and_saveexec_b32 s39, s0
	s_cbranch_execz .LBB277_17
; %bb.14:                               ;   in Loop: Header=BB277_4 Depth=1
	s_and_not1_b32 vcc_lo, exec_lo, s37
	s_wait_alu 0xfffe
	s_cbranch_vccnz .LBB277_18
; %bb.15:                               ;   in Loop: Header=BB277_4 Depth=1
	v_add_co_u32 v11, vcc_lo, v23, s28
	s_wait_alu 0xfffd
	v_add_co_ci_u32_e64 v12, null, s29, v24, vcc_lo
	flat_load_b64 v[11:12], v[11:12]
	s_wait_loadcnt_dscnt 0x0
	v_mul_f64_e32 v[11:12], s[20:21], v[11:12]
	s_branch .LBB277_19
.LBB277_16:                             ;   in Loop: Header=BB277_4 Depth=1
	s_mov_b32 s27, 0
                                        ; implicit-def: $vgpr11_vgpr12
	s_cbranch_execnz .LBB277_20
	s_branch .LBB277_39
.LBB277_17:                             ;   in Loop: Header=BB277_4 Depth=1
	s_wait_alu 0xfffe
	s_or_b32 exec_lo, exec_lo, s39
	s_delay_alu instid0(SALU_CYCLE_1)
	s_and_b32 vcc_lo, exec_lo, s5
	s_wait_alu 0xfffe
	s_cbranch_vccnz .LBB277_20
	s_branch .LBB277_39
.LBB277_18:                             ;   in Loop: Header=BB277_4 Depth=1
	v_mov_b32_e32 v11, 0
	v_mov_b32_e32 v12, 0
.LBB277_19:                             ;   in Loop: Header=BB277_4 Depth=1
	s_mov_b32 s27, exec_lo
	s_or_b32 exec_lo, exec_lo, s39
	s_delay_alu instid0(SALU_CYCLE_1)
	s_and_b32 vcc_lo, exec_lo, s5
	s_wait_alu 0xfffe
	s_cbranch_vccz .LBB277_39
.LBB277_20:                             ;   in Loop: Header=BB277_4 Depth=1
	v_add_co_u32 v2, vcc_lo, v9, v21
	s_wait_alu 0xfffd
	v_add_co_ci_u32_e64 v12, null, 0, v10, vcc_lo
	v_mov_b32_e32 v9, 0
	s_delay_alu instid0(VALU_DEP_3)
	v_add_co_u32 v11, vcc_lo, v2, s30
	v_mov_b32_e32 v10, 0
	s_wait_alu 0xfffd
	v_add_co_ci_u32_e64 v12, null, s31, v12, vcc_lo
	s_and_saveexec_b32 s39, s3
	s_cbranch_execnz .LBB277_29
; %bb.21:                               ;   in Loop: Header=BB277_4 Depth=1
	s_wait_alu 0xfffe
	s_or_b32 exec_lo, exec_lo, s39
	s_and_saveexec_b32 s5, s4
	s_cbranch_execnz .LBB277_32
.LBB277_22:                             ;   in Loop: Header=BB277_4 Depth=1
	s_wait_alu 0xfffe
	s_or_b32 exec_lo, exec_lo, s5
	s_and_saveexec_b32 s5, s1
.LBB277_23:                             ;   in Loop: Header=BB277_4 Depth=1
	v_mov_b32_e32 v2, v1
	ds_store_b64 v18, v[1:2]
.LBB277_24:                             ;   in Loop: Header=BB277_4 Depth=1
	s_wait_alu 0xfffe
	s_or_b32 exec_lo, exec_lo, s5
	ds_bpermute_b32 v7, v22, v9
	ds_bpermute_b32 v8, v22, v10
	v_cmp_gt_u32_e32 vcc_lo, 24, v17
	s_wait_dscnt 0x0
	s_barrier_signal -1
	s_barrier_wait -1
	global_inv scope:SCOPE_SE
	s_wait_alu 0xfffd
	v_cndmask_b32_e64 v2, 0, 8, vcc_lo
	v_cmp_gt_u32_e32 vcc_lo, 28, v17
	s_delay_alu instid0(VALU_DEP_2)
	v_add_lshl_u32 v2, v2, v17, 2
	v_add_f64_e32 v[7:8], v[9:10], v[7:8]
	ds_bpermute_b32 v9, v2, v7
	ds_bpermute_b32 v10, v2, v8
	s_wait_dscnt 0x0
	v_add_f64_e32 v[7:8], v[7:8], v[9:10]
	s_wait_alu 0xfffd
	v_cndmask_b32_e64 v9, 0, 4, vcc_lo
	v_cmp_gt_u32_e32 vcc_lo, 30, v17
	s_delay_alu instid0(VALU_DEP_2)
	v_add_lshl_u32 v11, v9, v17, 2
	ds_bpermute_b32 v9, v11, v7
	ds_bpermute_b32 v10, v11, v8
	s_wait_dscnt 0x0
	v_add_f64_e32 v[7:8], v[7:8], v[9:10]
	s_wait_alu 0xfffd
	v_cndmask_b32_e64 v9, 0, 2, vcc_lo
	v_cmp_ne_u32_e32 vcc_lo, 31, v17
	s_delay_alu instid0(VALU_DEP_2)
	v_add_lshl_u32 v12, v9, v17, 2
	ds_bpermute_b32 v9, v12, v7
	ds_bpermute_b32 v10, v12, v8
	s_wait_dscnt 0x0
	v_add_f64_e32 v[7:8], v[7:8], v[9:10]
	s_wait_alu 0xfffd
	v_add_co_ci_u32_e64 v9, null, 0, v17, vcc_lo
	s_delay_alu instid0(VALU_DEP_1)
	v_lshlrev_b32_e32 v13, 2, v9
	ds_bpermute_b32 v9, v13, v7
	ds_bpermute_b32 v10, v13, v8
	s_and_saveexec_b32 s5, s2
	s_cbranch_execz .LBB277_26
; %bb.25:                               ;   in Loop: Header=BB277_4 Depth=1
	s_wait_dscnt 0x0
	v_add_f64_e32 v[7:8], v[7:8], v[9:10]
	ds_store_b64 v19, v[7:8]
.LBB277_26:                             ;   in Loop: Header=BB277_4 Depth=1
	s_wait_alu 0xfffe
	s_or_b32 exec_lo, exec_lo, s5
	v_mov_b32_e32 v7, 0
	v_mov_b32_e32 v8, 0
	s_wait_loadcnt_dscnt 0x0
	s_barrier_signal -1
	s_barrier_wait -1
	global_inv scope:SCOPE_SE
	s_and_saveexec_b32 s5, s1
	s_cbranch_execnz .LBB277_33
; %bb.27:                               ;   in Loop: Header=BB277_4 Depth=1
	s_wait_alu 0xfffe
	s_or_b32 exec_lo, exec_lo, s5
	s_and_saveexec_b32 s5, s1
	s_cbranch_execnz .LBB277_34
.LBB277_28:                             ;   in Loop: Header=BB277_4 Depth=1
	s_wait_alu 0xfffe
	s_or_b32 exec_lo, exec_lo, s5
                                        ; implicit-def: $vgpr11_vgpr12
	s_and_saveexec_b32 s5, s0
	s_cbranch_execnz .LBB277_35
	s_branch .LBB277_38
.LBB277_29:                             ;   in Loop: Header=BB277_4 Depth=1
	v_add_co_u32 v13, vcc_lo, v7, v3
	v_dual_mov_b32 v9, 0 :: v_dual_mov_b32 v16, v12
	s_wait_alu 0xfffd
	v_add_co_ci_u32_e64 v14, null, v8, v4, vcc_lo
	v_dual_mov_b32 v10, 0 :: v_dual_mov_b32 v15, v11
	v_mov_b32_e32 v2, v0
	s_mov_b32 s40, 0
.LBB277_30:                             ;   Parent Loop BB277_4 Depth=1
                                        ; =>  This Inner Loop Header: Depth=2
	flat_load_b64 v[25:26], v[15:16]
	flat_load_b64 v[27:28], v[13:14]
	v_add_nc_u32_e32 v2, 0x400, v2
	v_add_co_u32 v15, vcc_lo, 0x2000, v15
	s_wait_alu 0xfffd
	v_add_co_ci_u32_e64 v16, null, 0, v16, vcc_lo
	s_delay_alu instid0(VALU_DEP_3)
	v_cmp_le_i32_e32 vcc_lo, s26, v2
	v_add_co_u32 v13, s5, v13, s24
	s_wait_alu 0xf1ff
	v_add_co_ci_u32_e64 v14, null, s25, v14, s5
	s_wait_alu 0xfffe
	s_or_b32 s40, vcc_lo, s40
	s_wait_loadcnt_dscnt 0x0
	v_fma_f64 v[9:10], v[25:26], v[27:28], v[9:10]
	s_wait_alu 0xfffe
	s_and_not1_b32 exec_lo, exec_lo, s40
	s_cbranch_execnz .LBB277_30
; %bb.31:                               ;   in Loop: Header=BB277_4 Depth=1
	s_or_b32 exec_lo, exec_lo, s40
	s_delay_alu instid0(SALU_CYCLE_1)
	s_or_b32 exec_lo, exec_lo, s39
	s_and_saveexec_b32 s5, s4
	s_cbranch_execz .LBB277_22
.LBB277_32:                             ;   in Loop: Header=BB277_4 Depth=1
	v_add_co_u32 v11, vcc_lo, v11, s34
	s_wait_alu 0xfffd
	v_add_co_ci_u32_e64 v12, null, s35, v12, vcc_lo
	v_add_co_u32 v7, vcc_lo, v7, v5
	s_wait_alu 0xfffd
	v_add_co_ci_u32_e64 v8, null, v8, v6, vcc_lo
	flat_load_b64 v[11:12], v[11:12]
	flat_load_b64 v[7:8], v[7:8]
	s_wait_loadcnt_dscnt 0x0
	v_fma_f64 v[9:10], v[11:12], v[7:8], v[9:10]
	s_wait_alu 0xfffe
	s_or_b32 exec_lo, exec_lo, s5
	s_and_saveexec_b32 s5, s1
	s_cbranch_execnz .LBB277_23
	s_branch .LBB277_24
.LBB277_33:                             ;   in Loop: Header=BB277_4 Depth=1
	ds_load_b64 v[7:8], v18
	s_wait_alu 0xfffe
	s_or_b32 exec_lo, exec_lo, s5
	s_and_saveexec_b32 s5, s1
	s_cbranch_execz .LBB277_28
.LBB277_34:                             ;   in Loop: Header=BB277_4 Depth=1
	s_wait_dscnt 0x0
	ds_bpermute_b32 v9, v22, v7
	ds_bpermute_b32 v10, v22, v8
	s_wait_dscnt 0x0
	v_add_f64_e32 v[7:8], v[7:8], v[9:10]
	ds_bpermute_b32 v9, v2, v7
	ds_bpermute_b32 v10, v2, v8
	s_wait_dscnt 0x0
	v_add_f64_e32 v[7:8], v[7:8], v[9:10]
	;; [unrolled: 4-line block ×5, first 2 shown]
	s_wait_alu 0xfffe
	s_or_b32 exec_lo, exec_lo, s5
                                        ; implicit-def: $vgpr11_vgpr12
	s_and_saveexec_b32 s5, s0
	s_cbranch_execz .LBB277_38
.LBB277_35:                             ;   in Loop: Header=BB277_4 Depth=1
	s_wait_dscnt 0x0
	s_delay_alu instid0(VALU_DEP_1)
	v_mul_f64_e32 v[11:12], s[22:23], v[7:8]
	s_and_not1_b32 vcc_lo, exec_lo, s37
	s_wait_alu 0xfffe
	s_cbranch_vccnz .LBB277_37
; %bb.36:                               ;   in Loop: Header=BB277_4 Depth=1
	v_add_co_u32 v7, vcc_lo, v23, s28
	s_wait_alu 0xfffd
	v_add_co_ci_u32_e64 v8, null, s29, v24, vcc_lo
	flat_load_b64 v[7:8], v[7:8]
	s_wait_loadcnt_dscnt 0x0
	v_fma_f64 v[11:12], s[20:21], v[7:8], v[11:12]
.LBB277_37:                             ;   in Loop: Header=BB277_4 Depth=1
	s_or_b32 s27, s27, exec_lo
.LBB277_38:                             ;   in Loop: Header=BB277_4 Depth=1
	s_wait_alu 0xfffe
	s_or_b32 exec_lo, exec_lo, s5
.LBB277_39:                             ;   in Loop: Header=BB277_4 Depth=1
	s_wait_alu 0xfffe
	s_and_saveexec_b32 s5, s27
	s_cbranch_execz .LBB277_2
; %bb.40:                               ;   in Loop: Header=BB277_4 Depth=1
	s_wait_dscnt 0x0
	v_add_co_u32 v7, vcc_lo, v23, s28
	s_wait_alu 0xfffd
	v_add_co_ci_u32_e64 v8, null, s29, v24, vcc_lo
	flat_store_b64 v[7:8], v[11:12]
	s_branch .LBB277_2
.LBB277_41:
	s_endpgm
	.section	.rodata,"a",@progbits
	.p2align	6, 0x0
	.amdhsa_kernel _ZL32rocblas_gemvt_warp_reduce_kernelILb0ELi1024ElPKddKPdEviiT3_lPKT2_lT1_lS7_lS8_lS4_lPT4_lS8_li
		.amdhsa_group_segment_fixed_size 256
		.amdhsa_private_segment_fixed_size 0
		.amdhsa_kernarg_size 140
		.amdhsa_user_sgpr_count 2
		.amdhsa_user_sgpr_dispatch_ptr 0
		.amdhsa_user_sgpr_queue_ptr 0
		.amdhsa_user_sgpr_kernarg_segment_ptr 1
		.amdhsa_user_sgpr_dispatch_id 0
		.amdhsa_user_sgpr_private_segment_size 0
		.amdhsa_wavefront_size32 1
		.amdhsa_uses_dynamic_stack 0
		.amdhsa_enable_private_segment 0
		.amdhsa_system_sgpr_workgroup_id_x 1
		.amdhsa_system_sgpr_workgroup_id_y 0
		.amdhsa_system_sgpr_workgroup_id_z 1
		.amdhsa_system_sgpr_workgroup_info 0
		.amdhsa_system_vgpr_workitem_id 0
		.amdhsa_next_free_vgpr 29
		.amdhsa_next_free_sgpr 42
		.amdhsa_reserve_vcc 1
		.amdhsa_float_round_mode_32 0
		.amdhsa_float_round_mode_16_64 0
		.amdhsa_float_denorm_mode_32 3
		.amdhsa_float_denorm_mode_16_64 3
		.amdhsa_fp16_overflow 0
		.amdhsa_workgroup_processor_mode 1
		.amdhsa_memory_ordered 1
		.amdhsa_forward_progress 1
		.amdhsa_inst_pref_size 15
		.amdhsa_round_robin_scheduling 0
		.amdhsa_exception_fp_ieee_invalid_op 0
		.amdhsa_exception_fp_denorm_src 0
		.amdhsa_exception_fp_ieee_div_zero 0
		.amdhsa_exception_fp_ieee_overflow 0
		.amdhsa_exception_fp_ieee_underflow 0
		.amdhsa_exception_fp_ieee_inexact 0
		.amdhsa_exception_int_div_zero 0
	.end_amdhsa_kernel
	.section	.text._ZL32rocblas_gemvt_warp_reduce_kernelILb0ELi1024ElPKddKPdEviiT3_lPKT2_lT1_lS7_lS8_lS4_lPT4_lS8_li,"axG",@progbits,_ZL32rocblas_gemvt_warp_reduce_kernelILb0ELi1024ElPKddKPdEviiT3_lPKT2_lT1_lS7_lS8_lS4_lPT4_lS8_li,comdat
.Lfunc_end277:
	.size	_ZL32rocblas_gemvt_warp_reduce_kernelILb0ELi1024ElPKddKPdEviiT3_lPKT2_lT1_lS7_lS8_lS4_lPT4_lS8_li, .Lfunc_end277-_ZL32rocblas_gemvt_warp_reduce_kernelILb0ELi1024ElPKddKPdEviiT3_lPKT2_lT1_lS7_lS8_lS4_lPT4_lS8_li
                                        ; -- End function
	.set _ZL32rocblas_gemvt_warp_reduce_kernelILb0ELi1024ElPKddKPdEviiT3_lPKT2_lT1_lS7_lS8_lS4_lPT4_lS8_li.num_vgpr, 29
	.set _ZL32rocblas_gemvt_warp_reduce_kernelILb0ELi1024ElPKddKPdEviiT3_lPKT2_lT1_lS7_lS8_lS4_lPT4_lS8_li.num_agpr, 0
	.set _ZL32rocblas_gemvt_warp_reduce_kernelILb0ELi1024ElPKddKPdEviiT3_lPKT2_lT1_lS7_lS8_lS4_lPT4_lS8_li.numbered_sgpr, 42
	.set _ZL32rocblas_gemvt_warp_reduce_kernelILb0ELi1024ElPKddKPdEviiT3_lPKT2_lT1_lS7_lS8_lS4_lPT4_lS8_li.num_named_barrier, 0
	.set _ZL32rocblas_gemvt_warp_reduce_kernelILb0ELi1024ElPKddKPdEviiT3_lPKT2_lT1_lS7_lS8_lS4_lPT4_lS8_li.private_seg_size, 0
	.set _ZL32rocblas_gemvt_warp_reduce_kernelILb0ELi1024ElPKddKPdEviiT3_lPKT2_lT1_lS7_lS8_lS4_lPT4_lS8_li.uses_vcc, 1
	.set _ZL32rocblas_gemvt_warp_reduce_kernelILb0ELi1024ElPKddKPdEviiT3_lPKT2_lT1_lS7_lS8_lS4_lPT4_lS8_li.uses_flat_scratch, 0
	.set _ZL32rocblas_gemvt_warp_reduce_kernelILb0ELi1024ElPKddKPdEviiT3_lPKT2_lT1_lS7_lS8_lS4_lPT4_lS8_li.has_dyn_sized_stack, 0
	.set _ZL32rocblas_gemvt_warp_reduce_kernelILb0ELi1024ElPKddKPdEviiT3_lPKT2_lT1_lS7_lS8_lS4_lPT4_lS8_li.has_recursion, 0
	.set _ZL32rocblas_gemvt_warp_reduce_kernelILb0ELi1024ElPKddKPdEviiT3_lPKT2_lT1_lS7_lS8_lS4_lPT4_lS8_li.has_indirect_call, 0
	.section	.AMDGPU.csdata,"",@progbits
; Kernel info:
; codeLenInByte = 1820
; TotalNumSgprs: 44
; NumVgprs: 29
; ScratchSize: 0
; MemoryBound: 1
; FloatMode: 240
; IeeeMode: 1
; LDSByteSize: 256 bytes/workgroup (compile time only)
; SGPRBlocks: 0
; VGPRBlocks: 3
; NumSGPRsForWavesPerEU: 44
; NumVGPRsForWavesPerEU: 29
; Occupancy: 16
; WaveLimiterHint : 1
; COMPUTE_PGM_RSRC2:SCRATCH_EN: 0
; COMPUTE_PGM_RSRC2:USER_SGPR: 2
; COMPUTE_PGM_RSRC2:TRAP_HANDLER: 0
; COMPUTE_PGM_RSRC2:TGID_X_EN: 1
; COMPUTE_PGM_RSRC2:TGID_Y_EN: 0
; COMPUTE_PGM_RSRC2:TGID_Z_EN: 1
; COMPUTE_PGM_RSRC2:TIDIG_COMP_CNT: 0
	.section	.text._ZL22rocblas_gemvtsm_kernelILb1ELi256EPKdS1_KPdEviiT2_lPKT1_lilS7_lilS4_lPT3_lil,"axG",@progbits,_ZL22rocblas_gemvtsm_kernelILb1ELi256EPKdS1_KPdEviiT2_lPKT1_lilS7_lilS4_lPT3_lil,comdat
	.globl	_ZL22rocblas_gemvtsm_kernelILb1ELi256EPKdS1_KPdEviiT2_lPKT1_lilS7_lilS4_lPT3_lil ; -- Begin function _ZL22rocblas_gemvtsm_kernelILb1ELi256EPKdS1_KPdEviiT2_lPKT1_lilS7_lilS4_lPT3_lil
	.p2align	8
	.type	_ZL22rocblas_gemvtsm_kernelILb1ELi256EPKdS1_KPdEviiT2_lPKT1_lilS7_lilS4_lPT3_lil,@function
_ZL22rocblas_gemvtsm_kernelILb1ELi256EPKdS1_KPdEviiT2_lPKT1_lilS7_lilS4_lPT3_lil: ; @_ZL22rocblas_gemvtsm_kernelILb1ELi256EPKdS1_KPdEviiT2_lPKT1_lilS7_lilS4_lPT3_lil
; %bb.0:
	s_clause 0x1
	s_load_b256 s[12:19], s[0:1], 0x8
	s_load_b256 s[4:11], s[0:1], 0x58
	s_mov_b32 s2, ttmp9
	s_mov_b32 s3, 0
	s_wait_kmcnt 0x0
	s_mul_u64 s[14:15], s[14:15], s[2:3]
	s_mul_u64 s[6:7], s[6:7], s[2:3]
	s_lshl_b64 s[14:15], s[14:15], 3
	s_lshl_b64 s[6:7], s[6:7], 3
	s_add_nc_u64 s[12:13], s[12:13], s[14:15]
	s_add_nc_u64 s[4:5], s[4:5], s[6:7]
	s_load_b64 s[14:15], s[12:13], 0x0
	s_load_b64 s[4:5], s[4:5], 0x0
	s_mov_b64 s[12:13], 0
	s_wait_kmcnt 0x0
	v_cmp_eq_f64_e64 s20, s[14:15], 0
	v_cmp_eq_f64_e64 s6, s[4:5], 1.0
	s_and_b32 s6, s20, s6
	s_delay_alu instid0(SALU_CYCLE_1)
	s_and_b32 vcc_lo, exec_lo, s6
	s_cbranch_vccnz .LBB278_39
; %bb.1:
	v_cmp_neq_f64_e64 s6, s[14:15], 0
	s_and_b32 vcc_lo, exec_lo, s20
	s_cbranch_vccnz .LBB278_3
; %bb.2:
	s_lshl_b64 s[12:13], s[2:3], 3
	s_delay_alu instid0(SALU_CYCLE_1)
	s_add_nc_u64 s[12:13], s[16:17], s[12:13]
	s_lshl_b64 s[16:17], s[18:19], 3
	s_load_b64 s[12:13], s[12:13], 0x0
	s_wait_kmcnt 0x0
	s_add_nc_u64 s[12:13], s[12:13], s[16:17]
.LBB278_3:
	s_and_not1_b32 vcc_lo, exec_lo, s6
	s_cbranch_vccnz .LBB278_5
; %bb.4:
	s_load_b128 s[16:19], s[0:1], 0x38
	s_lshl_b64 s[6:7], s[2:3], 3
	s_wait_kmcnt 0x0
	s_add_nc_u64 s[6:7], s[16:17], s[6:7]
	s_lshl_b64 s[16:17], s[18:19], 3
	s_load_b64 s[6:7], s[6:7], 0x0
	s_wait_kmcnt 0x0
	s_add_nc_u64 s[18:19], s[6:7], s[16:17]
	s_branch .LBB278_6
.LBB278_5:
	s_mov_b64 s[18:19], 0
.LBB278_6:
	s_lshl_b64 s[2:3], s[2:3], 3
	s_and_not1_b32 vcc_lo, exec_lo, s20
	s_add_nc_u64 s[2:3], s[8:9], s[2:3]
	s_clause 0x1
	s_load_b64 s[6:7], s[0:1], 0x0
	s_load_b32 s8, s[0:1], 0x78
	s_load_b64 s[16:17], s[2:3], 0x0
	s_mov_b32 s2, -1
	s_cbranch_vccnz .LBB278_21
; %bb.7:
	v_cmp_neq_f64_e64 s2, s[4:5], 0
	s_wait_kmcnt 0x0
	s_cmp_gt_i32 s7, 0
	s_cselect_b32 s20, -1, 0
	s_delay_alu instid0(SALU_CYCLE_1) | instskip(SKIP_1) | instid1(VALU_DEP_1)
	v_cndmask_b32_e64 v1, 0, 1, s20
	s_and_b32 vcc_lo, exec_lo, s2
	v_cmp_ne_u32_e64 s2, 1, v1
	s_cbranch_vccnz .LBB278_14
; %bb.8:
	s_and_b32 vcc_lo, exec_lo, s2
	s_cbranch_vccnz .LBB278_13
; %bb.9:
	v_mad_co_i64_i32 v[1:2], null, s8, v0, 0
	s_lshl_b64 s[2:3], s[10:11], 3
	v_mov_b32_e32 v3, 0
	s_add_nc_u64 s[2:3], s[16:17], s[2:3]
	s_ashr_i32 s9, s8, 31
	v_lshlrev_b64_e32 v[1:2], 3, v[1:2]
	s_delay_alu instid0(VALU_DEP_1) | instskip(NEXT) | instid1(VALU_DEP_1)
	v_add_co_u32 v1, vcc_lo, s2, v1
	v_add_co_ci_u32_e64 v2, null, s3, v2, vcc_lo
	s_wait_alu 0xfffe
	s_lshl_b64 s[2:3], s[8:9], 11
	s_mov_b32 s9, 0
	s_branch .LBB278_11
.LBB278_10:                             ;   in Loop: Header=BB278_11 Depth=1
	s_wait_alu 0xfffe
	s_or_b32 exec_lo, exec_lo, s21
	v_add_co_u32 v1, vcc_lo, v1, s2
	s_wait_alu 0xfffd
	v_add_co_ci_u32_e64 v2, null, s3, v2, vcc_lo
	s_addk_co_i32 s9, 0x100
	s_wait_alu 0xfffe
	s_cmp_ge_i32 s9, s7
	s_cbranch_scc1 .LBB278_13
.LBB278_11:                             ; =>This Inner Loop Header: Depth=1
	s_wait_alu 0xfffe
	v_add_nc_u32_e32 v4, s9, v0
	s_mov_b32 s21, exec_lo
	s_delay_alu instid0(VALU_DEP_1)
	v_cmpx_gt_i32_e64 s7, v4
	s_cbranch_execz .LBB278_10
; %bb.12:                               ;   in Loop: Header=BB278_11 Depth=1
	v_mov_b32_e32 v4, v3
	flat_store_b64 v[1:2], v[3:4]
	s_branch .LBB278_10
.LBB278_13:
	s_cbranch_execz .LBB278_15
	s_branch .LBB278_20
.LBB278_14:
.LBB278_15:
	s_and_not1_b32 vcc_lo, exec_lo, s20
	s_wait_alu 0xfffe
	s_cbranch_vccnz .LBB278_20
; %bb.16:
	v_mad_co_i64_i32 v[1:2], null, s8, v0, 0
	s_lshl_b64 s[2:3], s[10:11], 3
	s_ashr_i32 s9, s8, 31
	s_wait_alu 0xfffe
	s_add_nc_u64 s[2:3], s[16:17], s[2:3]
	v_lshlrev_b64_e32 v[1:2], 3, v[1:2]
	s_wait_alu 0xfffe
	s_delay_alu instid0(VALU_DEP_1) | instskip(SKIP_1) | instid1(VALU_DEP_2)
	v_add_co_u32 v1, vcc_lo, s2, v1
	s_wait_alu 0xfffd
	v_add_co_ci_u32_e64 v2, null, s3, v2, vcc_lo
	s_lshl_b64 s[2:3], s[8:9], 11
	s_mov_b32 s9, 0
	s_branch .LBB278_18
.LBB278_17:                             ;   in Loop: Header=BB278_18 Depth=1
	s_wait_alu 0xfffe
	s_or_b32 exec_lo, exec_lo, s20
	v_add_co_u32 v1, vcc_lo, v1, s2
	s_wait_alu 0xfffd
	v_add_co_ci_u32_e64 v2, null, s3, v2, vcc_lo
	s_addk_co_i32 s9, 0x100
	s_wait_alu 0xfffe
	s_cmp_ge_i32 s9, s7
	s_cbranch_scc1 .LBB278_20
.LBB278_18:                             ; =>This Inner Loop Header: Depth=1
	s_wait_alu 0xfffe
	v_add_nc_u32_e32 v3, s9, v0
	s_mov_b32 s20, exec_lo
	s_delay_alu instid0(VALU_DEP_1)
	v_cmpx_gt_i32_e64 s7, v3
	s_cbranch_execz .LBB278_17
; %bb.19:                               ;   in Loop: Header=BB278_18 Depth=1
	flat_load_b64 v[3:4], v[1:2]
	s_wait_loadcnt_dscnt 0x0
	v_mul_f64_e32 v[3:4], s[4:5], v[3:4]
	flat_store_b64 v[1:2], v[3:4]
	s_branch .LBB278_17
.LBB278_20:
	s_mov_b32 s2, 0
.LBB278_21:
	s_wait_alu 0xfffe
	s_and_not1_b32 vcc_lo, exec_lo, s2
	s_wait_alu 0xfffe
	s_cbranch_vccnz .LBB278_39
; %bb.22:
	s_mov_b32 s2, exec_lo
	s_wait_kmcnt 0x0
	v_cmpx_gt_i32_e64 s6, v0
	s_cbranch_execz .LBB278_24
; %bb.23:
	s_load_b32 s3, s[0:1], 0x48
	v_lshlrev_b32_e32 v3, 3, v0
	s_wait_kmcnt 0x0
	v_mad_co_i64_i32 v[1:2], null, s3, v0, 0
	s_delay_alu instid0(VALU_DEP_1) | instskip(NEXT) | instid1(VALU_DEP_1)
	v_lshlrev_b64_e32 v[1:2], 3, v[1:2]
	v_add_co_u32 v1, vcc_lo, s18, v1
	s_wait_alu 0xfffd
	s_delay_alu instid0(VALU_DEP_2)
	v_add_co_ci_u32_e64 v2, null, s19, v2, vcc_lo
	flat_load_b64 v[1:2], v[1:2]
	s_wait_loadcnt_dscnt 0x0
	v_mul_f64_e32 v[1:2], s[14:15], v[1:2]
	ds_store_b64 v3, v[1:2]
.LBB278_24:
	s_wait_alu 0xfffe
	s_or_b32 exec_lo, exec_lo, s2
	s_cmp_lt_i32 s7, 1
	s_wait_storecnt_dscnt 0x0
	s_barrier_signal -1
	s_barrier_wait -1
	global_inv scope:SCOPE_SE
	s_cbranch_scc1 .LBB278_39
; %bb.25:
	s_load_b32 s18, s[0:1], 0x28
	v_cmp_neq_f64_e64 s14, s[4:5], 0
	s_lshl_b64 s[0:1], s[10:11], 3
	s_ashr_i32 s9, s8, 31
	s_add_nc_u64 s[0:1], s[16:17], s[0:1]
	s_mov_b32 s3, 0
	s_wait_kmcnt 0x0
	v_mad_co_i64_i32 v[1:2], null, s18, v0, 0
	s_ashr_i32 s19, s18, 31
	s_cmp_gt_i32 s6, 0
	s_cselect_b32 s15, -1, 0
	s_and_b32 s16, s6, 7
	s_cmp_gt_u32 s6, 7
	v_lshlrev_b64_e32 v[1:2], 3, v[1:2]
	s_cselect_b32 s17, -1, 0
	s_and_b32 s6, s6, 0x7ffffff8
	s_cmp_lg_u32 s16, 0
	s_delay_alu instid0(VALU_DEP_1)
	v_add_co_u32 v9, vcc_lo, s12, v1
	s_wait_alu 0xfffd
	v_add_co_ci_u32_e64 v10, null, s13, v2, vcc_lo
	s_cselect_b32 s12, -1, 0
	v_add_co_u32 v1, vcc_lo, v9, 56
	s_wait_alu 0xfffd
	v_add_co_ci_u32_e64 v2, null, 0, v10, vcc_lo
	s_wait_alu 0xfffe
	s_lshl_b64 s[10:11], s[18:19], 11
	s_mov_b32 s13, 0
	s_branch .LBB278_28
.LBB278_26:                             ;   in Loop: Header=BB278_28 Depth=1
	v_add_co_u32 v3, vcc_lo, s0, v3
	s_wait_alu 0xfffd
	v_add_co_ci_u32_e64 v4, null, s1, v4, vcc_lo
	flat_store_b64 v[3:4], v[5:6]
.LBB278_27:                             ;   in Loop: Header=BB278_28 Depth=1
	s_wait_alu 0xfffe
	s_or_b32 exec_lo, exec_lo, s18
	v_add_co_u32 v1, vcc_lo, v1, s10
	s_wait_alu 0xfffd
	v_add_co_ci_u32_e64 v2, null, s11, v2, vcc_lo
	v_add_co_u32 v9, vcc_lo, v9, s10
	s_wait_alu 0xfffd
	v_add_co_ci_u32_e64 v10, null, s11, v10, vcc_lo
	s_addk_co_i32 s13, 0x100
	s_wait_alu 0xfffe
	s_cmp_ge_i32 s13, s7
	s_cbranch_scc1 .LBB278_39
.LBB278_28:                             ; =>This Loop Header: Depth=1
                                        ;     Child Loop BB278_34 Depth 2
                                        ;     Child Loop BB278_38 Depth 2
	s_wait_alu 0xfffe
	v_add_nc_u32_e32 v3, s13, v0
	s_mov_b32 s18, exec_lo
	s_delay_alu instid0(VALU_DEP_1)
	v_cmpx_gt_i32_e64 s7, v3
	s_cbranch_execz .LBB278_27
; %bb.29:                               ;   in Loop: Header=BB278_28 Depth=1
	v_mad_co_u64_u32 v[4:5], null, v3, s8, 0
	s_and_not1_b32 vcc_lo, exec_lo, s14
	v_mad_co_u64_u32 v[5:6], null, v3, s9, v[5:6]
	s_delay_alu instid0(VALU_DEP_1)
	v_lshlrev_b64_e32 v[3:4], 3, v[4:5]
	s_wait_alu 0xfffe
	s_cbranch_vccnz .LBB278_31
; %bb.30:                               ;   in Loop: Header=BB278_28 Depth=1
	s_delay_alu instid0(VALU_DEP_1) | instskip(SKIP_1) | instid1(VALU_DEP_2)
	v_add_co_u32 v5, vcc_lo, s0, v3
	s_wait_alu 0xfffd
	v_add_co_ci_u32_e64 v6, null, s1, v4, vcc_lo
	flat_load_b64 v[5:6], v[5:6]
	s_wait_loadcnt_dscnt 0x0
	v_mul_f64_e32 v[5:6], s[4:5], v[5:6]
	s_and_not1_b32 vcc_lo, exec_lo, s15
	s_wait_alu 0xfffe
	s_cbranch_vccz .LBB278_32
	s_branch .LBB278_26
.LBB278_31:                             ;   in Loop: Header=BB278_28 Depth=1
	v_mov_b32_e32 v5, 0
	v_mov_b32_e32 v6, 0
	s_and_not1_b32 vcc_lo, exec_lo, s15
	s_wait_alu 0xfffe
	s_cbranch_vccnz .LBB278_26
.LBB278_32:                             ;   in Loop: Header=BB278_28 Depth=1
	s_and_not1_b32 vcc_lo, exec_lo, s17
	s_mov_b32 s2, 0
	s_wait_alu 0xfffe
	s_cbranch_vccnz .LBB278_36
; %bb.33:                               ;   in Loop: Header=BB278_28 Depth=1
	v_dual_mov_b32 v8, v2 :: v_dual_mov_b32 v7, v1
	s_mov_b32 s19, 0
.LBB278_34:                             ;   Parent Loop BB278_28 Depth=1
                                        ; =>  This Inner Loop Header: Depth=2
	s_clause 0x3
	flat_load_b128 v[11:14], v[7:8] offset:-56
	flat_load_b128 v[15:18], v[7:8] offset:-40
	;; [unrolled: 1-line block ×4, first 2 shown]
	v_mov_b32_e32 v35, s2
	v_add_co_u32 v7, vcc_lo, v7, 64
	s_wait_alu 0xfffd
	v_add_co_ci_u32_e64 v8, null, 0, v8, vcc_lo
	ds_load_b128 v[27:30], v35
	ds_load_b128 v[31:34], v35 offset:16
	s_wait_alu 0xfffe
	s_add_co_i32 s19, s19, 8
	s_add_co_i32 s2, s2, 64
	s_wait_alu 0xfffe
	s_cmp_eq_u32 s6, s19
	s_wait_loadcnt_dscnt 0x301
	v_fma_f64 v[5:6], v[27:28], v[11:12], v[5:6]
	s_delay_alu instid0(VALU_DEP_1) | instskip(SKIP_1) | instid1(VALU_DEP_1)
	v_fma_f64 v[5:6], v[29:30], v[13:14], v[5:6]
	s_wait_loadcnt_dscnt 0x200
	v_fma_f64 v[5:6], v[31:32], v[15:16], v[5:6]
	s_delay_alu instid0(VALU_DEP_1) | instskip(SKIP_4) | instid1(VALU_DEP_1)
	v_fma_f64 v[5:6], v[33:34], v[17:18], v[5:6]
	ds_load_b128 v[11:14], v35 offset:32
	ds_load_b128 v[15:18], v35 offset:48
	s_wait_loadcnt_dscnt 0x101
	v_fma_f64 v[5:6], v[11:12], v[19:20], v[5:6]
	v_fma_f64 v[5:6], v[13:14], v[21:22], v[5:6]
	s_wait_loadcnt_dscnt 0x0
	s_delay_alu instid0(VALU_DEP_1) | instskip(NEXT) | instid1(VALU_DEP_1)
	v_fma_f64 v[5:6], v[15:16], v[23:24], v[5:6]
	v_fma_f64 v[5:6], v[17:18], v[25:26], v[5:6]
	s_cbranch_scc0 .LBB278_34
; %bb.35:                               ;   in Loop: Header=BB278_28 Depth=1
	s_mov_b32 s2, s6
.LBB278_36:                             ;   in Loop: Header=BB278_28 Depth=1
	s_and_not1_b32 vcc_lo, exec_lo, s12
	s_wait_alu 0xfffe
	s_cbranch_vccnz .LBB278_26
; %bb.37:                               ;   in Loop: Header=BB278_28 Depth=1
	s_lshl_b64 s[20:21], s[2:3], 3
	s_lshl_b32 s2, s2, 3
	s_wait_alu 0xfffe
	v_add_co_u32 v7, vcc_lo, v9, s20
	s_wait_alu 0xfffd
	v_add_co_ci_u32_e64 v8, null, s21, v10, vcc_lo
	s_mov_b32 s19, s16
.LBB278_38:                             ;   Parent Loop BB278_28 Depth=1
                                        ; =>  This Inner Loop Header: Depth=2
	flat_load_b64 v[11:12], v[7:8]
	v_mov_b32_e32 v13, s2
	v_add_co_u32 v7, vcc_lo, v7, 8
	s_wait_alu 0xfffd
	v_add_co_ci_u32_e64 v8, null, 0, v8, vcc_lo
	ds_load_b64 v[13:14], v13
	s_wait_alu 0xfffe
	s_add_co_i32 s19, s19, -1
	s_add_co_i32 s2, s2, 8
	s_wait_alu 0xfffe
	s_cmp_lg_u32 s19, 0
	s_wait_loadcnt_dscnt 0x0
	v_fma_f64 v[5:6], v[13:14], v[11:12], v[5:6]
	s_cbranch_scc1 .LBB278_38
	s_branch .LBB278_26
.LBB278_39:
	s_endpgm
	.section	.rodata,"a",@progbits
	.p2align	6, 0x0
	.amdhsa_kernel _ZL22rocblas_gemvtsm_kernelILb1ELi256EPKdS1_KPdEviiT2_lPKT1_lilS7_lilS4_lPT3_lil
		.amdhsa_group_segment_fixed_size 512
		.amdhsa_private_segment_fixed_size 0
		.amdhsa_kernarg_size 136
		.amdhsa_user_sgpr_count 2
		.amdhsa_user_sgpr_dispatch_ptr 0
		.amdhsa_user_sgpr_queue_ptr 0
		.amdhsa_user_sgpr_kernarg_segment_ptr 1
		.amdhsa_user_sgpr_dispatch_id 0
		.amdhsa_user_sgpr_private_segment_size 0
		.amdhsa_wavefront_size32 1
		.amdhsa_uses_dynamic_stack 0
		.amdhsa_enable_private_segment 0
		.amdhsa_system_sgpr_workgroup_id_x 1
		.amdhsa_system_sgpr_workgroup_id_y 0
		.amdhsa_system_sgpr_workgroup_id_z 0
		.amdhsa_system_sgpr_workgroup_info 0
		.amdhsa_system_vgpr_workitem_id 0
		.amdhsa_next_free_vgpr 36
		.amdhsa_next_free_sgpr 22
		.amdhsa_reserve_vcc 1
		.amdhsa_float_round_mode_32 0
		.amdhsa_float_round_mode_16_64 0
		.amdhsa_float_denorm_mode_32 3
		.amdhsa_float_denorm_mode_16_64 3
		.amdhsa_fp16_overflow 0
		.amdhsa_workgroup_processor_mode 1
		.amdhsa_memory_ordered 1
		.amdhsa_forward_progress 1
		.amdhsa_inst_pref_size 13
		.amdhsa_round_robin_scheduling 0
		.amdhsa_exception_fp_ieee_invalid_op 0
		.amdhsa_exception_fp_denorm_src 0
		.amdhsa_exception_fp_ieee_div_zero 0
		.amdhsa_exception_fp_ieee_overflow 0
		.amdhsa_exception_fp_ieee_underflow 0
		.amdhsa_exception_fp_ieee_inexact 0
		.amdhsa_exception_int_div_zero 0
	.end_amdhsa_kernel
	.section	.text._ZL22rocblas_gemvtsm_kernelILb1ELi256EPKdS1_KPdEviiT2_lPKT1_lilS7_lilS4_lPT3_lil,"axG",@progbits,_ZL22rocblas_gemvtsm_kernelILb1ELi256EPKdS1_KPdEviiT2_lPKT1_lilS7_lilS4_lPT3_lil,comdat
.Lfunc_end278:
	.size	_ZL22rocblas_gemvtsm_kernelILb1ELi256EPKdS1_KPdEviiT2_lPKT1_lilS7_lilS4_lPT3_lil, .Lfunc_end278-_ZL22rocblas_gemvtsm_kernelILb1ELi256EPKdS1_KPdEviiT2_lPKT1_lilS7_lilS4_lPT3_lil
                                        ; -- End function
	.set _ZL22rocblas_gemvtsm_kernelILb1ELi256EPKdS1_KPdEviiT2_lPKT1_lilS7_lilS4_lPT3_lil.num_vgpr, 36
	.set _ZL22rocblas_gemvtsm_kernelILb1ELi256EPKdS1_KPdEviiT2_lPKT1_lilS7_lilS4_lPT3_lil.num_agpr, 0
	.set _ZL22rocblas_gemvtsm_kernelILb1ELi256EPKdS1_KPdEviiT2_lPKT1_lilS7_lilS4_lPT3_lil.numbered_sgpr, 22
	.set _ZL22rocblas_gemvtsm_kernelILb1ELi256EPKdS1_KPdEviiT2_lPKT1_lilS7_lilS4_lPT3_lil.num_named_barrier, 0
	.set _ZL22rocblas_gemvtsm_kernelILb1ELi256EPKdS1_KPdEviiT2_lPKT1_lilS7_lilS4_lPT3_lil.private_seg_size, 0
	.set _ZL22rocblas_gemvtsm_kernelILb1ELi256EPKdS1_KPdEviiT2_lPKT1_lilS7_lilS4_lPT3_lil.uses_vcc, 1
	.set _ZL22rocblas_gemvtsm_kernelILb1ELi256EPKdS1_KPdEviiT2_lPKT1_lilS7_lilS4_lPT3_lil.uses_flat_scratch, 1
	.set _ZL22rocblas_gemvtsm_kernelILb1ELi256EPKdS1_KPdEviiT2_lPKT1_lilS7_lilS4_lPT3_lil.has_dyn_sized_stack, 0
	.set _ZL22rocblas_gemvtsm_kernelILb1ELi256EPKdS1_KPdEviiT2_lPKT1_lilS7_lilS4_lPT3_lil.has_recursion, 0
	.set _ZL22rocblas_gemvtsm_kernelILb1ELi256EPKdS1_KPdEviiT2_lPKT1_lilS7_lilS4_lPT3_lil.has_indirect_call, 0
	.section	.AMDGPU.csdata,"",@progbits
; Kernel info:
; codeLenInByte = 1616
; TotalNumSgprs: 24
; NumVgprs: 36
; ScratchSize: 0
; MemoryBound: 0
; FloatMode: 240
; IeeeMode: 1
; LDSByteSize: 512 bytes/workgroup (compile time only)
; SGPRBlocks: 0
; VGPRBlocks: 4
; NumSGPRsForWavesPerEU: 24
; NumVGPRsForWavesPerEU: 36
; Occupancy: 16
; WaveLimiterHint : 1
; COMPUTE_PGM_RSRC2:SCRATCH_EN: 0
; COMPUTE_PGM_RSRC2:USER_SGPR: 2
; COMPUTE_PGM_RSRC2:TRAP_HANDLER: 0
; COMPUTE_PGM_RSRC2:TGID_X_EN: 1
; COMPUTE_PGM_RSRC2:TGID_Y_EN: 0
; COMPUTE_PGM_RSRC2:TGID_Z_EN: 0
; COMPUTE_PGM_RSRC2:TIDIG_COMP_CNT: 0
	.section	.text._ZL22rocblas_gemvtsm_kernelILb1ELi256EPKddKPdEviiT2_lPKT1_lilS7_lilS4_lPT3_lil,"axG",@progbits,_ZL22rocblas_gemvtsm_kernelILb1ELi256EPKddKPdEviiT2_lPKT1_lilS7_lilS4_lPT3_lil,comdat
	.globl	_ZL22rocblas_gemvtsm_kernelILb1ELi256EPKddKPdEviiT2_lPKT1_lilS7_lilS4_lPT3_lil ; -- Begin function _ZL22rocblas_gemvtsm_kernelILb1ELi256EPKddKPdEviiT2_lPKT1_lilS7_lilS4_lPT3_lil
	.p2align	8
	.type	_ZL22rocblas_gemvtsm_kernelILb1ELi256EPKddKPdEviiT2_lPKT1_lilS7_lilS4_lPT3_lil,@function
_ZL22rocblas_gemvtsm_kernelILb1ELi256EPKddKPdEviiT2_lPKT1_lilS7_lilS4_lPT3_lil: ; @_ZL22rocblas_gemvtsm_kernelILb1ELi256EPKddKPdEviiT2_lPKT1_lilS7_lilS4_lPT3_lil
; %bb.0:
	s_clause 0x1
	s_load_b64 s[14:15], s[0:1], 0x8
	s_load_b64 s[8:9], s[0:1], 0x58
	s_wait_kmcnt 0x0
	v_cmp_eq_f64_e64 s20, s[14:15], 0
	v_cmp_eq_f64_e64 s2, s[8:9], 1.0
	s_and_b32 s2, s20, s2
	s_delay_alu instid0(SALU_CYCLE_1)
	s_and_b32 vcc_lo, exec_lo, s2
	s_cbranch_vccnz .LBB279_40
; %bb.1:
	v_cmp_neq_f64_e64 s4, s[14:15], 0
	s_mov_b32 s2, ttmp9
	s_mov_b32 s3, 0
	s_and_b32 vcc_lo, exec_lo, s4
	s_cbranch_vccnz .LBB279_3
; %bb.2:
	s_mov_b32 s5, s3
	s_mov_b64 s[18:19], 0
	s_and_not1_b32 vcc_lo, exec_lo, s5
	s_mov_b64 s[12:13], 0
	s_cbranch_vccz .LBB279_4
	s_branch .LBB279_5
.LBB279_3:
	s_mov_b64 s[18:19], 0
	s_mov_b64 s[12:13], 0
.LBB279_4:
	s_load_b128 s[24:27], s[0:1], 0x18
	s_lshl_b64 s[6:7], s[2:3], 3
	s_wait_kmcnt 0x0
	s_add_nc_u64 s[6:7], s[24:25], s[6:7]
	s_lshl_b64 s[10:11], s[26:27], 3
	s_load_b64 s[6:7], s[6:7], 0x0
	s_wait_kmcnt 0x0
	s_add_nc_u64 s[12:13], s[6:7], s[10:11]
.LBB279_5:
	s_and_not1_b32 vcc_lo, exec_lo, s4
	s_cbranch_vccnz .LBB279_7
; %bb.6:
	s_load_b128 s[4:7], s[0:1], 0x38
	s_lshl_b64 s[10:11], s[2:3], 3
	s_wait_kmcnt 0x0
	s_add_nc_u64 s[4:5], s[4:5], s[10:11]
	s_lshl_b64 s[6:7], s[6:7], 3
	s_load_b64 s[4:5], s[4:5], 0x0
	s_wait_kmcnt 0x0
	s_add_nc_u64 s[18:19], s[4:5], s[6:7]
.LBB279_7:
	s_clause 0x1
	s_load_b128 s[4:7], s[0:1], 0x68
	s_load_b64 s[10:11], s[0:1], 0x0
	s_lshl_b64 s[2:3], s[2:3], 3
	s_and_not1_b32 vcc_lo, exec_lo, s20
	s_wait_kmcnt 0x0
	s_add_nc_u64 s[2:3], s[4:5], s[2:3]
	s_load_b32 s4, s[0:1], 0x78
	s_load_b64 s[16:17], s[2:3], 0x0
	s_mov_b32 s2, -1
	s_cbranch_vccnz .LBB279_22
; %bb.8:
	v_cmp_neq_f64_e64 s2, s[8:9], 0
	s_cmp_gt_i32 s11, 0
	s_cselect_b32 s20, -1, 0
	s_delay_alu instid0(SALU_CYCLE_1) | instskip(SKIP_1) | instid1(VALU_DEP_1)
	v_cndmask_b32_e64 v1, 0, 1, s20
	s_and_b32 vcc_lo, exec_lo, s2
	v_cmp_ne_u32_e64 s2, 1, v1
	s_cbranch_vccnz .LBB279_15
; %bb.9:
	s_and_b32 vcc_lo, exec_lo, s2
	s_cbranch_vccnz .LBB279_14
; %bb.10:
	s_wait_kmcnt 0x0
	v_mad_co_i64_i32 v[1:2], null, s4, v0, 0
	s_lshl_b64 s[2:3], s[6:7], 3
	v_mov_b32_e32 v3, 0
	s_add_nc_u64 s[2:3], s[16:17], s[2:3]
	s_ashr_i32 s5, s4, 31
	v_lshlrev_b64_e32 v[1:2], 3, v[1:2]
	s_delay_alu instid0(VALU_DEP_1) | instskip(NEXT) | instid1(VALU_DEP_1)
	v_add_co_u32 v1, vcc_lo, s2, v1
	v_add_co_ci_u32_e64 v2, null, s3, v2, vcc_lo
	s_wait_alu 0xfffe
	s_lshl_b64 s[2:3], s[4:5], 11
	s_mov_b32 s5, 0
	s_branch .LBB279_12
.LBB279_11:                             ;   in Loop: Header=BB279_12 Depth=1
	s_wait_alu 0xfffe
	s_or_b32 exec_lo, exec_lo, s21
	v_add_co_u32 v1, vcc_lo, v1, s2
	s_wait_alu 0xfffd
	v_add_co_ci_u32_e64 v2, null, s3, v2, vcc_lo
	s_addk_co_i32 s5, 0x100
	s_wait_alu 0xfffe
	s_cmp_ge_i32 s5, s11
	s_cbranch_scc1 .LBB279_14
.LBB279_12:                             ; =>This Inner Loop Header: Depth=1
	s_wait_alu 0xfffe
	v_add_nc_u32_e32 v4, s5, v0
	s_mov_b32 s21, exec_lo
	s_delay_alu instid0(VALU_DEP_1)
	v_cmpx_gt_i32_e64 s11, v4
	s_cbranch_execz .LBB279_11
; %bb.13:                               ;   in Loop: Header=BB279_12 Depth=1
	v_mov_b32_e32 v4, v3
	flat_store_b64 v[1:2], v[3:4]
	s_branch .LBB279_11
.LBB279_14:
	s_cbranch_execz .LBB279_16
	s_branch .LBB279_21
.LBB279_15:
.LBB279_16:
	s_and_not1_b32 vcc_lo, exec_lo, s20
	s_wait_alu 0xfffe
	s_cbranch_vccnz .LBB279_21
; %bb.17:
	s_wait_kmcnt 0x0
	v_mad_co_i64_i32 v[1:2], null, s4, v0, 0
	s_lshl_b64 s[2:3], s[6:7], 3
	s_ashr_i32 s5, s4, 31
	s_wait_alu 0xfffe
	s_add_nc_u64 s[2:3], s[16:17], s[2:3]
	v_lshlrev_b64_e32 v[1:2], 3, v[1:2]
	s_wait_alu 0xfffe
	s_delay_alu instid0(VALU_DEP_1) | instskip(SKIP_1) | instid1(VALU_DEP_2)
	v_add_co_u32 v1, vcc_lo, s2, v1
	s_wait_alu 0xfffd
	v_add_co_ci_u32_e64 v2, null, s3, v2, vcc_lo
	s_lshl_b64 s[2:3], s[4:5], 11
	s_mov_b32 s5, 0
	s_branch .LBB279_19
.LBB279_18:                             ;   in Loop: Header=BB279_19 Depth=1
	s_wait_alu 0xfffe
	s_or_b32 exec_lo, exec_lo, s20
	v_add_co_u32 v1, vcc_lo, v1, s2
	s_wait_alu 0xfffd
	v_add_co_ci_u32_e64 v2, null, s3, v2, vcc_lo
	s_addk_co_i32 s5, 0x100
	s_wait_alu 0xfffe
	s_cmp_ge_i32 s5, s11
	s_cbranch_scc1 .LBB279_21
.LBB279_19:                             ; =>This Inner Loop Header: Depth=1
	s_wait_alu 0xfffe
	v_add_nc_u32_e32 v3, s5, v0
	s_mov_b32 s20, exec_lo
	s_delay_alu instid0(VALU_DEP_1)
	v_cmpx_gt_i32_e64 s11, v3
	s_cbranch_execz .LBB279_18
; %bb.20:                               ;   in Loop: Header=BB279_19 Depth=1
	flat_load_b64 v[3:4], v[1:2]
	s_wait_loadcnt_dscnt 0x0
	v_mul_f64_e32 v[3:4], s[8:9], v[3:4]
	flat_store_b64 v[1:2], v[3:4]
	s_branch .LBB279_18
.LBB279_21:
	s_mov_b32 s2, 0
.LBB279_22:
	s_wait_alu 0xfffe
	s_and_not1_b32 vcc_lo, exec_lo, s2
	s_wait_alu 0xfffe
	s_cbranch_vccnz .LBB279_40
; %bb.23:
	s_mov_b32 s2, exec_lo
	v_cmpx_gt_i32_e64 s10, v0
	s_cbranch_execz .LBB279_25
; %bb.24:
	s_load_b32 s3, s[0:1], 0x48
	v_lshlrev_b32_e32 v3, 3, v0
	s_wait_kmcnt 0x0
	v_mad_co_i64_i32 v[1:2], null, s3, v0, 0
	s_delay_alu instid0(VALU_DEP_1) | instskip(NEXT) | instid1(VALU_DEP_1)
	v_lshlrev_b64_e32 v[1:2], 3, v[1:2]
	v_add_co_u32 v1, vcc_lo, s18, v1
	s_wait_alu 0xfffd
	s_delay_alu instid0(VALU_DEP_2)
	v_add_co_ci_u32_e64 v2, null, s19, v2, vcc_lo
	flat_load_b64 v[1:2], v[1:2]
	s_wait_loadcnt_dscnt 0x0
	v_mul_f64_e32 v[1:2], s[14:15], v[1:2]
	ds_store_b64 v3, v[1:2]
.LBB279_25:
	s_wait_alu 0xfffe
	s_or_b32 exec_lo, exec_lo, s2
	s_cmp_lt_i32 s11, 1
	s_wait_storecnt_dscnt 0x0
	s_barrier_signal -1
	s_barrier_wait -1
	global_inv scope:SCOPE_SE
	s_cbranch_scc1 .LBB279_40
; %bb.26:
	s_load_b32 s18, s[0:1], 0x28
	v_cmp_neq_f64_e64 s14, s[8:9], 0
	s_lshl_b64 s[0:1], s[6:7], 3
	s_wait_kmcnt 0x0
	s_ashr_i32 s5, s4, 31
	s_add_nc_u64 s[0:1], s[16:17], s[0:1]
	s_mov_b32 s3, 0
	v_mad_co_i64_i32 v[1:2], null, s18, v0, 0
	s_ashr_i32 s19, s18, 31
	s_cmp_gt_i32 s10, 0
	s_cselect_b32 s15, -1, 0
	s_and_b32 s16, s10, 7
	s_cmp_gt_u32 s10, 7
	v_lshlrev_b64_e32 v[1:2], 3, v[1:2]
	s_cselect_b32 s17, -1, 0
	s_and_b32 s10, s10, 0x7ffffff8
	s_cmp_lg_u32 s16, 0
	s_delay_alu instid0(VALU_DEP_1)
	v_add_co_u32 v9, vcc_lo, s12, v1
	s_wait_alu 0xfffd
	v_add_co_ci_u32_e64 v10, null, s13, v2, vcc_lo
	s_cselect_b32 s12, -1, 0
	v_add_co_u32 v1, vcc_lo, v9, 56
	s_wait_alu 0xfffd
	v_add_co_ci_u32_e64 v2, null, 0, v10, vcc_lo
	s_wait_alu 0xfffe
	s_lshl_b64 s[6:7], s[18:19], 11
	s_mov_b32 s13, 0
	s_branch .LBB279_29
.LBB279_27:                             ;   in Loop: Header=BB279_29 Depth=1
	v_add_co_u32 v3, vcc_lo, s0, v3
	s_wait_alu 0xfffd
	v_add_co_ci_u32_e64 v4, null, s1, v4, vcc_lo
	flat_store_b64 v[3:4], v[5:6]
.LBB279_28:                             ;   in Loop: Header=BB279_29 Depth=1
	s_wait_alu 0xfffe
	s_or_b32 exec_lo, exec_lo, s18
	v_add_co_u32 v1, vcc_lo, v1, s6
	s_wait_alu 0xfffd
	v_add_co_ci_u32_e64 v2, null, s7, v2, vcc_lo
	v_add_co_u32 v9, vcc_lo, v9, s6
	s_wait_alu 0xfffd
	v_add_co_ci_u32_e64 v10, null, s7, v10, vcc_lo
	s_addk_co_i32 s13, 0x100
	s_wait_alu 0xfffe
	s_cmp_ge_i32 s13, s11
	s_cbranch_scc1 .LBB279_40
.LBB279_29:                             ; =>This Loop Header: Depth=1
                                        ;     Child Loop BB279_35 Depth 2
                                        ;     Child Loop BB279_39 Depth 2
	s_wait_alu 0xfffe
	v_add_nc_u32_e32 v3, s13, v0
	s_mov_b32 s18, exec_lo
	s_delay_alu instid0(VALU_DEP_1)
	v_cmpx_gt_i32_e64 s11, v3
	s_cbranch_execz .LBB279_28
; %bb.30:                               ;   in Loop: Header=BB279_29 Depth=1
	v_mad_co_u64_u32 v[4:5], null, v3, s4, 0
	s_and_not1_b32 vcc_lo, exec_lo, s14
	v_mad_co_u64_u32 v[5:6], null, v3, s5, v[5:6]
	s_delay_alu instid0(VALU_DEP_1)
	v_lshlrev_b64_e32 v[3:4], 3, v[4:5]
	s_wait_alu 0xfffe
	s_cbranch_vccnz .LBB279_32
; %bb.31:                               ;   in Loop: Header=BB279_29 Depth=1
	s_delay_alu instid0(VALU_DEP_1) | instskip(SKIP_1) | instid1(VALU_DEP_2)
	v_add_co_u32 v5, vcc_lo, s0, v3
	s_wait_alu 0xfffd
	v_add_co_ci_u32_e64 v6, null, s1, v4, vcc_lo
	flat_load_b64 v[5:6], v[5:6]
	s_wait_loadcnt_dscnt 0x0
	v_mul_f64_e32 v[5:6], s[8:9], v[5:6]
	s_and_not1_b32 vcc_lo, exec_lo, s15
	s_wait_alu 0xfffe
	s_cbranch_vccz .LBB279_33
	s_branch .LBB279_27
.LBB279_32:                             ;   in Loop: Header=BB279_29 Depth=1
	v_mov_b32_e32 v5, 0
	v_mov_b32_e32 v6, 0
	s_and_not1_b32 vcc_lo, exec_lo, s15
	s_wait_alu 0xfffe
	s_cbranch_vccnz .LBB279_27
.LBB279_33:                             ;   in Loop: Header=BB279_29 Depth=1
	s_and_not1_b32 vcc_lo, exec_lo, s17
	s_mov_b32 s2, 0
	s_wait_alu 0xfffe
	s_cbranch_vccnz .LBB279_37
; %bb.34:                               ;   in Loop: Header=BB279_29 Depth=1
	v_dual_mov_b32 v8, v2 :: v_dual_mov_b32 v7, v1
	s_mov_b32 s19, 0
.LBB279_35:                             ;   Parent Loop BB279_29 Depth=1
                                        ; =>  This Inner Loop Header: Depth=2
	s_clause 0x3
	flat_load_b128 v[11:14], v[7:8] offset:-56
	flat_load_b128 v[15:18], v[7:8] offset:-40
	flat_load_b128 v[19:22], v[7:8] offset:-24
	flat_load_b128 v[23:26], v[7:8] offset:-8
	v_mov_b32_e32 v35, s2
	v_add_co_u32 v7, vcc_lo, v7, 64
	s_wait_alu 0xfffd
	v_add_co_ci_u32_e64 v8, null, 0, v8, vcc_lo
	ds_load_b128 v[27:30], v35
	ds_load_b128 v[31:34], v35 offset:16
	s_wait_alu 0xfffe
	s_add_co_i32 s19, s19, 8
	s_add_co_i32 s2, s2, 64
	s_wait_alu 0xfffe
	s_cmp_eq_u32 s10, s19
	s_wait_loadcnt_dscnt 0x301
	v_fma_f64 v[5:6], v[27:28], v[11:12], v[5:6]
	s_delay_alu instid0(VALU_DEP_1) | instskip(SKIP_1) | instid1(VALU_DEP_1)
	v_fma_f64 v[5:6], v[29:30], v[13:14], v[5:6]
	s_wait_loadcnt_dscnt 0x200
	v_fma_f64 v[5:6], v[31:32], v[15:16], v[5:6]
	s_delay_alu instid0(VALU_DEP_1) | instskip(SKIP_4) | instid1(VALU_DEP_1)
	v_fma_f64 v[5:6], v[33:34], v[17:18], v[5:6]
	ds_load_b128 v[11:14], v35 offset:32
	ds_load_b128 v[15:18], v35 offset:48
	s_wait_loadcnt_dscnt 0x101
	v_fma_f64 v[5:6], v[11:12], v[19:20], v[5:6]
	v_fma_f64 v[5:6], v[13:14], v[21:22], v[5:6]
	s_wait_loadcnt_dscnt 0x0
	s_delay_alu instid0(VALU_DEP_1) | instskip(NEXT) | instid1(VALU_DEP_1)
	v_fma_f64 v[5:6], v[15:16], v[23:24], v[5:6]
	v_fma_f64 v[5:6], v[17:18], v[25:26], v[5:6]
	s_cbranch_scc0 .LBB279_35
; %bb.36:                               ;   in Loop: Header=BB279_29 Depth=1
	s_mov_b32 s2, s10
.LBB279_37:                             ;   in Loop: Header=BB279_29 Depth=1
	s_and_not1_b32 vcc_lo, exec_lo, s12
	s_wait_alu 0xfffe
	s_cbranch_vccnz .LBB279_27
; %bb.38:                               ;   in Loop: Header=BB279_29 Depth=1
	s_lshl_b64 s[20:21], s[2:3], 3
	s_lshl_b32 s2, s2, 3
	s_wait_alu 0xfffe
	v_add_co_u32 v7, vcc_lo, v9, s20
	s_wait_alu 0xfffd
	v_add_co_ci_u32_e64 v8, null, s21, v10, vcc_lo
	s_mov_b32 s19, s16
.LBB279_39:                             ;   Parent Loop BB279_29 Depth=1
                                        ; =>  This Inner Loop Header: Depth=2
	flat_load_b64 v[11:12], v[7:8]
	v_mov_b32_e32 v13, s2
	v_add_co_u32 v7, vcc_lo, v7, 8
	s_wait_alu 0xfffd
	v_add_co_ci_u32_e64 v8, null, 0, v8, vcc_lo
	ds_load_b64 v[13:14], v13
	s_wait_alu 0xfffe
	s_add_co_i32 s19, s19, -1
	s_add_co_i32 s2, s2, 8
	s_wait_alu 0xfffe
	s_cmp_lg_u32 s19, 0
	s_wait_loadcnt_dscnt 0x0
	v_fma_f64 v[5:6], v[13:14], v[11:12], v[5:6]
	s_cbranch_scc1 .LBB279_39
	s_branch .LBB279_27
.LBB279_40:
	s_endpgm
	.section	.rodata,"a",@progbits
	.p2align	6, 0x0
	.amdhsa_kernel _ZL22rocblas_gemvtsm_kernelILb1ELi256EPKddKPdEviiT2_lPKT1_lilS7_lilS4_lPT3_lil
		.amdhsa_group_segment_fixed_size 512
		.amdhsa_private_segment_fixed_size 0
		.amdhsa_kernarg_size 136
		.amdhsa_user_sgpr_count 2
		.amdhsa_user_sgpr_dispatch_ptr 0
		.amdhsa_user_sgpr_queue_ptr 0
		.amdhsa_user_sgpr_kernarg_segment_ptr 1
		.amdhsa_user_sgpr_dispatch_id 0
		.amdhsa_user_sgpr_private_segment_size 0
		.amdhsa_wavefront_size32 1
		.amdhsa_uses_dynamic_stack 0
		.amdhsa_enable_private_segment 0
		.amdhsa_system_sgpr_workgroup_id_x 1
		.amdhsa_system_sgpr_workgroup_id_y 0
		.amdhsa_system_sgpr_workgroup_id_z 0
		.amdhsa_system_sgpr_workgroup_info 0
		.amdhsa_system_vgpr_workitem_id 0
		.amdhsa_next_free_vgpr 36
		.amdhsa_next_free_sgpr 28
		.amdhsa_reserve_vcc 1
		.amdhsa_float_round_mode_32 0
		.amdhsa_float_round_mode_16_64 0
		.amdhsa_float_denorm_mode_32 3
		.amdhsa_float_denorm_mode_16_64 3
		.amdhsa_fp16_overflow 0
		.amdhsa_workgroup_processor_mode 1
		.amdhsa_memory_ordered 1
		.amdhsa_forward_progress 1
		.amdhsa_inst_pref_size 13
		.amdhsa_round_robin_scheduling 0
		.amdhsa_exception_fp_ieee_invalid_op 0
		.amdhsa_exception_fp_denorm_src 0
		.amdhsa_exception_fp_ieee_div_zero 0
		.amdhsa_exception_fp_ieee_overflow 0
		.amdhsa_exception_fp_ieee_underflow 0
		.amdhsa_exception_fp_ieee_inexact 0
		.amdhsa_exception_int_div_zero 0
	.end_amdhsa_kernel
	.section	.text._ZL22rocblas_gemvtsm_kernelILb1ELi256EPKddKPdEviiT2_lPKT1_lilS7_lilS4_lPT3_lil,"axG",@progbits,_ZL22rocblas_gemvtsm_kernelILb1ELi256EPKddKPdEviiT2_lPKT1_lilS7_lilS4_lPT3_lil,comdat
.Lfunc_end279:
	.size	_ZL22rocblas_gemvtsm_kernelILb1ELi256EPKddKPdEviiT2_lPKT1_lilS7_lilS4_lPT3_lil, .Lfunc_end279-_ZL22rocblas_gemvtsm_kernelILb1ELi256EPKddKPdEviiT2_lPKT1_lilS7_lilS4_lPT3_lil
                                        ; -- End function
	.set _ZL22rocblas_gemvtsm_kernelILb1ELi256EPKddKPdEviiT2_lPKT1_lilS7_lilS4_lPT3_lil.num_vgpr, 36
	.set _ZL22rocblas_gemvtsm_kernelILb1ELi256EPKddKPdEviiT2_lPKT1_lilS7_lilS4_lPT3_lil.num_agpr, 0
	.set _ZL22rocblas_gemvtsm_kernelILb1ELi256EPKddKPdEviiT2_lPKT1_lilS7_lilS4_lPT3_lil.numbered_sgpr, 28
	.set _ZL22rocblas_gemvtsm_kernelILb1ELi256EPKddKPdEviiT2_lPKT1_lilS7_lilS4_lPT3_lil.num_named_barrier, 0
	.set _ZL22rocblas_gemvtsm_kernelILb1ELi256EPKddKPdEviiT2_lPKT1_lilS7_lilS4_lPT3_lil.private_seg_size, 0
	.set _ZL22rocblas_gemvtsm_kernelILb1ELi256EPKddKPdEviiT2_lPKT1_lilS7_lilS4_lPT3_lil.uses_vcc, 1
	.set _ZL22rocblas_gemvtsm_kernelILb1ELi256EPKddKPdEviiT2_lPKT1_lilS7_lilS4_lPT3_lil.uses_flat_scratch, 1
	.set _ZL22rocblas_gemvtsm_kernelILb1ELi256EPKddKPdEviiT2_lPKT1_lilS7_lilS4_lPT3_lil.has_dyn_sized_stack, 0
	.set _ZL22rocblas_gemvtsm_kernelILb1ELi256EPKddKPdEviiT2_lPKT1_lilS7_lilS4_lPT3_lil.has_recursion, 0
	.set _ZL22rocblas_gemvtsm_kernelILb1ELi256EPKddKPdEviiT2_lPKT1_lilS7_lilS4_lPT3_lil.has_indirect_call, 0
	.section	.AMDGPU.csdata,"",@progbits
; Kernel info:
; codeLenInByte = 1612
; TotalNumSgprs: 30
; NumVgprs: 36
; ScratchSize: 0
; MemoryBound: 0
; FloatMode: 240
; IeeeMode: 1
; LDSByteSize: 512 bytes/workgroup (compile time only)
; SGPRBlocks: 0
; VGPRBlocks: 4
; NumSGPRsForWavesPerEU: 30
; NumVGPRsForWavesPerEU: 36
; Occupancy: 16
; WaveLimiterHint : 1
; COMPUTE_PGM_RSRC2:SCRATCH_EN: 0
; COMPUTE_PGM_RSRC2:USER_SGPR: 2
; COMPUTE_PGM_RSRC2:TRAP_HANDLER: 0
; COMPUTE_PGM_RSRC2:TGID_X_EN: 1
; COMPUTE_PGM_RSRC2:TGID_Y_EN: 0
; COMPUTE_PGM_RSRC2:TGID_Z_EN: 0
; COMPUTE_PGM_RSRC2:TIDIG_COMP_CNT: 0
	.section	.text._ZL23rocblas_gemvt_sn_kernelILb1ELi256ELi4EiPKdS1_dEviiT4_lPKT3_lilS5_lilPT5_i,"axG",@progbits,_ZL23rocblas_gemvt_sn_kernelILb1ELi256ELi4EiPKdS1_dEviiT4_lPKT3_lilS5_lilPT5_i,comdat
	.globl	_ZL23rocblas_gemvt_sn_kernelILb1ELi256ELi4EiPKdS1_dEviiT4_lPKT3_lilS5_lilPT5_i ; -- Begin function _ZL23rocblas_gemvt_sn_kernelILb1ELi256ELi4EiPKdS1_dEviiT4_lPKT3_lilS5_lilPT5_i
	.p2align	8
	.type	_ZL23rocblas_gemvt_sn_kernelILb1ELi256ELi4EiPKdS1_dEviiT4_lPKT3_lilS5_lilPT5_i,@function
_ZL23rocblas_gemvt_sn_kernelILb1ELi256ELi4EiPKdS1_dEviiT4_lPKT3_lilS5_lilPT5_i: ; @_ZL23rocblas_gemvt_sn_kernelILb1ELi256ELi4EiPKdS1_dEviiT4_lPKT3_lilS5_lilPT5_i
; %bb.0:
	s_load_b32 s33, s[0:1], 0x60
	s_lshr_b32 s10, ttmp7, 16
	s_wait_kmcnt 0x0
	s_cmp_ge_u32 s10, s33
	s_cbranch_scc1 .LBB280_65
; %bb.1:
	s_clause 0x6
	s_load_b64 s[26:27], s[0:1], 0x0
	s_load_b256 s[12:19], s[0:1], 0x8
	s_load_b32 s28, s[0:1], 0x68
	s_load_b32 s30, s[0:1], 0x28
	s_load_b128 s[20:23], s[0:1], 0x38
	s_load_b32 s66, s[0:1], 0x48
	s_load_b64 s[34:35], s[0:1], 0x58
	v_cmp_eq_u32_e64 s0, 0, v0
	v_and_b32_e32 v1, 31, v0
	v_cmp_gt_u32_e64 s1, 32, v0
	v_cmp_gt_u32_e64 s2, 8, v0
	v_lshrrev_b32_e32 v2, 2, v0
	s_mov_b32 s37, 0
	v_cmp_eq_u32_e64 s3, 0, v1
	s_mov_b32 s29, s37
	v_lshlrev_b32_e32 v48, 3, v1
	v_and_b32_e32 v49, 56, v2
	v_mbcnt_lo_u32_b32 v50, -1, 0
	s_mov_b32 s24, ttmp9
	s_mov_b32 s25, s37
	s_wait_kmcnt 0x0
	s_ashr_i32 s5, s27, 31
	s_cmp_gt_i32 s27, 0
	s_mov_b32 s4, s27
	s_cselect_b32 s6, -1, 0
	s_lshl_b32 s7, ttmp9, 10
	s_mul_u64 s[38:39], s[4:5], s[28:29]
	v_lshl_or_b32 v0, v0, 2, s7
	s_lshr_b32 s4, s5, 30
	s_ashr_i32 s5, s26, 31
	s_add_co_i32 s4, s27, s4
	s_lshr_b32 s5, s5, 30
	v_mul_lo_u32 v24, s66, v0
	s_add_co_i32 s5, s26, s5
	s_and_b32 s68, s4, -4
	s_and_b32 s4, s5, -4
	v_add_nc_u32_e32 v3, 4, v0
	s_sub_co_i32 s69, s26, s4
	s_and_b32 s67, s0, s6
	v_add_nc_u32_e32 v5, s69, v0
	v_add_nc_u32_e32 v2, s66, v24
	v_ashrrev_i32_e32 v1, 31, v0
	v_cmp_ge_i32_e64 s4, s26, v3
	v_ashrrev_i32_e32 v25, 31, v24
	v_cmp_ge_i32_e64 s5, s26, v5
	v_add_nc_u32_e32 v4, s66, v2
	v_ashrrev_i32_e32 v3, 31, v2
	s_cmp_gt_i32 s68, 0
	v_lshlrev_b64_e32 v[26:27], 3, v[0:1]
	s_cselect_b32 s70, -1, 0
	v_add_nc_u32_e32 v6, s66, v4
	v_ashrrev_i32_e32 v5, 31, v4
	s_cmp_gt_i32 s69, 0
	v_lshlrev_b64_e32 v[28:29], 3, v[24:25]
	s_cselect_b32 s71, -1, 0
	v_ashrrev_i32_e32 v7, 31, v6
	s_lshl_b32 s36, s30, 1
	v_lshlrev_b64_e32 v[30:31], 3, v[2:3]
	v_lshlrev_b64_e32 v[32:33], 3, v[4:5]
	v_mov_b32_e32 v0, 0
	v_lshlrev_b64_e32 v[34:35], 3, v[6:7]
	v_lshl_or_b32 v25, v50, 2, 64
	s_lshl_b64 s[40:41], s[24:25], 3
	s_mov_b64 s[50:51], s[36:37]
	s_mul_i32 s36, s30, 3
	s_add_nc_u64 s[42:43], s[34:35], s[40:41]
	s_lshl_b64 s[44:45], s[38:39], 3
	s_lshl_b64 s[46:47], s[28:29], 3
	s_mov_b32 s31, s37
	s_lshl_b32 s48, s30, 2
	s_mov_b32 s49, s37
	s_mov_b64 s[52:53], s[36:37]
	s_lshl_b64 s[18:19], s[18:19], 3
	s_lshl_b64 s[22:23], s[22:23], 3
	s_branch .LBB280_3
.LBB280_2:                              ;   in Loop: Header=BB280_3 Depth=1
	s_add_co_i32 s10, s10, 0x10000
	s_delay_alu instid0(SALU_CYCLE_1)
	s_cmp_lt_u32 s10, s33
	s_cbranch_scc0 .LBB280_65
.LBB280_3:                              ; =>This Loop Header: Depth=1
                                        ;     Child Loop BB280_10 Depth 2
                                        ;     Child Loop BB280_16 Depth 2
                                        ;       Child Loop BB280_22 Depth 3
                                        ;       Child Loop BB280_25 Depth 3
	;; [unrolled: 1-line block ×3, first 2 shown]
                                        ;     Child Loop BB280_44 Depth 2
                                        ;       Child Loop BB280_57 Depth 3
                                        ;       Child Loop BB280_60 Depth 3
	s_mov_b32 s11, s37
	v_mov_b32_e32 v38, 0
	s_mul_u64 s[6:7], s[14:15], s[10:11]
	v_dual_mov_b32 v39, 0 :: v_dual_mov_b32 v2, 0
	s_wait_alu 0xfffe
	s_lshl_b64 s[6:7], s[6:7], 3
	v_mov_b32_e32 v3, 0
	s_wait_alu 0xfffe
	s_add_nc_u64 s[6:7], s[12:13], s[6:7]
	global_load_b64 v[36:37], v0, s[6:7]
	s_wait_loadcnt 0x0
	v_cmp_eq_f64_e64 s6, 0, v[36:37]
	v_cmp_neq_f64_e64 s7, 0, v[36:37]
	s_wait_alu 0xfffe
	s_and_b32 vcc_lo, exec_lo, s6
	s_wait_alu 0xfffe
	s_cbranch_vccnz .LBB280_5
; %bb.4:                                ;   in Loop: Header=BB280_3 Depth=1
	s_lshl_b64 s[8:9], s[10:11], 3
	s_wait_alu 0xfffe
	s_add_nc_u64 s[8:9], s[16:17], s[8:9]
	global_load_b64 v[2:3], v0, s[8:9]
	s_wait_loadcnt 0x0
	v_add_co_u32 v2, vcc_lo, v2, s18
	s_wait_alu 0xfffd
	v_add_co_ci_u32_e64 v3, null, s19, v3, vcc_lo
.LBB280_5:                              ;   in Loop: Header=BB280_3 Depth=1
	s_and_not1_b32 vcc_lo, exec_lo, s7
	s_wait_alu 0xfffe
	s_cbranch_vccnz .LBB280_7
; %bb.6:                                ;   in Loop: Header=BB280_3 Depth=1
	s_lshl_b64 s[8:9], s[10:11], 3
	s_wait_alu 0xfffe
	s_add_nc_u64 s[8:9], s[20:21], s[8:9]
	global_load_b64 v[4:5], v0, s[8:9]
	s_wait_loadcnt 0x0
	v_add_co_u32 v38, vcc_lo, v4, s22
	s_wait_alu 0xfffd
	v_add_co_ci_u32_e64 v39, null, s23, v5, vcc_lo
.LBB280_7:                              ;   in Loop: Header=BB280_3 Depth=1
	s_and_not1_b32 vcc_lo, exec_lo, s6
	s_mov_b32 s6, -1
	s_wait_alu 0xfffe
	s_cbranch_vccnz .LBB280_12
; %bb.8:                                ;   in Loop: Header=BB280_3 Depth=1
	s_and_saveexec_b32 s8, s67
	s_cbranch_execz .LBB280_11
; %bb.9:                                ;   in Loop: Header=BB280_3 Depth=1
	s_mul_u64 s[6:7], s[44:45], s[10:11]
	s_mov_b32 s9, s27
	s_wait_alu 0xfffe
	s_add_nc_u64 s[6:7], s[42:43], s[6:7]
.LBB280_10:                             ;   Parent Loop BB280_3 Depth=1
                                        ; =>  This Inner Loop Header: Depth=2
	v_mov_b32_e32 v1, v0
	s_add_co_i32 s9, s9, -1
	s_wait_alu 0xfffe
	s_cmp_eq_u32 s9, 0
	global_store_b64 v0, v[0:1], s[6:7]
	s_add_nc_u64 s[6:7], s[6:7], s[46:47]
	s_cbranch_scc0 .LBB280_10
.LBB280_11:                             ;   in Loop: Header=BB280_3 Depth=1
	s_wait_alu 0xfffe
	s_or_b32 exec_lo, exec_lo, s8
	s_mov_b32 s6, 0
.LBB280_12:                             ;   in Loop: Header=BB280_3 Depth=1
	s_wait_alu 0xfffe
	s_and_not1_b32 vcc_lo, exec_lo, s6
	s_wait_alu 0xfffe
	s_cbranch_vccnz .LBB280_2
; %bb.13:                               ;   in Loop: Header=BB280_3 Depth=1
	v_add_co_u32 v51, vcc_lo, v2, v26
	s_mul_u64 s[54:55], s[38:39], s[10:11]
	s_wait_alu 0xfffd
	v_add_co_ci_u32_e64 v52, null, v3, v27, vcc_lo
	v_cmp_gt_u32_e64 s9, 24, v50
	v_cmp_gt_u32_e64 s8, 28, v50
	;; [unrolled: 1-line block ×3, first 2 shown]
	v_cmp_ne_u32_e64 s6, 31, v50
	s_lshl_b64 s[54:55], s[54:55], 3
	s_and_not1_b32 vcc_lo, exec_lo, s70
	s_add_nc_u64 s[54:55], s[34:35], s[54:55]
	s_wait_alu 0xfffe
	s_cbranch_vccnz .LBB280_40
; %bb.14:                               ;   in Loop: Header=BB280_3 Depth=1
	s_wait_alu 0xf1ff
	v_cndmask_b32_e64 v1, 0, 8, s9
	v_cndmask_b32_e64 v2, 0, 4, s8
	;; [unrolled: 1-line block ×3, first 2 shown]
	v_add_co_ci_u32_e64 v4, null, 0, v50, s6
	v_add_co_u32 v40, vcc_lo, v38, v28
	s_wait_alu 0xfffd
	v_add_co_ci_u32_e64 v41, null, v39, v29, vcc_lo
	v_add_co_u32 v42, vcc_lo, v38, v30
	v_dual_mov_b32 v6, v0 :: v_dual_mov_b32 v7, v0
	v_add_lshl_u32 v53, v1, v50, 2
	v_add_lshl_u32 v54, v2, v50, 2
	;; [unrolled: 1-line block ×3, first 2 shown]
	v_dual_mov_b32 v1, v0 :: v_dual_lshlrev_b32 v56, 2, v4
	v_dual_mov_b32 v2, v0 :: v_dual_mov_b32 v3, v0
	v_dual_mov_b32 v4, v0 :: v_dual_mov_b32 v5, v0
	s_wait_alu 0xfffd
	v_add_co_ci_u32_e64 v43, null, v39, v31, vcc_lo
	v_add_co_u32 v44, vcc_lo, v38, v32
	s_wait_alu 0xfffd
	v_add_co_ci_u32_e64 v45, null, v39, v33, vcc_lo
	v_add_co_u32 v46, vcc_lo, v38, v34
	v_dual_mov_b32 v15, v7 :: v_dual_mov_b32 v14, v6
	s_wait_alu 0xfffd
	v_add_co_ci_u32_e64 v47, null, v39, v35, vcc_lo
	v_dual_mov_b32 v13, v5 :: v_dual_mov_b32 v12, v4
	v_dual_mov_b32 v11, v3 :: v_dual_mov_b32 v10, v2
	;; [unrolled: 1-line block ×3, first 2 shown]
	s_mov_b32 s56, 0
	s_mov_b64 s[58:59], s[52:53]
	s_mov_b64 s[60:61], s[50:51]
	;; [unrolled: 1-line block ×3, first 2 shown]
	s_mov_b32 s9, 0
	s_branch .LBB280_16
.LBB280_15:                             ;   in Loop: Header=BB280_16 Depth=2
	s_wait_alu 0xfffe
	s_or_b32 exec_lo, exec_lo, s6
	s_add_co_i32 s9, s9, 4
	s_add_co_i32 s56, s56, s48
	s_add_nc_u64 s[62:63], s[62:63], s[48:49]
	s_add_nc_u64 s[60:61], s[60:61], s[48:49]
	s_wait_alu 0xfffe
	s_cmp_ge_i32 s9, s68
	s_add_nc_u64 s[58:59], s[58:59], s[48:49]
	s_cbranch_scc1 .LBB280_41
.LBB280_16:                             ;   Parent Loop BB280_3 Depth=1
                                        ; =>  This Loop Header: Depth=2
                                        ;       Child Loop BB280_22 Depth 3
                                        ;       Child Loop BB280_25 Depth 3
	;; [unrolled: 1-line block ×3, first 2 shown]
                                        ; implicit-def: $vgpr16_vgpr17_vgpr18_vgpr19_vgpr20_vgpr21_vgpr22_vgpr23
	s_and_saveexec_b32 s6, s4
	s_wait_alu 0xfffe
	s_xor_b32 s6, exec_lo, s6
	s_cbranch_execz .LBB280_18
; %bb.17:                               ;   in Loop: Header=BB280_16 Depth=2
	s_mul_i32 s64, s9, s30
	s_wait_alu 0xfffe
	s_ashr_i32 s65, s64, 31
	s_add_co_i32 s72, s64, s30
	s_wait_alu 0xfffe
	s_lshl_b64 s[64:65], s[64:65], 3
	s_ashr_i32 s73, s72, 31
	s_wait_alu 0xfffe
	v_add_co_u32 v5, vcc_lo, v51, s64
	s_wait_alu 0xfffd
	v_add_co_ci_u32_e64 v6, null, s65, v52, vcc_lo
	s_lshl_b64 s[64:65], s[72:73], 3
	s_add_co_i32 s72, s72, s30
	s_wait_alu 0xfffe
	v_add_co_u32 v14, vcc_lo, v51, s64
	s_ashr_i32 s73, s72, 31
	s_add_co_i32 s64, s72, s30
	s_wait_alu 0xfffd
	v_add_co_ci_u32_e64 v15, null, s65, v52, vcc_lo
	s_wait_alu 0xfffe
	s_lshl_b64 s[72:73], s[72:73], 3
	s_ashr_i32 s65, s64, 31
	s_wait_alu 0xfffe
	v_add_co_u32 v69, vcc_lo, v51, s72
	s_lshl_b64 s[64:65], s[64:65], 3
	s_wait_alu 0xfffd
	v_add_co_ci_u32_e64 v70, null, s73, v52, vcc_lo
	s_wait_alu 0xfffe
	v_add_co_u32 v73, vcc_lo, v51, s64
	s_wait_alu 0xfffd
	v_add_co_ci_u32_e64 v74, null, s65, v52, vcc_lo
	flat_load_b64 v[8:9], v[40:41]
	flat_load_b128 v[1:4], v[5:6]
	s_wait_dscnt 0x2
	s_clause 0x2
	flat_load_b128 v[16:19], v[14:15]
	flat_load_b128 v[20:23], v[69:70]
	;; [unrolled: 1-line block ×3, first 2 shown]
	s_clause 0x1
	flat_load_b64 v[10:11], v[42:43]
	flat_load_b64 v[12:13], v[44:45]
	s_clause 0x3
	flat_load_b128 v[61:64], v[5:6] offset:16
	flat_load_b128 v[65:68], v[14:15] offset:16
	;; [unrolled: 1-line block ×4, first 2 shown]
	flat_load_b64 v[14:15], v[46:47]
	s_wait_loadcnt_dscnt 0xa0a
	v_fma_f64 v[1:2], v[8:9], v[1:2], 0
	s_wait_loadcnt_dscnt 0x909
	v_fma_f64 v[5:6], v[8:9], v[16:17], 0
	;; [unrolled: 2-line block ×4, first 2 shown]
	s_wait_loadcnt_dscnt 0x606
	s_delay_alu instid0(VALU_DEP_4) | instskip(NEXT) | instid1(VALU_DEP_4)
	v_fma_f64 v[1:2], v[10:11], v[3:4], v[1:2]
	v_fma_f64 v[3:4], v[10:11], v[18:19], v[5:6]
	s_delay_alu instid0(VALU_DEP_4) | instskip(NEXT) | instid1(VALU_DEP_4)
	v_fma_f64 v[5:6], v[10:11], v[22:23], v[16:17]
	v_fma_f64 v[16:17], v[10:11], v[59:60], v[20:21]
	s_wait_loadcnt_dscnt 0x404
	s_delay_alu instid0(VALU_DEP_4) | instskip(SKIP_1) | instid1(VALU_DEP_4)
	v_fma_f64 v[1:2], v[12:13], v[61:62], v[1:2]
	s_wait_loadcnt_dscnt 0x303
	v_fma_f64 v[3:4], v[12:13], v[65:66], v[3:4]
	s_wait_loadcnt_dscnt 0x202
	s_delay_alu instid0(VALU_DEP_4) | instskip(SKIP_1) | instid1(VALU_DEP_4)
	v_fma_f64 v[5:6], v[12:13], v[69:70], v[5:6]
	s_wait_loadcnt_dscnt 0x101
	v_fma_f64 v[22:23], v[12:13], v[73:74], v[16:17]
	s_wait_loadcnt_dscnt 0x0
	s_delay_alu instid0(VALU_DEP_4) | instskip(NEXT) | instid1(VALU_DEP_4)
	v_fma_f64 v[16:17], v[14:15], v[63:64], v[1:2]
	v_fma_f64 v[18:19], v[14:15], v[67:68], v[3:4]
	s_delay_alu instid0(VALU_DEP_4) | instskip(NEXT) | instid1(VALU_DEP_4)
	v_fma_f64 v[20:21], v[14:15], v[71:72], v[5:6]
	v_fma_f64 v[22:23], v[14:15], v[75:76], v[22:23]
.LBB280_18:                             ;   in Loop: Header=BB280_16 Depth=2
	s_wait_alu 0xfffe
	s_and_not1_saveexec_b32 s11, s6
	s_cbranch_execz .LBB280_28
; %bb.19:                               ;   in Loop: Header=BB280_16 Depth=2
	v_mov_b32_e32 v7, v0
	v_dual_mov_b32 v1, v0 :: v_dual_mov_b32 v2, v0
	v_dual_mov_b32 v3, v0 :: v_dual_mov_b32 v4, v0
	;; [unrolled: 1-line block ×3, first 2 shown]
	s_wait_dscnt 0x0
	v_mov_b32_e32 v23, v7
	s_delay_alu instid0(VALU_DEP_3) | instskip(NEXT) | instid1(VALU_DEP_3)
	v_dual_mov_b32 v19, v3 :: v_dual_mov_b32 v18, v2
	v_dual_mov_b32 v21, v5 :: v_dual_mov_b32 v20, v4
	;; [unrolled: 1-line block ×3, first 2 shown]
	v_mov_b32_e32 v16, v0
	s_and_saveexec_b32 s25, s5
	s_cbranch_execz .LBB280_27
; %bb.20:                               ;   in Loop: Header=BB280_16 Depth=2
	s_and_not1_b32 vcc_lo, exec_lo, s71
	s_wait_alu 0xfffe
	s_cbranch_vccnz .LBB280_23
; %bb.21:                               ;   in Loop: Header=BB280_16 Depth=2
	v_mov_b32_e32 v1, v24
	s_mov_b64 s[64:65], 0
.LBB280_22:                             ;   Parent Loop BB280_3 Depth=1
                                        ;     Parent Loop BB280_16 Depth=2
                                        ; =>    This Inner Loop Header: Depth=3
	s_delay_alu instid0(VALU_DEP_1) | instskip(SKIP_2) | instid1(VALU_DEP_1)
	v_ashrrev_i32_e32 v2, 31, v1
	s_wait_alu 0xfffe
	s_cmp_eq_u32 s64, 3
	v_lshlrev_b64_e32 v[2:3], 3, v[1:2]
	s_delay_alu instid0(VALU_DEP_1) | instskip(SKIP_1) | instid1(VALU_DEP_2)
	v_add_co_u32 v2, vcc_lo, v38, v2
	s_wait_alu 0xfffd
	v_add_co_ci_u32_e64 v3, null, v39, v3, vcc_lo
	s_cselect_b32 vcc_lo, -1, 0
	s_cmp_eq_u32 s64, 2
	s_cselect_b32 s6, -1, 0
	flat_load_b64 v[2:3], v[2:3]
	s_cmp_eq_u32 s64, 1
	v_add_nc_u32_e32 v1, s66, v1
	s_cselect_b32 s7, -1, 0
	s_cmp_eq_u32 s64, 0
	s_add_nc_u64 s[64:65], s[64:65], 1
	s_cselect_b32 s8, -1, 0
	s_wait_alu 0xfffe
	s_cmp_eq_u32 s69, s64
	s_wait_loadcnt_dscnt 0x0
	v_dual_cndmask_b32 v15, v15, v3 :: v_dual_cndmask_b32 v14, v14, v2
	v_cndmask_b32_e64 v13, v13, v3, s6
	v_cndmask_b32_e64 v12, v12, v2, s6
	;; [unrolled: 1-line block ×6, first 2 shown]
	s_cbranch_scc0 .LBB280_22
.LBB280_23:                             ;   in Loop: Header=BB280_16 Depth=2
	s_and_not1_b32 vcc_lo, exec_lo, s71
	s_wait_alu 0xfffe
	s_cbranch_vccnz .LBB280_26
; %bb.24:                               ;   in Loop: Header=BB280_16 Depth=2
	s_ashr_i32 s57, s56, 31
	v_mov_b32_e32 v16, 0
	s_lshl_b64 s[6:7], s[56:57], 3
	v_mov_b32_e32 v20, 0
	s_wait_alu 0xfffe
	v_add_co_u32 v1, vcc_lo, v51, s6
	v_dual_mov_b32 v17, 0 :: v_dual_mov_b32 v18, 0
	v_dual_mov_b32 v21, 0 :: v_dual_mov_b32 v22, 0
	v_mov_b32_e32 v19, 0
	v_mov_b32_e32 v23, 0
	s_wait_alu 0xfffd
	v_add_co_ci_u32_e64 v2, null, s7, v52, vcc_lo
	s_mov_b64 s[64:65], 0
.LBB280_25:                             ;   Parent Loop BB280_3 Depth=1
                                        ;     Parent Loop BB280_16 Depth=2
                                        ; =>    This Inner Loop Header: Depth=3
	s_wait_alu 0xfffe
	s_cmp_eq_u32 s64, 1
	s_cselect_b32 vcc_lo, -1, 0
	s_cmp_eq_u32 s64, 2
	s_wait_alu 0xfffe
	v_cndmask_b32_e32 v3, v9, v11, vcc_lo
	s_cselect_b32 s6, -1, 0
	s_cmp_eq_u32 s64, 3
	v_cndmask_b32_e32 v61, v8, v10, vcc_lo
	s_cselect_b32 s7, -1, 0
	s_add_co_i32 s72, s62, s64
	s_add_co_i32 s74, s60, s64
	s_wait_alu 0xfffe
	s_ashr_i32 s73, s72, 31
	s_add_co_i32 s76, s58, s64
	s_ashr_i32 s75, s74, 31
	s_wait_alu 0xfffe
	s_lshl_b64 s[72:73], s[72:73], 3
	v_cndmask_b32_e64 v7, v3, v13, s6
	s_ashr_i32 s77, s76, 31
	s_lshl_b64 s[74:75], s[74:75], 3
	s_wait_alu 0xfffe
	v_add_co_u32 v3, s8, v51, s72
	s_lshl_b64 s[76:77], s[76:77], 3
	v_add_co_ci_u32_e64 v4, null, s73, v52, s8
	v_add_co_u32 v5, s8, v51, s74
	s_wait_alu 0xf1ff
	v_add_co_ci_u32_e64 v6, null, s75, v52, s8
	s_wait_alu 0xfffe
	v_add_co_u32 v57, s8, v51, s76
	s_wait_alu 0xf1ff
	v_add_co_ci_u32_e64 v58, null, s77, v52, s8
	flat_load_b64 v[59:60], v[1:2]
	s_clause 0x2
	flat_load_b64 v[3:4], v[3:4]
	flat_load_b64 v[5:6], v[5:6]
	;; [unrolled: 1-line block ×3, first 2 shown]
	v_cndmask_b32_e64 v61, v61, v12, s6
	v_cndmask_b32_e64 v62, v7, v15, s7
	v_add_co_u32 v1, vcc_lo, v1, 8
	s_wait_alu 0xfffd
	v_add_co_ci_u32_e64 v2, null, 0, v2, vcc_lo
	v_cndmask_b32_e64 v61, v61, v14, s7
	s_add_nc_u64 s[64:65], s[64:65], 1
	s_wait_alu 0xfffe
	s_cmp_lg_u32 s69, s64
	s_wait_loadcnt_dscnt 0x303
	v_fma_f64 v[16:17], v[61:62], v[59:60], v[16:17]
	s_wait_loadcnt_dscnt 0x202
	v_fma_f64 v[18:19], v[61:62], v[3:4], v[18:19]
	;; [unrolled: 2-line block ×4, first 2 shown]
	s_cbranch_scc1 .LBB280_25
	s_branch .LBB280_27
.LBB280_26:                             ;   in Loop: Header=BB280_16 Depth=2
	v_mov_b32_e32 v7, v0
	v_dual_mov_b32 v1, v0 :: v_dual_mov_b32 v2, v0
	v_dual_mov_b32 v3, v0 :: v_dual_mov_b32 v4, v0
	;; [unrolled: 1-line block ×3, first 2 shown]
	s_delay_alu instid0(VALU_DEP_4) | instskip(NEXT) | instid1(VALU_DEP_3)
	v_mov_b32_e32 v23, v7
	v_dual_mov_b32 v19, v3 :: v_dual_mov_b32 v18, v2
	s_delay_alu instid0(VALU_DEP_3) | instskip(NEXT) | instid1(VALU_DEP_4)
	v_dual_mov_b32 v21, v5 :: v_dual_mov_b32 v20, v4
	v_dual_mov_b32 v22, v6 :: v_dual_mov_b32 v17, v1
	v_mov_b32_e32 v16, v0
.LBB280_27:                             ;   in Loop: Header=BB280_16 Depth=2
	s_or_b32 exec_lo, exec_lo, s25
.LBB280_28:                             ;   in Loop: Header=BB280_16 Depth=2
	s_delay_alu instid0(SALU_CYCLE_1)
	s_or_b32 exec_lo, exec_lo, s11
	s_mov_b64 s[6:7], 0
	s_branch .LBB280_30
.LBB280_29:                             ;   in Loop: Header=BB280_30 Depth=3
	s_wait_alu 0xfffe
	s_or_b32 exec_lo, exec_lo, s8
	s_cmp_eq_u32 s6, 3
	s_cselect_b32 vcc_lo, -1, 0
	s_cmp_eq_u32 s6, 2
	s_wait_dscnt 0x0
	s_wait_alu 0xfffe
	s_delay_alu instid0(VALU_DEP_1)
	v_dual_cndmask_b32 v23, v23, v2 :: v_dual_cndmask_b32 v22, v22, v1
	s_cselect_b32 vcc_lo, -1, 0
	s_cmp_eq_u32 s6, 1
	s_wait_alu 0xfffe
	v_dual_cndmask_b32 v21, v21, v2 :: v_dual_cndmask_b32 v20, v20, v1
	s_cselect_b32 vcc_lo, -1, 0
	s_cmp_eq_u32 s6, 0
	s_wait_alu 0xfffe
	v_dual_cndmask_b32 v19, v19, v2 :: v_dual_cndmask_b32 v18, v18, v1
	s_cselect_b32 vcc_lo, -1, 0
	s_add_nc_u64 s[6:7], s[6:7], 1
	s_wait_alu 0xfffe
	v_dual_cndmask_b32 v17, v17, v2 :: v_dual_cndmask_b32 v16, v16, v1
	s_cmp_eq_u32 s6, 4
	s_cbranch_scc1 .LBB280_38
.LBB280_30:                             ;   Parent Loop BB280_3 Depth=1
                                        ;     Parent Loop BB280_16 Depth=2
                                        ; =>    This Inner Loop Header: Depth=3
	s_and_saveexec_b32 s8, s1
; %bb.31:                               ;   in Loop: Header=BB280_30 Depth=3
	v_mov_b32_e32 v1, v0
	ds_store_b64 v48, v[0:1]
; %bb.32:                               ;   in Loop: Header=BB280_30 Depth=3
	s_wait_alu 0xfffe
	s_or_b32 exec_lo, exec_lo, s8
	s_cmp_eq_u32 s6, 1
	s_wait_storecnt_dscnt 0x0
	s_cselect_b32 vcc_lo, -1, 0
	s_cmp_eq_u32 s6, 2
	s_wait_alu 0xfffe
	v_dual_cndmask_b32 v1, v17, v19 :: v_dual_cndmask_b32 v2, v16, v18
	s_cselect_b32 vcc_lo, -1, 0
	s_cmp_eq_u32 s6, 3
	s_barrier_signal -1
	s_wait_alu 0xfffe
	v_cndmask_b32_e32 v1, v1, v21, vcc_lo
	v_cndmask_b32_e32 v3, v2, v20, vcc_lo
	s_cselect_b32 vcc_lo, -1, 0
	s_barrier_wait -1
	global_inv scope:SCOPE_SE
	s_wait_alu 0xfffe
	v_dual_cndmask_b32 v2, v1, v23 :: v_dual_cndmask_b32 v1, v3, v22
	ds_bpermute_b32 v4, v25, v2
	ds_bpermute_b32 v3, v25, v1
	s_wait_dscnt 0x0
	v_add_f64_e32 v[1:2], v[1:2], v[3:4]
	ds_bpermute_b32 v3, v53, v1
	ds_bpermute_b32 v4, v53, v2
	s_wait_dscnt 0x0
	v_add_f64_e32 v[1:2], v[1:2], v[3:4]
	;; [unrolled: 4-line block ×4, first 2 shown]
	ds_bpermute_b32 v3, v56, v1
	ds_bpermute_b32 v4, v56, v2
	s_and_saveexec_b32 s8, s3
	s_cbranch_execz .LBB280_34
; %bb.33:                               ;   in Loop: Header=BB280_30 Depth=3
	s_wait_dscnt 0x0
	v_add_f64_e32 v[1:2], v[1:2], v[3:4]
	ds_store_b64 v49, v[1:2]
.LBB280_34:                             ;   in Loop: Header=BB280_30 Depth=3
	s_wait_alu 0xfffe
	s_or_b32 exec_lo, exec_lo, s8
	v_mov_b32_e32 v1, 0
	v_mov_b32_e32 v2, 0
	s_wait_loadcnt_dscnt 0x0
	s_barrier_signal -1
	s_barrier_wait -1
	global_inv scope:SCOPE_SE
	s_and_saveexec_b32 s8, s2
; %bb.35:                               ;   in Loop: Header=BB280_30 Depth=3
	ds_load_b64 v[1:2], v48
; %bb.36:                               ;   in Loop: Header=BB280_30 Depth=3
	s_wait_alu 0xfffe
	s_or_b32 exec_lo, exec_lo, s8
	s_and_saveexec_b32 s8, s1
	s_cbranch_execz .LBB280_29
; %bb.37:                               ;   in Loop: Header=BB280_30 Depth=3
	s_wait_dscnt 0x0
	ds_bpermute_b32 v3, v54, v1
	ds_bpermute_b32 v4, v54, v2
	s_wait_dscnt 0x0
	v_add_f64_e32 v[1:2], v[1:2], v[3:4]
	ds_bpermute_b32 v3, v55, v1
	ds_bpermute_b32 v4, v55, v2
	s_wait_dscnt 0x0
	v_add_f64_e32 v[1:2], v[1:2], v[3:4]
	ds_bpermute_b32 v3, v56, v1
	ds_bpermute_b32 v4, v56, v2
	s_wait_dscnt 0x0
	v_add_f64_e32 v[1:2], v[1:2], v[3:4]
	s_branch .LBB280_29
.LBB280_38:                             ;   in Loop: Header=BB280_16 Depth=2
	s_and_saveexec_b32 s6, s0
	s_cbranch_execz .LBB280_15
; %bb.39:                               ;   in Loop: Header=BB280_16 Depth=2
	v_mul_f64_e32 v[1:2], v[36:37], v[16:17]
	v_mul_f64_e32 v[3:4], v[36:37], v[18:19]
	;; [unrolled: 1-line block ×4, first 2 shown]
	s_mul_i32 s7, s9, s28
	s_wait_alu 0xfffe
	s_add_co_i32 s36, s7, s24
	s_wait_alu 0xfffe
	s_lshl_b64 s[64:65], s[36:37], 3
	s_add_co_i32 s36, s36, s28
	s_wait_alu 0xfffe
	s_add_nc_u64 s[64:65], s[54:55], s[64:65]
	s_lshl_b64 s[72:73], s[36:37], 3
	s_add_co_i32 s36, s36, s28
	s_wait_alu 0xfffe
	s_add_nc_u64 s[72:73], s[54:55], s[72:73]
	;; [unrolled: 4-line block ×3, first 2 shown]
	s_lshl_b64 s[76:77], s[36:37], 3
	s_wait_alu 0xfffe
	s_add_nc_u64 s[76:77], s[54:55], s[76:77]
	s_clause 0x3
	global_store_b64 v0, v[1:2], s[64:65]
	global_store_b64 v0, v[3:4], s[72:73]
	;; [unrolled: 1-line block ×4, first 2 shown]
	s_branch .LBB280_15
.LBB280_40:                             ;   in Loop: Header=BB280_3 Depth=1
	v_mov_b32_e32 v7, v0
	v_dual_mov_b32 v1, v0 :: v_dual_mov_b32 v2, v0
	v_dual_mov_b32 v3, v0 :: v_dual_mov_b32 v4, v0
	;; [unrolled: 1-line block ×3, first 2 shown]
	s_delay_alu instid0(VALU_DEP_4) | instskip(NEXT) | instid1(VALU_DEP_3)
	v_mov_b32_e32 v15, v7
	v_dual_mov_b32 v11, v3 :: v_dual_mov_b32 v10, v2
	s_delay_alu instid0(VALU_DEP_3) | instskip(NEXT) | instid1(VALU_DEP_4)
	v_dual_mov_b32 v13, v5 :: v_dual_mov_b32 v12, v4
	v_dual_mov_b32 v14, v6 :: v_dual_mov_b32 v9, v1
	v_mov_b32_e32 v8, v0
	s_mov_b32 s9, 0
.LBB280_41:                             ;   in Loop: Header=BB280_3 Depth=1
	s_wait_alu 0xfffe
	s_cmp_ge_i32 s9, s27
	s_cbranch_scc1 .LBB280_2
; %bb.42:                               ;   in Loop: Header=BB280_3 Depth=1
	v_cmp_gt_u32_e32 vcc_lo, 24, v50
	s_add_nc_u64 s[54:55], s[54:55], s[40:41]
	s_mul_i32 s56, s30, s9
	s_mov_b32 s36, s9
	s_wait_alu 0xfffd
	v_cndmask_b32_e64 v1, 0, 8, vcc_lo
	v_cmp_gt_u32_e32 vcc_lo, 28, v50
	s_delay_alu instid0(VALU_DEP_2) | instskip(SKIP_3) | instid1(VALU_DEP_2)
	v_add_lshl_u32 v22, v1, v50, 2
	s_wait_alu 0xfffd
	v_cndmask_b32_e64 v2, 0, 4, vcc_lo
	v_cmp_gt_u32_e32 vcc_lo, 30, v50
	v_add_lshl_u32 v23, v2, v50, 2
	s_wait_alu 0xfffd
	v_cndmask_b32_e64 v3, 0, 2, vcc_lo
	v_cmp_ne_u32_e32 vcc_lo, 31, v50
	s_delay_alu instid0(VALU_DEP_2)
	v_add_lshl_u32 v40, v3, v50, 2
	s_wait_alu 0xfffd
	v_add_co_ci_u32_e64 v4, null, 0, v50, vcc_lo
	v_add_co_u32 v2, vcc_lo, v38, v28
	s_wait_alu 0xfffd
	v_add_co_ci_u32_e64 v3, null, v39, v29, vcc_lo
	s_delay_alu instid0(VALU_DEP_3)
	v_lshlrev_b32_e32 v41, 2, v4
	v_add_co_u32 v4, vcc_lo, v38, v30
	s_wait_alu 0xfffd
	v_add_co_ci_u32_e64 v5, null, v39, v31, vcc_lo
	v_add_co_u32 v6, vcc_lo, v38, v32
	s_wait_alu 0xfffd
	v_add_co_ci_u32_e64 v7, null, v39, v33, vcc_lo
	;; [unrolled: 3-line block ×3, first 2 shown]
	s_branch .LBB280_44
.LBB280_43:                             ;   in Loop: Header=BB280_44 Depth=2
	s_wait_alu 0xfffe
	s_or_b32 exec_lo, exec_lo, s6
	s_add_co_i32 s36, s36, 1
	s_add_co_i32 s56, s56, s30
	s_wait_alu 0xfffe
	s_cmp_ge_i32 s36, s27
	s_cbranch_scc1 .LBB280_2
.LBB280_44:                             ;   Parent Loop BB280_3 Depth=1
                                        ; =>  This Loop Header: Depth=2
                                        ;       Child Loop BB280_57 Depth 3
                                        ;       Child Loop BB280_60 Depth 3
	s_wait_dscnt 0x0
	v_dual_mov_b32 v18, s37 :: v_dual_mov_b32 v19, s37
	s_and_saveexec_b32 s6, s4
	s_wait_alu 0xfffe
	s_xor_b32 s6, exec_lo, s6
	s_cbranch_execnz .LBB280_53
; %bb.45:                               ;   in Loop: Header=BB280_44 Depth=2
	s_wait_alu 0xfffe
	s_and_not1_saveexec_b32 s9, s6
	s_cbranch_execnz .LBB280_54
.LBB280_46:                             ;   in Loop: Header=BB280_44 Depth=2
	s_wait_alu 0xfffe
	s_or_b32 exec_lo, exec_lo, s9
	s_and_saveexec_b32 s6, s1
.LBB280_47:                             ;   in Loop: Header=BB280_44 Depth=2
	v_mov_b32_e32 v1, v0
	ds_store_b64 v48, v[0:1]
.LBB280_48:                             ;   in Loop: Header=BB280_44 Depth=2
	s_wait_alu 0xfffe
	s_or_b32 exec_lo, exec_lo, s6
	ds_bpermute_b32 v20, v25, v18
	ds_bpermute_b32 v21, v25, v19
	s_wait_storecnt 0x0
	s_wait_loadcnt_dscnt 0x0
	s_barrier_signal -1
	s_barrier_wait -1
	global_inv scope:SCOPE_SE
	v_add_f64_e32 v[18:19], v[18:19], v[20:21]
	ds_bpermute_b32 v20, v22, v18
	ds_bpermute_b32 v21, v22, v19
	s_wait_dscnt 0x0
	v_add_f64_e32 v[18:19], v[18:19], v[20:21]
	ds_bpermute_b32 v20, v23, v18
	ds_bpermute_b32 v21, v23, v19
	s_wait_dscnt 0x0
	;; [unrolled: 4-line block ×3, first 2 shown]
	v_add_f64_e32 v[18:19], v[18:19], v[20:21]
	ds_bpermute_b32 v20, v41, v18
	ds_bpermute_b32 v21, v41, v19
	s_and_saveexec_b32 s6, s3
	s_cbranch_execz .LBB280_50
; %bb.49:                               ;   in Loop: Header=BB280_44 Depth=2
	s_wait_dscnt 0x0
	v_add_f64_e32 v[18:19], v[18:19], v[20:21]
	ds_store_b64 v49, v[18:19]
.LBB280_50:                             ;   in Loop: Header=BB280_44 Depth=2
	s_wait_alu 0xfffe
	s_or_b32 exec_lo, exec_lo, s6
	v_mov_b32_e32 v18, 0
	v_mov_b32_e32 v19, 0
	s_wait_loadcnt_dscnt 0x0
	s_barrier_signal -1
	s_barrier_wait -1
	global_inv scope:SCOPE_SE
	s_and_saveexec_b32 s6, s2
	s_cbranch_execnz .LBB280_62
; %bb.51:                               ;   in Loop: Header=BB280_44 Depth=2
	s_wait_alu 0xfffe
	s_or_b32 exec_lo, exec_lo, s6
	s_and_saveexec_b32 s6, s1
	s_cbranch_execnz .LBB280_63
.LBB280_52:                             ;   in Loop: Header=BB280_44 Depth=2
	s_wait_alu 0xfffe
	s_or_b32 exec_lo, exec_lo, s6
	s_and_saveexec_b32 s6, s0
	s_cbranch_execz .LBB280_43
	s_branch .LBB280_64
.LBB280_53:                             ;   in Loop: Header=BB280_44 Depth=2
	s_mul_i32 s8, s36, s30
	s_wait_alu 0xfffe
	s_ashr_i32 s9, s8, 31
	s_wait_alu 0xfffe
	s_lshl_b64 s[8:9], s[8:9], 3
	s_wait_alu 0xfffe
	v_add_co_u32 v12, vcc_lo, v51, s8
	s_wait_alu 0xfffd
	v_add_co_ci_u32_e64 v13, null, s9, v52, vcc_lo
	flat_load_b128 v[18:21], v[12:13]
	s_clause 0x1
	flat_load_b64 v[8:9], v[2:3]
	flat_load_b64 v[10:11], v[4:5]
	flat_load_b128 v[42:45], v[12:13] offset:16
	s_clause 0x1
	flat_load_b64 v[12:13], v[6:7]
	flat_load_b64 v[14:15], v[16:17]
	s_wait_loadcnt_dscnt 0x404
	v_fma_f64 v[18:19], v[8:9], v[18:19], 0
	s_wait_loadcnt_dscnt 0x303
	s_delay_alu instid0(VALU_DEP_1) | instskip(SKIP_1) | instid1(VALU_DEP_1)
	v_fma_f64 v[18:19], v[10:11], v[20:21], v[18:19]
	s_wait_loadcnt_dscnt 0x101
	v_fma_f64 v[18:19], v[12:13], v[42:43], v[18:19]
	s_wait_loadcnt_dscnt 0x0
	s_delay_alu instid0(VALU_DEP_1)
	v_fma_f64 v[18:19], v[14:15], v[44:45], v[18:19]
	s_and_not1_saveexec_b32 s9, s6
	s_cbranch_execz .LBB280_46
.LBB280_54:                             ;   in Loop: Header=BB280_44 Depth=2
	s_and_saveexec_b32 s11, s5
	s_cbranch_execz .LBB280_61
; %bb.55:                               ;   in Loop: Header=BB280_44 Depth=2
	s_and_not1_b32 vcc_lo, exec_lo, s71
	s_wait_alu 0xfffe
	s_cbranch_vccnz .LBB280_58
; %bb.56:                               ;   in Loop: Header=BB280_44 Depth=2
	v_mov_b32_e32 v20, v24
	s_mov_b64 s[58:59], 0
.LBB280_57:                             ;   Parent Loop BB280_3 Depth=1
                                        ;     Parent Loop BB280_44 Depth=2
                                        ; =>    This Inner Loop Header: Depth=3
	s_delay_alu instid0(VALU_DEP_1) | instskip(SKIP_1) | instid1(VALU_DEP_1)
	v_ashrrev_i32_e32 v21, 31, v20
	s_cmp_eq_u32 s58, 3
	v_lshlrev_b64_e32 v[42:43], 3, v[20:21]
	s_delay_alu instid0(VALU_DEP_1) | instskip(SKIP_1) | instid1(VALU_DEP_2)
	v_add_co_u32 v42, vcc_lo, v38, v42
	s_wait_alu 0xfffd
	v_add_co_ci_u32_e64 v43, null, v39, v43, vcc_lo
	s_cselect_b32 vcc_lo, -1, 0
	s_cmp_eq_u32 s58, 2
	s_cselect_b32 s6, -1, 0
	flat_load_b64 v[42:43], v[42:43]
	s_cmp_eq_u32 s58, 1
	v_add_nc_u32_e32 v20, s66, v20
	s_cselect_b32 s7, -1, 0
	s_cmp_eq_u32 s58, 0
	s_add_nc_u64 s[58:59], s[58:59], 1
	s_cselect_b32 s8, -1, 0
	s_cmp_eq_u32 s69, s58
	s_wait_loadcnt_dscnt 0x0
	s_wait_alu 0xfffe
	v_dual_cndmask_b32 v15, v15, v43 :: v_dual_cndmask_b32 v14, v14, v42
	v_cndmask_b32_e64 v13, v13, v43, s6
	v_cndmask_b32_e64 v12, v12, v42, s6
	;; [unrolled: 1-line block ×6, first 2 shown]
	s_cbranch_scc0 .LBB280_57
.LBB280_58:                             ;   in Loop: Header=BB280_44 Depth=2
	s_and_not1_b32 vcc_lo, exec_lo, s71
	s_wait_alu 0xfffe
	s_cbranch_vccnz .LBB280_61
; %bb.59:                               ;   in Loop: Header=BB280_44 Depth=2
	s_ashr_i32 s57, s56, 31
	s_delay_alu instid0(SALU_CYCLE_1)
	s_lshl_b64 s[6:7], s[56:57], 3
	s_wait_alu 0xfffe
	v_add_co_u32 v20, vcc_lo, v51, s6
	s_wait_alu 0xfffd
	v_add_co_ci_u32_e64 v21, null, s7, v52, vcc_lo
	s_mov_b64 s[6:7], 0
.LBB280_60:                             ;   Parent Loop BB280_3 Depth=1
                                        ;     Parent Loop BB280_44 Depth=2
                                        ; =>    This Inner Loop Header: Depth=3
	flat_load_b64 v[42:43], v[20:21]
	s_wait_alu 0xfffe
	s_cmp_eq_u32 s6, 1
	s_cselect_b32 vcc_lo, -1, 0
	s_cmp_eq_u32 s6, 2
	s_wait_alu 0xfffe
	v_dual_cndmask_b32 v1, v9, v11 :: v_dual_cndmask_b32 v44, v8, v10
	s_cselect_b32 vcc_lo, -1, 0
	s_cmp_eq_u32 s6, 3
	s_add_nc_u64 s[6:7], s[6:7], 1
	s_wait_alu 0xfffe
	v_dual_cndmask_b32 v1, v1, v13 :: v_dual_cndmask_b32 v44, v44, v12
	s_cselect_b32 vcc_lo, -1, 0
	s_cmp_lg_u32 s69, s6
	s_wait_alu 0xfffe
	s_delay_alu instid0(VALU_DEP_1)
	v_dual_cndmask_b32 v45, v1, v15 :: v_dual_cndmask_b32 v44, v44, v14
	v_add_co_u32 v20, vcc_lo, v20, 8
	s_wait_alu 0xfffd
	v_add_co_ci_u32_e64 v21, null, 0, v21, vcc_lo
	s_wait_loadcnt_dscnt 0x0
	v_fma_f64 v[18:19], v[44:45], v[42:43], v[18:19]
	s_cbranch_scc1 .LBB280_60
.LBB280_61:                             ;   in Loop: Header=BB280_44 Depth=2
	s_or_b32 exec_lo, exec_lo, s11
	s_wait_alu 0xfffe
	s_or_b32 exec_lo, exec_lo, s9
	s_and_saveexec_b32 s6, s1
	s_cbranch_execnz .LBB280_47
	s_branch .LBB280_48
.LBB280_62:                             ;   in Loop: Header=BB280_44 Depth=2
	ds_load_b64 v[18:19], v48
	s_wait_alu 0xfffe
	s_or_b32 exec_lo, exec_lo, s6
	s_and_saveexec_b32 s6, s1
	s_cbranch_execz .LBB280_52
.LBB280_63:                             ;   in Loop: Header=BB280_44 Depth=2
	s_wait_dscnt 0x0
	ds_bpermute_b32 v20, v23, v18
	ds_bpermute_b32 v21, v23, v19
	s_wait_dscnt 0x0
	v_add_f64_e32 v[18:19], v[18:19], v[20:21]
	ds_bpermute_b32 v20, v40, v18
	ds_bpermute_b32 v21, v40, v19
	s_wait_dscnt 0x0
	v_add_f64_e32 v[18:19], v[18:19], v[20:21]
	;; [unrolled: 4-line block ×3, first 2 shown]
	s_wait_alu 0xfffe
	s_or_b32 exec_lo, exec_lo, s6
	s_and_saveexec_b32 s6, s0
	s_cbranch_execz .LBB280_43
.LBB280_64:                             ;   in Loop: Header=BB280_44 Depth=2
	s_wait_dscnt 0x0
	s_delay_alu instid0(VALU_DEP_1)
	v_mul_f64_e32 v[18:19], v[36:37], v[18:19]
	s_mul_u64 s[8:9], s[36:37], s[28:29]
	s_wait_alu 0xfffe
	s_lshl_b64 s[8:9], s[8:9], 3
	s_wait_alu 0xfffe
	s_add_nc_u64 s[8:9], s[54:55], s[8:9]
	global_store_b64 v0, v[18:19], s[8:9]
	s_branch .LBB280_43
.LBB280_65:
	s_endpgm
	.section	.rodata,"a",@progbits
	.p2align	6, 0x0
	.amdhsa_kernel _ZL23rocblas_gemvt_sn_kernelILb1ELi256ELi4EiPKdS1_dEviiT4_lPKT3_lilS5_lilPT5_i
		.amdhsa_group_segment_fixed_size 256
		.amdhsa_private_segment_fixed_size 0
		.amdhsa_kernarg_size 360
		.amdhsa_user_sgpr_count 2
		.amdhsa_user_sgpr_dispatch_ptr 0
		.amdhsa_user_sgpr_queue_ptr 0
		.amdhsa_user_sgpr_kernarg_segment_ptr 1
		.amdhsa_user_sgpr_dispatch_id 0
		.amdhsa_user_sgpr_private_segment_size 0
		.amdhsa_wavefront_size32 1
		.amdhsa_uses_dynamic_stack 0
		.amdhsa_enable_private_segment 0
		.amdhsa_system_sgpr_workgroup_id_x 1
		.amdhsa_system_sgpr_workgroup_id_y 0
		.amdhsa_system_sgpr_workgroup_id_z 1
		.amdhsa_system_sgpr_workgroup_info 0
		.amdhsa_system_vgpr_workitem_id 0
		.amdhsa_next_free_vgpr 77
		.amdhsa_next_free_sgpr 78
		.amdhsa_reserve_vcc 1
		.amdhsa_float_round_mode_32 0
		.amdhsa_float_round_mode_16_64 0
		.amdhsa_float_denorm_mode_32 3
		.amdhsa_float_denorm_mode_16_64 3
		.amdhsa_fp16_overflow 0
		.amdhsa_workgroup_processor_mode 1
		.amdhsa_memory_ordered 1
		.amdhsa_forward_progress 1
		.amdhsa_inst_pref_size 35
		.amdhsa_round_robin_scheduling 0
		.amdhsa_exception_fp_ieee_invalid_op 0
		.amdhsa_exception_fp_denorm_src 0
		.amdhsa_exception_fp_ieee_div_zero 0
		.amdhsa_exception_fp_ieee_overflow 0
		.amdhsa_exception_fp_ieee_underflow 0
		.amdhsa_exception_fp_ieee_inexact 0
		.amdhsa_exception_int_div_zero 0
	.end_amdhsa_kernel
	.section	.text._ZL23rocblas_gemvt_sn_kernelILb1ELi256ELi4EiPKdS1_dEviiT4_lPKT3_lilS5_lilPT5_i,"axG",@progbits,_ZL23rocblas_gemvt_sn_kernelILb1ELi256ELi4EiPKdS1_dEviiT4_lPKT3_lilS5_lilPT5_i,comdat
.Lfunc_end280:
	.size	_ZL23rocblas_gemvt_sn_kernelILb1ELi256ELi4EiPKdS1_dEviiT4_lPKT3_lilS5_lilPT5_i, .Lfunc_end280-_ZL23rocblas_gemvt_sn_kernelILb1ELi256ELi4EiPKdS1_dEviiT4_lPKT3_lilS5_lilPT5_i
                                        ; -- End function
	.set _ZL23rocblas_gemvt_sn_kernelILb1ELi256ELi4EiPKdS1_dEviiT4_lPKT3_lilS5_lilPT5_i.num_vgpr, 77
	.set _ZL23rocblas_gemvt_sn_kernelILb1ELi256ELi4EiPKdS1_dEviiT4_lPKT3_lilS5_lilPT5_i.num_agpr, 0
	.set _ZL23rocblas_gemvt_sn_kernelILb1ELi256ELi4EiPKdS1_dEviiT4_lPKT3_lilS5_lilPT5_i.numbered_sgpr, 78
	.set _ZL23rocblas_gemvt_sn_kernelILb1ELi256ELi4EiPKdS1_dEviiT4_lPKT3_lilS5_lilPT5_i.num_named_barrier, 0
	.set _ZL23rocblas_gemvt_sn_kernelILb1ELi256ELi4EiPKdS1_dEviiT4_lPKT3_lilS5_lilPT5_i.private_seg_size, 0
	.set _ZL23rocblas_gemvt_sn_kernelILb1ELi256ELi4EiPKdS1_dEviiT4_lPKT3_lilS5_lilPT5_i.uses_vcc, 1
	.set _ZL23rocblas_gemvt_sn_kernelILb1ELi256ELi4EiPKdS1_dEviiT4_lPKT3_lilS5_lilPT5_i.uses_flat_scratch, 1
	.set _ZL23rocblas_gemvt_sn_kernelILb1ELi256ELi4EiPKdS1_dEviiT4_lPKT3_lilS5_lilPT5_i.has_dyn_sized_stack, 0
	.set _ZL23rocblas_gemvt_sn_kernelILb1ELi256ELi4EiPKdS1_dEviiT4_lPKT3_lilS5_lilPT5_i.has_recursion, 0
	.set _ZL23rocblas_gemvt_sn_kernelILb1ELi256ELi4EiPKdS1_dEviiT4_lPKT3_lilS5_lilPT5_i.has_indirect_call, 0
	.section	.AMDGPU.csdata,"",@progbits
; Kernel info:
; codeLenInByte = 4372
; TotalNumSgprs: 80
; NumVgprs: 77
; ScratchSize: 0
; MemoryBound: 1
; FloatMode: 240
; IeeeMode: 1
; LDSByteSize: 256 bytes/workgroup (compile time only)
; SGPRBlocks: 0
; VGPRBlocks: 9
; NumSGPRsForWavesPerEU: 80
; NumVGPRsForWavesPerEU: 77
; Occupancy: 16
; WaveLimiterHint : 0
; COMPUTE_PGM_RSRC2:SCRATCH_EN: 0
; COMPUTE_PGM_RSRC2:USER_SGPR: 2
; COMPUTE_PGM_RSRC2:TRAP_HANDLER: 0
; COMPUTE_PGM_RSRC2:TGID_X_EN: 1
; COMPUTE_PGM_RSRC2:TGID_Y_EN: 0
; COMPUTE_PGM_RSRC2:TGID_Z_EN: 1
; COMPUTE_PGM_RSRC2:TIDIG_COMP_CNT: 0
	.section	.text._ZL23rocblas_gemvt_sn_kernelILb1ELi256ELi4ElPKdS1_dEviiT4_lPKT3_lilS5_lilPT5_i,"axG",@progbits,_ZL23rocblas_gemvt_sn_kernelILb1ELi256ELi4ElPKdS1_dEviiT4_lPKT3_lilS5_lilPT5_i,comdat
	.globl	_ZL23rocblas_gemvt_sn_kernelILb1ELi256ELi4ElPKdS1_dEviiT4_lPKT3_lilS5_lilPT5_i ; -- Begin function _ZL23rocblas_gemvt_sn_kernelILb1ELi256ELi4ElPKdS1_dEviiT4_lPKT3_lilS5_lilPT5_i
	.p2align	8
	.type	_ZL23rocblas_gemvt_sn_kernelILb1ELi256ELi4ElPKdS1_dEviiT4_lPKT3_lilS5_lilPT5_i,@function
_ZL23rocblas_gemvt_sn_kernelILb1ELi256ELi4ElPKdS1_dEviiT4_lPKT3_lilS5_lilPT5_i: ; @_ZL23rocblas_gemvt_sn_kernelILb1ELi256ELi4ElPKdS1_dEviiT4_lPKT3_lilS5_lilPT5_i
; %bb.0:
	s_load_b32 s33, s[0:1], 0x60
	s_lshr_b32 s10, ttmp7, 16
	s_wait_kmcnt 0x0
	s_cmp_ge_u32 s10, s33
	s_cbranch_scc1 .LBB281_65
; %bb.1:
	s_clause 0x6
	s_load_b32 s26, s[0:1], 0x28
	s_load_b32 s6, s[0:1], 0x48
	s_load_b64 s[28:29], s[0:1], 0x0
	s_load_b32 s30, s[0:1], 0x68
	s_load_b256 s[12:19], s[0:1], 0x8
	s_load_b128 s[20:23], s[0:1], 0x38
	s_load_b64 s[34:35], s[0:1], 0x58
	s_mov_b32 s25, 0
	v_cmp_eq_u32_e64 s0, 0, v0
	s_mov_b32 s31, s25
	v_and_b32_e32 v3, 31, v0
	v_cmp_gt_u32_e64 s5, 8, v0
	v_mbcnt_lo_u32_b32 v52, -1, 0
	s_mov_b32 s24, ttmp9
	s_delay_alu instid0(VALU_DEP_1)
	v_lshl_or_b32 v53, v52, 2, 64
	s_wait_kmcnt 0x0
	s_ashr_i32 s27, s26, 31
	s_ashr_i32 s7, s6, 31
	;; [unrolled: 1-line block ×3, first 2 shown]
	s_mov_b32 s2, s29
	s_cmp_gt_i32 s29, 0
	s_mul_u64 s[36:37], s[2:3], s[30:31]
	s_cselect_b32 s1, -1, 0
	s_lshl_b32 s2, ttmp9, 10
	s_ashr_i32 s4, s28, 31
	v_lshl_or_b32 v1, v0, 2, s2
	s_and_b32 s60, s0, s1
	s_lshr_b32 s1, s4, 30
	s_lshr_b32 s3, s3, 30
	s_add_co_i32 s1, s28, s1
	v_add_nc_u32_e32 v4, 4, v1
	s_and_b32 s1, s1, -4
	s_wait_alu 0xfffe
	s_add_co_i32 s2, s29, s3
	s_sub_co_i32 s62, s28, s1
	v_cmp_gt_u32_e64 s3, 32, v0
	v_add_nc_u32_e32 v5, s62, v1
	v_cmp_ge_i32_e64 s1, s28, v4
	v_lshrrev_b32_e32 v4, 2, v0
	v_or_b32_e32 v0, 1, v1
	s_wait_alu 0xfffe
	s_and_b32 s61, s2, -4
	v_cmp_ge_i32_e64 s2, s28, v5
	v_or_b32_e32 v7, 2, v1
	v_and_b32_e32 v51, 56, v4
	v_mad_co_i64_i32 v[5:6], null, s6, v0, 0
	v_or_b32_e32 v0, 3, v1
	s_delay_alu instid0(VALU_DEP_4) | instskip(SKIP_2) | instid1(VALU_DEP_3)
	v_mad_co_i64_i32 v[7:8], null, s6, v7, 0
	v_ashrrev_i32_e32 v2, 31, v1
	s_cmp_gt_i32 s61, 0
	v_mad_co_i64_i32 v[9:10], null, s6, v0, 0
	v_mov_b32_e32 v0, 0
	v_cmp_eq_u32_e64 s4, 0, v3
	v_lshlrev_b32_e32 v50, 3, v3
	v_mad_co_i64_i32 v[3:4], null, s6, v1, 0
	s_cselect_b32 s63, -1, 0
	s_cmp_gt_i32 s62, 0
	v_lshlrev_b64_e32 v[26:27], 3, v[1:2]
	v_lshlrev_b64_e32 v[28:29], 3, v[5:6]
	;; [unrolled: 1-line block ×5, first 2 shown]
	s_cselect_b32 s64, -1, 0
	s_lshl_b64 s[38:39], s[24:25], 3
	s_lshl_b64 s[42:43], s[36:37], 3
	s_add_nc_u64 s[40:41], s[34:35], s[38:39]
	s_lshl_b64 s[44:45], s[30:31], 3
	s_lshl_b64 s[46:47], s[6:7], 3
	s_mul_u64 s[48:49], s[26:27], 24
	s_lshl_b64 s[50:51], s[26:27], 5
	s_lshl_b64 s[52:53], s[26:27], 4
	;; [unrolled: 1-line block ×5, first 2 shown]
	s_branch .LBB281_3
.LBB281_2:                              ;   in Loop: Header=BB281_3 Depth=1
	s_add_co_i32 s10, s10, 0x10000
	s_delay_alu instid0(SALU_CYCLE_1)
	s_cmp_lt_u32 s10, s33
	s_cbranch_scc0 .LBB281_65
.LBB281_3:                              ; =>This Loop Header: Depth=1
                                        ;     Child Loop BB281_10 Depth 2
                                        ;     Child Loop BB281_16 Depth 2
                                        ;       Child Loop BB281_22 Depth 3
                                        ;       Child Loop BB281_25 Depth 3
	;; [unrolled: 1-line block ×3, first 2 shown]
                                        ;     Child Loop BB281_44 Depth 2
                                        ;       Child Loop BB281_57 Depth 3
                                        ;       Child Loop BB281_60 Depth 3
	s_mov_b32 s11, s25
	v_mov_b32_e32 v38, 0
	s_mul_u64 s[6:7], s[14:15], s[10:11]
	v_dual_mov_b32 v39, 0 :: v_dual_mov_b32 v2, 0
	s_wait_alu 0xfffe
	s_lshl_b64 s[6:7], s[6:7], 3
	v_mov_b32_e32 v3, 0
	s_wait_alu 0xfffe
	s_add_nc_u64 s[6:7], s[12:13], s[6:7]
	global_load_b64 v[34:35], v0, s[6:7]
	s_wait_loadcnt 0x0
	v_cmp_eq_f64_e64 s6, 0, v[34:35]
	v_cmp_neq_f64_e64 s7, 0, v[34:35]
	s_wait_alu 0xfffe
	s_and_b32 vcc_lo, exec_lo, s6
	s_wait_alu 0xfffe
	s_cbranch_vccnz .LBB281_5
; %bb.4:                                ;   in Loop: Header=BB281_3 Depth=1
	s_lshl_b64 s[8:9], s[10:11], 3
	s_wait_alu 0xfffe
	s_add_nc_u64 s[8:9], s[16:17], s[8:9]
	global_load_b64 v[2:3], v0, s[8:9]
	s_wait_loadcnt 0x0
	v_add_co_u32 v2, vcc_lo, v2, s18
	s_wait_alu 0xfffd
	v_add_co_ci_u32_e64 v3, null, s19, v3, vcc_lo
.LBB281_5:                              ;   in Loop: Header=BB281_3 Depth=1
	s_and_not1_b32 vcc_lo, exec_lo, s7
	s_wait_alu 0xfffe
	s_cbranch_vccnz .LBB281_7
; %bb.6:                                ;   in Loop: Header=BB281_3 Depth=1
	s_lshl_b64 s[8:9], s[10:11], 3
	s_wait_alu 0xfffe
	s_add_nc_u64 s[8:9], s[20:21], s[8:9]
	global_load_b64 v[4:5], v0, s[8:9]
	s_wait_loadcnt 0x0
	v_add_co_u32 v38, vcc_lo, v4, s22
	s_wait_alu 0xfffd
	v_add_co_ci_u32_e64 v39, null, s23, v5, vcc_lo
.LBB281_7:                              ;   in Loop: Header=BB281_3 Depth=1
	s_and_not1_b32 vcc_lo, exec_lo, s6
	s_mov_b32 s6, -1
	s_wait_alu 0xfffe
	s_cbranch_vccnz .LBB281_12
; %bb.8:                                ;   in Loop: Header=BB281_3 Depth=1
	s_and_saveexec_b32 s8, s60
	s_cbranch_execz .LBB281_11
; %bb.9:                                ;   in Loop: Header=BB281_3 Depth=1
	s_mul_u64 s[6:7], s[42:43], s[10:11]
	s_mov_b32 s9, s29
	s_wait_alu 0xfffe
	s_add_nc_u64 s[6:7], s[40:41], s[6:7]
.LBB281_10:                             ;   Parent Loop BB281_3 Depth=1
                                        ; =>  This Inner Loop Header: Depth=2
	v_mov_b32_e32 v1, v0
	s_add_co_i32 s9, s9, -1
	s_wait_alu 0xfffe
	s_cmp_eq_u32 s9, 0
	global_store_b64 v0, v[0:1], s[6:7]
	s_add_nc_u64 s[6:7], s[6:7], s[44:45]
	s_cbranch_scc0 .LBB281_10
.LBB281_11:                             ;   in Loop: Header=BB281_3 Depth=1
	s_wait_alu 0xfffe
	s_or_b32 exec_lo, exec_lo, s8
	s_mov_b32 s6, 0
.LBB281_12:                             ;   in Loop: Header=BB281_3 Depth=1
	s_wait_alu 0xfffe
	s_and_not1_b32 vcc_lo, exec_lo, s6
	s_wait_alu 0xfffe
	s_cbranch_vccnz .LBB281_2
; %bb.13:                               ;   in Loop: Header=BB281_3 Depth=1
	s_mul_u64 s[6:7], s[36:37], s[10:11]
	v_add_co_u32 v36, vcc_lo, v2, v26
	s_wait_alu 0xfffe
	s_lshl_b64 s[56:57], s[6:7], 3
	s_wait_alu 0xfffd
	v_add_co_ci_u32_e64 v37, null, v3, v27, vcc_lo
	v_cmp_gt_u32_e64 s9, 24, v52
	v_cmp_gt_u32_e64 s8, 28, v52
	;; [unrolled: 1-line block ×3, first 2 shown]
	v_cmp_ne_u32_e64 s6, 31, v52
	s_add_nc_u64 s[56:57], s[34:35], s[56:57]
	s_and_not1_b32 vcc_lo, exec_lo, s63
	s_add_nc_u64 s[56:57], s[56:57], s[38:39]
	s_wait_alu 0xfffe
	s_cbranch_vccnz .LBB281_40
; %bb.14:                               ;   in Loop: Header=BB281_3 Depth=1
	v_cndmask_b32_e64 v1, 0, 8, s9
	v_cndmask_b32_e64 v2, 0, 4, s8
	;; [unrolled: 1-line block ×3, first 2 shown]
	v_add_co_ci_u32_e64 v4, null, 0, v52, s6
	v_add_co_u32 v40, vcc_lo, v38, v24
	s_wait_alu 0xfffd
	v_add_co_ci_u32_e64 v41, null, v39, v25, vcc_lo
	v_add_co_u32 v42, vcc_lo, v38, v28
	v_mov_b32_e32 v7, v0
	v_add_lshl_u32 v54, v1, v52, 2
	v_add_lshl_u32 v55, v2, v52, 2
	;; [unrolled: 1-line block ×3, first 2 shown]
	v_dual_mov_b32 v2, v0 :: v_dual_lshlrev_b32 v57, 2, v4
	v_dual_mov_b32 v1, v0 :: v_dual_mov_b32 v4, v0
	v_dual_mov_b32 v3, v0 :: v_dual_mov_b32 v6, v0
	v_mov_b32_e32 v5, v0
	s_wait_alu 0xfffd
	v_add_co_ci_u32_e64 v43, null, v39, v29, vcc_lo
	v_add_co_u32 v44, vcc_lo, v38, v30
	s_wait_alu 0xfffd
	v_add_co_ci_u32_e64 v45, null, v39, v31, vcc_lo
	v_add_co_u32 v46, vcc_lo, v38, v32
	v_dual_mov_b32 v49, v37 :: v_dual_mov_b32 v48, v36
	v_dual_mov_b32 v15, v7 :: v_dual_mov_b32 v12, v4
	s_wait_alu 0xfffd
	v_add_co_ci_u32_e64 v47, null, v39, v33, vcc_lo
	v_dual_mov_b32 v14, v6 :: v_dual_mov_b32 v13, v5
	v_dual_mov_b32 v10, v2 :: v_dual_mov_b32 v11, v3
	;; [unrolled: 1-line block ×3, first 2 shown]
	s_mov_b32 s24, 0
	s_branch .LBB281_16
.LBB281_15:                             ;   in Loop: Header=BB281_16 Depth=2
	s_wait_alu 0xfffe
	s_or_b32 exec_lo, exec_lo, s6
	v_add_co_u32 v48, vcc_lo, v48, s50
	s_wait_alu 0xfffd
	v_add_co_ci_u32_e64 v49, null, s51, v49, vcc_lo
	s_add_co_i32 s24, s24, 4
	s_wait_alu 0xfffe
	s_cmp_ge_i32 s24, s61
	s_cbranch_scc1 .LBB281_41
.LBB281_16:                             ;   Parent Loop BB281_3 Depth=1
                                        ; =>  This Loop Header: Depth=2
                                        ;       Child Loop BB281_22 Depth 3
                                        ;       Child Loop BB281_25 Depth 3
	;; [unrolled: 1-line block ×3, first 2 shown]
                                        ; implicit-def: $vgpr16_vgpr17_vgpr18_vgpr19_vgpr20_vgpr21_vgpr22_vgpr23
	s_and_saveexec_b32 s6, s1
	s_wait_alu 0xfffe
	s_xor_b32 s6, exec_lo, s6
	s_cbranch_execz .LBB281_18
; %bb.17:                               ;   in Loop: Header=BB281_16 Depth=2
	s_mul_u64 s[8:9], s[24:25], s[26:27]
	s_or_b32 s58, s24, 1
	s_mov_b32 s59, s25
	s_wait_alu 0xfffe
	s_lshl_b64 s[8:9], s[8:9], 3
	s_mul_u64 s[58:59], s[58:59], s[26:27]
	s_wait_alu 0xfffe
	v_add_co_u32 v5, vcc_lo, v36, s8
	s_wait_alu 0xfffd
	v_add_co_ci_u32_e64 v6, null, s9, v37, vcc_lo
	s_lshl_b64 s[8:9], s[58:59], 3
	s_or_b32 s58, s24, 2
	s_mov_b32 s59, s25
	s_wait_alu 0xfffe
	v_add_co_u32 v14, vcc_lo, v36, s8
	s_wait_alu 0xfffd
	v_add_co_ci_u32_e64 v15, null, s9, v37, vcc_lo
	s_mul_u64 s[8:9], s[58:59], s[26:27]
	s_or_b32 s58, s24, 3
	s_wait_alu 0xfffe
	s_lshl_b64 s[8:9], s[8:9], 3
	s_mul_u64 s[58:59], s[58:59], s[26:27]
	s_wait_alu 0xfffe
	v_add_co_u32 v70, vcc_lo, v36, s8
	s_wait_alu 0xfffd
	v_add_co_ci_u32_e64 v71, null, s9, v37, vcc_lo
	s_lshl_b64 s[8:9], s[58:59], 3
	s_wait_alu 0xfffe
	v_add_co_u32 v74, vcc_lo, v36, s8
	s_wait_alu 0xfffd
	v_add_co_ci_u32_e64 v75, null, s9, v37, vcc_lo
	flat_load_b64 v[8:9], v[40:41]
	s_clause 0x1
	flat_load_b128 v[1:4], v[5:6]
	flat_load_b128 v[16:19], v[14:15]
	s_wait_dscnt 0x3
	s_clause 0x1
	flat_load_b128 v[20:23], v[70:71]
	flat_load_b128 v[58:61], v[74:75]
	s_clause 0x1
	flat_load_b64 v[10:11], v[42:43]
	flat_load_b64 v[12:13], v[44:45]
	s_clause 0x3
	flat_load_b128 v[62:65], v[5:6] offset:16
	flat_load_b128 v[66:69], v[14:15] offset:16
	;; [unrolled: 1-line block ×4, first 2 shown]
	flat_load_b64 v[14:15], v[46:47]
	s_wait_loadcnt_dscnt 0xa0a
	v_fma_f64 v[1:2], v[8:9], v[1:2], 0
	s_wait_loadcnt_dscnt 0x909
	v_fma_f64 v[5:6], v[8:9], v[16:17], 0
	;; [unrolled: 2-line block ×4, first 2 shown]
	s_wait_loadcnt_dscnt 0x606
	s_delay_alu instid0(VALU_DEP_4) | instskip(NEXT) | instid1(VALU_DEP_4)
	v_fma_f64 v[1:2], v[10:11], v[3:4], v[1:2]
	v_fma_f64 v[3:4], v[10:11], v[18:19], v[5:6]
	s_delay_alu instid0(VALU_DEP_4) | instskip(NEXT) | instid1(VALU_DEP_4)
	v_fma_f64 v[5:6], v[10:11], v[22:23], v[16:17]
	v_fma_f64 v[16:17], v[10:11], v[60:61], v[20:21]
	s_wait_loadcnt_dscnt 0x404
	s_delay_alu instid0(VALU_DEP_4) | instskip(SKIP_1) | instid1(VALU_DEP_4)
	v_fma_f64 v[1:2], v[12:13], v[62:63], v[1:2]
	s_wait_loadcnt_dscnt 0x303
	v_fma_f64 v[3:4], v[12:13], v[66:67], v[3:4]
	s_wait_loadcnt_dscnt 0x202
	s_delay_alu instid0(VALU_DEP_4) | instskip(SKIP_1) | instid1(VALU_DEP_4)
	v_fma_f64 v[5:6], v[12:13], v[70:71], v[5:6]
	s_wait_loadcnt_dscnt 0x101
	v_fma_f64 v[22:23], v[12:13], v[74:75], v[16:17]
	s_wait_loadcnt_dscnt 0x0
	s_delay_alu instid0(VALU_DEP_4) | instskip(NEXT) | instid1(VALU_DEP_4)
	v_fma_f64 v[16:17], v[14:15], v[64:65], v[1:2]
	v_fma_f64 v[18:19], v[14:15], v[68:69], v[3:4]
	s_delay_alu instid0(VALU_DEP_4) | instskip(NEXT) | instid1(VALU_DEP_4)
	v_fma_f64 v[20:21], v[14:15], v[72:73], v[5:6]
	v_fma_f64 v[22:23], v[14:15], v[76:77], v[22:23]
.LBB281_18:                             ;   in Loop: Header=BB281_16 Depth=2
	s_wait_alu 0xfffe
	s_and_not1_saveexec_b32 s11, s6
	s_cbranch_execz .LBB281_28
; %bb.19:                               ;   in Loop: Header=BB281_16 Depth=2
	v_mov_b32_e32 v7, v0
	v_dual_mov_b32 v1, v0 :: v_dual_mov_b32 v2, v0
	v_dual_mov_b32 v3, v0 :: v_dual_mov_b32 v4, v0
	;; [unrolled: 1-line block ×3, first 2 shown]
	s_wait_dscnt 0x0
	v_mov_b32_e32 v23, v7
	s_delay_alu instid0(VALU_DEP_3) | instskip(NEXT) | instid1(VALU_DEP_3)
	v_dual_mov_b32 v19, v3 :: v_dual_mov_b32 v18, v2
	v_dual_mov_b32 v21, v5 :: v_dual_mov_b32 v20, v4
	;; [unrolled: 1-line block ×3, first 2 shown]
	v_mov_b32_e32 v16, v0
	s_and_saveexec_b32 s28, s2
	s_cbranch_execz .LBB281_27
; %bb.20:                               ;   in Loop: Header=BB281_16 Depth=2
	s_and_not1_b32 vcc_lo, exec_lo, s64
	s_wait_alu 0xfffe
	s_cbranch_vccnz .LBB281_23
; %bb.21:                               ;   in Loop: Header=BB281_16 Depth=2
	v_dual_mov_b32 v1, v40 :: v_dual_mov_b32 v2, v41
	s_mov_b64 s[58:59], 0
.LBB281_22:                             ;   Parent Loop BB281_3 Depth=1
                                        ;     Parent Loop BB281_16 Depth=2
                                        ; =>    This Inner Loop Header: Depth=3
	flat_load_b64 v[3:4], v[1:2]
	s_cmp_eq_u32 s58, 3
	v_add_co_u32 v1, vcc_lo, v1, s46
	s_wait_alu 0xfffd
	v_add_co_ci_u32_e64 v2, null, s47, v2, vcc_lo
	s_cselect_b32 vcc_lo, -1, 0
	s_cmp_eq_u32 s58, 2
	s_cselect_b32 s6, -1, 0
	s_cmp_eq_u32 s58, 1
	s_cselect_b32 s7, -1, 0
	s_cmp_eq_u32 s58, 0
	s_add_nc_u64 s[58:59], s[58:59], 1
	s_cselect_b32 s8, -1, 0
	s_cmp_eq_u32 s62, s58
	s_wait_loadcnt_dscnt 0x0
	s_wait_alu 0xfffe
	v_dual_cndmask_b32 v15, v15, v4 :: v_dual_cndmask_b32 v14, v14, v3
	v_cndmask_b32_e64 v13, v13, v4, s6
	v_cndmask_b32_e64 v12, v12, v3, s6
	;; [unrolled: 1-line block ×6, first 2 shown]
	s_cbranch_scc0 .LBB281_22
.LBB281_23:                             ;   in Loop: Header=BB281_16 Depth=2
	s_and_not1_b32 vcc_lo, exec_lo, s64
	s_wait_alu 0xfffe
	s_cbranch_vccnz .LBB281_26
; %bb.24:                               ;   in Loop: Header=BB281_16 Depth=2
	v_mov_b32_e32 v16, 0
	v_dual_mov_b32 v20, 0 :: v_dual_mov_b32 v17, 0
	v_dual_mov_b32 v18, 0 :: v_dual_mov_b32 v21, 0
	;; [unrolled: 1-line block ×3, first 2 shown]
	v_mov_b32_e32 v23, 0
	v_dual_mov_b32 v1, v48 :: v_dual_mov_b32 v2, v49
	s_mov_b64 s[8:9], 0
.LBB281_25:                             ;   Parent Loop BB281_3 Depth=1
                                        ;     Parent Loop BB281_16 Depth=2
                                        ; =>    This Inner Loop Header: Depth=3
	s_delay_alu instid0(VALU_DEP_1) | instskip(SKIP_1) | instid1(VALU_DEP_2)
	v_add_co_u32 v3, vcc_lo, v1, s54
	s_wait_alu 0xfffd
	v_add_co_ci_u32_e64 v4, null, s55, v2, vcc_lo
	v_add_co_u32 v5, vcc_lo, v1, s52
	s_wait_alu 0xfffd
	v_add_co_ci_u32_e64 v6, null, s53, v2, vcc_lo
	;; [unrolled: 3-line block ×3, first 2 shown]
	s_clause 0x3
	flat_load_b64 v[60:61], v[1:2]
	flat_load_b64 v[3:4], v[3:4]
	;; [unrolled: 1-line block ×4, first 2 shown]
	s_wait_alu 0xfffe
	s_cmp_eq_u32 s8, 1
	s_cselect_b32 vcc_lo, -1, 0
	s_cmp_eq_u32 s8, 2
	s_wait_alu 0xfffe
	v_dual_cndmask_b32 v7, v9, v11 :: v_dual_cndmask_b32 v62, v8, v10
	s_cselect_b32 vcc_lo, -1, 0
	s_cmp_eq_u32 s8, 3
	s_add_nc_u64 s[8:9], s[8:9], 1
	s_wait_alu 0xfffe
	v_dual_cndmask_b32 v7, v7, v13 :: v_dual_cndmask_b32 v62, v62, v12
	s_cselect_b32 s6, -1, 0
	v_add_co_u32 v1, vcc_lo, v1, 8
	s_wait_alu 0xfffe
	s_delay_alu instid0(VALU_DEP_2)
	v_cndmask_b32_e64 v63, v7, v15, s6
	v_cndmask_b32_e64 v62, v62, v14, s6
	s_wait_alu 0xfffd
	v_add_co_ci_u32_e64 v2, null, 0, v2, vcc_lo
	s_cmp_lg_u32 s62, s8
	s_wait_loadcnt_dscnt 0x303
	v_fma_f64 v[16:17], v[62:63], v[60:61], v[16:17]
	s_wait_loadcnt_dscnt 0x202
	v_fma_f64 v[18:19], v[62:63], v[3:4], v[18:19]
	;; [unrolled: 2-line block ×4, first 2 shown]
	s_cbranch_scc1 .LBB281_25
	s_branch .LBB281_27
.LBB281_26:                             ;   in Loop: Header=BB281_16 Depth=2
	v_mov_b32_e32 v7, v0
	v_dual_mov_b32 v1, v0 :: v_dual_mov_b32 v2, v0
	v_dual_mov_b32 v3, v0 :: v_dual_mov_b32 v4, v0
	;; [unrolled: 1-line block ×3, first 2 shown]
	s_delay_alu instid0(VALU_DEP_4) | instskip(NEXT) | instid1(VALU_DEP_3)
	v_mov_b32_e32 v23, v7
	v_dual_mov_b32 v19, v3 :: v_dual_mov_b32 v18, v2
	s_delay_alu instid0(VALU_DEP_3) | instskip(NEXT) | instid1(VALU_DEP_4)
	v_dual_mov_b32 v21, v5 :: v_dual_mov_b32 v20, v4
	v_dual_mov_b32 v22, v6 :: v_dual_mov_b32 v17, v1
	v_mov_b32_e32 v16, v0
.LBB281_27:                             ;   in Loop: Header=BB281_16 Depth=2
	s_wait_alu 0xfffe
	s_or_b32 exec_lo, exec_lo, s28
.LBB281_28:                             ;   in Loop: Header=BB281_16 Depth=2
	s_delay_alu instid0(SALU_CYCLE_1)
	s_or_b32 exec_lo, exec_lo, s11
	s_mov_b64 s[6:7], 0
	s_branch .LBB281_30
.LBB281_29:                             ;   in Loop: Header=BB281_30 Depth=3
	s_wait_alu 0xfffe
	s_or_b32 exec_lo, exec_lo, s8
	s_cmp_eq_u32 s6, 3
	s_cselect_b32 vcc_lo, -1, 0
	s_cmp_eq_u32 s6, 2
	s_wait_dscnt 0x0
	s_wait_alu 0xfffe
	s_delay_alu instid0(VALU_DEP_1)
	v_dual_cndmask_b32 v23, v23, v2 :: v_dual_cndmask_b32 v22, v22, v1
	s_cselect_b32 vcc_lo, -1, 0
	s_cmp_eq_u32 s6, 1
	s_wait_alu 0xfffe
	v_dual_cndmask_b32 v21, v21, v2 :: v_dual_cndmask_b32 v20, v20, v1
	s_cselect_b32 vcc_lo, -1, 0
	s_cmp_eq_u32 s6, 0
	s_wait_alu 0xfffe
	v_dual_cndmask_b32 v19, v19, v2 :: v_dual_cndmask_b32 v18, v18, v1
	s_cselect_b32 vcc_lo, -1, 0
	s_add_nc_u64 s[6:7], s[6:7], 1
	s_wait_alu 0xfffe
	v_dual_cndmask_b32 v17, v17, v2 :: v_dual_cndmask_b32 v16, v16, v1
	s_cmp_eq_u32 s6, 4
	s_cbranch_scc1 .LBB281_38
.LBB281_30:                             ;   Parent Loop BB281_3 Depth=1
                                        ;     Parent Loop BB281_16 Depth=2
                                        ; =>    This Inner Loop Header: Depth=3
	s_and_saveexec_b32 s8, s3
; %bb.31:                               ;   in Loop: Header=BB281_30 Depth=3
	v_mov_b32_e32 v1, v0
	ds_store_b64 v50, v[0:1]
; %bb.32:                               ;   in Loop: Header=BB281_30 Depth=3
	s_wait_alu 0xfffe
	s_or_b32 exec_lo, exec_lo, s8
	s_cmp_eq_u32 s6, 1
	s_wait_storecnt_dscnt 0x0
	s_cselect_b32 vcc_lo, -1, 0
	s_cmp_eq_u32 s6, 2
	s_wait_alu 0xfffe
	v_dual_cndmask_b32 v1, v17, v19 :: v_dual_cndmask_b32 v2, v16, v18
	s_cselect_b32 vcc_lo, -1, 0
	s_cmp_eq_u32 s6, 3
	s_barrier_signal -1
	s_wait_alu 0xfffe
	v_cndmask_b32_e32 v1, v1, v21, vcc_lo
	v_cndmask_b32_e32 v3, v2, v20, vcc_lo
	s_cselect_b32 vcc_lo, -1, 0
	s_barrier_wait -1
	global_inv scope:SCOPE_SE
	s_wait_alu 0xfffe
	v_dual_cndmask_b32 v2, v1, v23 :: v_dual_cndmask_b32 v1, v3, v22
	ds_bpermute_b32 v4, v53, v2
	ds_bpermute_b32 v3, v53, v1
	s_wait_dscnt 0x0
	v_add_f64_e32 v[1:2], v[1:2], v[3:4]
	ds_bpermute_b32 v3, v54, v1
	ds_bpermute_b32 v4, v54, v2
	s_wait_dscnt 0x0
	v_add_f64_e32 v[1:2], v[1:2], v[3:4]
	;; [unrolled: 4-line block ×4, first 2 shown]
	ds_bpermute_b32 v3, v57, v1
	ds_bpermute_b32 v4, v57, v2
	s_and_saveexec_b32 s8, s4
	s_cbranch_execz .LBB281_34
; %bb.33:                               ;   in Loop: Header=BB281_30 Depth=3
	s_wait_dscnt 0x0
	v_add_f64_e32 v[1:2], v[1:2], v[3:4]
	ds_store_b64 v51, v[1:2]
.LBB281_34:                             ;   in Loop: Header=BB281_30 Depth=3
	s_wait_alu 0xfffe
	s_or_b32 exec_lo, exec_lo, s8
	v_mov_b32_e32 v1, 0
	v_mov_b32_e32 v2, 0
	s_wait_loadcnt_dscnt 0x0
	s_barrier_signal -1
	s_barrier_wait -1
	global_inv scope:SCOPE_SE
	s_and_saveexec_b32 s8, s5
; %bb.35:                               ;   in Loop: Header=BB281_30 Depth=3
	ds_load_b64 v[1:2], v50
; %bb.36:                               ;   in Loop: Header=BB281_30 Depth=3
	s_wait_alu 0xfffe
	s_or_b32 exec_lo, exec_lo, s8
	s_and_saveexec_b32 s8, s3
	s_cbranch_execz .LBB281_29
; %bb.37:                               ;   in Loop: Header=BB281_30 Depth=3
	s_wait_dscnt 0x0
	ds_bpermute_b32 v3, v55, v1
	ds_bpermute_b32 v4, v55, v2
	s_wait_dscnt 0x0
	v_add_f64_e32 v[1:2], v[1:2], v[3:4]
	ds_bpermute_b32 v3, v56, v1
	ds_bpermute_b32 v4, v56, v2
	s_wait_dscnt 0x0
	v_add_f64_e32 v[1:2], v[1:2], v[3:4]
	;; [unrolled: 4-line block ×3, first 2 shown]
	s_branch .LBB281_29
.LBB281_38:                             ;   in Loop: Header=BB281_16 Depth=2
	s_and_saveexec_b32 s6, s0
	s_cbranch_execz .LBB281_15
; %bb.39:                               ;   in Loop: Header=BB281_16 Depth=2
	v_mul_f64_e32 v[1:2], v[34:35], v[16:17]
	v_mul_f64_e32 v[3:4], v[34:35], v[18:19]
	;; [unrolled: 1-line block ×4, first 2 shown]
	s_or_b32 s58, s24, 1
	s_mov_b32 s59, s25
	s_mul_u64 s[8:9], s[24:25], s[30:31]
	s_or_b32 s66, s24, 2
	s_mov_b32 s67, s25
	s_or_b32 s68, s24, 3
	s_mov_b32 s69, s25
	s_mul_u64 s[58:59], s[58:59], s[30:31]
	s_mul_u64 s[66:67], s[66:67], s[30:31]
	;; [unrolled: 1-line block ×3, first 2 shown]
	s_wait_alu 0xfffe
	s_lshl_b64 s[8:9], s[8:9], 3
	s_lshl_b64 s[58:59], s[58:59], 3
	s_wait_alu 0xfffe
	s_add_nc_u64 s[8:9], s[56:57], s[8:9]
	s_lshl_b64 s[66:67], s[66:67], 3
	s_lshl_b64 s[68:69], s[68:69], 3
	s_add_nc_u64 s[58:59], s[56:57], s[58:59]
	s_add_nc_u64 s[66:67], s[56:57], s[66:67]
	;; [unrolled: 1-line block ×3, first 2 shown]
	s_clause 0x3
	global_store_b64 v0, v[1:2], s[8:9]
	global_store_b64 v0, v[3:4], s[58:59]
	global_store_b64 v0, v[5:6], s[66:67]
	global_store_b64 v0, v[16:17], s[68:69]
	s_branch .LBB281_15
.LBB281_40:                             ;   in Loop: Header=BB281_3 Depth=1
	v_mov_b32_e32 v7, v0
	v_dual_mov_b32 v1, v0 :: v_dual_mov_b32 v2, v0
	v_dual_mov_b32 v3, v0 :: v_dual_mov_b32 v4, v0
	;; [unrolled: 1-line block ×3, first 2 shown]
	s_delay_alu instid0(VALU_DEP_4) | instskip(NEXT) | instid1(VALU_DEP_3)
	v_mov_b32_e32 v15, v7
	v_dual_mov_b32 v11, v3 :: v_dual_mov_b32 v10, v2
	s_delay_alu instid0(VALU_DEP_3) | instskip(NEXT) | instid1(VALU_DEP_4)
	v_dual_mov_b32 v13, v5 :: v_dual_mov_b32 v12, v4
	v_dual_mov_b32 v14, v6 :: v_dual_mov_b32 v9, v1
	v_mov_b32_e32 v8, v0
	s_mov_b32 s24, 0
.LBB281_41:                             ;   in Loop: Header=BB281_3 Depth=1
	s_wait_alu 0xfffe
	s_cmp_ge_i32 s24, s29
	s_cbranch_scc1 .LBB281_2
; %bb.42:                               ;   in Loop: Header=BB281_3 Depth=1
	v_cmp_gt_u32_e32 vcc_lo, 24, v52
	v_mad_co_u64_u32 v[2:3], null, s54, s24, v[36:37]
	s_wait_alu 0xfffd
	v_cndmask_b32_e64 v1, 0, 8, vcc_lo
	v_cmp_gt_u32_e32 vcc_lo, 28, v52
	s_delay_alu instid0(VALU_DEP_2) | instskip(SKIP_3) | instid1(VALU_DEP_2)
	v_add_lshl_u32 v40, v1, v52, 2
	s_wait_alu 0xfffd
	v_cndmask_b32_e64 v4, 0, 4, vcc_lo
	v_cmp_gt_u32_e32 vcc_lo, 30, v52
	v_add_lshl_u32 v41, v4, v52, 2
	s_wait_alu 0xfffd
	v_cndmask_b32_e64 v1, 0, 2, vcc_lo
	v_cmp_ne_u32_e32 vcc_lo, 31, v52
	s_delay_alu instid0(VALU_DEP_2)
	v_add_lshl_u32 v42, v1, v52, 2
	v_mov_b32_e32 v1, v3
	s_wait_alu 0xfffd
	v_add_co_ci_u32_e64 v5, null, 0, v52, vcc_lo
	v_add_co_u32 v4, vcc_lo, v38, v24
	s_wait_dscnt 0x0
	v_mad_co_u64_u32 v[20:21], null, s55, s24, v[1:2]
	s_delay_alu instid0(VALU_DEP_3)
	v_lshlrev_b32_e32 v43, 2, v5
	s_wait_alu 0xfffd
	v_add_co_ci_u32_e64 v5, null, v39, v25, vcc_lo
	v_add_co_u32 v6, vcc_lo, v38, v28
	s_wait_alu 0xfffd
	v_add_co_ci_u32_e64 v7, null, v39, v29, vcc_lo
	v_add_co_u32 v16, vcc_lo, v38, v30
	s_wait_alu 0xfffd
	v_add_co_ci_u32_e64 v17, null, v39, v31, vcc_lo
	v_add_co_u32 v18, vcc_lo, v38, v32
	s_wait_alu 0xfffd
	v_add_co_ci_u32_e64 v19, null, v39, v33, vcc_lo
	v_mov_b32_e32 v3, v20
	s_branch .LBB281_44
.LBB281_43:                             ;   in Loop: Header=BB281_44 Depth=2
	s_wait_alu 0xfffe
	s_or_b32 exec_lo, exec_lo, s6
	v_add_co_u32 v2, vcc_lo, v2, s54
	s_wait_alu 0xfffd
	v_add_co_ci_u32_e64 v3, null, s55, v3, vcc_lo
	s_add_co_i32 s24, s24, 1
	s_wait_alu 0xfffe
	s_cmp_ge_i32 s24, s29
	s_cbranch_scc1 .LBB281_2
.LBB281_44:                             ;   Parent Loop BB281_3 Depth=1
                                        ; =>  This Loop Header: Depth=2
                                        ;       Child Loop BB281_57 Depth 3
                                        ;       Child Loop BB281_60 Depth 3
	s_wait_dscnt 0x0
	v_dual_mov_b32 v20, s25 :: v_dual_mov_b32 v21, s25
	s_and_saveexec_b32 s6, s1
	s_wait_alu 0xfffe
	s_xor_b32 s6, exec_lo, s6
	s_cbranch_execnz .LBB281_53
; %bb.45:                               ;   in Loop: Header=BB281_44 Depth=2
	s_wait_alu 0xfffe
	s_and_not1_saveexec_b32 s9, s6
	s_cbranch_execnz .LBB281_54
.LBB281_46:                             ;   in Loop: Header=BB281_44 Depth=2
	s_wait_alu 0xfffe
	s_or_b32 exec_lo, exec_lo, s9
	s_and_saveexec_b32 s6, s3
.LBB281_47:                             ;   in Loop: Header=BB281_44 Depth=2
	v_mov_b32_e32 v1, v0
	ds_store_b64 v50, v[0:1]
.LBB281_48:                             ;   in Loop: Header=BB281_44 Depth=2
	s_wait_alu 0xfffe
	s_or_b32 exec_lo, exec_lo, s6
	ds_bpermute_b32 v22, v53, v20
	ds_bpermute_b32 v23, v53, v21
	s_wait_storecnt 0x0
	s_wait_loadcnt_dscnt 0x0
	s_barrier_signal -1
	s_barrier_wait -1
	global_inv scope:SCOPE_SE
	v_add_f64_e32 v[20:21], v[20:21], v[22:23]
	ds_bpermute_b32 v22, v40, v20
	ds_bpermute_b32 v23, v40, v21
	s_wait_dscnt 0x0
	v_add_f64_e32 v[20:21], v[20:21], v[22:23]
	ds_bpermute_b32 v22, v41, v20
	ds_bpermute_b32 v23, v41, v21
	s_wait_dscnt 0x0
	;; [unrolled: 4-line block ×3, first 2 shown]
	v_add_f64_e32 v[20:21], v[20:21], v[22:23]
	ds_bpermute_b32 v22, v43, v20
	ds_bpermute_b32 v23, v43, v21
	s_and_saveexec_b32 s6, s4
	s_cbranch_execz .LBB281_50
; %bb.49:                               ;   in Loop: Header=BB281_44 Depth=2
	s_wait_dscnt 0x0
	v_add_f64_e32 v[20:21], v[20:21], v[22:23]
	ds_store_b64 v51, v[20:21]
.LBB281_50:                             ;   in Loop: Header=BB281_44 Depth=2
	s_wait_alu 0xfffe
	s_or_b32 exec_lo, exec_lo, s6
	v_mov_b32_e32 v20, 0
	v_mov_b32_e32 v21, 0
	s_wait_loadcnt_dscnt 0x0
	s_barrier_signal -1
	s_barrier_wait -1
	global_inv scope:SCOPE_SE
	s_and_saveexec_b32 s6, s5
	s_cbranch_execnz .LBB281_62
; %bb.51:                               ;   in Loop: Header=BB281_44 Depth=2
	s_wait_alu 0xfffe
	s_or_b32 exec_lo, exec_lo, s6
	s_and_saveexec_b32 s6, s3
	s_cbranch_execnz .LBB281_63
.LBB281_52:                             ;   in Loop: Header=BB281_44 Depth=2
	s_wait_alu 0xfffe
	s_or_b32 exec_lo, exec_lo, s6
	s_and_saveexec_b32 s6, s0
	s_cbranch_execz .LBB281_43
	s_branch .LBB281_64
.LBB281_53:                             ;   in Loop: Header=BB281_44 Depth=2
	s_mul_u64 s[8:9], s[24:25], s[26:27]
	s_wait_alu 0xfffe
	s_lshl_b64 s[8:9], s[8:9], 3
	s_wait_alu 0xfffe
	v_add_co_u32 v12, vcc_lo, v36, s8
	s_wait_alu 0xfffd
	v_add_co_ci_u32_e64 v13, null, s9, v37, vcc_lo
	flat_load_b128 v[20:23], v[12:13]
	s_clause 0x1
	flat_load_b64 v[8:9], v[4:5]
	flat_load_b64 v[10:11], v[6:7]
	flat_load_b128 v[44:47], v[12:13] offset:16
	s_clause 0x1
	flat_load_b64 v[12:13], v[16:17]
	flat_load_b64 v[14:15], v[18:19]
	s_wait_loadcnt_dscnt 0x404
	v_fma_f64 v[20:21], v[8:9], v[20:21], 0
	s_wait_loadcnt_dscnt 0x303
	s_delay_alu instid0(VALU_DEP_1) | instskip(SKIP_1) | instid1(VALU_DEP_1)
	v_fma_f64 v[20:21], v[10:11], v[22:23], v[20:21]
	s_wait_loadcnt_dscnt 0x101
	v_fma_f64 v[20:21], v[12:13], v[44:45], v[20:21]
	s_wait_loadcnt_dscnt 0x0
	s_delay_alu instid0(VALU_DEP_1)
	v_fma_f64 v[20:21], v[14:15], v[46:47], v[20:21]
	s_and_not1_saveexec_b32 s9, s6
	s_cbranch_execz .LBB281_46
.LBB281_54:                             ;   in Loop: Header=BB281_44 Depth=2
	s_and_saveexec_b32 s11, s2
	s_cbranch_execz .LBB281_61
; %bb.55:                               ;   in Loop: Header=BB281_44 Depth=2
	s_and_not1_b32 vcc_lo, exec_lo, s64
	s_wait_alu 0xfffe
	s_cbranch_vccnz .LBB281_58
; %bb.56:                               ;   in Loop: Header=BB281_44 Depth=2
	v_dual_mov_b32 v23, v5 :: v_dual_mov_b32 v22, v4
	s_mov_b64 s[58:59], 0
.LBB281_57:                             ;   Parent Loop BB281_3 Depth=1
                                        ;     Parent Loop BB281_44 Depth=2
                                        ; =>    This Inner Loop Header: Depth=3
	flat_load_b64 v[38:39], v[22:23]
	s_cmp_eq_u32 s58, 3
	v_add_co_u32 v22, vcc_lo, v22, s46
	s_wait_alu 0xfffd
	v_add_co_ci_u32_e64 v23, null, s47, v23, vcc_lo
	s_cselect_b32 vcc_lo, -1, 0
	s_cmp_eq_u32 s58, 2
	s_cselect_b32 s6, -1, 0
	s_cmp_eq_u32 s58, 1
	s_cselect_b32 s7, -1, 0
	s_cmp_eq_u32 s58, 0
	s_add_nc_u64 s[58:59], s[58:59], 1
	s_cselect_b32 s8, -1, 0
	s_cmp_eq_u32 s62, s58
	s_wait_loadcnt_dscnt 0x0
	s_wait_alu 0xfffe
	v_dual_cndmask_b32 v15, v15, v39 :: v_dual_cndmask_b32 v14, v14, v38
	v_cndmask_b32_e64 v13, v13, v39, s6
	v_cndmask_b32_e64 v12, v12, v38, s6
	;; [unrolled: 1-line block ×6, first 2 shown]
	s_cbranch_scc0 .LBB281_57
.LBB281_58:                             ;   in Loop: Header=BB281_44 Depth=2
	s_and_not1_b32 vcc_lo, exec_lo, s64
	s_wait_alu 0xfffe
	s_cbranch_vccnz .LBB281_61
; %bb.59:                               ;   in Loop: Header=BB281_44 Depth=2
	v_dual_mov_b32 v23, v3 :: v_dual_mov_b32 v22, v2
	s_mov_b64 s[6:7], 0
.LBB281_60:                             ;   Parent Loop BB281_3 Depth=1
                                        ;     Parent Loop BB281_44 Depth=2
                                        ; =>    This Inner Loop Header: Depth=3
	flat_load_b64 v[38:39], v[22:23]
	s_wait_alu 0xfffe
	s_cmp_eq_u32 s6, 1
	s_cselect_b32 vcc_lo, -1, 0
	s_cmp_eq_u32 s6, 2
	s_wait_alu 0xfffe
	v_dual_cndmask_b32 v1, v9, v11 :: v_dual_cndmask_b32 v44, v8, v10
	s_cselect_b32 vcc_lo, -1, 0
	s_cmp_eq_u32 s6, 3
	s_add_nc_u64 s[6:7], s[6:7], 1
	s_wait_alu 0xfffe
	v_dual_cndmask_b32 v1, v1, v13 :: v_dual_cndmask_b32 v44, v44, v12
	s_cselect_b32 vcc_lo, -1, 0
	s_cmp_lg_u32 s62, s6
	s_wait_alu 0xfffe
	s_delay_alu instid0(VALU_DEP_1)
	v_dual_cndmask_b32 v45, v1, v15 :: v_dual_cndmask_b32 v44, v44, v14
	v_add_co_u32 v22, vcc_lo, v22, 8
	s_wait_alu 0xfffd
	v_add_co_ci_u32_e64 v23, null, 0, v23, vcc_lo
	s_wait_loadcnt_dscnt 0x0
	v_fma_f64 v[20:21], v[44:45], v[38:39], v[20:21]
	s_cbranch_scc1 .LBB281_60
.LBB281_61:                             ;   in Loop: Header=BB281_44 Depth=2
	s_or_b32 exec_lo, exec_lo, s11
	s_wait_alu 0xfffe
	s_or_b32 exec_lo, exec_lo, s9
	s_and_saveexec_b32 s6, s3
	s_cbranch_execnz .LBB281_47
	s_branch .LBB281_48
.LBB281_62:                             ;   in Loop: Header=BB281_44 Depth=2
	ds_load_b64 v[20:21], v50
	s_wait_alu 0xfffe
	s_or_b32 exec_lo, exec_lo, s6
	s_and_saveexec_b32 s6, s3
	s_cbranch_execz .LBB281_52
.LBB281_63:                             ;   in Loop: Header=BB281_44 Depth=2
	s_wait_dscnt 0x0
	ds_bpermute_b32 v22, v41, v20
	ds_bpermute_b32 v23, v41, v21
	s_wait_dscnt 0x0
	v_add_f64_e32 v[20:21], v[20:21], v[22:23]
	ds_bpermute_b32 v22, v42, v20
	ds_bpermute_b32 v23, v42, v21
	s_wait_dscnt 0x0
	v_add_f64_e32 v[20:21], v[20:21], v[22:23]
	;; [unrolled: 4-line block ×3, first 2 shown]
	s_wait_alu 0xfffe
	s_or_b32 exec_lo, exec_lo, s6
	s_and_saveexec_b32 s6, s0
	s_cbranch_execz .LBB281_43
.LBB281_64:                             ;   in Loop: Header=BB281_44 Depth=2
	s_wait_dscnt 0x0
	s_delay_alu instid0(VALU_DEP_1)
	v_mul_f64_e32 v[20:21], v[34:35], v[20:21]
	s_mul_u64 s[8:9], s[24:25], s[30:31]
	s_wait_alu 0xfffe
	s_lshl_b64 s[8:9], s[8:9], 3
	s_wait_alu 0xfffe
	s_add_nc_u64 s[8:9], s[56:57], s[8:9]
	global_store_b64 v0, v[20:21], s[8:9]
	s_branch .LBB281_43
.LBB281_65:
	s_endpgm
	.section	.rodata,"a",@progbits
	.p2align	6, 0x0
	.amdhsa_kernel _ZL23rocblas_gemvt_sn_kernelILb1ELi256ELi4ElPKdS1_dEviiT4_lPKT3_lilS5_lilPT5_i
		.amdhsa_group_segment_fixed_size 256
		.amdhsa_private_segment_fixed_size 0
		.amdhsa_kernarg_size 360
		.amdhsa_user_sgpr_count 2
		.amdhsa_user_sgpr_dispatch_ptr 0
		.amdhsa_user_sgpr_queue_ptr 0
		.amdhsa_user_sgpr_kernarg_segment_ptr 1
		.amdhsa_user_sgpr_dispatch_id 0
		.amdhsa_user_sgpr_private_segment_size 0
		.amdhsa_wavefront_size32 1
		.amdhsa_uses_dynamic_stack 0
		.amdhsa_enable_private_segment 0
		.amdhsa_system_sgpr_workgroup_id_x 1
		.amdhsa_system_sgpr_workgroup_id_y 0
		.amdhsa_system_sgpr_workgroup_id_z 1
		.amdhsa_system_sgpr_workgroup_info 0
		.amdhsa_system_vgpr_workitem_id 0
		.amdhsa_next_free_vgpr 78
		.amdhsa_next_free_sgpr 70
		.amdhsa_reserve_vcc 1
		.amdhsa_float_round_mode_32 0
		.amdhsa_float_round_mode_16_64 0
		.amdhsa_float_denorm_mode_32 3
		.amdhsa_float_denorm_mode_16_64 3
		.amdhsa_fp16_overflow 0
		.amdhsa_workgroup_processor_mode 1
		.amdhsa_memory_ordered 1
		.amdhsa_forward_progress 1
		.amdhsa_inst_pref_size 34
		.amdhsa_round_robin_scheduling 0
		.amdhsa_exception_fp_ieee_invalid_op 0
		.amdhsa_exception_fp_denorm_src 0
		.amdhsa_exception_fp_ieee_div_zero 0
		.amdhsa_exception_fp_ieee_overflow 0
		.amdhsa_exception_fp_ieee_underflow 0
		.amdhsa_exception_fp_ieee_inexact 0
		.amdhsa_exception_int_div_zero 0
	.end_amdhsa_kernel
	.section	.text._ZL23rocblas_gemvt_sn_kernelILb1ELi256ELi4ElPKdS1_dEviiT4_lPKT3_lilS5_lilPT5_i,"axG",@progbits,_ZL23rocblas_gemvt_sn_kernelILb1ELi256ELi4ElPKdS1_dEviiT4_lPKT3_lilS5_lilPT5_i,comdat
.Lfunc_end281:
	.size	_ZL23rocblas_gemvt_sn_kernelILb1ELi256ELi4ElPKdS1_dEviiT4_lPKT3_lilS5_lilPT5_i, .Lfunc_end281-_ZL23rocblas_gemvt_sn_kernelILb1ELi256ELi4ElPKdS1_dEviiT4_lPKT3_lilS5_lilPT5_i
                                        ; -- End function
	.set _ZL23rocblas_gemvt_sn_kernelILb1ELi256ELi4ElPKdS1_dEviiT4_lPKT3_lilS5_lilPT5_i.num_vgpr, 78
	.set _ZL23rocblas_gemvt_sn_kernelILb1ELi256ELi4ElPKdS1_dEviiT4_lPKT3_lilS5_lilPT5_i.num_agpr, 0
	.set _ZL23rocblas_gemvt_sn_kernelILb1ELi256ELi4ElPKdS1_dEviiT4_lPKT3_lilS5_lilPT5_i.numbered_sgpr, 70
	.set _ZL23rocblas_gemvt_sn_kernelILb1ELi256ELi4ElPKdS1_dEviiT4_lPKT3_lilS5_lilPT5_i.num_named_barrier, 0
	.set _ZL23rocblas_gemvt_sn_kernelILb1ELi256ELi4ElPKdS1_dEviiT4_lPKT3_lilS5_lilPT5_i.private_seg_size, 0
	.set _ZL23rocblas_gemvt_sn_kernelILb1ELi256ELi4ElPKdS1_dEviiT4_lPKT3_lilS5_lilPT5_i.uses_vcc, 1
	.set _ZL23rocblas_gemvt_sn_kernelILb1ELi256ELi4ElPKdS1_dEviiT4_lPKT3_lilS5_lilPT5_i.uses_flat_scratch, 1
	.set _ZL23rocblas_gemvt_sn_kernelILb1ELi256ELi4ElPKdS1_dEviiT4_lPKT3_lilS5_lilPT5_i.has_dyn_sized_stack, 0
	.set _ZL23rocblas_gemvt_sn_kernelILb1ELi256ELi4ElPKdS1_dEviiT4_lPKT3_lilS5_lilPT5_i.has_recursion, 0
	.set _ZL23rocblas_gemvt_sn_kernelILb1ELi256ELi4ElPKdS1_dEviiT4_lPKT3_lilS5_lilPT5_i.has_indirect_call, 0
	.section	.AMDGPU.csdata,"",@progbits
; Kernel info:
; codeLenInByte = 4296
; TotalNumSgprs: 72
; NumVgprs: 78
; ScratchSize: 0
; MemoryBound: 1
; FloatMode: 240
; IeeeMode: 1
; LDSByteSize: 256 bytes/workgroup (compile time only)
; SGPRBlocks: 0
; VGPRBlocks: 9
; NumSGPRsForWavesPerEU: 72
; NumVGPRsForWavesPerEU: 78
; Occupancy: 16
; WaveLimiterHint : 0
; COMPUTE_PGM_RSRC2:SCRATCH_EN: 0
; COMPUTE_PGM_RSRC2:USER_SGPR: 2
; COMPUTE_PGM_RSRC2:TRAP_HANDLER: 0
; COMPUTE_PGM_RSRC2:TGID_X_EN: 1
; COMPUTE_PGM_RSRC2:TGID_Y_EN: 0
; COMPUTE_PGM_RSRC2:TGID_Z_EN: 1
; COMPUTE_PGM_RSRC2:TIDIG_COMP_CNT: 0
	.section	.text._ZL23rocblas_gemvt_sn_kernelILb1ELi256ELi4EiPKdddEviiT4_lPKT3_lilS5_lilPT5_i,"axG",@progbits,_ZL23rocblas_gemvt_sn_kernelILb1ELi256ELi4EiPKdddEviiT4_lPKT3_lilS5_lilPT5_i,comdat
	.globl	_ZL23rocblas_gemvt_sn_kernelILb1ELi256ELi4EiPKdddEviiT4_lPKT3_lilS5_lilPT5_i ; -- Begin function _ZL23rocblas_gemvt_sn_kernelILb1ELi256ELi4EiPKdddEviiT4_lPKT3_lilS5_lilPT5_i
	.p2align	8
	.type	_ZL23rocblas_gemvt_sn_kernelILb1ELi256ELi4EiPKdddEviiT4_lPKT3_lilS5_lilPT5_i,@function
_ZL23rocblas_gemvt_sn_kernelILb1ELi256ELi4EiPKdddEviiT4_lPKT3_lilS5_lilPT5_i: ; @_ZL23rocblas_gemvt_sn_kernelILb1ELi256ELi4EiPKdddEviiT4_lPKT3_lilS5_lilPT5_i
; %bb.0:
	s_load_b32 s33, s[0:1], 0x60
	s_lshr_b32 s10, ttmp7, 16
	s_wait_kmcnt 0x0
	s_cmp_ge_u32 s10, s33
	s_cbranch_scc1 .LBB282_67
; %bb.1:
	s_clause 0x6
	s_load_b128 s[12:15], s[0:1], 0x0
	s_load_b128 s[16:19], s[0:1], 0x18
	s_load_b32 s26, s[0:1], 0x68
	s_load_b32 s28, s[0:1], 0x28
	s_load_b128 s[20:23], s[0:1], 0x38
	s_load_b32 s60, s[0:1], 0x48
	s_load_b64 s[30:31], s[0:1], 0x58
	s_mov_b32 s35, 0
	v_cmp_eq_u32_e64 s0, 0, v0
	s_mov_b32 s27, s35
	v_and_b32_e32 v1, 31, v0
	v_cmp_gt_u32_e64 s1, 32, v0
	v_cmp_gt_u32_e64 s2, 8, v0
	v_lshrrev_b32_e32 v2, 2, v0
	v_mbcnt_lo_u32_b32 v48, -1, 0
	v_cmp_eq_u32_e64 s3, 0, v1
	v_lshlrev_b32_e32 v46, 3, v1
	s_mov_b32 s24, ttmp9
	v_and_b32_e32 v47, 56, v2
	s_mov_b32 s25, s35
	s_wait_kmcnt 0x0
	s_ashr_i32 s5, s13, 31
	s_cmp_gt_i32 s13, 0
	s_mov_b32 s4, s13
	s_cselect_b32 s6, -1, 0
	s_mul_u64 s[36:37], s[4:5], s[26:27]
	s_lshr_b32 s4, s5, 30
	s_ashr_i32 s5, s12, 31
	s_lshl_b32 s7, ttmp9, 10
	s_lshr_b32 s5, s5, 30
	s_add_co_i32 s4, s13, s4
	s_add_co_i32 s5, s12, s5
	v_lshl_or_b32 v0, v0, 2, s7
	s_and_b32 s62, s4, -4
	s_and_b32 s4, s5, -4
	v_cmp_neq_f64_e64 s66, s[14:15], 0
	s_sub_co_i32 s63, s12, s4
	v_add_nc_u32_e32 v3, 4, v0
	v_add_nc_u32_e32 v5, s63, v0
	v_mul_lo_u32 v24, s60, v0
	s_and_b32 s61, s0, s6
	v_ashrrev_i32_e32 v1, 31, v0
	v_cmp_ge_i32_e64 s4, s12, v3
	v_cmp_ge_i32_e64 s5, s12, v5
	v_cmp_eq_f64_e64 s12, s[14:15], 0
	s_cmp_gt_i32 s62, 0
	v_lshlrev_b64_e32 v[26:27], 3, v[0:1]
	v_add_nc_u32_e32 v2, s60, v24
	v_ashrrev_i32_e32 v25, 31, v24
	s_cselect_b32 s64, -1, 0
	s_cmp_gt_i32 s63, 0
	v_mov_b32_e32 v0, 0
	v_add_nc_u32_e32 v4, s60, v2
	v_ashrrev_i32_e32 v3, 31, v2
	s_cselect_b32 s65, -1, 0
	s_lshl_b32 s34, s28, 1
	v_lshlrev_b64_e32 v[28:29], 3, v[24:25]
	v_add_nc_u32_e32 v6, s60, v4
	v_ashrrev_i32_e32 v5, 31, v4
	v_lshlrev_b64_e32 v[30:31], 3, v[2:3]
	v_lshl_or_b32 v25, v48, 2, 64
	s_mov_b64 s[42:43], s[34:35]
	v_ashrrev_i32_e32 v7, 31, v6
	v_lshlrev_b64_e32 v[32:33], 3, v[4:5]
	s_mul_i32 s34, s28, 3
	s_mov_b32 s29, s35
	s_lshl_b64 s[38:39], s[26:27], 3
	v_lshlrev_b64_e32 v[34:35], 3, v[6:7]
	s_lshl_b32 s40, s28, 2
	s_mov_b32 s41, s35
	s_mov_b64 s[44:45], s[34:35]
	s_lshl_b64 s[18:19], s[18:19], 3
	s_lshl_b64 s[22:23], s[22:23], 3
	;; [unrolled: 1-line block ×3, first 2 shown]
	s_branch .LBB282_3
.LBB282_2:                              ;   in Loop: Header=BB282_3 Depth=1
	s_add_co_i32 s10, s10, 0x10000
	s_delay_alu instid0(SALU_CYCLE_1)
	s_cmp_lt_u32 s10, s33
	s_cbranch_scc0 .LBB282_67
.LBB282_3:                              ; =>This Loop Header: Depth=1
                                        ;     Child Loop BB282_12 Depth 2
                                        ;     Child Loop BB282_18 Depth 2
                                        ;       Child Loop BB282_24 Depth 3
                                        ;       Child Loop BB282_27 Depth 3
	;; [unrolled: 1-line block ×3, first 2 shown]
                                        ;     Child Loop BB282_46 Depth 2
                                        ;       Child Loop BB282_59 Depth 3
                                        ;       Child Loop BB282_62 Depth 3
	s_mov_b32 s11, s35
	s_and_not1_b32 vcc_lo, exec_lo, s12
	s_mov_b32 s6, -1
	s_wait_alu 0xfffe
	s_cbranch_vccnz .LBB282_5
; %bb.4:                                ;   in Loop: Header=BB282_3 Depth=1
	s_mov_b32 s6, 0
.LBB282_5:                              ;   in Loop: Header=BB282_3 Depth=1
	v_mov_b32_e32 v36, 0
	v_dual_mov_b32 v37, 0 :: v_dual_mov_b32 v2, 0
	v_mov_b32_e32 v3, 0
	s_wait_alu 0xfffe
	s_and_not1_b32 vcc_lo, exec_lo, s6
	s_wait_alu 0xfffe
	s_cbranch_vccnz .LBB282_7
; %bb.6:                                ;   in Loop: Header=BB282_3 Depth=1
	s_lshl_b64 s[6:7], s[10:11], 3
	s_wait_alu 0xfffe
	s_add_nc_u64 s[6:7], s[16:17], s[6:7]
	global_load_b64 v[2:3], v0, s[6:7]
	s_wait_loadcnt 0x0
	v_add_co_u32 v2, vcc_lo, v2, s18
	s_wait_alu 0xfffd
	v_add_co_ci_u32_e64 v3, null, s19, v3, vcc_lo
.LBB282_7:                              ;   in Loop: Header=BB282_3 Depth=1
	s_and_not1_b32 vcc_lo, exec_lo, s66
	s_wait_alu 0xfffe
	s_cbranch_vccnz .LBB282_9
; %bb.8:                                ;   in Loop: Header=BB282_3 Depth=1
	s_lshl_b64 s[6:7], s[10:11], 3
	s_wait_alu 0xfffe
	s_add_nc_u64 s[6:7], s[20:21], s[6:7]
	global_load_b64 v[4:5], v0, s[6:7]
	s_wait_loadcnt 0x0
	v_add_co_u32 v36, vcc_lo, v4, s22
	s_wait_alu 0xfffd
	v_add_co_ci_u32_e64 v37, null, s23, v5, vcc_lo
.LBB282_9:                              ;   in Loop: Header=BB282_3 Depth=1
	s_mul_u64 s[6:7], s[36:37], s[10:11]
	s_and_not1_b32 vcc_lo, exec_lo, s12
	s_wait_alu 0xfffe
	s_lshl_b64 s[6:7], s[6:7], 3
	s_wait_alu 0xfffe
	s_add_nc_u64 s[48:49], s[30:31], s[6:7]
	s_mov_b32 s6, -1
	s_cbranch_vccnz .LBB282_14
; %bb.10:                               ;   in Loop: Header=BB282_3 Depth=1
	s_and_saveexec_b32 s8, s61
	s_cbranch_execz .LBB282_13
; %bb.11:                               ;   in Loop: Header=BB282_3 Depth=1
	s_add_nc_u64 s[6:7], s[48:49], s[46:47]
	s_mov_b32 s9, s13
.LBB282_12:                             ;   Parent Loop BB282_3 Depth=1
                                        ; =>  This Inner Loop Header: Depth=2
	v_mov_b32_e32 v1, v0
	s_wait_alu 0xfffe
	s_add_co_i32 s9, s9, -1
	s_wait_alu 0xfffe
	s_cmp_eq_u32 s9, 0
	global_store_b64 v0, v[0:1], s[6:7]
	s_add_nc_u64 s[6:7], s[6:7], s[38:39]
	s_cbranch_scc0 .LBB282_12
.LBB282_13:                             ;   in Loop: Header=BB282_3 Depth=1
	s_wait_alu 0xfffe
	s_or_b32 exec_lo, exec_lo, s8
	s_mov_b32 s6, 0
.LBB282_14:                             ;   in Loop: Header=BB282_3 Depth=1
	s_wait_alu 0xfffe
	s_and_not1_b32 vcc_lo, exec_lo, s6
	s_wait_alu 0xfffe
	s_cbranch_vccnz .LBB282_2
; %bb.15:                               ;   in Loop: Header=BB282_3 Depth=1
	v_add_co_u32 v49, vcc_lo, v2, v26
	s_wait_alu 0xfffd
	v_add_co_ci_u32_e64 v50, null, v3, v27, vcc_lo
	v_cmp_gt_u32_e64 s9, 24, v48
	v_cmp_gt_u32_e64 s8, 28, v48
	;; [unrolled: 1-line block ×3, first 2 shown]
	v_cmp_ne_u32_e64 s6, 31, v48
	s_and_not1_b32 vcc_lo, exec_lo, s64
	s_wait_alu 0xfffe
	s_cbranch_vccnz .LBB282_42
; %bb.16:                               ;   in Loop: Header=BB282_3 Depth=1
	s_wait_alu 0xf1ff
	v_cndmask_b32_e64 v1, 0, 8, s9
	v_cndmask_b32_e64 v2, 0, 4, s8
	;; [unrolled: 1-line block ×3, first 2 shown]
	v_add_co_ci_u32_e64 v4, null, 0, v48, s6
	v_add_co_u32 v38, vcc_lo, v36, v28
	s_wait_alu 0xfffd
	v_add_co_ci_u32_e64 v39, null, v37, v29, vcc_lo
	v_add_co_u32 v40, vcc_lo, v36, v30
	v_dual_mov_b32 v6, v0 :: v_dual_mov_b32 v7, v0
	v_add_lshl_u32 v51, v1, v48, 2
	v_add_lshl_u32 v52, v2, v48, 2
	;; [unrolled: 1-line block ×3, first 2 shown]
	v_dual_mov_b32 v1, v0 :: v_dual_lshlrev_b32 v54, 2, v4
	v_dual_mov_b32 v2, v0 :: v_dual_mov_b32 v3, v0
	v_dual_mov_b32 v4, v0 :: v_dual_mov_b32 v5, v0
	s_wait_alu 0xfffd
	v_add_co_ci_u32_e64 v41, null, v37, v31, vcc_lo
	v_add_co_u32 v42, vcc_lo, v36, v32
	s_wait_alu 0xfffd
	v_add_co_ci_u32_e64 v43, null, v37, v33, vcc_lo
	v_add_co_u32 v44, vcc_lo, v36, v34
	v_dual_mov_b32 v15, v7 :: v_dual_mov_b32 v14, v6
	s_wait_alu 0xfffd
	v_add_co_ci_u32_e64 v45, null, v37, v35, vcc_lo
	v_dual_mov_b32 v13, v5 :: v_dual_mov_b32 v12, v4
	v_dual_mov_b32 v11, v3 :: v_dual_mov_b32 v10, v2
	v_dual_mov_b32 v9, v1 :: v_dual_mov_b32 v8, v0
	s_mov_b32 s50, 0
	s_mov_b64 s[52:53], s[44:45]
	s_mov_b64 s[54:55], s[42:43]
	;; [unrolled: 1-line block ×3, first 2 shown]
	s_mov_b32 s9, 0
	s_branch .LBB282_18
.LBB282_17:                             ;   in Loop: Header=BB282_18 Depth=2
	s_wait_alu 0xfffe
	s_or_b32 exec_lo, exec_lo, s6
	s_add_co_i32 s9, s9, 4
	s_add_co_i32 s50, s50, s40
	s_add_nc_u64 s[56:57], s[56:57], s[40:41]
	s_add_nc_u64 s[54:55], s[54:55], s[40:41]
	s_wait_alu 0xfffe
	s_cmp_ge_i32 s9, s62
	s_add_nc_u64 s[52:53], s[52:53], s[40:41]
	s_cbranch_scc1 .LBB282_43
.LBB282_18:                             ;   Parent Loop BB282_3 Depth=1
                                        ; =>  This Loop Header: Depth=2
                                        ;       Child Loop BB282_24 Depth 3
                                        ;       Child Loop BB282_27 Depth 3
	;; [unrolled: 1-line block ×3, first 2 shown]
                                        ; implicit-def: $vgpr16_vgpr17_vgpr18_vgpr19_vgpr20_vgpr21_vgpr22_vgpr23
	s_and_saveexec_b32 s6, s4
	s_wait_alu 0xfffe
	s_xor_b32 s6, exec_lo, s6
	s_cbranch_execz .LBB282_20
; %bb.19:                               ;   in Loop: Header=BB282_18 Depth=2
	s_mul_i32 s58, s9, s28
	s_wait_alu 0xfffe
	s_ashr_i32 s59, s58, 31
	s_add_co_i32 s68, s58, s28
	s_wait_alu 0xfffe
	s_lshl_b64 s[58:59], s[58:59], 3
	s_ashr_i32 s69, s68, 31
	s_wait_alu 0xfffe
	v_add_co_u32 v5, vcc_lo, v49, s58
	s_wait_alu 0xfffd
	v_add_co_ci_u32_e64 v6, null, s59, v50, vcc_lo
	s_lshl_b64 s[58:59], s[68:69], 3
	s_add_co_i32 s68, s68, s28
	s_wait_alu 0xfffe
	v_add_co_u32 v14, vcc_lo, v49, s58
	s_ashr_i32 s69, s68, 31
	s_add_co_i32 s58, s68, s28
	s_wait_alu 0xfffd
	v_add_co_ci_u32_e64 v15, null, s59, v50, vcc_lo
	s_wait_alu 0xfffe
	s_lshl_b64 s[68:69], s[68:69], 3
	s_ashr_i32 s59, s58, 31
	s_wait_alu 0xfffe
	v_add_co_u32 v67, vcc_lo, v49, s68
	s_lshl_b64 s[58:59], s[58:59], 3
	s_wait_alu 0xfffd
	v_add_co_ci_u32_e64 v68, null, s69, v50, vcc_lo
	s_wait_alu 0xfffe
	v_add_co_u32 v71, vcc_lo, v49, s58
	s_wait_alu 0xfffd
	v_add_co_ci_u32_e64 v72, null, s59, v50, vcc_lo
	flat_load_b64 v[8:9], v[38:39]
	flat_load_b128 v[1:4], v[5:6]
	s_wait_dscnt 0x2
	s_clause 0x2
	flat_load_b128 v[16:19], v[14:15]
	flat_load_b128 v[20:23], v[67:68]
	flat_load_b128 v[55:58], v[71:72]
	s_clause 0x1
	flat_load_b64 v[10:11], v[40:41]
	flat_load_b64 v[12:13], v[42:43]
	s_clause 0x3
	flat_load_b128 v[59:62], v[5:6] offset:16
	flat_load_b128 v[63:66], v[14:15] offset:16
	flat_load_b128 v[67:70], v[67:68] offset:16
	flat_load_b128 v[71:74], v[71:72] offset:16
	flat_load_b64 v[14:15], v[44:45]
	s_wait_loadcnt_dscnt 0xa0a
	v_fma_f64 v[1:2], v[8:9], v[1:2], 0
	s_wait_loadcnt_dscnt 0x909
	v_fma_f64 v[5:6], v[8:9], v[16:17], 0
	s_wait_loadcnt_dscnt 0x808
	v_fma_f64 v[16:17], v[8:9], v[20:21], 0
	s_wait_loadcnt_dscnt 0x707
	v_fma_f64 v[20:21], v[8:9], v[55:56], 0
	s_wait_loadcnt_dscnt 0x606
	s_delay_alu instid0(VALU_DEP_4) | instskip(NEXT) | instid1(VALU_DEP_4)
	v_fma_f64 v[1:2], v[10:11], v[3:4], v[1:2]
	v_fma_f64 v[3:4], v[10:11], v[18:19], v[5:6]
	s_delay_alu instid0(VALU_DEP_4) | instskip(NEXT) | instid1(VALU_DEP_4)
	v_fma_f64 v[5:6], v[10:11], v[22:23], v[16:17]
	v_fma_f64 v[16:17], v[10:11], v[57:58], v[20:21]
	s_wait_loadcnt_dscnt 0x404
	s_delay_alu instid0(VALU_DEP_4) | instskip(SKIP_1) | instid1(VALU_DEP_4)
	v_fma_f64 v[1:2], v[12:13], v[59:60], v[1:2]
	s_wait_loadcnt_dscnt 0x303
	v_fma_f64 v[3:4], v[12:13], v[63:64], v[3:4]
	s_wait_loadcnt_dscnt 0x202
	s_delay_alu instid0(VALU_DEP_4) | instskip(SKIP_1) | instid1(VALU_DEP_4)
	v_fma_f64 v[5:6], v[12:13], v[67:68], v[5:6]
	s_wait_loadcnt_dscnt 0x101
	v_fma_f64 v[22:23], v[12:13], v[71:72], v[16:17]
	s_wait_loadcnt_dscnt 0x0
	s_delay_alu instid0(VALU_DEP_4) | instskip(NEXT) | instid1(VALU_DEP_4)
	v_fma_f64 v[16:17], v[14:15], v[61:62], v[1:2]
	v_fma_f64 v[18:19], v[14:15], v[65:66], v[3:4]
	s_delay_alu instid0(VALU_DEP_4) | instskip(NEXT) | instid1(VALU_DEP_4)
	v_fma_f64 v[20:21], v[14:15], v[69:70], v[5:6]
	v_fma_f64 v[22:23], v[14:15], v[73:74], v[22:23]
.LBB282_20:                             ;   in Loop: Header=BB282_18 Depth=2
	s_wait_alu 0xfffe
	s_and_not1_saveexec_b32 s11, s6
	s_cbranch_execz .LBB282_30
; %bb.21:                               ;   in Loop: Header=BB282_18 Depth=2
	v_mov_b32_e32 v7, v0
	v_dual_mov_b32 v1, v0 :: v_dual_mov_b32 v2, v0
	v_dual_mov_b32 v3, v0 :: v_dual_mov_b32 v4, v0
	;; [unrolled: 1-line block ×3, first 2 shown]
	s_wait_dscnt 0x0
	v_mov_b32_e32 v23, v7
	s_delay_alu instid0(VALU_DEP_3) | instskip(NEXT) | instid1(VALU_DEP_3)
	v_dual_mov_b32 v19, v3 :: v_dual_mov_b32 v18, v2
	v_dual_mov_b32 v21, v5 :: v_dual_mov_b32 v20, v4
	;; [unrolled: 1-line block ×3, first 2 shown]
	v_mov_b32_e32 v16, v0
	s_and_saveexec_b32 s25, s5
	s_cbranch_execz .LBB282_29
; %bb.22:                               ;   in Loop: Header=BB282_18 Depth=2
	s_and_not1_b32 vcc_lo, exec_lo, s65
	s_wait_alu 0xfffe
	s_cbranch_vccnz .LBB282_25
; %bb.23:                               ;   in Loop: Header=BB282_18 Depth=2
	v_mov_b32_e32 v1, v24
	s_mov_b64 s[58:59], 0
.LBB282_24:                             ;   Parent Loop BB282_3 Depth=1
                                        ;     Parent Loop BB282_18 Depth=2
                                        ; =>    This Inner Loop Header: Depth=3
	s_delay_alu instid0(VALU_DEP_1) | instskip(SKIP_2) | instid1(VALU_DEP_1)
	v_ashrrev_i32_e32 v2, 31, v1
	s_wait_alu 0xfffe
	s_cmp_eq_u32 s58, 3
	v_lshlrev_b64_e32 v[2:3], 3, v[1:2]
	s_delay_alu instid0(VALU_DEP_1) | instskip(SKIP_1) | instid1(VALU_DEP_2)
	v_add_co_u32 v2, vcc_lo, v36, v2
	s_wait_alu 0xfffd
	v_add_co_ci_u32_e64 v3, null, v37, v3, vcc_lo
	s_cselect_b32 vcc_lo, -1, 0
	s_cmp_eq_u32 s58, 2
	s_cselect_b32 s6, -1, 0
	flat_load_b64 v[2:3], v[2:3]
	s_cmp_eq_u32 s58, 1
	v_add_nc_u32_e32 v1, s60, v1
	s_cselect_b32 s7, -1, 0
	s_cmp_eq_u32 s58, 0
	s_add_nc_u64 s[58:59], s[58:59], 1
	s_cselect_b32 s8, -1, 0
	s_wait_alu 0xfffe
	s_cmp_eq_u32 s63, s58
	s_wait_loadcnt_dscnt 0x0
	v_dual_cndmask_b32 v15, v15, v3 :: v_dual_cndmask_b32 v14, v14, v2
	v_cndmask_b32_e64 v13, v13, v3, s6
	v_cndmask_b32_e64 v12, v12, v2, s6
	;; [unrolled: 1-line block ×6, first 2 shown]
	s_cbranch_scc0 .LBB282_24
.LBB282_25:                             ;   in Loop: Header=BB282_18 Depth=2
	s_and_not1_b32 vcc_lo, exec_lo, s65
	s_wait_alu 0xfffe
	s_cbranch_vccnz .LBB282_28
; %bb.26:                               ;   in Loop: Header=BB282_18 Depth=2
	s_ashr_i32 s51, s50, 31
	v_mov_b32_e32 v16, 0
	s_lshl_b64 s[6:7], s[50:51], 3
	v_mov_b32_e32 v20, 0
	s_wait_alu 0xfffe
	v_add_co_u32 v1, vcc_lo, v49, s6
	v_dual_mov_b32 v17, 0 :: v_dual_mov_b32 v18, 0
	v_dual_mov_b32 v21, 0 :: v_dual_mov_b32 v22, 0
	v_mov_b32_e32 v19, 0
	v_mov_b32_e32 v23, 0
	s_wait_alu 0xfffd
	v_add_co_ci_u32_e64 v2, null, s7, v50, vcc_lo
	s_mov_b64 s[58:59], 0
.LBB282_27:                             ;   Parent Loop BB282_3 Depth=1
                                        ;     Parent Loop BB282_18 Depth=2
                                        ; =>    This Inner Loop Header: Depth=3
	s_wait_alu 0xfffe
	s_cmp_eq_u32 s58, 1
	s_cselect_b32 vcc_lo, -1, 0
	s_cmp_eq_u32 s58, 2
	s_wait_alu 0xfffe
	v_cndmask_b32_e32 v3, v9, v11, vcc_lo
	s_cselect_b32 s6, -1, 0
	s_cmp_eq_u32 s58, 3
	v_cndmask_b32_e32 v59, v8, v10, vcc_lo
	s_cselect_b32 s7, -1, 0
	s_add_co_i32 s68, s56, s58
	s_add_co_i32 s70, s54, s58
	s_wait_alu 0xfffe
	s_ashr_i32 s69, s68, 31
	s_add_co_i32 s72, s52, s58
	s_ashr_i32 s71, s70, 31
	s_wait_alu 0xfffe
	s_lshl_b64 s[68:69], s[68:69], 3
	v_cndmask_b32_e64 v7, v3, v13, s6
	s_ashr_i32 s73, s72, 31
	s_lshl_b64 s[70:71], s[70:71], 3
	s_wait_alu 0xfffe
	v_add_co_u32 v3, s8, v49, s68
	s_lshl_b64 s[72:73], s[72:73], 3
	v_add_co_ci_u32_e64 v4, null, s69, v50, s8
	v_add_co_u32 v5, s8, v49, s70
	s_wait_alu 0xf1ff
	v_add_co_ci_u32_e64 v6, null, s71, v50, s8
	s_wait_alu 0xfffe
	v_add_co_u32 v55, s8, v49, s72
	s_wait_alu 0xf1ff
	v_add_co_ci_u32_e64 v56, null, s73, v50, s8
	flat_load_b64 v[57:58], v[1:2]
	s_clause 0x2
	flat_load_b64 v[3:4], v[3:4]
	flat_load_b64 v[5:6], v[5:6]
	;; [unrolled: 1-line block ×3, first 2 shown]
	v_cndmask_b32_e64 v59, v59, v12, s6
	v_cndmask_b32_e64 v60, v7, v15, s7
	v_add_co_u32 v1, vcc_lo, v1, 8
	s_wait_alu 0xfffd
	v_add_co_ci_u32_e64 v2, null, 0, v2, vcc_lo
	v_cndmask_b32_e64 v59, v59, v14, s7
	s_add_nc_u64 s[58:59], s[58:59], 1
	s_wait_alu 0xfffe
	s_cmp_lg_u32 s63, s58
	s_wait_loadcnt_dscnt 0x303
	v_fma_f64 v[16:17], v[59:60], v[57:58], v[16:17]
	s_wait_loadcnt_dscnt 0x202
	v_fma_f64 v[18:19], v[59:60], v[3:4], v[18:19]
	;; [unrolled: 2-line block ×4, first 2 shown]
	s_cbranch_scc1 .LBB282_27
	s_branch .LBB282_29
.LBB282_28:                             ;   in Loop: Header=BB282_18 Depth=2
	v_mov_b32_e32 v7, v0
	v_dual_mov_b32 v1, v0 :: v_dual_mov_b32 v2, v0
	v_dual_mov_b32 v3, v0 :: v_dual_mov_b32 v4, v0
	;; [unrolled: 1-line block ×3, first 2 shown]
	s_delay_alu instid0(VALU_DEP_4) | instskip(NEXT) | instid1(VALU_DEP_3)
	v_mov_b32_e32 v23, v7
	v_dual_mov_b32 v19, v3 :: v_dual_mov_b32 v18, v2
	s_delay_alu instid0(VALU_DEP_3) | instskip(NEXT) | instid1(VALU_DEP_4)
	v_dual_mov_b32 v21, v5 :: v_dual_mov_b32 v20, v4
	v_dual_mov_b32 v22, v6 :: v_dual_mov_b32 v17, v1
	v_mov_b32_e32 v16, v0
.LBB282_29:                             ;   in Loop: Header=BB282_18 Depth=2
	s_or_b32 exec_lo, exec_lo, s25
.LBB282_30:                             ;   in Loop: Header=BB282_18 Depth=2
	s_delay_alu instid0(SALU_CYCLE_1)
	s_or_b32 exec_lo, exec_lo, s11
	s_mov_b64 s[6:7], 0
	s_branch .LBB282_32
.LBB282_31:                             ;   in Loop: Header=BB282_32 Depth=3
	s_wait_alu 0xfffe
	s_or_b32 exec_lo, exec_lo, s8
	s_cmp_eq_u32 s6, 3
	s_cselect_b32 vcc_lo, -1, 0
	s_cmp_eq_u32 s6, 2
	s_wait_dscnt 0x0
	s_wait_alu 0xfffe
	s_delay_alu instid0(VALU_DEP_1)
	v_dual_cndmask_b32 v23, v23, v2 :: v_dual_cndmask_b32 v22, v22, v1
	s_cselect_b32 vcc_lo, -1, 0
	s_cmp_eq_u32 s6, 1
	s_wait_alu 0xfffe
	v_dual_cndmask_b32 v21, v21, v2 :: v_dual_cndmask_b32 v20, v20, v1
	s_cselect_b32 vcc_lo, -1, 0
	s_cmp_eq_u32 s6, 0
	s_wait_alu 0xfffe
	v_dual_cndmask_b32 v19, v19, v2 :: v_dual_cndmask_b32 v18, v18, v1
	s_cselect_b32 vcc_lo, -1, 0
	s_add_nc_u64 s[6:7], s[6:7], 1
	s_wait_alu 0xfffe
	v_dual_cndmask_b32 v17, v17, v2 :: v_dual_cndmask_b32 v16, v16, v1
	s_cmp_eq_u32 s6, 4
	s_cbranch_scc1 .LBB282_40
.LBB282_32:                             ;   Parent Loop BB282_3 Depth=1
                                        ;     Parent Loop BB282_18 Depth=2
                                        ; =>    This Inner Loop Header: Depth=3
	s_and_saveexec_b32 s8, s1
; %bb.33:                               ;   in Loop: Header=BB282_32 Depth=3
	v_mov_b32_e32 v1, v0
	ds_store_b64 v46, v[0:1]
; %bb.34:                               ;   in Loop: Header=BB282_32 Depth=3
	s_wait_alu 0xfffe
	s_or_b32 exec_lo, exec_lo, s8
	s_cmp_eq_u32 s6, 1
	s_wait_storecnt_dscnt 0x0
	s_cselect_b32 vcc_lo, -1, 0
	s_cmp_eq_u32 s6, 2
	s_wait_alu 0xfffe
	v_dual_cndmask_b32 v1, v17, v19 :: v_dual_cndmask_b32 v2, v16, v18
	s_cselect_b32 vcc_lo, -1, 0
	s_cmp_eq_u32 s6, 3
	s_barrier_signal -1
	s_wait_alu 0xfffe
	v_cndmask_b32_e32 v1, v1, v21, vcc_lo
	v_cndmask_b32_e32 v3, v2, v20, vcc_lo
	s_cselect_b32 vcc_lo, -1, 0
	s_barrier_wait -1
	global_inv scope:SCOPE_SE
	s_wait_alu 0xfffe
	v_dual_cndmask_b32 v2, v1, v23 :: v_dual_cndmask_b32 v1, v3, v22
	ds_bpermute_b32 v4, v25, v2
	ds_bpermute_b32 v3, v25, v1
	s_wait_dscnt 0x0
	v_add_f64_e32 v[1:2], v[1:2], v[3:4]
	ds_bpermute_b32 v3, v51, v1
	ds_bpermute_b32 v4, v51, v2
	s_wait_dscnt 0x0
	v_add_f64_e32 v[1:2], v[1:2], v[3:4]
	;; [unrolled: 4-line block ×4, first 2 shown]
	ds_bpermute_b32 v3, v54, v1
	ds_bpermute_b32 v4, v54, v2
	s_and_saveexec_b32 s8, s3
	s_cbranch_execz .LBB282_36
; %bb.35:                               ;   in Loop: Header=BB282_32 Depth=3
	s_wait_dscnt 0x0
	v_add_f64_e32 v[1:2], v[1:2], v[3:4]
	ds_store_b64 v47, v[1:2]
.LBB282_36:                             ;   in Loop: Header=BB282_32 Depth=3
	s_wait_alu 0xfffe
	s_or_b32 exec_lo, exec_lo, s8
	v_mov_b32_e32 v1, 0
	v_mov_b32_e32 v2, 0
	s_wait_loadcnt_dscnt 0x0
	s_barrier_signal -1
	s_barrier_wait -1
	global_inv scope:SCOPE_SE
	s_and_saveexec_b32 s8, s2
; %bb.37:                               ;   in Loop: Header=BB282_32 Depth=3
	ds_load_b64 v[1:2], v46
; %bb.38:                               ;   in Loop: Header=BB282_32 Depth=3
	s_wait_alu 0xfffe
	s_or_b32 exec_lo, exec_lo, s8
	s_and_saveexec_b32 s8, s1
	s_cbranch_execz .LBB282_31
; %bb.39:                               ;   in Loop: Header=BB282_32 Depth=3
	s_wait_dscnt 0x0
	ds_bpermute_b32 v3, v52, v1
	ds_bpermute_b32 v4, v52, v2
	s_wait_dscnt 0x0
	v_add_f64_e32 v[1:2], v[1:2], v[3:4]
	ds_bpermute_b32 v3, v53, v1
	ds_bpermute_b32 v4, v53, v2
	s_wait_dscnt 0x0
	v_add_f64_e32 v[1:2], v[1:2], v[3:4]
	;; [unrolled: 4-line block ×3, first 2 shown]
	s_branch .LBB282_31
.LBB282_40:                             ;   in Loop: Header=BB282_18 Depth=2
	s_and_saveexec_b32 s6, s0
	s_cbranch_execz .LBB282_17
; %bb.41:                               ;   in Loop: Header=BB282_18 Depth=2
	v_mul_f64_e32 v[1:2], s[14:15], v[16:17]
	v_mul_f64_e32 v[3:4], s[14:15], v[18:19]
	;; [unrolled: 1-line block ×4, first 2 shown]
	s_mul_i32 s7, s9, s26
	s_wait_alu 0xfffe
	s_add_co_i32 s34, s7, s24
	s_wait_alu 0xfffe
	s_lshl_b64 s[58:59], s[34:35], 3
	s_add_co_i32 s34, s34, s26
	s_wait_alu 0xfffe
	s_add_nc_u64 s[58:59], s[48:49], s[58:59]
	s_lshl_b64 s[68:69], s[34:35], 3
	s_add_co_i32 s34, s34, s26
	s_wait_alu 0xfffe
	s_add_nc_u64 s[68:69], s[48:49], s[68:69]
	;; [unrolled: 4-line block ×3, first 2 shown]
	s_lshl_b64 s[72:73], s[34:35], 3
	s_wait_alu 0xfffe
	s_add_nc_u64 s[72:73], s[48:49], s[72:73]
	s_clause 0x3
	global_store_b64 v0, v[1:2], s[58:59]
	global_store_b64 v0, v[3:4], s[68:69]
	;; [unrolled: 1-line block ×4, first 2 shown]
	s_branch .LBB282_17
.LBB282_42:                             ;   in Loop: Header=BB282_3 Depth=1
	v_mov_b32_e32 v7, v0
	v_dual_mov_b32 v1, v0 :: v_dual_mov_b32 v2, v0
	v_dual_mov_b32 v3, v0 :: v_dual_mov_b32 v4, v0
	;; [unrolled: 1-line block ×3, first 2 shown]
	s_delay_alu instid0(VALU_DEP_4) | instskip(NEXT) | instid1(VALU_DEP_3)
	v_mov_b32_e32 v15, v7
	v_dual_mov_b32 v11, v3 :: v_dual_mov_b32 v10, v2
	s_delay_alu instid0(VALU_DEP_3) | instskip(NEXT) | instid1(VALU_DEP_4)
	v_dual_mov_b32 v13, v5 :: v_dual_mov_b32 v12, v4
	v_dual_mov_b32 v14, v6 :: v_dual_mov_b32 v9, v1
	v_mov_b32_e32 v8, v0
	s_mov_b32 s9, 0
.LBB282_43:                             ;   in Loop: Header=BB282_3 Depth=1
	s_wait_alu 0xfffe
	s_cmp_ge_i32 s9, s13
	s_cbranch_scc1 .LBB282_2
; %bb.44:                               ;   in Loop: Header=BB282_3 Depth=1
	v_cmp_gt_u32_e32 vcc_lo, 24, v48
	s_add_nc_u64 s[48:49], s[48:49], s[46:47]
	s_mul_i32 s50, s28, s9
	s_mov_b32 s34, s9
	s_wait_alu 0xfffd
	v_cndmask_b32_e64 v1, 0, 8, vcc_lo
	v_cmp_gt_u32_e32 vcc_lo, 28, v48
	s_delay_alu instid0(VALU_DEP_2) | instskip(SKIP_3) | instid1(VALU_DEP_2)
	v_add_lshl_u32 v22, v1, v48, 2
	s_wait_alu 0xfffd
	v_cndmask_b32_e64 v2, 0, 4, vcc_lo
	v_cmp_gt_u32_e32 vcc_lo, 30, v48
	v_add_lshl_u32 v23, v2, v48, 2
	s_wait_alu 0xfffd
	v_cndmask_b32_e64 v3, 0, 2, vcc_lo
	v_cmp_ne_u32_e32 vcc_lo, 31, v48
	s_delay_alu instid0(VALU_DEP_2)
	v_add_lshl_u32 v38, v3, v48, 2
	s_wait_alu 0xfffd
	v_add_co_ci_u32_e64 v4, null, 0, v48, vcc_lo
	v_add_co_u32 v2, vcc_lo, v36, v28
	s_wait_alu 0xfffd
	v_add_co_ci_u32_e64 v3, null, v37, v29, vcc_lo
	s_delay_alu instid0(VALU_DEP_3)
	v_lshlrev_b32_e32 v39, 2, v4
	v_add_co_u32 v4, vcc_lo, v36, v30
	s_wait_alu 0xfffd
	v_add_co_ci_u32_e64 v5, null, v37, v31, vcc_lo
	v_add_co_u32 v6, vcc_lo, v36, v32
	s_wait_alu 0xfffd
	v_add_co_ci_u32_e64 v7, null, v37, v33, vcc_lo
	;; [unrolled: 3-line block ×3, first 2 shown]
	s_branch .LBB282_46
.LBB282_45:                             ;   in Loop: Header=BB282_46 Depth=2
	s_wait_alu 0xfffe
	s_or_b32 exec_lo, exec_lo, s6
	s_add_co_i32 s34, s34, 1
	s_add_co_i32 s50, s50, s28
	s_wait_alu 0xfffe
	s_cmp_ge_i32 s34, s13
	s_cbranch_scc1 .LBB282_2
.LBB282_46:                             ;   Parent Loop BB282_3 Depth=1
                                        ; =>  This Loop Header: Depth=2
                                        ;       Child Loop BB282_59 Depth 3
                                        ;       Child Loop BB282_62 Depth 3
	s_wait_dscnt 0x0
	v_dual_mov_b32 v18, s35 :: v_dual_mov_b32 v19, s35
	s_and_saveexec_b32 s6, s4
	s_wait_alu 0xfffe
	s_xor_b32 s6, exec_lo, s6
	s_cbranch_execnz .LBB282_55
; %bb.47:                               ;   in Loop: Header=BB282_46 Depth=2
	s_wait_alu 0xfffe
	s_and_not1_saveexec_b32 s9, s6
	s_cbranch_execnz .LBB282_56
.LBB282_48:                             ;   in Loop: Header=BB282_46 Depth=2
	s_wait_alu 0xfffe
	s_or_b32 exec_lo, exec_lo, s9
	s_and_saveexec_b32 s6, s1
.LBB282_49:                             ;   in Loop: Header=BB282_46 Depth=2
	v_mov_b32_e32 v1, v0
	ds_store_b64 v46, v[0:1]
.LBB282_50:                             ;   in Loop: Header=BB282_46 Depth=2
	s_wait_alu 0xfffe
	s_or_b32 exec_lo, exec_lo, s6
	ds_bpermute_b32 v20, v25, v18
	ds_bpermute_b32 v21, v25, v19
	s_wait_storecnt 0x0
	s_wait_loadcnt_dscnt 0x0
	s_barrier_signal -1
	s_barrier_wait -1
	global_inv scope:SCOPE_SE
	v_add_f64_e32 v[18:19], v[18:19], v[20:21]
	ds_bpermute_b32 v20, v22, v18
	ds_bpermute_b32 v21, v22, v19
	s_wait_dscnt 0x0
	v_add_f64_e32 v[18:19], v[18:19], v[20:21]
	ds_bpermute_b32 v20, v23, v18
	ds_bpermute_b32 v21, v23, v19
	s_wait_dscnt 0x0
	;; [unrolled: 4-line block ×3, first 2 shown]
	v_add_f64_e32 v[18:19], v[18:19], v[20:21]
	ds_bpermute_b32 v20, v39, v18
	ds_bpermute_b32 v21, v39, v19
	s_and_saveexec_b32 s6, s3
	s_cbranch_execz .LBB282_52
; %bb.51:                               ;   in Loop: Header=BB282_46 Depth=2
	s_wait_dscnt 0x0
	v_add_f64_e32 v[18:19], v[18:19], v[20:21]
	ds_store_b64 v47, v[18:19]
.LBB282_52:                             ;   in Loop: Header=BB282_46 Depth=2
	s_wait_alu 0xfffe
	s_or_b32 exec_lo, exec_lo, s6
	v_mov_b32_e32 v18, 0
	v_mov_b32_e32 v19, 0
	s_wait_loadcnt_dscnt 0x0
	s_barrier_signal -1
	s_barrier_wait -1
	global_inv scope:SCOPE_SE
	s_and_saveexec_b32 s6, s2
	s_cbranch_execnz .LBB282_64
; %bb.53:                               ;   in Loop: Header=BB282_46 Depth=2
	s_wait_alu 0xfffe
	s_or_b32 exec_lo, exec_lo, s6
	s_and_saveexec_b32 s6, s1
	s_cbranch_execnz .LBB282_65
.LBB282_54:                             ;   in Loop: Header=BB282_46 Depth=2
	s_wait_alu 0xfffe
	s_or_b32 exec_lo, exec_lo, s6
	s_and_saveexec_b32 s6, s0
	s_cbranch_execz .LBB282_45
	s_branch .LBB282_66
.LBB282_55:                             ;   in Loop: Header=BB282_46 Depth=2
	s_mul_i32 s8, s34, s28
	s_wait_alu 0xfffe
	s_ashr_i32 s9, s8, 31
	s_wait_alu 0xfffe
	s_lshl_b64 s[8:9], s[8:9], 3
	s_wait_alu 0xfffe
	v_add_co_u32 v12, vcc_lo, v49, s8
	s_wait_alu 0xfffd
	v_add_co_ci_u32_e64 v13, null, s9, v50, vcc_lo
	flat_load_b128 v[18:21], v[12:13]
	s_clause 0x1
	flat_load_b64 v[8:9], v[2:3]
	flat_load_b64 v[10:11], v[4:5]
	flat_load_b128 v[40:43], v[12:13] offset:16
	s_clause 0x1
	flat_load_b64 v[12:13], v[6:7]
	flat_load_b64 v[14:15], v[16:17]
	s_wait_loadcnt_dscnt 0x404
	v_fma_f64 v[18:19], v[8:9], v[18:19], 0
	s_wait_loadcnt_dscnt 0x303
	s_delay_alu instid0(VALU_DEP_1) | instskip(SKIP_1) | instid1(VALU_DEP_1)
	v_fma_f64 v[18:19], v[10:11], v[20:21], v[18:19]
	s_wait_loadcnt_dscnt 0x101
	v_fma_f64 v[18:19], v[12:13], v[40:41], v[18:19]
	s_wait_loadcnt_dscnt 0x0
	s_delay_alu instid0(VALU_DEP_1)
	v_fma_f64 v[18:19], v[14:15], v[42:43], v[18:19]
	s_and_not1_saveexec_b32 s9, s6
	s_cbranch_execz .LBB282_48
.LBB282_56:                             ;   in Loop: Header=BB282_46 Depth=2
	s_and_saveexec_b32 s11, s5
	s_cbranch_execz .LBB282_63
; %bb.57:                               ;   in Loop: Header=BB282_46 Depth=2
	s_and_not1_b32 vcc_lo, exec_lo, s65
	s_wait_alu 0xfffe
	s_cbranch_vccnz .LBB282_60
; %bb.58:                               ;   in Loop: Header=BB282_46 Depth=2
	v_mov_b32_e32 v20, v24
	s_mov_b64 s[52:53], 0
.LBB282_59:                             ;   Parent Loop BB282_3 Depth=1
                                        ;     Parent Loop BB282_46 Depth=2
                                        ; =>    This Inner Loop Header: Depth=3
	s_delay_alu instid0(VALU_DEP_1) | instskip(SKIP_1) | instid1(VALU_DEP_1)
	v_ashrrev_i32_e32 v21, 31, v20
	s_cmp_eq_u32 s52, 3
	v_lshlrev_b64_e32 v[40:41], 3, v[20:21]
	s_delay_alu instid0(VALU_DEP_1) | instskip(SKIP_1) | instid1(VALU_DEP_2)
	v_add_co_u32 v40, vcc_lo, v36, v40
	s_wait_alu 0xfffd
	v_add_co_ci_u32_e64 v41, null, v37, v41, vcc_lo
	s_cselect_b32 vcc_lo, -1, 0
	s_cmp_eq_u32 s52, 2
	s_cselect_b32 s6, -1, 0
	flat_load_b64 v[40:41], v[40:41]
	s_cmp_eq_u32 s52, 1
	v_add_nc_u32_e32 v20, s60, v20
	s_cselect_b32 s7, -1, 0
	s_cmp_eq_u32 s52, 0
	s_add_nc_u64 s[52:53], s[52:53], 1
	s_cselect_b32 s8, -1, 0
	s_cmp_eq_u32 s63, s52
	s_wait_loadcnt_dscnt 0x0
	s_wait_alu 0xfffe
	v_dual_cndmask_b32 v15, v15, v41 :: v_dual_cndmask_b32 v14, v14, v40
	v_cndmask_b32_e64 v13, v13, v41, s6
	v_cndmask_b32_e64 v12, v12, v40, s6
	;; [unrolled: 1-line block ×6, first 2 shown]
	s_cbranch_scc0 .LBB282_59
.LBB282_60:                             ;   in Loop: Header=BB282_46 Depth=2
	s_and_not1_b32 vcc_lo, exec_lo, s65
	s_wait_alu 0xfffe
	s_cbranch_vccnz .LBB282_63
; %bb.61:                               ;   in Loop: Header=BB282_46 Depth=2
	s_ashr_i32 s51, s50, 31
	s_delay_alu instid0(SALU_CYCLE_1)
	s_lshl_b64 s[6:7], s[50:51], 3
	s_wait_alu 0xfffe
	v_add_co_u32 v20, vcc_lo, v49, s6
	s_wait_alu 0xfffd
	v_add_co_ci_u32_e64 v21, null, s7, v50, vcc_lo
	s_mov_b64 s[6:7], 0
.LBB282_62:                             ;   Parent Loop BB282_3 Depth=1
                                        ;     Parent Loop BB282_46 Depth=2
                                        ; =>    This Inner Loop Header: Depth=3
	flat_load_b64 v[40:41], v[20:21]
	s_wait_alu 0xfffe
	s_cmp_eq_u32 s6, 1
	s_cselect_b32 vcc_lo, -1, 0
	s_cmp_eq_u32 s6, 2
	s_wait_alu 0xfffe
	v_dual_cndmask_b32 v1, v9, v11 :: v_dual_cndmask_b32 v42, v8, v10
	s_cselect_b32 vcc_lo, -1, 0
	s_cmp_eq_u32 s6, 3
	s_add_nc_u64 s[6:7], s[6:7], 1
	s_wait_alu 0xfffe
	v_dual_cndmask_b32 v1, v1, v13 :: v_dual_cndmask_b32 v42, v42, v12
	s_cselect_b32 vcc_lo, -1, 0
	s_cmp_lg_u32 s63, s6
	s_wait_alu 0xfffe
	s_delay_alu instid0(VALU_DEP_1)
	v_dual_cndmask_b32 v43, v1, v15 :: v_dual_cndmask_b32 v42, v42, v14
	v_add_co_u32 v20, vcc_lo, v20, 8
	s_wait_alu 0xfffd
	v_add_co_ci_u32_e64 v21, null, 0, v21, vcc_lo
	s_wait_loadcnt_dscnt 0x0
	v_fma_f64 v[18:19], v[42:43], v[40:41], v[18:19]
	s_cbranch_scc1 .LBB282_62
.LBB282_63:                             ;   in Loop: Header=BB282_46 Depth=2
	s_or_b32 exec_lo, exec_lo, s11
	s_wait_alu 0xfffe
	s_or_b32 exec_lo, exec_lo, s9
	s_and_saveexec_b32 s6, s1
	s_cbranch_execnz .LBB282_49
	s_branch .LBB282_50
.LBB282_64:                             ;   in Loop: Header=BB282_46 Depth=2
	ds_load_b64 v[18:19], v46
	s_wait_alu 0xfffe
	s_or_b32 exec_lo, exec_lo, s6
	s_and_saveexec_b32 s6, s1
	s_cbranch_execz .LBB282_54
.LBB282_65:                             ;   in Loop: Header=BB282_46 Depth=2
	s_wait_dscnt 0x0
	ds_bpermute_b32 v20, v23, v18
	ds_bpermute_b32 v21, v23, v19
	s_wait_dscnt 0x0
	v_add_f64_e32 v[18:19], v[18:19], v[20:21]
	ds_bpermute_b32 v20, v38, v18
	ds_bpermute_b32 v21, v38, v19
	s_wait_dscnt 0x0
	v_add_f64_e32 v[18:19], v[18:19], v[20:21]
	;; [unrolled: 4-line block ×3, first 2 shown]
	s_wait_alu 0xfffe
	s_or_b32 exec_lo, exec_lo, s6
	s_and_saveexec_b32 s6, s0
	s_cbranch_execz .LBB282_45
.LBB282_66:                             ;   in Loop: Header=BB282_46 Depth=2
	s_wait_dscnt 0x0
	s_delay_alu instid0(VALU_DEP_1)
	v_mul_f64_e32 v[18:19], s[14:15], v[18:19]
	s_mul_u64 s[8:9], s[34:35], s[26:27]
	s_wait_alu 0xfffe
	s_lshl_b64 s[8:9], s[8:9], 3
	s_wait_alu 0xfffe
	s_add_nc_u64 s[8:9], s[48:49], s[8:9]
	global_store_b64 v0, v[18:19], s[8:9]
	s_branch .LBB282_45
.LBB282_67:
	s_endpgm
	.section	.rodata,"a",@progbits
	.p2align	6, 0x0
	.amdhsa_kernel _ZL23rocblas_gemvt_sn_kernelILb1ELi256ELi4EiPKdddEviiT4_lPKT3_lilS5_lilPT5_i
		.amdhsa_group_segment_fixed_size 256
		.amdhsa_private_segment_fixed_size 0
		.amdhsa_kernarg_size 360
		.amdhsa_user_sgpr_count 2
		.amdhsa_user_sgpr_dispatch_ptr 0
		.amdhsa_user_sgpr_queue_ptr 0
		.amdhsa_user_sgpr_kernarg_segment_ptr 1
		.amdhsa_user_sgpr_dispatch_id 0
		.amdhsa_user_sgpr_private_segment_size 0
		.amdhsa_wavefront_size32 1
		.amdhsa_uses_dynamic_stack 0
		.amdhsa_enable_private_segment 0
		.amdhsa_system_sgpr_workgroup_id_x 1
		.amdhsa_system_sgpr_workgroup_id_y 0
		.amdhsa_system_sgpr_workgroup_id_z 1
		.amdhsa_system_sgpr_workgroup_info 0
		.amdhsa_system_vgpr_workitem_id 0
		.amdhsa_next_free_vgpr 75
		.amdhsa_next_free_sgpr 74
		.amdhsa_reserve_vcc 1
		.amdhsa_float_round_mode_32 0
		.amdhsa_float_round_mode_16_64 0
		.amdhsa_float_denorm_mode_32 3
		.amdhsa_float_denorm_mode_16_64 3
		.amdhsa_fp16_overflow 0
		.amdhsa_workgroup_processor_mode 1
		.amdhsa_memory_ordered 1
		.amdhsa_forward_progress 1
		.amdhsa_inst_pref_size 34
		.amdhsa_round_robin_scheduling 0
		.amdhsa_exception_fp_ieee_invalid_op 0
		.amdhsa_exception_fp_denorm_src 0
		.amdhsa_exception_fp_ieee_div_zero 0
		.amdhsa_exception_fp_ieee_overflow 0
		.amdhsa_exception_fp_ieee_underflow 0
		.amdhsa_exception_fp_ieee_inexact 0
		.amdhsa_exception_int_div_zero 0
	.end_amdhsa_kernel
	.section	.text._ZL23rocblas_gemvt_sn_kernelILb1ELi256ELi4EiPKdddEviiT4_lPKT3_lilS5_lilPT5_i,"axG",@progbits,_ZL23rocblas_gemvt_sn_kernelILb1ELi256ELi4EiPKdddEviiT4_lPKT3_lilS5_lilPT5_i,comdat
.Lfunc_end282:
	.size	_ZL23rocblas_gemvt_sn_kernelILb1ELi256ELi4EiPKdddEviiT4_lPKT3_lilS5_lilPT5_i, .Lfunc_end282-_ZL23rocblas_gemvt_sn_kernelILb1ELi256ELi4EiPKdddEviiT4_lPKT3_lilS5_lilPT5_i
                                        ; -- End function
	.set _ZL23rocblas_gemvt_sn_kernelILb1ELi256ELi4EiPKdddEviiT4_lPKT3_lilS5_lilPT5_i.num_vgpr, 75
	.set _ZL23rocblas_gemvt_sn_kernelILb1ELi256ELi4EiPKdddEviiT4_lPKT3_lilS5_lilPT5_i.num_agpr, 0
	.set _ZL23rocblas_gemvt_sn_kernelILb1ELi256ELi4EiPKdddEviiT4_lPKT3_lilS5_lilPT5_i.numbered_sgpr, 74
	.set _ZL23rocblas_gemvt_sn_kernelILb1ELi256ELi4EiPKdddEviiT4_lPKT3_lilS5_lilPT5_i.num_named_barrier, 0
	.set _ZL23rocblas_gemvt_sn_kernelILb1ELi256ELi4EiPKdddEviiT4_lPKT3_lilS5_lilPT5_i.private_seg_size, 0
	.set _ZL23rocblas_gemvt_sn_kernelILb1ELi256ELi4EiPKdddEviiT4_lPKT3_lilS5_lilPT5_i.uses_vcc, 1
	.set _ZL23rocblas_gemvt_sn_kernelILb1ELi256ELi4EiPKdddEviiT4_lPKT3_lilS5_lilPT5_i.uses_flat_scratch, 1
	.set _ZL23rocblas_gemvt_sn_kernelILb1ELi256ELi4EiPKdddEviiT4_lPKT3_lilS5_lilPT5_i.has_dyn_sized_stack, 0
	.set _ZL23rocblas_gemvt_sn_kernelILb1ELi256ELi4EiPKdddEviiT4_lPKT3_lilS5_lilPT5_i.has_recursion, 0
	.set _ZL23rocblas_gemvt_sn_kernelILb1ELi256ELi4EiPKdddEviiT4_lPKT3_lilS5_lilPT5_i.has_indirect_call, 0
	.section	.AMDGPU.csdata,"",@progbits
; Kernel info:
; codeLenInByte = 4348
; TotalNumSgprs: 76
; NumVgprs: 75
; ScratchSize: 0
; MemoryBound: 1
; FloatMode: 240
; IeeeMode: 1
; LDSByteSize: 256 bytes/workgroup (compile time only)
; SGPRBlocks: 0
; VGPRBlocks: 9
; NumSGPRsForWavesPerEU: 76
; NumVGPRsForWavesPerEU: 75
; Occupancy: 16
; WaveLimiterHint : 0
; COMPUTE_PGM_RSRC2:SCRATCH_EN: 0
; COMPUTE_PGM_RSRC2:USER_SGPR: 2
; COMPUTE_PGM_RSRC2:TRAP_HANDLER: 0
; COMPUTE_PGM_RSRC2:TGID_X_EN: 1
; COMPUTE_PGM_RSRC2:TGID_Y_EN: 0
; COMPUTE_PGM_RSRC2:TGID_Z_EN: 1
; COMPUTE_PGM_RSRC2:TIDIG_COMP_CNT: 0
	.section	.text._ZL23rocblas_gemvt_sn_kernelILb1ELi256ELi4ElPKdddEviiT4_lPKT3_lilS5_lilPT5_i,"axG",@progbits,_ZL23rocblas_gemvt_sn_kernelILb1ELi256ELi4ElPKdddEviiT4_lPKT3_lilS5_lilPT5_i,comdat
	.globl	_ZL23rocblas_gemvt_sn_kernelILb1ELi256ELi4ElPKdddEviiT4_lPKT3_lilS5_lilPT5_i ; -- Begin function _ZL23rocblas_gemvt_sn_kernelILb1ELi256ELi4ElPKdddEviiT4_lPKT3_lilS5_lilPT5_i
	.p2align	8
	.type	_ZL23rocblas_gemvt_sn_kernelILb1ELi256ELi4ElPKdddEviiT4_lPKT3_lilS5_lilPT5_i,@function
_ZL23rocblas_gemvt_sn_kernelILb1ELi256ELi4ElPKdddEviiT4_lPKT3_lilS5_lilPT5_i: ; @_ZL23rocblas_gemvt_sn_kernelILb1ELi256ELi4ElPKdddEviiT4_lPKT3_lilS5_lilPT5_i
; %bb.0:
	s_load_b32 s33, s[0:1], 0x60
	s_lshr_b32 s10, ttmp7, 16
	s_wait_kmcnt 0x0
	s_cmp_ge_u32 s10, s33
	s_cbranch_scc1 .LBB283_67
; %bb.1:
	s_clause 0x6
	s_load_b32 s26, s[0:1], 0x28
	s_load_b32 s6, s[0:1], 0x48
	s_load_b128 s[12:15], s[0:1], 0x0
	s_load_b32 s28, s[0:1], 0x68
	s_load_b128 s[16:19], s[0:1], 0x18
	s_load_b128 s[20:23], s[0:1], 0x38
	s_load_b64 s[30:31], s[0:1], 0x58
	v_cmp_eq_u32_e64 s0, 0, v0
	s_mov_b32 s25, 0
	v_and_b32_e32 v3, 31, v0
	s_mov_b32 s29, s25
	v_cmp_gt_u32_e64 s5, 8, v0
	v_mbcnt_lo_u32_b32 v50, -1, 0
	s_mov_b32 s24, ttmp9
	s_delay_alu instid0(VALU_DEP_1)
	v_lshl_or_b32 v51, v50, 2, 64
	s_wait_kmcnt 0x0
	s_ashr_i32 s27, s26, 31
	s_ashr_i32 s7, s6, 31
	;; [unrolled: 1-line block ×3, first 2 shown]
	s_cmp_gt_i32 s13, 0
	s_mov_b32 s2, s13
	s_cselect_b32 s1, -1, 0
	s_ashr_i32 s4, s12, 31
	s_and_b32 s54, s0, s1
	s_lshr_b32 s1, s4, 30
	s_mul_u64 s[34:35], s[2:3], s[28:29]
	s_lshl_b32 s2, ttmp9, 10
	s_add_co_i32 s1, s12, s1
	v_lshl_or_b32 v1, v0, 2, s2
	s_and_b32 s1, s1, -4
	s_lshr_b32 s3, s3, 30
	s_sub_co_i32 s56, s12, s1
	s_wait_alu 0xfffe
	s_add_co_i32 s2, s13, s3
	v_add_nc_u32_e32 v4, 4, v1
	v_add_nc_u32_e32 v5, s56, v1
	s_wait_alu 0xfffe
	s_and_b32 s55, s2, -4
	v_cmp_neq_f64_e64 s59, s[14:15], 0
	v_cmp_gt_u32_e64 s3, 32, v0
	v_cmp_ge_i32_e64 s1, s12, v4
	v_cmp_ge_i32_e64 s2, s12, v5
	v_cmp_eq_f64_e64 s12, s[14:15], 0
	v_lshrrev_b32_e32 v4, 2, v0
	v_or_b32_e32 v0, 1, v1
	v_or_b32_e32 v7, 2, v1
	;; [unrolled: 1-line block ×3, first 2 shown]
	v_ashrrev_i32_e32 v2, 31, v1
	v_and_b32_e32 v49, 56, v4
	v_mad_co_i64_i32 v[5:6], null, s6, v0, 0
	v_mad_co_i64_i32 v[7:8], null, s6, v7, 0
	;; [unrolled: 1-line block ×3, first 2 shown]
	v_mov_b32_e32 v0, 0
	v_cmp_eq_u32_e64 s4, 0, v3
	v_lshlrev_b32_e32 v48, 3, v3
	v_mad_co_i64_i32 v[3:4], null, s6, v1, 0
	s_cmp_gt_i32 s55, 0
	v_lshlrev_b64_e32 v[26:27], 3, v[1:2]
	v_lshlrev_b64_e32 v[28:29], 3, v[5:6]
	;; [unrolled: 1-line block ×4, first 2 shown]
	s_cselect_b32 s57, -1, 0
	v_lshlrev_b64_e32 v[24:25], 3, v[3:4]
	s_cmp_gt_i32 s56, 0
	s_mul_u64 s[40:41], s[26:27], 24
	s_cselect_b32 s58, -1, 0
	s_lshl_b64 s[36:37], s[28:29], 3
	s_lshl_b64 s[38:39], s[6:7], 3
	;; [unrolled: 1-line block ×8, first 2 shown]
	s_branch .LBB283_3
.LBB283_2:                              ;   in Loop: Header=BB283_3 Depth=1
	s_add_co_i32 s10, s10, 0x10000
	s_delay_alu instid0(SALU_CYCLE_1)
	s_cmp_lt_u32 s10, s33
	s_cbranch_scc0 .LBB283_67
.LBB283_3:                              ; =>This Loop Header: Depth=1
                                        ;     Child Loop BB283_12 Depth 2
                                        ;     Child Loop BB283_18 Depth 2
                                        ;       Child Loop BB283_24 Depth 3
                                        ;       Child Loop BB283_27 Depth 3
	;; [unrolled: 1-line block ×3, first 2 shown]
                                        ;     Child Loop BB283_46 Depth 2
                                        ;       Child Loop BB283_59 Depth 3
                                        ;       Child Loop BB283_62 Depth 3
	s_mov_b32 s11, s25
	s_and_not1_b32 vcc_lo, exec_lo, s12
	s_mov_b32 s6, -1
	s_wait_alu 0xfffe
	s_cbranch_vccnz .LBB283_5
; %bb.4:                                ;   in Loop: Header=BB283_3 Depth=1
	s_mov_b32 s6, 0
.LBB283_5:                              ;   in Loop: Header=BB283_3 Depth=1
	v_mov_b32_e32 v36, 0
	v_dual_mov_b32 v37, 0 :: v_dual_mov_b32 v2, 0
	v_mov_b32_e32 v3, 0
	s_wait_alu 0xfffe
	s_and_not1_b32 vcc_lo, exec_lo, s6
	s_wait_alu 0xfffe
	s_cbranch_vccnz .LBB283_7
; %bb.6:                                ;   in Loop: Header=BB283_3 Depth=1
	s_lshl_b64 s[6:7], s[10:11], 3
	s_wait_alu 0xfffe
	s_add_nc_u64 s[6:7], s[16:17], s[6:7]
	global_load_b64 v[2:3], v0, s[6:7]
	s_wait_loadcnt 0x0
	v_add_co_u32 v2, vcc_lo, v2, s18
	s_wait_alu 0xfffd
	v_add_co_ci_u32_e64 v3, null, s19, v3, vcc_lo
.LBB283_7:                              ;   in Loop: Header=BB283_3 Depth=1
	s_and_not1_b32 vcc_lo, exec_lo, s59
	s_wait_alu 0xfffe
	s_cbranch_vccnz .LBB283_9
; %bb.8:                                ;   in Loop: Header=BB283_3 Depth=1
	s_lshl_b64 s[6:7], s[10:11], 3
	s_wait_alu 0xfffe
	s_add_nc_u64 s[6:7], s[20:21], s[6:7]
	global_load_b64 v[4:5], v0, s[6:7]
	s_wait_loadcnt 0x0
	v_add_co_u32 v36, vcc_lo, v4, s22
	s_wait_alu 0xfffd
	v_add_co_ci_u32_e64 v37, null, s23, v5, vcc_lo
.LBB283_9:                              ;   in Loop: Header=BB283_3 Depth=1
	s_mul_u64 s[6:7], s[34:35], s[10:11]
	s_and_not1_b32 vcc_lo, exec_lo, s12
	s_wait_alu 0xfffe
	s_lshl_b64 s[6:7], s[6:7], 3
	s_wait_alu 0xfffe
	s_add_nc_u64 s[50:51], s[30:31], s[6:7]
	s_mov_b32 s6, -1
	s_cbranch_vccnz .LBB283_14
; %bb.10:                               ;   in Loop: Header=BB283_3 Depth=1
	s_and_saveexec_b32 s8, s54
	s_cbranch_execz .LBB283_13
; %bb.11:                               ;   in Loop: Header=BB283_3 Depth=1
	s_add_nc_u64 s[6:7], s[50:51], s[48:49]
	s_mov_b32 s9, s13
.LBB283_12:                             ;   Parent Loop BB283_3 Depth=1
                                        ; =>  This Inner Loop Header: Depth=2
	v_mov_b32_e32 v1, v0
	s_wait_alu 0xfffe
	s_add_co_i32 s9, s9, -1
	s_wait_alu 0xfffe
	s_cmp_eq_u32 s9, 0
	global_store_b64 v0, v[0:1], s[6:7]
	s_add_nc_u64 s[6:7], s[6:7], s[36:37]
	s_cbranch_scc0 .LBB283_12
.LBB283_13:                             ;   in Loop: Header=BB283_3 Depth=1
	s_wait_alu 0xfffe
	s_or_b32 exec_lo, exec_lo, s8
	s_mov_b32 s6, 0
.LBB283_14:                             ;   in Loop: Header=BB283_3 Depth=1
	s_wait_alu 0xfffe
	s_and_not1_b32 vcc_lo, exec_lo, s6
	s_wait_alu 0xfffe
	s_cbranch_vccnz .LBB283_2
; %bb.15:                               ;   in Loop: Header=BB283_3 Depth=1
	v_add_co_u32 v34, vcc_lo, v2, v26
	s_wait_alu 0xfffd
	v_add_co_ci_u32_e64 v35, null, v3, v27, vcc_lo
	v_cmp_gt_u32_e64 s9, 24, v50
	v_cmp_gt_u32_e64 s8, 28, v50
	;; [unrolled: 1-line block ×3, first 2 shown]
	v_cmp_ne_u32_e64 s6, 31, v50
	s_and_not1_b32 vcc_lo, exec_lo, s57
	s_add_nc_u64 s[50:51], s[50:51], s[48:49]
	s_wait_alu 0xfffe
	s_cbranch_vccnz .LBB283_42
; %bb.16:                               ;   in Loop: Header=BB283_3 Depth=1
	v_cndmask_b32_e64 v1, 0, 8, s9
	v_cndmask_b32_e64 v2, 0, 4, s8
	;; [unrolled: 1-line block ×3, first 2 shown]
	v_add_co_ci_u32_e64 v4, null, 0, v50, s6
	v_add_co_u32 v38, vcc_lo, v36, v24
	s_wait_alu 0xfffd
	v_add_co_ci_u32_e64 v39, null, v37, v25, vcc_lo
	v_add_co_u32 v40, vcc_lo, v36, v28
	v_mov_b32_e32 v7, v0
	v_add_lshl_u32 v52, v1, v50, 2
	v_add_lshl_u32 v53, v2, v50, 2
	;; [unrolled: 1-line block ×3, first 2 shown]
	v_dual_mov_b32 v2, v0 :: v_dual_lshlrev_b32 v55, 2, v4
	v_dual_mov_b32 v1, v0 :: v_dual_mov_b32 v4, v0
	v_dual_mov_b32 v3, v0 :: v_dual_mov_b32 v6, v0
	v_mov_b32_e32 v5, v0
	s_wait_alu 0xfffd
	v_add_co_ci_u32_e64 v41, null, v37, v29, vcc_lo
	v_add_co_u32 v42, vcc_lo, v36, v30
	s_wait_alu 0xfffd
	v_add_co_ci_u32_e64 v43, null, v37, v31, vcc_lo
	v_add_co_u32 v44, vcc_lo, v36, v32
	v_dual_mov_b32 v47, v35 :: v_dual_mov_b32 v46, v34
	v_dual_mov_b32 v15, v7 :: v_dual_mov_b32 v12, v4
	s_wait_alu 0xfffd
	v_add_co_ci_u32_e64 v45, null, v37, v33, vcc_lo
	v_dual_mov_b32 v14, v6 :: v_dual_mov_b32 v13, v5
	v_dual_mov_b32 v10, v2 :: v_dual_mov_b32 v11, v3
	;; [unrolled: 1-line block ×3, first 2 shown]
	s_mov_b32 s24, 0
	s_branch .LBB283_18
.LBB283_17:                             ;   in Loop: Header=BB283_18 Depth=2
	s_wait_alu 0xfffe
	s_or_b32 exec_lo, exec_lo, s6
	v_add_co_u32 v46, vcc_lo, v46, s42
	s_wait_alu 0xfffd
	v_add_co_ci_u32_e64 v47, null, s43, v47, vcc_lo
	s_add_co_i32 s24, s24, 4
	s_wait_alu 0xfffe
	s_cmp_ge_i32 s24, s55
	s_cbranch_scc1 .LBB283_43
.LBB283_18:                             ;   Parent Loop BB283_3 Depth=1
                                        ; =>  This Loop Header: Depth=2
                                        ;       Child Loop BB283_24 Depth 3
                                        ;       Child Loop BB283_27 Depth 3
	;; [unrolled: 1-line block ×3, first 2 shown]
                                        ; implicit-def: $vgpr16_vgpr17_vgpr18_vgpr19_vgpr20_vgpr21_vgpr22_vgpr23
	s_and_saveexec_b32 s6, s1
	s_wait_alu 0xfffe
	s_xor_b32 s6, exec_lo, s6
	s_cbranch_execz .LBB283_20
; %bb.19:                               ;   in Loop: Header=BB283_18 Depth=2
	s_mul_u64 s[8:9], s[24:25], s[26:27]
	s_or_b32 s52, s24, 1
	s_mov_b32 s53, s25
	s_wait_alu 0xfffe
	s_lshl_b64 s[8:9], s[8:9], 3
	s_mul_u64 s[52:53], s[52:53], s[26:27]
	s_wait_alu 0xfffe
	v_add_co_u32 v5, vcc_lo, v34, s8
	s_wait_alu 0xfffd
	v_add_co_ci_u32_e64 v6, null, s9, v35, vcc_lo
	s_lshl_b64 s[8:9], s[52:53], 3
	s_or_b32 s52, s24, 2
	s_mov_b32 s53, s25
	s_wait_alu 0xfffe
	v_add_co_u32 v14, vcc_lo, v34, s8
	s_wait_alu 0xfffd
	v_add_co_ci_u32_e64 v15, null, s9, v35, vcc_lo
	s_mul_u64 s[8:9], s[52:53], s[26:27]
	s_or_b32 s52, s24, 3
	s_wait_alu 0xfffe
	s_lshl_b64 s[8:9], s[8:9], 3
	s_mul_u64 s[52:53], s[52:53], s[26:27]
	s_wait_alu 0xfffe
	v_add_co_u32 v68, vcc_lo, v34, s8
	s_wait_alu 0xfffd
	v_add_co_ci_u32_e64 v69, null, s9, v35, vcc_lo
	s_lshl_b64 s[8:9], s[52:53], 3
	s_wait_alu 0xfffe
	v_add_co_u32 v72, vcc_lo, v34, s8
	s_wait_alu 0xfffd
	v_add_co_ci_u32_e64 v73, null, s9, v35, vcc_lo
	flat_load_b64 v[8:9], v[38:39]
	s_clause 0x1
	flat_load_b128 v[1:4], v[5:6]
	flat_load_b128 v[16:19], v[14:15]
	s_wait_dscnt 0x3
	s_clause 0x1
	flat_load_b128 v[20:23], v[68:69]
	flat_load_b128 v[56:59], v[72:73]
	s_clause 0x1
	flat_load_b64 v[10:11], v[40:41]
	flat_load_b64 v[12:13], v[42:43]
	s_clause 0x3
	flat_load_b128 v[60:63], v[5:6] offset:16
	flat_load_b128 v[64:67], v[14:15] offset:16
	;; [unrolled: 1-line block ×4, first 2 shown]
	flat_load_b64 v[14:15], v[44:45]
	s_wait_loadcnt_dscnt 0xa0a
	v_fma_f64 v[1:2], v[8:9], v[1:2], 0
	s_wait_loadcnt_dscnt 0x909
	v_fma_f64 v[5:6], v[8:9], v[16:17], 0
	;; [unrolled: 2-line block ×4, first 2 shown]
	s_wait_loadcnt_dscnt 0x606
	s_delay_alu instid0(VALU_DEP_4) | instskip(NEXT) | instid1(VALU_DEP_4)
	v_fma_f64 v[1:2], v[10:11], v[3:4], v[1:2]
	v_fma_f64 v[3:4], v[10:11], v[18:19], v[5:6]
	s_delay_alu instid0(VALU_DEP_4) | instskip(NEXT) | instid1(VALU_DEP_4)
	v_fma_f64 v[5:6], v[10:11], v[22:23], v[16:17]
	v_fma_f64 v[16:17], v[10:11], v[58:59], v[20:21]
	s_wait_loadcnt_dscnt 0x404
	s_delay_alu instid0(VALU_DEP_4) | instskip(SKIP_1) | instid1(VALU_DEP_4)
	v_fma_f64 v[1:2], v[12:13], v[60:61], v[1:2]
	s_wait_loadcnt_dscnt 0x303
	v_fma_f64 v[3:4], v[12:13], v[64:65], v[3:4]
	s_wait_loadcnt_dscnt 0x202
	s_delay_alu instid0(VALU_DEP_4) | instskip(SKIP_1) | instid1(VALU_DEP_4)
	v_fma_f64 v[5:6], v[12:13], v[68:69], v[5:6]
	s_wait_loadcnt_dscnt 0x101
	v_fma_f64 v[22:23], v[12:13], v[72:73], v[16:17]
	s_wait_loadcnt_dscnt 0x0
	s_delay_alu instid0(VALU_DEP_4) | instskip(NEXT) | instid1(VALU_DEP_4)
	v_fma_f64 v[16:17], v[14:15], v[62:63], v[1:2]
	v_fma_f64 v[18:19], v[14:15], v[66:67], v[3:4]
	s_delay_alu instid0(VALU_DEP_4) | instskip(NEXT) | instid1(VALU_DEP_4)
	v_fma_f64 v[20:21], v[14:15], v[70:71], v[5:6]
	v_fma_f64 v[22:23], v[14:15], v[74:75], v[22:23]
.LBB283_20:                             ;   in Loop: Header=BB283_18 Depth=2
	s_wait_alu 0xfffe
	s_and_not1_saveexec_b32 s11, s6
	s_cbranch_execz .LBB283_30
; %bb.21:                               ;   in Loop: Header=BB283_18 Depth=2
	v_mov_b32_e32 v7, v0
	v_dual_mov_b32 v1, v0 :: v_dual_mov_b32 v2, v0
	v_dual_mov_b32 v3, v0 :: v_dual_mov_b32 v4, v0
	;; [unrolled: 1-line block ×3, first 2 shown]
	s_wait_dscnt 0x0
	v_mov_b32_e32 v23, v7
	s_delay_alu instid0(VALU_DEP_3) | instskip(NEXT) | instid1(VALU_DEP_3)
	v_dual_mov_b32 v19, v3 :: v_dual_mov_b32 v18, v2
	v_dual_mov_b32 v21, v5 :: v_dual_mov_b32 v20, v4
	;; [unrolled: 1-line block ×3, first 2 shown]
	v_mov_b32_e32 v16, v0
	s_and_saveexec_b32 s60, s2
	s_cbranch_execz .LBB283_29
; %bb.22:                               ;   in Loop: Header=BB283_18 Depth=2
	s_and_not1_b32 vcc_lo, exec_lo, s58
	s_wait_alu 0xfffe
	s_cbranch_vccnz .LBB283_25
; %bb.23:                               ;   in Loop: Header=BB283_18 Depth=2
	v_dual_mov_b32 v1, v38 :: v_dual_mov_b32 v2, v39
	s_mov_b64 s[52:53], 0
.LBB283_24:                             ;   Parent Loop BB283_3 Depth=1
                                        ;     Parent Loop BB283_18 Depth=2
                                        ; =>    This Inner Loop Header: Depth=3
	flat_load_b64 v[3:4], v[1:2]
	s_cmp_eq_u32 s52, 3
	v_add_co_u32 v1, vcc_lo, v1, s38
	s_wait_alu 0xfffd
	v_add_co_ci_u32_e64 v2, null, s39, v2, vcc_lo
	s_cselect_b32 vcc_lo, -1, 0
	s_cmp_eq_u32 s52, 2
	s_cselect_b32 s6, -1, 0
	s_cmp_eq_u32 s52, 1
	s_cselect_b32 s7, -1, 0
	s_cmp_eq_u32 s52, 0
	s_add_nc_u64 s[52:53], s[52:53], 1
	s_cselect_b32 s8, -1, 0
	s_cmp_eq_u32 s56, s52
	s_wait_loadcnt_dscnt 0x0
	s_wait_alu 0xfffe
	v_dual_cndmask_b32 v15, v15, v4 :: v_dual_cndmask_b32 v14, v14, v3
	v_cndmask_b32_e64 v13, v13, v4, s6
	v_cndmask_b32_e64 v12, v12, v3, s6
	;; [unrolled: 1-line block ×6, first 2 shown]
	s_cbranch_scc0 .LBB283_24
.LBB283_25:                             ;   in Loop: Header=BB283_18 Depth=2
	s_and_not1_b32 vcc_lo, exec_lo, s58
	s_wait_alu 0xfffe
	s_cbranch_vccnz .LBB283_28
; %bb.26:                               ;   in Loop: Header=BB283_18 Depth=2
	v_mov_b32_e32 v16, 0
	v_dual_mov_b32 v20, 0 :: v_dual_mov_b32 v17, 0
	v_dual_mov_b32 v18, 0 :: v_dual_mov_b32 v21, 0
	;; [unrolled: 1-line block ×3, first 2 shown]
	v_mov_b32_e32 v23, 0
	v_dual_mov_b32 v1, v46 :: v_dual_mov_b32 v2, v47
	s_mov_b64 s[8:9], 0
.LBB283_27:                             ;   Parent Loop BB283_3 Depth=1
                                        ;     Parent Loop BB283_18 Depth=2
                                        ; =>    This Inner Loop Header: Depth=3
	s_delay_alu instid0(VALU_DEP_1) | instskip(SKIP_1) | instid1(VALU_DEP_2)
	v_add_co_u32 v3, vcc_lo, v1, s46
	s_wait_alu 0xfffd
	v_add_co_ci_u32_e64 v4, null, s47, v2, vcc_lo
	v_add_co_u32 v5, vcc_lo, v1, s44
	s_wait_alu 0xfffd
	v_add_co_ci_u32_e64 v6, null, s45, v2, vcc_lo
	v_add_co_u32 v56, vcc_lo, v1, s40
	s_wait_alu 0xfffd
	v_add_co_ci_u32_e64 v57, null, s41, v2, vcc_lo
	s_clause 0x3
	flat_load_b64 v[58:59], v[1:2]
	flat_load_b64 v[3:4], v[3:4]
	flat_load_b64 v[5:6], v[5:6]
	flat_load_b64 v[56:57], v[56:57]
	s_wait_alu 0xfffe
	s_cmp_eq_u32 s8, 1
	s_cselect_b32 vcc_lo, -1, 0
	s_cmp_eq_u32 s8, 2
	s_wait_alu 0xfffe
	v_dual_cndmask_b32 v7, v9, v11 :: v_dual_cndmask_b32 v60, v8, v10
	s_cselect_b32 vcc_lo, -1, 0
	s_cmp_eq_u32 s8, 3
	s_add_nc_u64 s[8:9], s[8:9], 1
	s_wait_alu 0xfffe
	v_dual_cndmask_b32 v7, v7, v13 :: v_dual_cndmask_b32 v60, v60, v12
	s_cselect_b32 s6, -1, 0
	v_add_co_u32 v1, vcc_lo, v1, 8
	s_wait_alu 0xfffe
	s_delay_alu instid0(VALU_DEP_2)
	v_cndmask_b32_e64 v61, v7, v15, s6
	v_cndmask_b32_e64 v60, v60, v14, s6
	s_wait_alu 0xfffd
	v_add_co_ci_u32_e64 v2, null, 0, v2, vcc_lo
	s_cmp_lg_u32 s56, s8
	s_wait_loadcnt_dscnt 0x303
	v_fma_f64 v[16:17], v[60:61], v[58:59], v[16:17]
	s_wait_loadcnt_dscnt 0x202
	v_fma_f64 v[18:19], v[60:61], v[3:4], v[18:19]
	;; [unrolled: 2-line block ×4, first 2 shown]
	s_cbranch_scc1 .LBB283_27
	s_branch .LBB283_29
.LBB283_28:                             ;   in Loop: Header=BB283_18 Depth=2
	v_mov_b32_e32 v7, v0
	v_dual_mov_b32 v1, v0 :: v_dual_mov_b32 v2, v0
	v_dual_mov_b32 v3, v0 :: v_dual_mov_b32 v4, v0
	;; [unrolled: 1-line block ×3, first 2 shown]
	s_delay_alu instid0(VALU_DEP_4) | instskip(NEXT) | instid1(VALU_DEP_3)
	v_mov_b32_e32 v23, v7
	v_dual_mov_b32 v19, v3 :: v_dual_mov_b32 v18, v2
	s_delay_alu instid0(VALU_DEP_3) | instskip(NEXT) | instid1(VALU_DEP_4)
	v_dual_mov_b32 v21, v5 :: v_dual_mov_b32 v20, v4
	v_dual_mov_b32 v22, v6 :: v_dual_mov_b32 v17, v1
	v_mov_b32_e32 v16, v0
.LBB283_29:                             ;   in Loop: Header=BB283_18 Depth=2
	s_or_b32 exec_lo, exec_lo, s60
.LBB283_30:                             ;   in Loop: Header=BB283_18 Depth=2
	s_delay_alu instid0(SALU_CYCLE_1)
	s_or_b32 exec_lo, exec_lo, s11
	s_mov_b64 s[6:7], 0
	s_branch .LBB283_32
.LBB283_31:                             ;   in Loop: Header=BB283_32 Depth=3
	s_wait_alu 0xfffe
	s_or_b32 exec_lo, exec_lo, s8
	s_cmp_eq_u32 s6, 3
	s_cselect_b32 vcc_lo, -1, 0
	s_cmp_eq_u32 s6, 2
	s_wait_dscnt 0x0
	s_wait_alu 0xfffe
	s_delay_alu instid0(VALU_DEP_1)
	v_dual_cndmask_b32 v23, v23, v2 :: v_dual_cndmask_b32 v22, v22, v1
	s_cselect_b32 vcc_lo, -1, 0
	s_cmp_eq_u32 s6, 1
	s_wait_alu 0xfffe
	v_dual_cndmask_b32 v21, v21, v2 :: v_dual_cndmask_b32 v20, v20, v1
	s_cselect_b32 vcc_lo, -1, 0
	s_cmp_eq_u32 s6, 0
	s_wait_alu 0xfffe
	v_dual_cndmask_b32 v19, v19, v2 :: v_dual_cndmask_b32 v18, v18, v1
	s_cselect_b32 vcc_lo, -1, 0
	s_add_nc_u64 s[6:7], s[6:7], 1
	s_wait_alu 0xfffe
	v_dual_cndmask_b32 v17, v17, v2 :: v_dual_cndmask_b32 v16, v16, v1
	s_cmp_eq_u32 s6, 4
	s_cbranch_scc1 .LBB283_40
.LBB283_32:                             ;   Parent Loop BB283_3 Depth=1
                                        ;     Parent Loop BB283_18 Depth=2
                                        ; =>    This Inner Loop Header: Depth=3
	s_and_saveexec_b32 s8, s3
; %bb.33:                               ;   in Loop: Header=BB283_32 Depth=3
	v_mov_b32_e32 v1, v0
	ds_store_b64 v48, v[0:1]
; %bb.34:                               ;   in Loop: Header=BB283_32 Depth=3
	s_wait_alu 0xfffe
	s_or_b32 exec_lo, exec_lo, s8
	s_cmp_eq_u32 s6, 1
	s_wait_storecnt_dscnt 0x0
	s_cselect_b32 vcc_lo, -1, 0
	s_cmp_eq_u32 s6, 2
	s_wait_alu 0xfffe
	v_dual_cndmask_b32 v1, v17, v19 :: v_dual_cndmask_b32 v2, v16, v18
	s_cselect_b32 vcc_lo, -1, 0
	s_cmp_eq_u32 s6, 3
	s_barrier_signal -1
	s_wait_alu 0xfffe
	v_cndmask_b32_e32 v1, v1, v21, vcc_lo
	v_cndmask_b32_e32 v3, v2, v20, vcc_lo
	s_cselect_b32 vcc_lo, -1, 0
	s_barrier_wait -1
	global_inv scope:SCOPE_SE
	s_wait_alu 0xfffe
	v_dual_cndmask_b32 v2, v1, v23 :: v_dual_cndmask_b32 v1, v3, v22
	ds_bpermute_b32 v4, v51, v2
	ds_bpermute_b32 v3, v51, v1
	s_wait_dscnt 0x0
	v_add_f64_e32 v[1:2], v[1:2], v[3:4]
	ds_bpermute_b32 v3, v52, v1
	ds_bpermute_b32 v4, v52, v2
	s_wait_dscnt 0x0
	v_add_f64_e32 v[1:2], v[1:2], v[3:4]
	;; [unrolled: 4-line block ×4, first 2 shown]
	ds_bpermute_b32 v3, v55, v1
	ds_bpermute_b32 v4, v55, v2
	s_and_saveexec_b32 s8, s4
	s_cbranch_execz .LBB283_36
; %bb.35:                               ;   in Loop: Header=BB283_32 Depth=3
	s_wait_dscnt 0x0
	v_add_f64_e32 v[1:2], v[1:2], v[3:4]
	ds_store_b64 v49, v[1:2]
.LBB283_36:                             ;   in Loop: Header=BB283_32 Depth=3
	s_wait_alu 0xfffe
	s_or_b32 exec_lo, exec_lo, s8
	v_mov_b32_e32 v1, 0
	v_mov_b32_e32 v2, 0
	s_wait_loadcnt_dscnt 0x0
	s_barrier_signal -1
	s_barrier_wait -1
	global_inv scope:SCOPE_SE
	s_and_saveexec_b32 s8, s5
; %bb.37:                               ;   in Loop: Header=BB283_32 Depth=3
	ds_load_b64 v[1:2], v48
; %bb.38:                               ;   in Loop: Header=BB283_32 Depth=3
	s_wait_alu 0xfffe
	s_or_b32 exec_lo, exec_lo, s8
	s_and_saveexec_b32 s8, s3
	s_cbranch_execz .LBB283_31
; %bb.39:                               ;   in Loop: Header=BB283_32 Depth=3
	s_wait_dscnt 0x0
	ds_bpermute_b32 v3, v53, v1
	ds_bpermute_b32 v4, v53, v2
	s_wait_dscnt 0x0
	v_add_f64_e32 v[1:2], v[1:2], v[3:4]
	ds_bpermute_b32 v3, v54, v1
	ds_bpermute_b32 v4, v54, v2
	s_wait_dscnt 0x0
	v_add_f64_e32 v[1:2], v[1:2], v[3:4]
	;; [unrolled: 4-line block ×3, first 2 shown]
	s_branch .LBB283_31
.LBB283_40:                             ;   in Loop: Header=BB283_18 Depth=2
	s_and_saveexec_b32 s6, s0
	s_cbranch_execz .LBB283_17
; %bb.41:                               ;   in Loop: Header=BB283_18 Depth=2
	v_mul_f64_e32 v[1:2], s[14:15], v[16:17]
	v_mul_f64_e32 v[3:4], s[14:15], v[18:19]
	;; [unrolled: 1-line block ×4, first 2 shown]
	s_or_b32 s52, s24, 1
	s_mov_b32 s53, s25
	s_mul_u64 s[8:9], s[24:25], s[28:29]
	s_or_b32 s60, s24, 2
	s_mov_b32 s61, s25
	s_or_b32 s62, s24, 3
	s_mov_b32 s63, s25
	s_mul_u64 s[52:53], s[52:53], s[28:29]
	s_mul_u64 s[60:61], s[60:61], s[28:29]
	;; [unrolled: 1-line block ×3, first 2 shown]
	s_wait_alu 0xfffe
	s_lshl_b64 s[8:9], s[8:9], 3
	s_lshl_b64 s[52:53], s[52:53], 3
	s_wait_alu 0xfffe
	s_add_nc_u64 s[8:9], s[50:51], s[8:9]
	s_lshl_b64 s[60:61], s[60:61], 3
	s_lshl_b64 s[62:63], s[62:63], 3
	s_add_nc_u64 s[52:53], s[50:51], s[52:53]
	s_add_nc_u64 s[60:61], s[50:51], s[60:61]
	s_add_nc_u64 s[62:63], s[50:51], s[62:63]
	s_clause 0x3
	global_store_b64 v0, v[1:2], s[8:9]
	global_store_b64 v0, v[3:4], s[52:53]
	;; [unrolled: 1-line block ×4, first 2 shown]
	s_branch .LBB283_17
.LBB283_42:                             ;   in Loop: Header=BB283_3 Depth=1
	v_mov_b32_e32 v7, v0
	v_dual_mov_b32 v1, v0 :: v_dual_mov_b32 v2, v0
	v_dual_mov_b32 v3, v0 :: v_dual_mov_b32 v4, v0
	;; [unrolled: 1-line block ×3, first 2 shown]
	s_delay_alu instid0(VALU_DEP_4) | instskip(NEXT) | instid1(VALU_DEP_3)
	v_mov_b32_e32 v15, v7
	v_dual_mov_b32 v11, v3 :: v_dual_mov_b32 v10, v2
	s_delay_alu instid0(VALU_DEP_3) | instskip(NEXT) | instid1(VALU_DEP_4)
	v_dual_mov_b32 v13, v5 :: v_dual_mov_b32 v12, v4
	v_dual_mov_b32 v14, v6 :: v_dual_mov_b32 v9, v1
	v_mov_b32_e32 v8, v0
	s_mov_b32 s24, 0
.LBB283_43:                             ;   in Loop: Header=BB283_3 Depth=1
	s_wait_alu 0xfffe
	s_cmp_ge_i32 s24, s13
	s_cbranch_scc1 .LBB283_2
; %bb.44:                               ;   in Loop: Header=BB283_3 Depth=1
	v_cmp_gt_u32_e32 vcc_lo, 24, v50
	v_mad_co_u64_u32 v[2:3], null, s46, s24, v[34:35]
	s_wait_alu 0xfffd
	v_cndmask_b32_e64 v1, 0, 8, vcc_lo
	v_cmp_gt_u32_e32 vcc_lo, 28, v50
	s_delay_alu instid0(VALU_DEP_2) | instskip(SKIP_3) | instid1(VALU_DEP_2)
	v_add_lshl_u32 v38, v1, v50, 2
	s_wait_alu 0xfffd
	v_cndmask_b32_e64 v4, 0, 4, vcc_lo
	v_cmp_gt_u32_e32 vcc_lo, 30, v50
	v_add_lshl_u32 v39, v4, v50, 2
	s_wait_alu 0xfffd
	v_cndmask_b32_e64 v1, 0, 2, vcc_lo
	v_cmp_ne_u32_e32 vcc_lo, 31, v50
	s_delay_alu instid0(VALU_DEP_2)
	v_add_lshl_u32 v40, v1, v50, 2
	v_mov_b32_e32 v1, v3
	s_wait_alu 0xfffd
	v_add_co_ci_u32_e64 v5, null, 0, v50, vcc_lo
	v_add_co_u32 v4, vcc_lo, v36, v24
	s_wait_dscnt 0x0
	v_mad_co_u64_u32 v[20:21], null, s47, s24, v[1:2]
	s_delay_alu instid0(VALU_DEP_3)
	v_lshlrev_b32_e32 v41, 2, v5
	s_wait_alu 0xfffd
	v_add_co_ci_u32_e64 v5, null, v37, v25, vcc_lo
	v_add_co_u32 v6, vcc_lo, v36, v28
	s_wait_alu 0xfffd
	v_add_co_ci_u32_e64 v7, null, v37, v29, vcc_lo
	v_add_co_u32 v16, vcc_lo, v36, v30
	;; [unrolled: 3-line block ×3, first 2 shown]
	s_wait_alu 0xfffd
	v_add_co_ci_u32_e64 v19, null, v37, v33, vcc_lo
	v_mov_b32_e32 v3, v20
	s_branch .LBB283_46
.LBB283_45:                             ;   in Loop: Header=BB283_46 Depth=2
	s_wait_alu 0xfffe
	s_or_b32 exec_lo, exec_lo, s6
	v_add_co_u32 v2, vcc_lo, v2, s46
	s_wait_alu 0xfffd
	v_add_co_ci_u32_e64 v3, null, s47, v3, vcc_lo
	s_add_co_i32 s24, s24, 1
	s_wait_alu 0xfffe
	s_cmp_ge_i32 s24, s13
	s_cbranch_scc1 .LBB283_2
.LBB283_46:                             ;   Parent Loop BB283_3 Depth=1
                                        ; =>  This Loop Header: Depth=2
                                        ;       Child Loop BB283_59 Depth 3
                                        ;       Child Loop BB283_62 Depth 3
	s_wait_dscnt 0x0
	v_dual_mov_b32 v20, s25 :: v_dual_mov_b32 v21, s25
	s_and_saveexec_b32 s6, s1
	s_wait_alu 0xfffe
	s_xor_b32 s6, exec_lo, s6
	s_cbranch_execnz .LBB283_55
; %bb.47:                               ;   in Loop: Header=BB283_46 Depth=2
	s_wait_alu 0xfffe
	s_and_not1_saveexec_b32 s9, s6
	s_cbranch_execnz .LBB283_56
.LBB283_48:                             ;   in Loop: Header=BB283_46 Depth=2
	s_wait_alu 0xfffe
	s_or_b32 exec_lo, exec_lo, s9
	s_and_saveexec_b32 s6, s3
.LBB283_49:                             ;   in Loop: Header=BB283_46 Depth=2
	v_mov_b32_e32 v1, v0
	ds_store_b64 v48, v[0:1]
.LBB283_50:                             ;   in Loop: Header=BB283_46 Depth=2
	s_wait_alu 0xfffe
	s_or_b32 exec_lo, exec_lo, s6
	ds_bpermute_b32 v22, v51, v20
	ds_bpermute_b32 v23, v51, v21
	s_wait_storecnt 0x0
	s_wait_loadcnt_dscnt 0x0
	s_barrier_signal -1
	s_barrier_wait -1
	global_inv scope:SCOPE_SE
	v_add_f64_e32 v[20:21], v[20:21], v[22:23]
	ds_bpermute_b32 v22, v38, v20
	ds_bpermute_b32 v23, v38, v21
	s_wait_dscnt 0x0
	v_add_f64_e32 v[20:21], v[20:21], v[22:23]
	ds_bpermute_b32 v22, v39, v20
	ds_bpermute_b32 v23, v39, v21
	s_wait_dscnt 0x0
	;; [unrolled: 4-line block ×3, first 2 shown]
	v_add_f64_e32 v[20:21], v[20:21], v[22:23]
	ds_bpermute_b32 v22, v41, v20
	ds_bpermute_b32 v23, v41, v21
	s_and_saveexec_b32 s6, s4
	s_cbranch_execz .LBB283_52
; %bb.51:                               ;   in Loop: Header=BB283_46 Depth=2
	s_wait_dscnt 0x0
	v_add_f64_e32 v[20:21], v[20:21], v[22:23]
	ds_store_b64 v49, v[20:21]
.LBB283_52:                             ;   in Loop: Header=BB283_46 Depth=2
	s_wait_alu 0xfffe
	s_or_b32 exec_lo, exec_lo, s6
	v_mov_b32_e32 v20, 0
	v_mov_b32_e32 v21, 0
	s_wait_loadcnt_dscnt 0x0
	s_barrier_signal -1
	s_barrier_wait -1
	global_inv scope:SCOPE_SE
	s_and_saveexec_b32 s6, s5
	s_cbranch_execnz .LBB283_64
; %bb.53:                               ;   in Loop: Header=BB283_46 Depth=2
	s_wait_alu 0xfffe
	s_or_b32 exec_lo, exec_lo, s6
	s_and_saveexec_b32 s6, s3
	s_cbranch_execnz .LBB283_65
.LBB283_54:                             ;   in Loop: Header=BB283_46 Depth=2
	s_wait_alu 0xfffe
	s_or_b32 exec_lo, exec_lo, s6
	s_and_saveexec_b32 s6, s0
	s_cbranch_execz .LBB283_45
	s_branch .LBB283_66
.LBB283_55:                             ;   in Loop: Header=BB283_46 Depth=2
	s_mul_u64 s[8:9], s[24:25], s[26:27]
	s_wait_alu 0xfffe
	s_lshl_b64 s[8:9], s[8:9], 3
	s_wait_alu 0xfffe
	v_add_co_u32 v12, vcc_lo, v34, s8
	s_wait_alu 0xfffd
	v_add_co_ci_u32_e64 v13, null, s9, v35, vcc_lo
	flat_load_b128 v[20:23], v[12:13]
	s_clause 0x1
	flat_load_b64 v[8:9], v[4:5]
	flat_load_b64 v[10:11], v[6:7]
	flat_load_b128 v[42:45], v[12:13] offset:16
	s_clause 0x1
	flat_load_b64 v[12:13], v[16:17]
	flat_load_b64 v[14:15], v[18:19]
	s_wait_loadcnt_dscnt 0x404
	v_fma_f64 v[20:21], v[8:9], v[20:21], 0
	s_wait_loadcnt_dscnt 0x303
	s_delay_alu instid0(VALU_DEP_1) | instskip(SKIP_1) | instid1(VALU_DEP_1)
	v_fma_f64 v[20:21], v[10:11], v[22:23], v[20:21]
	s_wait_loadcnt_dscnt 0x101
	v_fma_f64 v[20:21], v[12:13], v[42:43], v[20:21]
	s_wait_loadcnt_dscnt 0x0
	s_delay_alu instid0(VALU_DEP_1)
	v_fma_f64 v[20:21], v[14:15], v[44:45], v[20:21]
	s_and_not1_saveexec_b32 s9, s6
	s_cbranch_execz .LBB283_48
.LBB283_56:                             ;   in Loop: Header=BB283_46 Depth=2
	s_and_saveexec_b32 s11, s2
	s_cbranch_execz .LBB283_63
; %bb.57:                               ;   in Loop: Header=BB283_46 Depth=2
	s_and_not1_b32 vcc_lo, exec_lo, s58
	s_wait_alu 0xfffe
	s_cbranch_vccnz .LBB283_60
; %bb.58:                               ;   in Loop: Header=BB283_46 Depth=2
	v_dual_mov_b32 v23, v5 :: v_dual_mov_b32 v22, v4
	s_mov_b64 s[52:53], 0
.LBB283_59:                             ;   Parent Loop BB283_3 Depth=1
                                        ;     Parent Loop BB283_46 Depth=2
                                        ; =>    This Inner Loop Header: Depth=3
	flat_load_b64 v[36:37], v[22:23]
	s_cmp_eq_u32 s52, 3
	v_add_co_u32 v22, vcc_lo, v22, s38
	s_wait_alu 0xfffd
	v_add_co_ci_u32_e64 v23, null, s39, v23, vcc_lo
	s_cselect_b32 vcc_lo, -1, 0
	s_cmp_eq_u32 s52, 2
	s_cselect_b32 s6, -1, 0
	s_cmp_eq_u32 s52, 1
	s_cselect_b32 s7, -1, 0
	s_cmp_eq_u32 s52, 0
	s_add_nc_u64 s[52:53], s[52:53], 1
	s_cselect_b32 s8, -1, 0
	s_cmp_eq_u32 s56, s52
	s_wait_loadcnt_dscnt 0x0
	s_wait_alu 0xfffe
	v_dual_cndmask_b32 v15, v15, v37 :: v_dual_cndmask_b32 v14, v14, v36
	v_cndmask_b32_e64 v13, v13, v37, s6
	v_cndmask_b32_e64 v12, v12, v36, s6
	;; [unrolled: 1-line block ×6, first 2 shown]
	s_cbranch_scc0 .LBB283_59
.LBB283_60:                             ;   in Loop: Header=BB283_46 Depth=2
	s_and_not1_b32 vcc_lo, exec_lo, s58
	s_wait_alu 0xfffe
	s_cbranch_vccnz .LBB283_63
; %bb.61:                               ;   in Loop: Header=BB283_46 Depth=2
	v_dual_mov_b32 v23, v3 :: v_dual_mov_b32 v22, v2
	s_mov_b64 s[6:7], 0
.LBB283_62:                             ;   Parent Loop BB283_3 Depth=1
                                        ;     Parent Loop BB283_46 Depth=2
                                        ; =>    This Inner Loop Header: Depth=3
	flat_load_b64 v[36:37], v[22:23]
	s_wait_alu 0xfffe
	s_cmp_eq_u32 s6, 1
	s_cselect_b32 vcc_lo, -1, 0
	s_cmp_eq_u32 s6, 2
	s_wait_alu 0xfffe
	v_dual_cndmask_b32 v1, v9, v11 :: v_dual_cndmask_b32 v42, v8, v10
	s_cselect_b32 vcc_lo, -1, 0
	s_cmp_eq_u32 s6, 3
	s_add_nc_u64 s[6:7], s[6:7], 1
	s_wait_alu 0xfffe
	v_dual_cndmask_b32 v1, v1, v13 :: v_dual_cndmask_b32 v42, v42, v12
	s_cselect_b32 vcc_lo, -1, 0
	s_cmp_lg_u32 s56, s6
	s_wait_alu 0xfffe
	s_delay_alu instid0(VALU_DEP_1)
	v_dual_cndmask_b32 v43, v1, v15 :: v_dual_cndmask_b32 v42, v42, v14
	v_add_co_u32 v22, vcc_lo, v22, 8
	s_wait_alu 0xfffd
	v_add_co_ci_u32_e64 v23, null, 0, v23, vcc_lo
	s_wait_loadcnt_dscnt 0x0
	v_fma_f64 v[20:21], v[42:43], v[36:37], v[20:21]
	s_cbranch_scc1 .LBB283_62
.LBB283_63:                             ;   in Loop: Header=BB283_46 Depth=2
	s_or_b32 exec_lo, exec_lo, s11
	s_wait_alu 0xfffe
	s_or_b32 exec_lo, exec_lo, s9
	s_and_saveexec_b32 s6, s3
	s_cbranch_execnz .LBB283_49
	s_branch .LBB283_50
.LBB283_64:                             ;   in Loop: Header=BB283_46 Depth=2
	ds_load_b64 v[20:21], v48
	s_wait_alu 0xfffe
	s_or_b32 exec_lo, exec_lo, s6
	s_and_saveexec_b32 s6, s3
	s_cbranch_execz .LBB283_54
.LBB283_65:                             ;   in Loop: Header=BB283_46 Depth=2
	s_wait_dscnt 0x0
	ds_bpermute_b32 v22, v39, v20
	ds_bpermute_b32 v23, v39, v21
	s_wait_dscnt 0x0
	v_add_f64_e32 v[20:21], v[20:21], v[22:23]
	ds_bpermute_b32 v22, v40, v20
	ds_bpermute_b32 v23, v40, v21
	s_wait_dscnt 0x0
	v_add_f64_e32 v[20:21], v[20:21], v[22:23]
	;; [unrolled: 4-line block ×3, first 2 shown]
	s_wait_alu 0xfffe
	s_or_b32 exec_lo, exec_lo, s6
	s_and_saveexec_b32 s6, s0
	s_cbranch_execz .LBB283_45
.LBB283_66:                             ;   in Loop: Header=BB283_46 Depth=2
	s_wait_dscnt 0x0
	s_delay_alu instid0(VALU_DEP_1)
	v_mul_f64_e32 v[20:21], s[14:15], v[20:21]
	s_mul_u64 s[8:9], s[24:25], s[28:29]
	s_wait_alu 0xfffe
	s_lshl_b64 s[8:9], s[8:9], 3
	s_wait_alu 0xfffe
	s_add_nc_u64 s[8:9], s[50:51], s[8:9]
	global_store_b64 v0, v[20:21], s[8:9]
	s_branch .LBB283_45
.LBB283_67:
	s_endpgm
	.section	.rodata,"a",@progbits
	.p2align	6, 0x0
	.amdhsa_kernel _ZL23rocblas_gemvt_sn_kernelILb1ELi256ELi4ElPKdddEviiT4_lPKT3_lilS5_lilPT5_i
		.amdhsa_group_segment_fixed_size 256
		.amdhsa_private_segment_fixed_size 0
		.amdhsa_kernarg_size 360
		.amdhsa_user_sgpr_count 2
		.amdhsa_user_sgpr_dispatch_ptr 0
		.amdhsa_user_sgpr_queue_ptr 0
		.amdhsa_user_sgpr_kernarg_segment_ptr 1
		.amdhsa_user_sgpr_dispatch_id 0
		.amdhsa_user_sgpr_private_segment_size 0
		.amdhsa_wavefront_size32 1
		.amdhsa_uses_dynamic_stack 0
		.amdhsa_enable_private_segment 0
		.amdhsa_system_sgpr_workgroup_id_x 1
		.amdhsa_system_sgpr_workgroup_id_y 0
		.amdhsa_system_sgpr_workgroup_id_z 1
		.amdhsa_system_sgpr_workgroup_info 0
		.amdhsa_system_vgpr_workitem_id 0
		.amdhsa_next_free_vgpr 76
		.amdhsa_next_free_sgpr 64
		.amdhsa_reserve_vcc 1
		.amdhsa_float_round_mode_32 0
		.amdhsa_float_round_mode_16_64 0
		.amdhsa_float_denorm_mode_32 3
		.amdhsa_float_denorm_mode_16_64 3
		.amdhsa_fp16_overflow 0
		.amdhsa_workgroup_processor_mode 1
		.amdhsa_memory_ordered 1
		.amdhsa_forward_progress 1
		.amdhsa_inst_pref_size 34
		.amdhsa_round_robin_scheduling 0
		.amdhsa_exception_fp_ieee_invalid_op 0
		.amdhsa_exception_fp_denorm_src 0
		.amdhsa_exception_fp_ieee_div_zero 0
		.amdhsa_exception_fp_ieee_overflow 0
		.amdhsa_exception_fp_ieee_underflow 0
		.amdhsa_exception_fp_ieee_inexact 0
		.amdhsa_exception_int_div_zero 0
	.end_amdhsa_kernel
	.section	.text._ZL23rocblas_gemvt_sn_kernelILb1ELi256ELi4ElPKdddEviiT4_lPKT3_lilS5_lilPT5_i,"axG",@progbits,_ZL23rocblas_gemvt_sn_kernelILb1ELi256ELi4ElPKdddEviiT4_lPKT3_lilS5_lilPT5_i,comdat
.Lfunc_end283:
	.size	_ZL23rocblas_gemvt_sn_kernelILb1ELi256ELi4ElPKdddEviiT4_lPKT3_lilS5_lilPT5_i, .Lfunc_end283-_ZL23rocblas_gemvt_sn_kernelILb1ELi256ELi4ElPKdddEviiT4_lPKT3_lilS5_lilPT5_i
                                        ; -- End function
	.set _ZL23rocblas_gemvt_sn_kernelILb1ELi256ELi4ElPKdddEviiT4_lPKT3_lilS5_lilPT5_i.num_vgpr, 76
	.set _ZL23rocblas_gemvt_sn_kernelILb1ELi256ELi4ElPKdddEviiT4_lPKT3_lilS5_lilPT5_i.num_agpr, 0
	.set _ZL23rocblas_gemvt_sn_kernelILb1ELi256ELi4ElPKdddEviiT4_lPKT3_lilS5_lilPT5_i.numbered_sgpr, 64
	.set _ZL23rocblas_gemvt_sn_kernelILb1ELi256ELi4ElPKdddEviiT4_lPKT3_lilS5_lilPT5_i.num_named_barrier, 0
	.set _ZL23rocblas_gemvt_sn_kernelILb1ELi256ELi4ElPKdddEviiT4_lPKT3_lilS5_lilPT5_i.private_seg_size, 0
	.set _ZL23rocblas_gemvt_sn_kernelILb1ELi256ELi4ElPKdddEviiT4_lPKT3_lilS5_lilPT5_i.uses_vcc, 1
	.set _ZL23rocblas_gemvt_sn_kernelILb1ELi256ELi4ElPKdddEviiT4_lPKT3_lilS5_lilPT5_i.uses_flat_scratch, 1
	.set _ZL23rocblas_gemvt_sn_kernelILb1ELi256ELi4ElPKdddEviiT4_lPKT3_lilS5_lilPT5_i.has_dyn_sized_stack, 0
	.set _ZL23rocblas_gemvt_sn_kernelILb1ELi256ELi4ElPKdddEviiT4_lPKT3_lilS5_lilPT5_i.has_recursion, 0
	.set _ZL23rocblas_gemvt_sn_kernelILb1ELi256ELi4ElPKdddEviiT4_lPKT3_lilS5_lilPT5_i.has_indirect_call, 0
	.section	.AMDGPU.csdata,"",@progbits
; Kernel info:
; codeLenInByte = 4260
; TotalNumSgprs: 66
; NumVgprs: 76
; ScratchSize: 0
; MemoryBound: 1
; FloatMode: 240
; IeeeMode: 1
; LDSByteSize: 256 bytes/workgroup (compile time only)
; SGPRBlocks: 0
; VGPRBlocks: 9
; NumSGPRsForWavesPerEU: 66
; NumVGPRsForWavesPerEU: 76
; Occupancy: 16
; WaveLimiterHint : 0
; COMPUTE_PGM_RSRC2:SCRATCH_EN: 0
; COMPUTE_PGM_RSRC2:USER_SGPR: 2
; COMPUTE_PGM_RSRC2:TRAP_HANDLER: 0
; COMPUTE_PGM_RSRC2:TGID_X_EN: 1
; COMPUTE_PGM_RSRC2:TGID_Y_EN: 0
; COMPUTE_PGM_RSRC2:TGID_Z_EN: 1
; COMPUTE_PGM_RSRC2:TIDIG_COMP_CNT: 0
	.section	.text._ZL36rocblas_gemvt_double_buffered_kernelILb1ELi128ELi4ELi16EPKdS1_KPdEviiT4_lPKT3_lilS7_lilPT5_lili,"axG",@progbits,_ZL36rocblas_gemvt_double_buffered_kernelILb1ELi128ELi4ELi16EPKdS1_KPdEviiT4_lPKT3_lilS7_lilPT5_lili,comdat
	.globl	_ZL36rocblas_gemvt_double_buffered_kernelILb1ELi128ELi4ELi16EPKdS1_KPdEviiT4_lPKT3_lilS7_lilPT5_lili ; -- Begin function _ZL36rocblas_gemvt_double_buffered_kernelILb1ELi128ELi4ELi16EPKdS1_KPdEviiT4_lPKT3_lilS7_lilPT5_lili
	.p2align	8
	.type	_ZL36rocblas_gemvt_double_buffered_kernelILb1ELi128ELi4ELi16EPKdS1_KPdEviiT4_lPKT3_lilS7_lilPT5_lili,@function
_ZL36rocblas_gemvt_double_buffered_kernelILb1ELi128ELi4ELi16EPKdS1_KPdEviiT4_lPKT3_lilS7_lilPT5_lili: ; @_ZL36rocblas_gemvt_double_buffered_kernelILb1ELi128ELi4ELi16EPKdS1_KPdEviiT4_lPKT3_lilS7_lilPT5_lili
; %bb.0:
	s_load_b32 s33, s[0:1], 0x78
	s_lshr_b32 s2, ttmp7, 16
	s_wait_kmcnt 0x0
	s_cmp_ge_u32 s2, s33
	s_cbranch_scc1 .LBB284_16
; %bb.1:
	s_clause 0x3
	s_load_b32 s3, s[0:1], 0x0
	s_load_b32 s34, s[0:1], 0x28
	;; [unrolled: 1-line block ×4, first 2 shown]
	v_dual_mov_b32 v4, 0 :: v_dual_and_b32 v7, 0x3ff, v0
	v_bfe_u32 v2, v0, 10, 10
	v_and_b32_e32 v3, 63, v0
	s_clause 0x1
	s_load_b128 s[12:15], s[0:1], 0x38
	s_load_b128 s[16:19], s[0:1], 0x58
	v_add_nc_u32_e32 v11, 1, v7
	s_load_b256 s[4:11], s[0:1], 0x8
	v_lshl_add_u32 v5, v2, 7, v7
	s_add_nc_u64 s[22:23], s[0:1], 0x80
	v_lshlrev_b32_e32 v149, 3, v3
	v_add_nc_u32_e32 v12, 4, v7
	s_lshl_b32 s30, ttmp9, 7
	v_lshrrev_b32_e32 v6, 2, v5
	v_lshlrev_b32_e32 v5, 1, v5
	s_ashr_i32 s31, s30, 31
	s_and_b32 s42, ttmp7, 0xffff
	s_wait_kmcnt 0x0
	s_ashr_i32 s0, s3, 31
	v_and_b32_e32 v8, 0x7ff0, v6
	s_lshr_b32 s0, s0, 25
	v_lshl_or_b32 v17, v6, 9, 0x1e00
	s_add_co_i32 s3, s3, s0
	v_cmp_eq_u32_e64 s0, 0, v2
	v_lshlrev_b32_e32 v2, 9, v7
	v_and_b32_e32 v6, 63, v11
	v_mad_co_i64_i32 v[9:10], null, s34, v8, v[3:4]
	v_lshlrev_b32_e32 v16, 9, v8
	v_add_nc_u32_e32 v8, 2, v7
	v_or_b32_e32 v13, v2, v149
	v_lshl_or_b32 v6, v6, 3, v2
	v_add_nc_u32_e32 v11, 3, v7
	v_xor_b32_e32 v3, 32, v3
	v_and_b32_e32 v5, 0x3ff80, v5
	s_clause 0x1
	scratch_store_b32 off, v13, off
	scratch_store_b32 off, v6, off offset:4
	v_and_b32_e32 v6, 63, v8
	v_and_b32_e32 v8, 63, v11
	;; [unrolled: 1-line block ×3, first 2 shown]
	v_add_nc_u32_e32 v12, 5, v7
	v_add_nc_u32_e32 v13, 6, v7
	v_lshl_or_b32 v6, v6, 3, v2
	v_lshl_or_b32 v182, v3, 3, v2
	s_ashr_i32 s35, s34, 31
	s_ashr_i32 s29, s28, 31
	s_wait_alu 0xfffe
	s_mul_u64 s[40:41], s[34:35], s[30:31]
	scratch_store_b32 off, v6, off offset:8 ; 4-byte Folded Spill
	v_lshl_or_b32 v6, v8, 3, v2
	v_and_b32_e32 v8, 63, v13
	v_add_nc_u32_e32 v13, 9, v7
	s_mul_u64 s[38:39], s[28:29], s[30:31]
	s_lshl_b64 s[30:31], s[30:31], 3
	scratch_store_b32 off, v6, off offset:12 ; 4-byte Folded Spill
	v_lshl_or_b32 v6, v11, 3, v2
	v_add_nc_u32_e32 v11, 7, v7
	v_add_co_u32 v15, s1, v5, s30
	s_delay_alu instid0(VALU_DEP_1)
	v_add_co_ci_u32_e64 v5, null, 0, s31, s1
	scratch_store_b32 off, v6, off offset:16 ; 4-byte Folded Spill
	v_and_b32_e32 v6, 63, v12
	v_add_nc_u32_e32 v12, 8, v7
	s_lshl_b64 s[10:11], s[10:11], 3
	v_mul_lo_u32 v18, v5, s34
	v_or_b32_e32 v14, 24, v15
	v_lshl_or_b32 v6, v6, 3, v2
	v_cvt_f64_i32_e32 v[0:1], s42
	v_lshlrev_b64_e32 v[9:10], 3, v[9:10]
	v_add_nc_u32_e32 v244, v149, v16
	v_mul_lo_u32 v19, v14, s35
	scratch_store_b32 off, v6, off offset:20 ; 4-byte Folded Spill
	v_lshl_or_b32 v6, v8, 3, v2
	v_and_b32_e32 v8, 63, v12
	v_add_nc_u32_e32 v12, 10, v7
	v_add_nc_u32_e32 v245, v149, v17
	s_ashr_i32 s21, s20, 31
	scratch_store_b32 off, v6, off offset:24 ; 4-byte Folded Spill
	v_and_b32_e32 v6, 63, v11
	v_and_b32_e32 v11, 63, v13
	v_add_nc_u32_e32 v13, 11, v7
	s_ashr_i32 s24, s3, 7
	s_mov_b32 s3, 0
	v_lshl_or_b32 v6, v6, 3, v2
	s_mul_u64 s[36:37], s[34:35], 15
	s_lshl_b64 s[26:27], s[20:21], 10
	s_mov_b32 s25, s3
	s_lshl_b64 s[14:15], s[14:15], 3
	scratch_store_b32 off, v6, off offset:28 ; 4-byte Folded Spill
	v_lshl_or_b32 v6, v8, 3, v2
	v_and_b32_e32 v8, 63, v13
	v_add_nc_u32_e32 v13, 14, v7
	s_lshl_b64 s[36:37], s[36:37], 3
	s_lshl_b64 s[18:19], s[18:19], 3
	scratch_store_b32 off, v6, off offset:32 ; 4-byte Folded Spill
	v_lshl_or_b32 v6, v11, 3, v2
	v_add_nc_u32_e32 v11, 12, v7
	s_lshl_b64 s[38:39], s[38:39], 3
	scratch_store_b32 off, v6, off offset:36 ; 4-byte Folded Spill
	v_and_b32_e32 v6, 63, v12
	v_add_nc_u32_e32 v12, 13, v7
	s_delay_alu instid0(VALU_DEP_2)
	v_lshl_or_b32 v6, v6, 3, v2
	scratch_store_b32 off, v6, off offset:40 ; 4-byte Folded Spill
	v_lshl_or_b32 v6, v8, 3, v2
	v_and_b32_e32 v8, 63, v12
	v_add_nc_u32_e32 v12, 15, v7
	scratch_store_b32 off, v6, off offset:44 ; 4-byte Folded Spill
	v_and_b32_e32 v6, 63, v11
	v_and_b32_e32 v11, 63, v13
	v_add_nc_u32_e32 v13, 16, v7
	s_delay_alu instid0(VALU_DEP_3)
	v_lshl_or_b32 v6, v6, 3, v2
	scratch_store_b32 off, v6, off offset:48 ; 4-byte Folded Spill
	v_lshl_or_b32 v6, v8, 3, v2
	v_and_b32_e32 v8, 63, v13
	v_add_nc_u32_e32 v13, 19, v7
	scratch_store_b32 off, v6, off offset:52 ; 4-byte Folded Spill
	v_lshl_or_b32 v6, v11, 3, v2
	v_add_nc_u32_e32 v11, 17, v7
	scratch_store_b32 off, v6, off offset:56 ; 4-byte Folded Spill
	v_and_b32_e32 v6, 63, v12
	v_add_nc_u32_e32 v12, 18, v7
	s_delay_alu instid0(VALU_DEP_2)
	v_lshl_or_b32 v6, v6, 3, v2
	scratch_store_b32 off, v6, off offset:60 ; 4-byte Folded Spill
	v_lshl_or_b32 v6, v8, 3, v2
	v_and_b32_e32 v8, 63, v12
	v_add_nc_u32_e32 v12, 20, v7
	scratch_store_b32 off, v6, off offset:64 ; 4-byte Folded Spill
	v_and_b32_e32 v6, 63, v11
	v_and_b32_e32 v11, 63, v13
	v_add_nc_u32_e32 v13, 21, v7
	s_delay_alu instid0(VALU_DEP_3)
	v_lshl_or_b32 v6, v6, 3, v2
	scratch_store_b32 off, v6, off offset:68 ; 4-byte Folded Spill
	v_lshl_or_b32 v6, v8, 3, v2
	v_and_b32_e32 v8, 63, v13
	v_add_nc_u32_e32 v13, 24, v7
	scratch_store_b32 off, v6, off offset:72 ; 4-byte Folded Spill
	v_lshl_or_b32 v6, v11, 3, v2
	v_add_nc_u32_e32 v11, 22, v7
	scratch_store_b32 off, v6, off offset:76 ; 4-byte Folded Spill
	v_and_b32_e32 v6, 63, v12
	v_add_nc_u32_e32 v12, 23, v7
	s_delay_alu instid0(VALU_DEP_2)
	v_lshl_or_b32 v6, v6, 3, v2
	scratch_store_b32 off, v6, off offset:80 ; 4-byte Folded Spill
	v_lshl_or_b32 v6, v8, 3, v2
	v_and_b32_e32 v8, 63, v12
	v_add_nc_u32_e32 v12, 25, v7
	scratch_store_b32 off, v6, off offset:84 ; 4-byte Folded Spill
	v_and_b32_e32 v6, 63, v11
	v_and_b32_e32 v11, 63, v13
	v_add_nc_u32_e32 v13, 26, v7
	s_delay_alu instid0(VALU_DEP_3) | instskip(NEXT) | instid1(VALU_DEP_3)
	v_lshl_or_b32 v6, v6, 3, v2
	v_lshl_or_b32 v174, v11, 3, v2
	v_add_nc_u32_e32 v11, 27, v7
	scratch_store_b32 off, v6, off offset:88 ; 4-byte Folded Spill
	v_lshl_or_b32 v6, v8, 3, v2
	v_and_b32_e32 v8, 63, v13
	v_add_nc_u32_e32 v13, 29, v7
	scratch_store_b32 off, v6, off offset:92 ; 4-byte Folded Spill
	v_and_b32_e32 v6, 63, v12
	v_add_nc_u32_e32 v12, 28, v7
	v_lshl_or_b32 v176, v8, 3, v2
	s_delay_alu instid0(VALU_DEP_3) | instskip(SKIP_1) | instid1(VALU_DEP_4)
	v_lshl_or_b32 v175, v6, 3, v2
	v_and_b32_e32 v6, 63, v11
	v_and_b32_e32 v8, 63, v12
	;; [unrolled: 1-line block ×3, first 2 shown]
	v_add_nc_u32_e32 v12, 30, v7
	v_add_nc_u32_e32 v13, 31, v7
	v_lshl_or_b32 v177, v6, 3, v2
	v_lshl_or_b32 v178, v8, 3, v2
	;; [unrolled: 1-line block ×3, first 2 shown]
	v_and_b32_e32 v6, 63, v12
	v_and_b32_e32 v8, 63, v13
	v_add_nc_u32_e32 v11, 33, v7
	v_add_nc_u32_e32 v12, 34, v7
	s_delay_alu instid0(VALU_DEP_4) | instskip(NEXT) | instid1(VALU_DEP_4)
	v_lshl_or_b32 v180, v6, 3, v2
	v_lshl_or_b32 v181, v8, 3, v2
	s_delay_alu instid0(VALU_DEP_4) | instskip(NEXT) | instid1(VALU_DEP_4)
	v_and_b32_e32 v6, 63, v11
	v_and_b32_e32 v3, 63, v12
	v_add_nc_u32_e32 v8, 35, v7
	v_add_nc_u32_e32 v11, 36, v7
	;; [unrolled: 1-line block ×3, first 2 shown]
	v_lshl_or_b32 v183, v6, 3, v2
	v_add_nc_u32_e32 v6, 37, v7
	v_lshl_or_b32 v184, v3, 3, v2
	v_and_b32_e32 v3, 63, v8
	v_and_b32_e32 v8, 63, v11
	v_add_nc_u32_e32 v11, 38, v7
	v_and_b32_e32 v6, 63, v6
	s_delay_alu instid0(VALU_DEP_4) | instskip(NEXT) | instid1(VALU_DEP_4)
	v_lshl_or_b32 v185, v3, 3, v2
	v_lshl_or_b32 v186, v8, 3, v2
	s_delay_alu instid0(VALU_DEP_4) | instskip(NEXT) | instid1(VALU_DEP_4)
	v_and_b32_e32 v3, 63, v11
	v_lshl_or_b32 v187, v6, 3, v2
	v_and_b32_e32 v6, 63, v12
	v_add_nc_u32_e32 v8, 40, v7
	v_add_nc_u32_e32 v11, 41, v7
	v_lshl_or_b32 v188, v3, 3, v2
	v_add_nc_u32_e32 v3, 42, v7
	v_lshl_or_b32 v189, v6, 3, v2
	v_and_b32_e32 v6, 63, v8
	v_and_b32_e32 v8, 63, v11
	v_add_nc_u32_e32 v11, 43, v7
	v_and_b32_e32 v3, 63, v3
	v_add_nc_u32_e32 v12, 44, v7
	v_lshl_or_b32 v190, v6, 3, v2
	v_lshl_or_b32 v191, v8, 3, v2
	v_and_b32_e32 v6, 63, v11
	v_lshl_or_b32 v192, v3, 3, v2
	v_and_b32_e32 v3, 63, v12
	v_add_nc_u32_e32 v8, 45, v7
	v_add_nc_u32_e32 v11, 46, v7
	v_lshl_or_b32 v193, v6, 3, v2
	v_add_nc_u32_e32 v6, 47, v7
	v_lshl_or_b32 v194, v3, 3, v2
	v_and_b32_e32 v3, 63, v8
	v_and_b32_e32 v8, 63, v11
	v_add_nc_u32_e32 v11, 48, v7
	v_and_b32_e32 v6, 63, v6
	v_add_nc_u32_e32 v12, 49, v7
	v_lshl_or_b32 v195, v3, 3, v2
	v_lshl_or_b32 v196, v8, 3, v2
	;; [unrolled: 15-line block ×4, first 2 shown]
	v_and_b32_e32 v3, 63, v11
	v_lshl_or_b32 v207, v6, 3, v2
	v_and_b32_e32 v6, 63, v12
	v_add_nc_u32_e32 v8, 60, v7
	v_add_nc_u32_e32 v11, 61, v7
	v_lshl_or_b32 v208, v3, 3, v2
	v_add_nc_u32_e32 v3, 62, v7
	v_lshl_or_b32 v209, v6, 3, v2
	v_and_b32_e32 v6, 63, v8
	v_and_b32_e32 v8, 63, v11
	v_add_nc_u32_e32 v11, -1, v7
	v_and_b32_e32 v3, 63, v3
	s_delay_alu instid0(VALU_DEP_4) | instskip(NEXT) | instid1(VALU_DEP_4)
	v_lshl_or_b32 v210, v6, 3, v2
	v_lshl_or_b32 v211, v8, 3, v2
	v_mul_lo_u32 v8, v15, s35
	s_delay_alu instid0(VALU_DEP_4) | instskip(SKIP_3) | instid1(VALU_DEP_3)
	v_lshl_or_b32 v212, v3, 3, v2
	v_and_b32_e32 v3, 63, v11
	v_mad_co_u64_u32 v[5:6], null, v15, s34, s[10:11]
	v_mad_co_i64_i32 v[11:12], null, s28, v7, 0
	v_lshl_or_b32 v213, v3, 3, v2
	v_or_b32_e32 v2, 8, v15
	v_or_b32_e32 v7, 16, v15
	s_lshl_b64 s[28:29], s[34:35], 3
	v_add3_u32 v6, v18, v6, v8
	s_wait_alu 0xfffe
	s_sub_nc_u64 s[30:31], 0, s[28:29]
	v_mul_lo_u32 v13, v2, s35
	v_mad_co_u64_u32 v[2:3], null, v2, s34, s[10:11]
	v_lshlrev_b64_e32 v[11:12], 3, v[11:12]
	s_delay_alu instid0(VALU_DEP_2) | instskip(SKIP_3) | instid1(VALU_DEP_1)
	v_add3_u32 v3, v18, v3, v13
	v_mul_lo_u32 v13, v7, s35
	v_mad_co_u64_u32 v[7:8], null, v7, s34, s[10:11]
	v_add_co_u32 v214, vcc_lo, 0x400, v2
	v_add_co_ci_u32_e64 v215, null, 0, v3, vcc_lo
	v_mad_co_u64_u32 v[2:3], null, v14, s34, s[10:11]
	s_delay_alu instid0(VALU_DEP_4)
	v_add3_u32 v8, v18, v8, v13
	v_or_b32_e32 v13, 32, v15
	v_add_co_u32 v216, vcc_lo, 0x400, v7
	v_or_b32_e32 v14, 40, v15
	s_wait_alu 0xfffd
	v_add_co_ci_u32_e64 v217, null, 0, v8, vcc_lo
	v_add3_u32 v3, v18, v3, v19
	v_mul_lo_u32 v19, v13, s35
	v_mad_co_u64_u32 v[7:8], null, v13, s34, s[10:11]
	v_mul_lo_u32 v20, v14, s35
	v_mad_co_u64_u32 v[13:14], null, v14, s34, s[10:11]
	v_add_co_u32 v218, vcc_lo, 0x400, v2
	s_wait_alu 0xfffd
	v_add_co_ci_u32_e64 v219, null, 0, v3, vcc_lo
	v_add3_u32 v2, v18, v8, v19
	v_or_b32_e32 v3, 48, v15
	v_add_co_u32 v220, vcc_lo, 0x400, v7
	v_add3_u32 v7, v18, v14, v20
	s_wait_alu 0xfffd
	v_add_co_ci_u32_e64 v221, null, 0, v2, vcc_lo
	v_mul_lo_u32 v14, v3, s35
	v_mad_co_u64_u32 v[2:3], null, v3, s34, s[10:11]
	v_or_b32_e32 v8, 56, v15
	v_add_co_u32 v222, vcc_lo, 0x400, v13
	s_wait_alu 0xfffd
	v_add_co_ci_u32_e64 v223, null, 0, v7, vcc_lo
	s_delay_alu instid0(VALU_DEP_3)
	v_mul_lo_u32 v13, v8, s35
	v_add3_u32 v3, v18, v3, v14
	v_or_b32_e32 v14, 64, v15
	v_mad_co_u64_u32 v[7:8], null, v8, s34, s[10:11]
	v_add_co_u32 v224, vcc_lo, 0x400, v2
	s_wait_alu 0xfffd
	v_add_co_ci_u32_e64 v225, null, 0, v3, vcc_lo
	v_or_b32_e32 v19, 0x48, v15
	v_mul_lo_u32 v20, v14, s35
	v_mad_co_u64_u32 v[2:3], null, v14, s34, s[10:11]
	v_add3_u32 v8, v18, v8, v13
	s_delay_alu instid0(VALU_DEP_4)
	v_mul_lo_u32 v21, v19, s35
	v_mad_co_u64_u32 v[13:14], null, v19, s34, s[10:11]
	v_add_co_u32 v226, vcc_lo, 0x400, v7
	v_add3_u32 v3, v18, v3, v20
	v_or_b32_e32 v7, 0x50, v15
	s_wait_alu 0xfffd
	v_add_co_ci_u32_e64 v227, null, 0, v8, vcc_lo
	v_add_co_u32 v228, vcc_lo, 0x400, v2
	s_wait_alu 0xfffd
	v_add_co_ci_u32_e64 v229, null, 0, v3, vcc_lo
	v_add3_u32 v8, v18, v14, v21
	v_mul_lo_u32 v14, v7, s35
	v_mad_co_u64_u32 v[2:3], null, v7, s34, s[10:11]
	v_or_b32_e32 v7, 0x58, v15
	v_add_co_u32 v230, vcc_lo, 0x400, v13
	s_wait_alu 0xfffd
	v_add_co_ci_u32_e64 v231, null, 0, v8, vcc_lo
	s_delay_alu instid0(VALU_DEP_3)
	v_mul_lo_u32 v13, v7, s35
	v_mad_co_u64_u32 v[7:8], null, v7, s34, s[10:11]
	v_add3_u32 v3, v18, v3, v14
	v_add_co_u32 v232, vcc_lo, 0x400, v2
	v_or_b32_e32 v14, 0x60, v15
	v_or_b32_e32 v19, 0x68, v15
	s_wait_alu 0xfffd
	v_add_co_ci_u32_e64 v233, null, 0, v3, vcc_lo
	v_add3_u32 v8, v18, v8, v13
	v_add_co_u32 v234, vcc_lo, 0x400, v7
	v_mul_lo_u32 v20, v14, s35
	v_mad_co_u64_u32 v[2:3], null, v14, s34, s[10:11]
	s_wait_alu 0xfffd
	v_add_co_ci_u32_e64 v235, null, 0, v8, vcc_lo
	v_max_num_f64_e32 v[7:8], v[0:1], v[0:1]
	v_mul_lo_u32 v21, v19, s35
	v_mad_co_u64_u32 v[13:14], null, v19, s34, s[10:11]
	v_or_b32_e32 v19, 0x70, v15
	v_or_b32_e32 v15, 0x78, v15
	v_add3_u32 v3, v18, v3, v20
	v_add_co_u32 v236, vcc_lo, 0x400, v2
	s_delay_alu instid0(VALU_DEP_4)
	v_mad_co_u64_u32 v[0:1], null, v19, s34, s[10:11]
	v_add3_u32 v20, v18, v14, v21
	v_mul_lo_u32 v21, v19, s35
	v_mul_lo_u32 v19, v15, s35
	v_mad_co_u64_u32 v[14:15], null, v15, s34, s[10:11]
	s_wait_alu 0xfffd
	v_add_co_ci_u32_e64 v237, null, 0, v3, vcc_lo
	v_add_co_u32 v238, vcc_lo, 0x400, v13
	v_add3_u32 v1, v18, v1, v21
	s_wait_alu 0xfffd
	v_add_co_ci_u32_e64 v239, null, 0, v20, vcc_lo
	v_add3_u32 v2, v18, v15, v19
	v_add_co_u32 v240, vcc_lo, 0x400, v0
	s_wait_alu 0xfffd
	v_add_co_ci_u32_e64 v241, null, 0, v1, vcc_lo
	v_add_co_u32 v242, vcc_lo, 0x400, v14
	s_wait_alu 0xfffd
	v_add_co_ci_u32_e64 v243, null, 0, v2, vcc_lo
	s_lshl_b64 s[34:35], s[40:41], 3
	s_branch .LBB284_4
.LBB284_2:                              ;   in Loop: Header=BB284_4 Depth=1
	s_wait_alu 0xfffe
	s_or_b32 exec_lo, exec_lo, s1
.LBB284_3:                              ;   in Loop: Header=BB284_4 Depth=1
	s_add_co_i32 s2, s2, 0x10000
	s_delay_alu instid0(SALU_CYCLE_1)
	s_cmp_lt_u32 s2, s33
	s_cbranch_scc0 .LBB284_16
.LBB284_4:                              ; =>This Loop Header: Depth=1
                                        ;     Child Loop BB284_8 Depth 2
                                        ;     Child Loop BB284_15 Depth 2
	s_mul_u64 s[40:41], s[6:7], s[2:3]
	s_wait_alu 0xfffe
	s_lshl_b64 s[40:41], s[40:41], 3
	s_wait_alu 0xfffe
	s_add_nc_u64 s[40:41], s[4:5], s[40:41]
	global_load_b64 v[0:1], v4, s[40:41]
	s_wait_loadcnt 0x0
	v_cmp_eq_f64_e32 vcc_lo, 0, v[0:1]
	s_cbranch_vccnz .LBB284_3
; %bb.5:                                ;   in Loop: Header=BB284_4 Depth=1
	s_load_b32 s1, s[22:23], 0x4
	s_wait_kmcnt 0x0
	s_cvt_f32_u32 s40, s1
	s_sub_co_i32 s41, 0, s1
	s_wait_alu 0xfffe
	s_delay_alu instid0(SALU_CYCLE_1) | instskip(NEXT) | instid1(TRANS32_DEP_1)
	v_rcp_iflag_f32_e32 v2, s40
	v_readfirstlane_b32 s40, v2
	s_mul_f32 s40, s40, 0x4f7ffffe
	s_wait_alu 0xfffe
	s_delay_alu instid0(SALU_CYCLE_2) | instskip(SKIP_1) | instid1(SALU_CYCLE_2)
	s_cvt_u32_f32 s40, s40
	s_wait_alu 0xfffe
	s_mul_i32 s41, s41, s40
	s_wait_alu 0xfffe
	s_mul_hi_u32 s41, s40, s41
	s_wait_alu 0xfffe
	s_add_co_i32 s40, s40, s41
	s_mov_b32 s41, s3
	s_wait_alu 0xfffe
	s_mul_u64 s[40:41], s[24:25], s[40:41]
	s_wait_alu 0xfffe
	s_mul_i32 s40, s41, s1
	s_add_co_i32 s43, s41, 1
	s_wait_alu 0xfffe
	s_sub_co_i32 s40, s24, s40
	s_wait_alu 0xfffe
	s_sub_co_i32 s44, s40, s1
	s_cmp_ge_u32 s40, s1
	s_cselect_b32 s41, s43, s41
	s_wait_alu 0xfffe
	s_cselect_b32 s40, s44, s40
	s_add_co_i32 s43, s41, 1
	s_wait_alu 0xfffe
	s_cmp_ge_u32 s40, s1
	s_cselect_b32 s43, s43, s41
	s_wait_alu 0xfffe
	s_mul_i32 s1, s43, s1
	s_wait_alu 0xfffe
	s_sub_co_i32 s44, s24, s1
	s_wait_alu 0xfffe
	s_cmp_lt_u32 s42, s44
	s_cselect_b32 s1, -1, 0
	s_wait_alu 0xfffe
	s_cmp_lg_u32 s1, 0
	s_add_co_ci_u32 s1, s43, 0
	s_wait_alu 0xfffe
	s_cmp_eq_u32 s1, 0
	s_cbranch_scc1 .LBB284_3
; %bb.6:                                ;   in Loop: Header=BB284_4 Depth=1
	s_lshl_b64 s[40:41], s[2:3], 3
	s_cmp_lt_i32 s1, 1
	s_wait_alu 0xfffe
	s_add_nc_u64 s[46:47], s[16:17], s[40:41]
	global_load_b64 v[2:3], v4, s[46:47]
	s_cbranch_scc1 .LBB284_12
; %bb.7:                                ;   in Loop: Header=BB284_4 Depth=1
	s_add_nc_u64 s[46:47], s[8:9], s[40:41]
	v_cvt_f64_u32_e32 v[13:14], s44
	global_load_b64 v[81:82], v4, s[46:47]
	s_mul_i32 s43, s43, s42
	s_add_nc_u64 s[40:41], s[12:13], s[40:41]
	s_wait_alu 0xfffe
	v_cvt_f64_u32_e32 v[15:16], s43
	global_load_b64 v[83:84], v4, s[40:41]
	v_or_b32_e32 v47, 0x200, v149
	v_mov_b32_e32 v51, 0
	v_mov_b32_e32 v67, 0
	;; [unrolled: 1-line block ×6, first 2 shown]
	v_dual_mov_b32 v73, 0 :: v_dual_mov_b32 v52, 0
	v_dual_mov_b32 v53, 0 :: v_dual_mov_b32 v68, 0
	;; [unrolled: 1-line block ×8, first 2 shown]
	v_mov_b32_e32 v70, 0
	v_mov_b32_e32 v60, 0
	;; [unrolled: 1-line block ×5, first 2 shown]
	v_dual_mov_b32 v72, 0 :: v_dual_mov_b32 v55, 0
	v_mov_b32_e32 v56, 0
	v_min_num_f64_e32 v[13:14], v[7:8], v[13:14]
	s_delay_alu instid0(VALU_DEP_1) | instskip(NEXT) | instid1(VALU_DEP_1)
	v_add_f64_e32 v[13:14], v[13:14], v[15:16]
	v_cvt_i32_f64_e32 v13, v[13:14]
	s_delay_alu instid0(VALU_DEP_1)
	v_readfirstlane_b32 s40, v13
	s_lshl_b32 s40, s40, 7
	s_wait_alu 0xfffe
	s_ashr_i32 s41, s40, 31
	s_wait_alu 0xfffe
	s_lshl_b64 s[40:41], s[40:41], 3
	s_wait_alu 0xfffe
	v_or_b32_e32 v47, s40, v47
	v_or_b32_e32 v49, s40, v149
	s_mul_i32 s43, s20, s41
	s_delay_alu instid0(VALU_DEP_2) | instskip(SKIP_1) | instid1(VALU_DEP_3)
	v_mul_lo_u32 v85, s21, v47
	v_mad_co_u64_u32 v[47:48], null, s20, v47, 0
	v_mul_lo_u32 v86, s21, v49
	v_mad_co_u64_u32 v[49:50], null, s20, v49, 0
	s_wait_alu 0xfffe
	s_delay_alu instid0(VALU_DEP_3) | instskip(NEXT) | instid1(VALU_DEP_2)
	v_add3_u32 v48, v48, s43, v85
	v_add3_u32 v50, v50, s43, v86
	s_wait_loadcnt 0x1
	v_add_co_u32 v13, vcc_lo, v81, s10
	s_wait_alu 0xfffd
	v_add_co_ci_u32_e64 v14, null, s11, v82, vcc_lo
	s_delay_alu instid0(VALU_DEP_2) | instskip(SKIP_1) | instid1(VALU_DEP_2)
	v_add_co_u32 v13, vcc_lo, v13, s34
	s_wait_alu 0xfffd
	v_add_co_ci_u32_e64 v14, null, s35, v14, vcc_lo
	s_delay_alu instid0(VALU_DEP_2) | instskip(SKIP_1) | instid1(VALU_DEP_2)
	;; [unrolled: 4-line block ×7, first 2 shown]
	v_add_co_u32 v21, vcc_lo, v19, s30
	s_wait_alu 0xfffd
	v_add_co_ci_u32_e64 v22, null, s31, v20, vcc_lo
	s_clause 0x2
	flat_load_b64 v[13:14], v[13:14]
	flat_load_b64 v[15:16], v[15:16]
	;; [unrolled: 1-line block ×3, first 2 shown]
	v_add_co_u32 v23, vcc_lo, v21, s30
	s_wait_alu 0xfffd
	v_add_co_ci_u32_e64 v24, null, s31, v22, vcc_lo
	s_delay_alu instid0(VALU_DEP_2) | instskip(SKIP_1) | instid1(VALU_DEP_2)
	v_add_co_u32 v25, vcc_lo, v23, s30
	s_wait_alu 0xfffd
	v_add_co_ci_u32_e64 v26, null, s31, v24, vcc_lo
	s_delay_alu instid0(VALU_DEP_2) | instskip(SKIP_1) | instid1(VALU_DEP_2)
	v_add_co_u32 v27, vcc_lo, v25, s30
	s_wait_alu 0xfffd
	v_add_co_ci_u32_e64 v28, null, s31, v26, vcc_lo
	s_clause 0x2
	flat_load_b64 v[21:22], v[21:22]
	flat_load_b64 v[23:24], v[23:24]
	;; [unrolled: 1-line block ×3, first 2 shown]
	v_add_co_u32 v29, vcc_lo, v27, s30
	s_wait_alu 0xfffd
	v_add_co_ci_u32_e64 v30, null, s31, v28, vcc_lo
	flat_load_b64 v[27:28], v[27:28]
	v_add_co_u32 v31, vcc_lo, v29, s30
	s_wait_alu 0xfffd
	v_add_co_ci_u32_e64 v32, null, s31, v30, vcc_lo
	flat_load_b64 v[29:30], v[29:30]
	;; [unrolled: 4-line block ×4, first 2 shown]
	v_add_co_u32 v37, vcc_lo, v35, s30
	s_wait_alu 0xfffd
	v_add_co_ci_u32_e64 v38, null, s31, v36, vcc_lo
	s_delay_alu instid0(VALU_DEP_2) | instskip(SKIP_1) | instid1(VALU_DEP_2)
	v_add_co_u32 v39, vcc_lo, v37, s30
	s_wait_alu 0xfffd
	v_add_co_ci_u32_e64 v40, null, s31, v38, vcc_lo
	s_delay_alu instid0(VALU_DEP_2) | instskip(SKIP_1) | instid1(VALU_DEP_2)
	;; [unrolled: 4-line block ×3, first 2 shown]
	v_add_co_u32 v43, vcc_lo, v41, s30
	s_wait_alu 0xfffd
	v_add_co_ci_u32_e64 v44, null, s31, v42, vcc_lo
	flat_load_b64 v[35:36], v[35:36]
	flat_load_b64 v[37:38], v[37:38]
	;; [unrolled: 1-line block ×6, first 2 shown]
	s_wait_loadcnt 0x10
	v_add_co_u32 v246, vcc_lo, v83, s14
	s_wait_alu 0xfffd
	v_add_co_ci_u32_e64 v247, null, s15, v84, vcc_lo
	v_add_co_u32 v83, vcc_lo, v81, v5
	s_wait_alu 0xfffd
	v_add_co_ci_u32_e64 v84, null, v82, v6, vcc_lo
	;; [unrolled: 3-line block ×31, first 2 shown]
	v_add_co_u32 v170, vcc_lo, v111, s40
	v_mov_b32_e32 v17, 0
	s_wait_alu 0xfffd
	v_add_co_ci_u32_e64 v171, null, s41, v112, vcc_lo
	v_add_co_u32 v172, vcc_lo, v81, s40
	v_mov_b32_e32 v18, 0
	s_wait_alu 0xfffd
	v_add_co_ci_u32_e64 v173, null, s41, v82, vcc_lo
	s_add_co_i32 s40, s1, -1
	s_mov_b32 s41, 0
	s_wait_loadcnt_dscnt 0xf0f
	v_dual_mov_b32 v82, v14 :: v_dual_mov_b32 v81, v13
	s_wait_loadcnt_dscnt 0xe0e
	v_dual_mov_b32 v110, v16 :: v_dual_mov_b32 v109, v15
	;; [unrolled: 2-line block ×16, first 2 shown]
.LBB284_8:                              ;   Parent Loop BB284_4 Depth=1
                                        ; =>  This Inner Loop Header: Depth=2
	v_add_co_u32 v147, vcc_lo, v248, v149
	s_wait_alu 0xfffd
	v_add_co_ci_u32_e64 v148, null, 0, v249, vcc_lo
	s_wait_alu 0xfffe
	s_cmp_lg_u32 s40, s41
	v_add_co_u32 v113, vcc_lo, 0x200, v147
	s_wait_alu 0xfffd
	v_add_co_ci_u32_e64 v114, null, 0, v148, vcc_lo
	s_delay_alu instid0(VALU_DEP_2) | instskip(SKIP_1) | instid1(VALU_DEP_2)
	v_add_co_u32 v137, vcc_lo, v113, s28
	s_wait_alu 0xfffd
	v_add_co_ci_u32_e64 v138, null, s29, v114, vcc_lo
	s_delay_alu instid0(VALU_DEP_2) | instskip(SKIP_1) | instid1(VALU_DEP_2)
	;; [unrolled: 4-line block ×9, first 2 shown]
	v_add_co_u32 v123, vcc_lo, v121, s28
	s_wait_alu 0xfffd
	v_add_co_ci_u32_e64 v124, null, s29, v122, vcc_lo
	v_add_co_u32 v125, vcc_lo, v246, v49
	s_wait_alu 0xfffd
	v_add_co_ci_u32_e64 v126, null, v247, v50, vcc_lo
	;; [unrolled: 3-line block ×3, first 2 shown]
	flat_load_b64 v[145:146], v[125:126]
	v_add_co_u32 v129, vcc_lo, v127, s28
	s_wait_alu 0xfffd
	v_add_co_ci_u32_e64 v130, null, s29, v128, vcc_lo
	s_clause 0x3
	flat_load_b64 v[113:114], v[113:114]
	flat_load_b64 v[115:116], v[115:116]
	;; [unrolled: 1-line block ×4, first 2 shown]
	v_add_co_u32 v131, vcc_lo, v129, s28
	s_wait_alu 0xfffd
	v_add_co_ci_u32_e64 v132, null, s29, v130, vcc_lo
	flat_load_b64 v[121:122], v[121:122]
	v_add_co_u32 v133, vcc_lo, v131, s28
	s_wait_alu 0xfffd
	v_add_co_ci_u32_e64 v134, null, s29, v132, vcc_lo
	flat_load_b64 v[123:124], v[123:124]
	;; [unrolled: 4-line block ×4, first 2 shown]
	flat_load_b64 v[129:130], v[131:132]
	flat_load_b64 v[131:132], v[133:134]
	;; [unrolled: 1-line block ×4, first 2 shown]
	s_clause 0x3
	flat_load_b64 v[137:138], v[137:138]
	flat_load_b64 v[139:140], v[139:140]
	;; [unrolled: 1-line block ×3, first 2 shown]
	flat_load_b64 v[143:144], v[147:148] offset:512
	s_cbranch_scc0 .LBB284_10
; %bb.9:                                ;   in Loop: Header=BB284_8 Depth=2
	v_add_co_u32 v83, vcc_lo, v250, v149
	s_wait_alu 0xfffd
	v_add_co_ci_u32_e64 v84, null, 0, v251, vcc_lo
	v_add_co_u32 v85, vcc_lo, v252, v149
	s_wait_alu 0xfffd
	v_add_co_ci_u32_e64 v86, null, 0, v253, vcc_lo
	;; [unrolled: 3-line block ×15, first 2 shown]
	flat_load_b64 v[81:82], v[147:148] offset:1024
	flat_load_b64 v[83:84], v[83:84]
	flat_load_b64 v[85:86], v[85:86]
	;; [unrolled: 1-line block ×15, first 2 shown]
.LBB284_10:                             ;   in Loop: Header=BB284_8 Depth=2
	s_wait_loadcnt_dscnt 0x1010
	v_fma_f64 v[13:14], v[13:14], v[145:146], v[17:18]
	v_add_co_u32 v17, vcc_lo, v246, v47
	s_wait_alu 0xfffd
	v_add_co_ci_u32_e64 v18, null, v247, v48, vcc_lo
	v_fma_f64 v[45:46], v[45:46], v[145:146], v[71:72]
	v_fma_f64 v[43:44], v[43:44], v[145:146], v[55:56]
	;; [unrolled: 1-line block ×3, first 2 shown]
	flat_load_b64 v[71:72], v[17:18]
	v_fma_f64 v[39:40], v[39:40], v[145:146], v[53:54]
	v_fma_f64 v[37:38], v[37:38], v[145:146], v[67:68]
	;; [unrolled: 1-line block ×12, first 2 shown]
	v_add_co_u32 v248, vcc_lo, 0x400, v248
	s_wait_alu 0xfffd
	v_add_co_ci_u32_e64 v249, null, 0, v249, vcc_lo
	v_add_co_u32 v250, vcc_lo, 0x400, v250
	s_wait_alu 0xfffd
	v_add_co_ci_u32_e64 v251, null, 0, v251, vcc_lo
	;; [unrolled: 3-line block ×17, first 2 shown]
	s_add_co_i32 s41, s41, 1
	s_wait_alu 0xfffe
	s_cmp_ge_i32 s41, s1
	s_wait_loadcnt_dscnt 0x0
	v_fma_f64 v[17:18], v[143:144], v[71:72], v[13:14]
	v_fma_f64 v[55:56], v[137:138], v[71:72], v[43:44]
	;; [unrolled: 1-line block ×16, first 2 shown]
	s_cbranch_scc1 .LBB284_13
; %bb.11:                               ;   in Loop: Header=BB284_8 Depth=2
	v_dual_mov_b32 v13, v81 :: v_dual_mov_b32 v14, v82
	v_dual_mov_b32 v43, v83 :: v_dual_mov_b32 v44, v84
	;; [unrolled: 1-line block ×16, first 2 shown]
	s_branch .LBB284_8
.LBB284_12:                             ;   in Loop: Header=BB284_4 Depth=1
	v_mov_b32_e32 v71, 0
	v_mov_b32_e32 v77, 0
	;; [unrolled: 1-line block ×7, first 2 shown]
	v_dual_mov_b32 v55, 0 :: v_dual_mov_b32 v72, 0
	v_dual_mov_b32 v73, 0 :: v_dual_mov_b32 v78, 0
	;; [unrolled: 1-line block ×9, first 2 shown]
	v_mov_b32_e32 v76, 0
	v_mov_b32_e32 v66, 0
	;; [unrolled: 1-line block ×7, first 2 shown]
.LBB284_13:                             ;   in Loop: Header=BB284_4 Depth=1
	ds_store_2addr_stride64_b64 v244, v[17:18], v[55:56] offset1:1
	ds_store_2addr_stride64_b64 v244, v[51:52], v[53:54] offset0:2 offset1:3
	ds_store_2addr_stride64_b64 v244, v[67:68], v[69:70] offset0:4 offset1:5
	;; [unrolled: 1-line block ×6, first 2 shown]
	ds_store_b64 v244, v[73:74] offset:7168
	ds_store_b64 v245, v[71:72]
	s_wait_storecnt 0x0
	s_wait_loadcnt_dscnt 0x0
	s_barrier_signal -1
	s_barrier_wait -1
	global_inv scope:SCOPE_SE
	s_and_saveexec_b32 s1, s0
	s_cbranch_execz .LBB284_2
; %bb.14:                               ;   in Loop: Header=BB284_4 Depth=1
	s_clause 0x4
	scratch_load_b32 v13, off, off
	scratch_load_b32 v15, off, off offset:4
	scratch_load_b32 v17, off, off offset:8
	;; [unrolled: 1-line block ×4, first 2 shown]
	v_add_co_u32 v2, vcc_lo, v2, s18
	s_wait_alu 0xfffd
	v_add_co_ci_u32_e64 v3, null, s19, v3, vcc_lo
	s_mov_b32 s40, 0
	v_add_co_u32 v2, vcc_lo, v2, s38
	s_wait_alu 0xfffd
	v_add_co_ci_u32_e64 v3, null, s39, v3, vcc_lo
	s_wait_loadcnt 0x4
	ds_load_b64 v[13:14], v13
	s_wait_loadcnt 0x3
	ds_load_b64 v[15:16], v15
	;; [unrolled: 2-line block ×5, first 2 shown]
	s_wait_dscnt 0x4
	v_add_f64_e32 v[13:14], 0, v[13:14]
	s_wait_dscnt 0x3
	s_delay_alu instid0(VALU_DEP_1)
	v_add_f64_e32 v[13:14], v[13:14], v[15:16]
	scratch_load_b32 v15, off, off offset:16 ; 4-byte Folded Reload
	s_wait_dscnt 0x2
	v_add_f64_e32 v[13:14], v[13:14], v[17:18]
	scratch_load_b32 v17, off, off offset:20 ; 4-byte Folded Reload
	s_wait_dscnt 0x1
	v_add_f64_e32 v[13:14], v[13:14], v[19:20]
	scratch_load_b32 v19, off, off offset:24 ; 4-byte Folded Reload
	s_wait_loadcnt 0x2
	ds_load_b64 v[15:16], v15
	s_wait_loadcnt 0x1
	ds_load_b64 v[17:18], v17
	;; [unrolled: 2-line block ×3, first 2 shown]
	s_wait_dscnt 0x2
	v_add_f64_e32 v[13:14], v[13:14], v[15:16]
	scratch_load_b32 v15, off, off offset:32 ; 4-byte Folded Reload
	s_wait_dscnt 0x1
	v_add_f64_e32 v[13:14], v[13:14], v[17:18]
	scratch_load_b32 v17, off, off offset:36 ; 4-byte Folded Reload
	;; [unrolled: 3-line block ×3, first 2 shown]
	v_add_f64_e32 v[13:14], v[13:14], v[21:22]
	scratch_load_b32 v21, off, off offset:44 ; 4-byte Folded Reload
	s_wait_loadcnt 0x3
	ds_load_b64 v[15:16], v15
	s_wait_loadcnt 0x2
	ds_load_b64 v[17:18], v17
	s_wait_loadcnt 0x1
	ds_load_b64 v[19:20], v19
	s_wait_loadcnt 0x0
	ds_load_b64 v[21:22], v21
	s_wait_dscnt 0x3
	v_add_f64_e32 v[13:14], v[13:14], v[15:16]
	scratch_load_b32 v15, off, off offset:48 ; 4-byte Folded Reload
	s_wait_dscnt 0x2
	v_add_f64_e32 v[13:14], v[13:14], v[17:18]
	scratch_load_b32 v17, off, off offset:52 ; 4-byte Folded Reload
	s_wait_dscnt 0x1
	v_add_f64_e32 v[13:14], v[13:14], v[19:20]
	scratch_load_b32 v19, off, off offset:56 ; 4-byte Folded Reload
	s_wait_dscnt 0x0
	v_add_f64_e32 v[13:14], v[13:14], v[21:22]
	scratch_load_b32 v21, off, off offset:60 ; 4-byte Folded Reload
	s_wait_loadcnt 0x3
	ds_load_b64 v[15:16], v15
	s_wait_loadcnt 0x2
	ds_load_b64 v[17:18], v17
	s_wait_loadcnt 0x1
	ds_load_b64 v[19:20], v19
	s_wait_loadcnt 0x0
	ds_load_b64 v[21:22], v21
	s_wait_dscnt 0x3
	v_add_f64_e32 v[13:14], v[13:14], v[15:16]
	scratch_load_b32 v15, off, off offset:64 ; 4-byte Folded Reload
	s_wait_dscnt 0x2
	v_add_f64_e32 v[13:14], v[13:14], v[17:18]
	scratch_load_b32 v17, off, off offset:68 ; 4-byte Folded Reload
	s_wait_dscnt 0x1
	v_add_f64_e32 v[13:14], v[13:14], v[19:20]
	scratch_load_b32 v19, off, off offset:72 ; 4-byte Folded Reload
	s_wait_dscnt 0x0
	;; [unrolled: 20-line block ×3, first 2 shown]
	v_add_f64_e32 v[13:14], v[13:14], v[21:22]
	scratch_load_b32 v21, off, off offset:92 ; 4-byte Folded Reload
	s_wait_loadcnt 0x3
	ds_load_b64 v[15:16], v15
	s_wait_loadcnt 0x2
	ds_load_b64 v[17:18], v17
	;; [unrolled: 2-line block ×4, first 2 shown]
	s_wait_dscnt 0x3
	v_add_f64_e32 v[13:14], v[13:14], v[15:16]
	s_wait_dscnt 0x2
	s_delay_alu instid0(VALU_DEP_1) | instskip(SKIP_1) | instid1(VALU_DEP_1)
	v_add_f64_e32 v[13:14], v[13:14], v[17:18]
	s_wait_dscnt 0x1
	v_add_f64_e32 v[13:14], v[13:14], v[19:20]
	s_wait_dscnt 0x0
	s_delay_alu instid0(VALU_DEP_1)
	v_add_f64_e32 v[13:14], v[13:14], v[21:22]
	ds_load_b64 v[15:16], v174
	ds_load_b64 v[17:18], v175
	ds_load_b64 v[19:20], v176
	ds_load_b64 v[21:22], v177
	s_wait_dscnt 0x3
	v_add_f64_e32 v[13:14], v[13:14], v[15:16]
	s_wait_dscnt 0x2
	s_delay_alu instid0(VALU_DEP_1) | instskip(SKIP_1) | instid1(VALU_DEP_1)
	v_add_f64_e32 v[13:14], v[13:14], v[17:18]
	s_wait_dscnt 0x1
	v_add_f64_e32 v[13:14], v[13:14], v[19:20]
	s_wait_dscnt 0x0
	s_delay_alu instid0(VALU_DEP_1)
	v_add_f64_e32 v[13:14], v[13:14], v[21:22]
	ds_load_b64 v[15:16], v178
	ds_load_b64 v[17:18], v179
	ds_load_b64 v[19:20], v180
	ds_load_b64 v[21:22], v181
	;; [unrolled: 14-line block ×9, first 2 shown]
	s_wait_dscnt 0x3
	v_add_f64_e32 v[15:16], v[13:14], v[15:16]
	v_add_co_u32 v13, vcc_lo, v2, v11
	s_wait_alu 0xfffd
	v_add_co_ci_u32_e64 v14, null, v3, v12, vcc_lo
	flat_load_b64 v[2:3], v[13:14]
	s_wait_dscnt 0x3
	v_add_f64_e32 v[15:16], v[15:16], v[17:18]
	s_wait_dscnt 0x2
	s_delay_alu instid0(VALU_DEP_1) | instskip(SKIP_1) | instid1(VALU_DEP_1)
	v_add_f64_e32 v[15:16], v[15:16], v[19:20]
	s_wait_dscnt 0x1
	v_add_f64_e32 v[15:16], v[15:16], v[21:22]
	ds_load_b64 v[17:18], v210
	ds_load_b64 v[19:20], v211
	;; [unrolled: 1-line block ×4, first 2 shown]
	s_wait_dscnt 0x3
	v_add_f64_e32 v[15:16], v[15:16], v[17:18]
	s_wait_dscnt 0x2
	s_delay_alu instid0(VALU_DEP_1) | instskip(SKIP_1) | instid1(VALU_DEP_1)
	v_add_f64_e32 v[15:16], v[15:16], v[19:20]
	s_wait_dscnt 0x1
	v_add_f64_e32 v[15:16], v[15:16], v[21:22]
	s_wait_dscnt 0x0
	s_delay_alu instid0(VALU_DEP_1) | instskip(NEXT) | instid1(VALU_DEP_1)
	v_add_f64_e32 v[15:16], v[15:16], v[23:24]
	v_mul_f64_e32 v[15:16], v[0:1], v[15:16]
.LBB284_15:                             ;   Parent Loop BB284_4 Depth=1
                                        ; =>  This Inner Loop Header: Depth=2
	s_wait_loadcnt 0x0
	s_delay_alu instid0(VALU_DEP_1)
	v_add_f64_e32 v[0:1], v[2:3], v[15:16]
	flat_atomic_cmpswap_b64 v[0:1], v[13:14], v[0:3] th:TH_ATOMIC_RETURN scope:SCOPE_DEV
	s_wait_loadcnt_dscnt 0x0
	v_cmp_eq_u64_e32 vcc_lo, v[0:1], v[2:3]
	v_dual_mov_b32 v3, v1 :: v_dual_mov_b32 v2, v0
	s_wait_alu 0xfffe
	s_or_b32 s40, vcc_lo, s40
	s_wait_alu 0xfffe
	s_and_not1_b32 exec_lo, exec_lo, s40
	s_cbranch_execnz .LBB284_15
	s_branch .LBB284_2
.LBB284_16:
	s_nop 0
	s_sendmsg sendmsg(MSG_DEALLOC_VGPRS)
	s_endpgm
	.section	.rodata,"a",@progbits
	.p2align	6, 0x0
	.amdhsa_kernel _ZL36rocblas_gemvt_double_buffered_kernelILb1ELi128ELi4ELi16EPKdS1_KPdEviiT4_lPKT3_lilS7_lilPT5_lili
		.amdhsa_group_segment_fixed_size 65536
		.amdhsa_private_segment_fixed_size 100
		.amdhsa_kernarg_size 384
		.amdhsa_user_sgpr_count 2
		.amdhsa_user_sgpr_dispatch_ptr 0
		.amdhsa_user_sgpr_queue_ptr 0
		.amdhsa_user_sgpr_kernarg_segment_ptr 1
		.amdhsa_user_sgpr_dispatch_id 0
		.amdhsa_user_sgpr_private_segment_size 0
		.amdhsa_wavefront_size32 1
		.amdhsa_uses_dynamic_stack 0
		.amdhsa_enable_private_segment 1
		.amdhsa_system_sgpr_workgroup_id_x 1
		.amdhsa_system_sgpr_workgroup_id_y 1
		.amdhsa_system_sgpr_workgroup_id_z 1
		.amdhsa_system_sgpr_workgroup_info 0
		.amdhsa_system_vgpr_workitem_id 1
		.amdhsa_next_free_vgpr 256
		.amdhsa_next_free_sgpr 48
		.amdhsa_reserve_vcc 1
		.amdhsa_float_round_mode_32 0
		.amdhsa_float_round_mode_16_64 0
		.amdhsa_float_denorm_mode_32 3
		.amdhsa_float_denorm_mode_16_64 3
		.amdhsa_fp16_overflow 0
		.amdhsa_workgroup_processor_mode 1
		.amdhsa_memory_ordered 1
		.amdhsa_forward_progress 1
		.amdhsa_inst_pref_size 67
		.amdhsa_round_robin_scheduling 0
		.amdhsa_exception_fp_ieee_invalid_op 0
		.amdhsa_exception_fp_denorm_src 0
		.amdhsa_exception_fp_ieee_div_zero 0
		.amdhsa_exception_fp_ieee_overflow 0
		.amdhsa_exception_fp_ieee_underflow 0
		.amdhsa_exception_fp_ieee_inexact 0
		.amdhsa_exception_int_div_zero 0
	.end_amdhsa_kernel
	.section	.text._ZL36rocblas_gemvt_double_buffered_kernelILb1ELi128ELi4ELi16EPKdS1_KPdEviiT4_lPKT3_lilS7_lilPT5_lili,"axG",@progbits,_ZL36rocblas_gemvt_double_buffered_kernelILb1ELi128ELi4ELi16EPKdS1_KPdEviiT4_lPKT3_lilS7_lilPT5_lili,comdat
.Lfunc_end284:
	.size	_ZL36rocblas_gemvt_double_buffered_kernelILb1ELi128ELi4ELi16EPKdS1_KPdEviiT4_lPKT3_lilS7_lilPT5_lili, .Lfunc_end284-_ZL36rocblas_gemvt_double_buffered_kernelILb1ELi128ELi4ELi16EPKdS1_KPdEviiT4_lPKT3_lilS7_lilPT5_lili
                                        ; -- End function
	.set _ZL36rocblas_gemvt_double_buffered_kernelILb1ELi128ELi4ELi16EPKdS1_KPdEviiT4_lPKT3_lilS7_lilPT5_lili.num_vgpr, 256
	.set _ZL36rocblas_gemvt_double_buffered_kernelILb1ELi128ELi4ELi16EPKdS1_KPdEviiT4_lPKT3_lilS7_lilPT5_lili.num_agpr, 0
	.set _ZL36rocblas_gemvt_double_buffered_kernelILb1ELi128ELi4ELi16EPKdS1_KPdEviiT4_lPKT3_lilS7_lilPT5_lili.numbered_sgpr, 48
	.set _ZL36rocblas_gemvt_double_buffered_kernelILb1ELi128ELi4ELi16EPKdS1_KPdEviiT4_lPKT3_lilS7_lilPT5_lili.num_named_barrier, 0
	.set _ZL36rocblas_gemvt_double_buffered_kernelILb1ELi128ELi4ELi16EPKdS1_KPdEviiT4_lPKT3_lilS7_lilPT5_lili.private_seg_size, 100
	.set _ZL36rocblas_gemvt_double_buffered_kernelILb1ELi128ELi4ELi16EPKdS1_KPdEviiT4_lPKT3_lilS7_lilPT5_lili.uses_vcc, 1
	.set _ZL36rocblas_gemvt_double_buffered_kernelILb1ELi128ELi4ELi16EPKdS1_KPdEviiT4_lPKT3_lilS7_lilPT5_lili.uses_flat_scratch, 1
	.set _ZL36rocblas_gemvt_double_buffered_kernelILb1ELi128ELi4ELi16EPKdS1_KPdEviiT4_lPKT3_lilS7_lilPT5_lili.has_dyn_sized_stack, 0
	.set _ZL36rocblas_gemvt_double_buffered_kernelILb1ELi128ELi4ELi16EPKdS1_KPdEviiT4_lPKT3_lilS7_lilPT5_lili.has_recursion, 0
	.set _ZL36rocblas_gemvt_double_buffered_kernelILb1ELi128ELi4ELi16EPKdS1_KPdEviiT4_lPKT3_lilS7_lilPT5_lili.has_indirect_call, 0
	.section	.AMDGPU.csdata,"",@progbits
; Kernel info:
; codeLenInByte = 8536
; TotalNumSgprs: 50
; NumVgprs: 256
; ScratchSize: 100
; MemoryBound: 0
; FloatMode: 240
; IeeeMode: 1
; LDSByteSize: 65536 bytes/workgroup (compile time only)
; SGPRBlocks: 0
; VGPRBlocks: 31
; NumSGPRsForWavesPerEU: 50
; NumVGPRsForWavesPerEU: 256
; Occupancy: 5
; WaveLimiterHint : 1
; COMPUTE_PGM_RSRC2:SCRATCH_EN: 1
; COMPUTE_PGM_RSRC2:USER_SGPR: 2
; COMPUTE_PGM_RSRC2:TRAP_HANDLER: 0
; COMPUTE_PGM_RSRC2:TGID_X_EN: 1
; COMPUTE_PGM_RSRC2:TGID_Y_EN: 1
; COMPUTE_PGM_RSRC2:TGID_Z_EN: 1
; COMPUTE_PGM_RSRC2:TIDIG_COMP_CNT: 1
	.section	.text._ZL36rocblas_gemvt_double_buffered_kernelILb1ELi128ELi4ELi16EPKddKPdEviiT4_lPKT3_lilS7_lilPT5_lili,"axG",@progbits,_ZL36rocblas_gemvt_double_buffered_kernelILb1ELi128ELi4ELi16EPKddKPdEviiT4_lPKT3_lilS7_lilPT5_lili,comdat
	.globl	_ZL36rocblas_gemvt_double_buffered_kernelILb1ELi128ELi4ELi16EPKddKPdEviiT4_lPKT3_lilS7_lilPT5_lili ; -- Begin function _ZL36rocblas_gemvt_double_buffered_kernelILb1ELi128ELi4ELi16EPKddKPdEviiT4_lPKT3_lilS7_lilPT5_lili
	.p2align	8
	.type	_ZL36rocblas_gemvt_double_buffered_kernelILb1ELi128ELi4ELi16EPKddKPdEviiT4_lPKT3_lilS7_lilPT5_lili,@function
_ZL36rocblas_gemvt_double_buffered_kernelILb1ELi128ELi4ELi16EPKddKPdEviiT4_lPKT3_lilS7_lilPT5_lili: ; @_ZL36rocblas_gemvt_double_buffered_kernelILb1ELi128ELi4ELi16EPKddKPdEviiT4_lPKT3_lilS7_lilPT5_lili
; %bb.0:
	s_load_b32 s33, s[0:1], 0x78
	s_lshr_b32 s2, ttmp7, 16
	s_wait_kmcnt 0x0
	s_cmp_ge_u32 s2, s33
	s_cbranch_scc1 .LBB285_16
; %bb.1:
	s_clause 0x2
	s_load_b32 s3, s[0:1], 0x0
	s_load_b32 s34, s[0:1], 0x28
	s_load_b32 s16, s[0:1], 0x48
	v_dual_mov_b32 v4, 0 :: v_dual_and_b32 v7, 0x3ff, v0
	v_bfe_u32 v2, v0, 10, 10
	v_and_b32_e32 v3, 63, v0
	s_clause 0x3
	s_load_b32 s24, s[0:1], 0x68
	s_load_b128 s[4:7], s[0:1], 0x18
	s_load_b128 s[8:11], s[0:1], 0x38
	s_load_b128 s[12:15], s[0:1], 0x58
	v_add_nc_u32_e32 v11, 1, v7
	s_load_b64 s[18:19], s[0:1], 0x8
	v_lshl_add_u32 v5, v2, 7, v7
	s_add_nc_u64 s[20:21], s[0:1], 0x80
	v_lshlrev_b32_e32 v147, 3, v3
	v_add_nc_u32_e32 v12, 4, v7
	s_lshl_b32 s28, ttmp9, 7
	v_lshrrev_b32_e32 v6, 2, v5
	v_lshlrev_b32_e32 v5, 1, v5
	s_ashr_i32 s29, s28, 31
	s_and_b32 s42, ttmp7, 0xffff
	s_delay_alu instid0(VALU_DEP_2)
	v_and_b32_e32 v8, 0x7ff0, v6
	s_wait_kmcnt 0x0
	s_ashr_i32 s0, s3, 31
	v_lshl_or_b32 v19, v6, 9, 0x1e00
	s_lshr_b32 s0, s0, 25
	v_and_b32_e32 v6, 63, v11
	s_add_co_i32 s3, s3, s0
	v_cmp_eq_u32_e64 s0, 0, v2
	v_lshlrev_b32_e32 v2, 9, v7
	v_mad_co_i64_i32 v[9:10], null, s34, v8, v[3:4]
	v_lshlrev_b32_e32 v18, 9, v8
	v_add_nc_u32_e32 v8, 2, v7
	s_delay_alu instid0(VALU_DEP_4)
	v_or_b32_e32 v13, v2, v147
	v_lshl_or_b32 v6, v6, 3, v2
	v_add_nc_u32_e32 v11, 3, v7
	v_xor_b32_e32 v3, 32, v3
	v_and_b32_e32 v5, 0x3ff80, v5
	s_clause 0x1
	scratch_store_b32 off, v13, off
	scratch_store_b32 off, v6, off offset:4
	v_and_b32_e32 v6, 63, v8
	v_and_b32_e32 v8, 63, v11
	;; [unrolled: 1-line block ×3, first 2 shown]
	v_add_nc_u32_e32 v12, 5, v7
	v_add_nc_u32_e32 v13, 6, v7
	v_lshl_or_b32 v6, v6, 3, v2
	v_lshl_or_b32 v180, v3, 3, v2
	s_ashr_i32 s35, s34, 31
	s_ashr_i32 s25, s24, 31
	s_wait_alu 0xfffe
	s_mul_u64 s[40:41], s[34:35], s[28:29]
	scratch_store_b32 off, v6, off offset:8 ; 4-byte Folded Spill
	v_lshl_or_b32 v6, v8, 3, v2
	v_and_b32_e32 v8, 63, v13
	v_add_nc_u32_e32 v13, 9, v7
	s_mul_u64 s[38:39], s[24:25], s[28:29]
	s_lshl_b64 s[28:29], s[28:29], 3
	scratch_store_b32 off, v6, off offset:12 ; 4-byte Folded Spill
	v_lshl_or_b32 v6, v11, 3, v2
	v_add_nc_u32_e32 v11, 7, v7
	v_add_co_u32 v20, s1, v5, s28
	s_delay_alu instid0(VALU_DEP_1)
	v_add_co_ci_u32_e64 v5, null, 0, s29, s1
	scratch_store_b32 off, v6, off offset:16 ; 4-byte Folded Spill
	v_and_b32_e32 v6, 63, v12
	v_add_nc_u32_e32 v12, 8, v7
	s_lshl_b64 s[6:7], s[6:7], 3
	v_mul_lo_u32 v21, v5, s34
	v_or_b32_e32 v14, 24, v20
	v_lshl_or_b32 v6, v6, 3, v2
	v_cvt_f64_i32_e32 v[0:1], s42
	v_cmp_neq_f64_e64 s1, s[18:19], 0
	v_lshlrev_b64_e32 v[9:10], 3, v[9:10]
	v_mul_lo_u32 v16, v14, s35
	scratch_store_b32 off, v6, off offset:20 ; 4-byte Folded Spill
	v_lshl_or_b32 v6, v8, 3, v2
	v_and_b32_e32 v8, 63, v12
	v_add_nc_u32_e32 v12, 10, v7
	v_add_nc_u32_e32 v242, v147, v18
	v_add_nc_u32_e32 v243, v147, v19
	scratch_store_b32 off, v6, off offset:24 ; 4-byte Folded Spill
	v_and_b32_e32 v6, 63, v11
	v_and_b32_e32 v11, 63, v13
	v_add_nc_u32_e32 v13, 11, v7
	s_ashr_i32 s17, s16, 31
	s_mov_b32 s25, 0
	v_lshl_or_b32 v6, v6, 3, v2
	s_mul_u64 s[36:37], s[34:35], 15
	s_lshl_b64 s[28:29], s[34:35], 3
	s_ashr_i32 s22, s3, 7
	s_lshl_b64 s[26:27], s[16:17], 10
	scratch_store_b32 off, v6, off offset:28 ; 4-byte Folded Spill
	v_lshl_or_b32 v6, v8, 3, v2
	v_and_b32_e32 v8, 63, v13
	v_add_nc_u32_e32 v13, 14, v7
	s_mov_b32 s23, s25
	s_wait_alu 0xfffe
	s_sub_nc_u64 s[30:31], 0, s[28:29]
	scratch_store_b32 off, v6, off offset:32 ; 4-byte Folded Spill
	v_lshl_or_b32 v6, v11, 3, v2
	v_add_nc_u32_e32 v11, 12, v7
	s_lshl_b64 s[10:11], s[10:11], 3
	s_lshl_b64 s[36:37], s[36:37], 3
	;; [unrolled: 1-line block ×3, first 2 shown]
	scratch_store_b32 off, v6, off offset:36 ; 4-byte Folded Spill
	v_and_b32_e32 v6, 63, v12
	v_add_nc_u32_e32 v12, 13, v7
	s_lshl_b64 s[38:39], s[38:39], 3
	s_delay_alu instid0(VALU_DEP_2)
	v_lshl_or_b32 v6, v6, 3, v2
	scratch_store_b32 off, v6, off offset:40 ; 4-byte Folded Spill
	v_lshl_or_b32 v6, v8, 3, v2
	v_and_b32_e32 v8, 63, v12
	v_add_nc_u32_e32 v12, 15, v7
	scratch_store_b32 off, v6, off offset:44 ; 4-byte Folded Spill
	v_and_b32_e32 v6, 63, v11
	v_and_b32_e32 v11, 63, v13
	v_add_nc_u32_e32 v13, 16, v7
	s_delay_alu instid0(VALU_DEP_3)
	v_lshl_or_b32 v6, v6, 3, v2
	scratch_store_b32 off, v6, off offset:48 ; 4-byte Folded Spill
	v_lshl_or_b32 v6, v8, 3, v2
	v_and_b32_e32 v8, 63, v13
	v_add_nc_u32_e32 v13, 19, v7
	scratch_store_b32 off, v6, off offset:52 ; 4-byte Folded Spill
	v_lshl_or_b32 v6, v11, 3, v2
	v_add_nc_u32_e32 v11, 17, v7
	scratch_store_b32 off, v6, off offset:56 ; 4-byte Folded Spill
	v_and_b32_e32 v6, 63, v12
	v_add_nc_u32_e32 v12, 18, v7
	s_delay_alu instid0(VALU_DEP_2)
	v_lshl_or_b32 v6, v6, 3, v2
	scratch_store_b32 off, v6, off offset:60 ; 4-byte Folded Spill
	v_lshl_or_b32 v6, v8, 3, v2
	v_and_b32_e32 v8, 63, v12
	v_add_nc_u32_e32 v12, 20, v7
	scratch_store_b32 off, v6, off offset:64 ; 4-byte Folded Spill
	v_and_b32_e32 v6, 63, v11
	v_and_b32_e32 v11, 63, v13
	v_add_nc_u32_e32 v13, 21, v7
	s_delay_alu instid0(VALU_DEP_3)
	v_lshl_or_b32 v6, v6, 3, v2
	scratch_store_b32 off, v6, off offset:68 ; 4-byte Folded Spill
	v_lshl_or_b32 v6, v8, 3, v2
	v_and_b32_e32 v8, 63, v13
	v_add_nc_u32_e32 v13, 24, v7
	scratch_store_b32 off, v6, off offset:72 ; 4-byte Folded Spill
	v_lshl_or_b32 v6, v11, 3, v2
	v_add_nc_u32_e32 v11, 22, v7
	scratch_store_b32 off, v6, off offset:76 ; 4-byte Folded Spill
	v_and_b32_e32 v6, 63, v12
	v_add_nc_u32_e32 v12, 23, v7
	s_delay_alu instid0(VALU_DEP_2)
	v_lshl_or_b32 v6, v6, 3, v2
	scratch_store_b32 off, v6, off offset:80 ; 4-byte Folded Spill
	v_lshl_or_b32 v6, v8, 3, v2
	v_and_b32_e32 v8, 63, v12
	v_add_nc_u32_e32 v12, 25, v7
	scratch_store_b32 off, v6, off offset:84 ; 4-byte Folded Spill
	v_and_b32_e32 v6, 63, v11
	v_and_b32_e32 v11, 63, v13
	v_add_nc_u32_e32 v13, 26, v7
	v_lshl_or_b32 v171, v8, 3, v2
	s_delay_alu instid0(VALU_DEP_4) | instskip(NEXT) | instid1(VALU_DEP_4)
	v_lshl_or_b32 v170, v6, 3, v2
	v_lshl_or_b32 v172, v11, 3, v2
	v_and_b32_e32 v6, 63, v12
	v_and_b32_e32 v8, 63, v13
	v_add_nc_u32_e32 v11, 27, v7
	v_add_nc_u32_e32 v12, 28, v7
	;; [unrolled: 1-line block ×3, first 2 shown]
	v_lshl_or_b32 v173, v6, 3, v2
	v_lshl_or_b32 v174, v8, 3, v2
	v_and_b32_e32 v6, 63, v11
	v_and_b32_e32 v8, 63, v12
	;; [unrolled: 1-line block ×3, first 2 shown]
	v_add_nc_u32_e32 v12, 30, v7
	v_add_nc_u32_e32 v13, 31, v7
	v_lshl_or_b32 v175, v6, 3, v2
	v_lshl_or_b32 v176, v8, 3, v2
	;; [unrolled: 1-line block ×3, first 2 shown]
	v_and_b32_e32 v6, 63, v12
	v_and_b32_e32 v8, 63, v13
	v_add_nc_u32_e32 v11, 33, v7
	v_add_nc_u32_e32 v12, 34, v7
	s_delay_alu instid0(VALU_DEP_4) | instskip(NEXT) | instid1(VALU_DEP_4)
	v_lshl_or_b32 v178, v6, 3, v2
	v_lshl_or_b32 v179, v8, 3, v2
	s_delay_alu instid0(VALU_DEP_4) | instskip(NEXT) | instid1(VALU_DEP_4)
	v_and_b32_e32 v6, 63, v11
	v_and_b32_e32 v3, 63, v12
	v_add_nc_u32_e32 v8, 35, v7
	v_add_nc_u32_e32 v11, 36, v7
	;; [unrolled: 1-line block ×3, first 2 shown]
	v_lshl_or_b32 v181, v6, 3, v2
	v_add_nc_u32_e32 v6, 37, v7
	v_lshl_or_b32 v182, v3, 3, v2
	v_and_b32_e32 v3, 63, v8
	v_and_b32_e32 v8, 63, v11
	v_add_nc_u32_e32 v11, 38, v7
	v_and_b32_e32 v6, 63, v6
	s_delay_alu instid0(VALU_DEP_4) | instskip(NEXT) | instid1(VALU_DEP_4)
	v_lshl_or_b32 v183, v3, 3, v2
	v_lshl_or_b32 v184, v8, 3, v2
	s_delay_alu instid0(VALU_DEP_4) | instskip(NEXT) | instid1(VALU_DEP_4)
	v_and_b32_e32 v3, 63, v11
	v_lshl_or_b32 v185, v6, 3, v2
	v_and_b32_e32 v6, 63, v12
	v_add_nc_u32_e32 v8, 40, v7
	v_add_nc_u32_e32 v11, 41, v7
	v_lshl_or_b32 v186, v3, 3, v2
	v_add_nc_u32_e32 v3, 42, v7
	v_lshl_or_b32 v187, v6, 3, v2
	v_and_b32_e32 v6, 63, v8
	v_and_b32_e32 v8, 63, v11
	v_add_nc_u32_e32 v11, 43, v7
	v_and_b32_e32 v3, 63, v3
	v_add_nc_u32_e32 v12, 44, v7
	v_lshl_or_b32 v188, v6, 3, v2
	v_lshl_or_b32 v189, v8, 3, v2
	v_and_b32_e32 v6, 63, v11
	v_lshl_or_b32 v190, v3, 3, v2
	v_and_b32_e32 v3, 63, v12
	v_add_nc_u32_e32 v8, 45, v7
	v_add_nc_u32_e32 v11, 46, v7
	v_lshl_or_b32 v191, v6, 3, v2
	v_add_nc_u32_e32 v6, 47, v7
	v_lshl_or_b32 v192, v3, 3, v2
	v_and_b32_e32 v3, 63, v8
	v_and_b32_e32 v8, 63, v11
	v_add_nc_u32_e32 v11, 48, v7
	v_and_b32_e32 v6, 63, v6
	v_add_nc_u32_e32 v12, 49, v7
	v_lshl_or_b32 v193, v3, 3, v2
	v_lshl_or_b32 v194, v8, 3, v2
	v_and_b32_e32 v3, 63, v11
	v_lshl_or_b32 v195, v6, 3, v2
	v_and_b32_e32 v6, 63, v12
	v_add_nc_u32_e32 v8, 50, v7
	v_add_nc_u32_e32 v11, 51, v7
	v_lshl_or_b32 v196, v3, 3, v2
	v_add_nc_u32_e32 v3, 52, v7
	v_lshl_or_b32 v197, v6, 3, v2
	v_and_b32_e32 v6, 63, v8
	v_and_b32_e32 v8, 63, v11
	v_add_nc_u32_e32 v11, 53, v7
	v_and_b32_e32 v3, 63, v3
	v_add_nc_u32_e32 v12, 54, v7
	v_lshl_or_b32 v198, v6, 3, v2
	v_lshl_or_b32 v199, v8, 3, v2
	v_and_b32_e32 v6, 63, v11
	v_lshl_or_b32 v200, v3, 3, v2
	v_and_b32_e32 v3, 63, v12
	v_add_nc_u32_e32 v8, 55, v7
	v_add_nc_u32_e32 v11, 56, v7
	v_lshl_or_b32 v201, v6, 3, v2
	v_add_nc_u32_e32 v6, 57, v7
	v_lshl_or_b32 v202, v3, 3, v2
	v_and_b32_e32 v3, 63, v8
	v_and_b32_e32 v8, 63, v11
	v_add_nc_u32_e32 v11, 58, v7
	v_and_b32_e32 v6, 63, v6
	v_add_nc_u32_e32 v12, 59, v7
	v_lshl_or_b32 v203, v3, 3, v2
	v_lshl_or_b32 v204, v8, 3, v2
	v_and_b32_e32 v3, 63, v11
	v_lshl_or_b32 v205, v6, 3, v2
	v_and_b32_e32 v6, 63, v12
	v_add_nc_u32_e32 v8, 60, v7
	v_add_nc_u32_e32 v11, 61, v7
	v_lshl_or_b32 v206, v3, 3, v2
	v_add_nc_u32_e32 v3, 62, v7
	v_lshl_or_b32 v207, v6, 3, v2
	v_and_b32_e32 v6, 63, v8
	v_and_b32_e32 v8, 63, v11
	v_add_nc_u32_e32 v11, -1, v7
	v_and_b32_e32 v3, 63, v3
	s_delay_alu instid0(VALU_DEP_4) | instskip(NEXT) | instid1(VALU_DEP_4)
	v_lshl_or_b32 v208, v6, 3, v2
	v_lshl_or_b32 v209, v8, 3, v2
	v_mul_lo_u32 v8, v20, s35
	s_delay_alu instid0(VALU_DEP_4) | instskip(SKIP_3) | instid1(VALU_DEP_3)
	v_lshl_or_b32 v210, v3, 3, v2
	v_and_b32_e32 v3, 63, v11
	v_mad_co_u64_u32 v[5:6], null, v20, s34, s[6:7]
	v_mad_co_i64_i32 v[11:12], null, s24, v7, 0
	v_lshl_or_b32 v211, v3, 3, v2
	v_or_b32_e32 v2, 8, v20
	v_or_b32_e32 v7, 16, v20
	v_add3_u32 v6, v21, v6, v8
	s_delay_alu instid0(VALU_DEP_3) | instskip(SKIP_1) | instid1(VALU_DEP_4)
	v_mul_lo_u32 v13, v2, s35
	v_mad_co_u64_u32 v[2:3], null, v2, s34, s[6:7]
	v_mul_lo_u32 v15, v7, s35
	v_mad_co_u64_u32 v[7:8], null, v7, s34, s[6:7]
	v_lshlrev_b64_e32 v[11:12], 3, v[11:12]
	s_delay_alu instid0(VALU_DEP_4) | instskip(SKIP_2) | instid1(VALU_DEP_1)
	v_add3_u32 v3, v21, v3, v13
	v_mad_co_u64_u32 v[13:14], null, v14, s34, s[6:7]
	v_add_co_u32 v212, vcc_lo, 0x400, v2
	v_add_co_ci_u32_e64 v213, null, 0, v3, vcc_lo
	v_add3_u32 v2, v21, v8, v15
	v_or_b32_e32 v3, 32, v20
	v_add_co_u32 v214, vcc_lo, 0x400, v7
	v_add3_u32 v7, v21, v14, v16
	s_wait_alu 0xfffd
	v_add_co_ci_u32_e64 v215, null, 0, v2, vcc_lo
	v_mul_lo_u32 v14, v3, s35
	v_mad_co_u64_u32 v[2:3], null, v3, s34, s[6:7]
	v_or_b32_e32 v8, 40, v20
	v_add_co_u32 v216, vcc_lo, 0x400, v13
	s_wait_alu 0xfffd
	v_add_co_ci_u32_e64 v217, null, 0, v7, vcc_lo
	s_delay_alu instid0(VALU_DEP_3)
	v_mul_lo_u32 v13, v8, s35
	v_add3_u32 v3, v21, v3, v14
	v_or_b32_e32 v14, 48, v20
	v_mad_co_u64_u32 v[7:8], null, v8, s34, s[6:7]
	v_add_co_u32 v218, vcc_lo, 0x400, v2
	s_wait_alu 0xfffd
	v_add_co_ci_u32_e64 v219, null, 0, v3, vcc_lo
	v_or_b32_e32 v15, 56, v20
	v_mul_lo_u32 v16, v14, s35
	v_mad_co_u64_u32 v[2:3], null, v14, s34, s[6:7]
	v_add3_u32 v8, v21, v8, v13
	s_delay_alu instid0(VALU_DEP_4)
	v_mul_lo_u32 v17, v15, s35
	v_mad_co_u64_u32 v[13:14], null, v15, s34, s[6:7]
	v_add_co_u32 v220, vcc_lo, 0x400, v7
	v_add3_u32 v3, v21, v3, v16
	v_or_b32_e32 v7, 64, v20
	s_wait_alu 0xfffd
	v_add_co_ci_u32_e64 v221, null, 0, v8, vcc_lo
	v_add_co_u32 v222, vcc_lo, 0x400, v2
	s_wait_alu 0xfffd
	v_add_co_ci_u32_e64 v223, null, 0, v3, vcc_lo
	v_add3_u32 v8, v21, v14, v17
	v_mul_lo_u32 v14, v7, s35
	v_mad_co_u64_u32 v[2:3], null, v7, s34, s[6:7]
	v_or_b32_e32 v7, 0x48, v20
	v_add_co_u32 v224, vcc_lo, 0x400, v13
	s_wait_alu 0xfffd
	v_add_co_ci_u32_e64 v225, null, 0, v8, vcc_lo
	s_delay_alu instid0(VALU_DEP_3)
	v_mul_lo_u32 v13, v7, s35
	v_mad_co_u64_u32 v[7:8], null, v7, s34, s[6:7]
	v_add3_u32 v3, v21, v3, v14
	v_or_b32_e32 v14, 0x50, v20
	v_or_b32_e32 v15, 0x58, v20
	v_add_co_u32 v226, vcc_lo, 0x400, v2
	s_wait_alu 0xfffd
	v_add_co_ci_u32_e64 v227, null, 0, v3, vcc_lo
	v_mul_lo_u32 v16, v14, s35
	v_mad_co_u64_u32 v[2:3], null, v14, s34, s[6:7]
	v_add3_u32 v8, v21, v8, v13
	v_mul_lo_u32 v17, v15, s35
	v_mad_co_u64_u32 v[13:14], null, v15, s34, s[6:7]
	v_add_co_u32 v228, vcc_lo, 0x400, v7
	v_add3_u32 v3, v21, v3, v16
	s_wait_alu 0xfffd
	v_add_co_ci_u32_e64 v229, null, 0, v8, vcc_lo
	v_or_b32_e32 v7, 0x68, v20
	v_add3_u32 v8, v21, v14, v17
	v_add_co_u32 v230, vcc_lo, 0x400, v2
	s_wait_alu 0xfffd
	v_add_co_ci_u32_e64 v231, null, 0, v3, vcc_lo
	v_add_co_u32 v232, vcc_lo, 0x400, v13
	v_mul_lo_u32 v23, v7, s35
	v_mad_co_u64_u32 v[16:17], null, v7, s34, s[6:7]
	s_wait_alu 0xfffd
	v_add_co_ci_u32_e64 v233, null, 0, v8, vcc_lo
	v_max_num_f64_e32 v[7:8], v[0:1], v[0:1]
	v_or_b32_e32 v15, 0x60, v20
	v_or_b32_e32 v2, 0x70, v20
	;; [unrolled: 1-line block ×3, first 2 shown]
	s_delay_alu instid0(VALU_DEP_3) | instskip(SKIP_1) | instid1(VALU_DEP_4)
	v_mul_lo_u32 v22, v15, s35
	v_mad_co_u64_u32 v[14:15], null, v15, s34, s[6:7]
	v_mad_co_u64_u32 v[0:1], null, v2, s34, s[6:7]
	s_delay_alu instid0(VALU_DEP_4) | instskip(NEXT) | instid1(VALU_DEP_3)
	v_mul_lo_u32 v20, v3, s35
	v_add3_u32 v13, v21, v15, v22
	v_add3_u32 v15, v21, v17, v23
	v_mul_lo_u32 v17, v2, s35
	v_mad_co_u64_u32 v[2:3], null, v3, s34, s[6:7]
	v_add_co_u32 v234, vcc_lo, 0x400, v14
	s_wait_alu 0xfffd
	v_add_co_ci_u32_e64 v235, null, 0, v13, vcc_lo
	v_add_co_u32 v236, vcc_lo, 0x400, v16
	v_add3_u32 v1, v21, v1, v17
	v_add3_u32 v3, v21, v3, v20
	s_wait_alu 0xfffd
	v_add_co_ci_u32_e64 v237, null, 0, v15, vcc_lo
	v_add_co_u32 v238, vcc_lo, 0x400, v0
	s_wait_alu 0xfffd
	v_add_co_ci_u32_e64 v239, null, 0, v1, vcc_lo
	v_add_co_u32 v240, vcc_lo, 0x400, v2
	s_wait_alu 0xfffd
	v_add_co_ci_u32_e64 v241, null, 0, v3, vcc_lo
	s_lshl_b64 s[34:35], s[40:41], 3
	s_branch .LBB285_4
.LBB285_2:                              ;   in Loop: Header=BB285_4 Depth=1
	s_wait_alu 0xfffe
	s_or_b32 exec_lo, exec_lo, s3
.LBB285_3:                              ;   in Loop: Header=BB285_4 Depth=1
	s_add_co_i32 s2, s2, 0x10000
	s_wait_alu 0xfffe
	s_cmp_lt_u32 s2, s33
	s_cbranch_scc0 .LBB285_16
.LBB285_4:                              ; =>This Loop Header: Depth=1
                                        ;     Child Loop BB285_8 Depth 2
                                        ;     Child Loop BB285_15 Depth 2
	s_and_not1_b32 vcc_lo, exec_lo, s1
	s_wait_alu 0xfffe
	s_cbranch_vccnz .LBB285_3
; %bb.5:                                ;   in Loop: Header=BB285_4 Depth=1
	s_load_b32 s3, s[20:21], 0x4
	s_wait_kmcnt 0x0
	s_cvt_f32_u32 s24, s3
	s_sub_co_i32 s40, 0, s3
	s_wait_alu 0xfffe
	s_delay_alu instid0(SALU_CYCLE_1) | instskip(NEXT) | instid1(TRANS32_DEP_1)
	v_rcp_iflag_f32_e32 v0, s24
	v_readfirstlane_b32 s24, v0
	s_mul_f32 s24, s24, 0x4f7ffffe
	s_wait_alu 0xfffe
	s_delay_alu instid0(SALU_CYCLE_2) | instskip(SKIP_1) | instid1(SALU_CYCLE_2)
	s_cvt_u32_f32 s24, s24
	s_wait_alu 0xfffe
	s_mul_i32 s40, s40, s24
	s_wait_alu 0xfffe
	s_mul_hi_u32 s40, s24, s40
	s_wait_alu 0xfffe
	s_add_co_i32 s24, s24, s40
	s_wait_alu 0xfffe
	s_mul_u64 s[40:41], s[22:23], s[24:25]
	s_wait_alu 0xfffe
	s_mul_i32 s24, s41, s3
	s_add_co_i32 s40, s41, 1
	s_wait_alu 0xfffe
	s_sub_co_i32 s24, s22, s24
	s_wait_alu 0xfffe
	s_sub_co_i32 s43, s24, s3
	s_cmp_ge_u32 s24, s3
	s_cselect_b32 s40, s40, s41
	s_wait_alu 0xfffe
	s_cselect_b32 s24, s43, s24
	s_add_co_i32 s41, s40, 1
	s_wait_alu 0xfffe
	s_cmp_ge_u32 s24, s3
	s_cselect_b32 s43, s41, s40
	s_wait_alu 0xfffe
	s_mul_i32 s3, s43, s3
	s_wait_alu 0xfffe
	s_sub_co_i32 s44, s22, s3
	s_wait_alu 0xfffe
	s_cmp_lt_u32 s42, s44
	s_cselect_b32 s3, -1, 0
	s_wait_alu 0xfffe
	s_cmp_lg_u32 s3, 0
	s_add_co_ci_u32 s24, s43, 0
	s_wait_alu 0xfffe
	s_cmp_eq_u32 s24, 0
	s_cbranch_scc1 .LBB285_3
; %bb.6:                                ;   in Loop: Header=BB285_4 Depth=1
	s_mov_b32 s3, s25
	s_wait_alu 0xfffe
	s_lshl_b64 s[40:41], s[2:3], 3
	s_cmp_lt_i32 s24, 1
	s_wait_alu 0xfffe
	s_add_nc_u64 s[46:47], s[12:13], s[40:41]
	global_load_b64 v[0:1], v4, s[46:47]
	s_cbranch_scc1 .LBB285_12
; %bb.7:                                ;   in Loop: Header=BB285_4 Depth=1
	s_add_nc_u64 s[46:47], s[4:5], s[40:41]
	v_cvt_f64_u32_e32 v[2:3], s44
	global_load_b64 v[79:80], v4, s[46:47]
	s_mul_i32 s43, s43, s42
	s_add_nc_u64 s[40:41], s[8:9], s[40:41]
	s_wait_alu 0xfffe
	v_cvt_f64_u32_e32 v[13:14], s43
	global_load_b64 v[81:82], v4, s[40:41]
	v_or_b32_e32 v45, 0x200, v147
	v_mov_b32_e32 v49, 0
	v_mov_b32_e32 v65, 0
	;; [unrolled: 1-line block ×6, first 2 shown]
	v_dual_mov_b32 v71, 0 :: v_dual_mov_b32 v50, 0
	v_dual_mov_b32 v51, 0 :: v_dual_mov_b32 v66, 0
	;; [unrolled: 1-line block ×8, first 2 shown]
	v_mov_b32_e32 v68, 0
	v_mov_b32_e32 v58, 0
	;; [unrolled: 1-line block ×5, first 2 shown]
	v_dual_mov_b32 v70, 0 :: v_dual_mov_b32 v53, 0
	v_mov_b32_e32 v54, 0
	v_min_num_f64_e32 v[2:3], v[7:8], v[2:3]
	s_delay_alu instid0(VALU_DEP_1) | instskip(NEXT) | instid1(VALU_DEP_1)
	v_add_f64_e32 v[2:3], v[2:3], v[13:14]
	v_cvt_i32_f64_e32 v2, v[2:3]
	s_delay_alu instid0(VALU_DEP_1)
	v_readfirstlane_b32 s3, v2
	s_lshl_b32 s40, s3, 7
	s_wait_alu 0xfffe
	s_ashr_i32 s41, s40, 31
	s_wait_alu 0xfffe
	s_lshl_b64 s[40:41], s[40:41], 3
	s_wait_alu 0xfffe
	v_or_b32_e32 v45, s40, v45
	v_or_b32_e32 v47, s40, v147
	s_mul_i32 s3, s16, s41
	s_delay_alu instid0(VALU_DEP_2) | instskip(SKIP_1) | instid1(VALU_DEP_3)
	v_mul_lo_u32 v83, s17, v45
	v_mad_co_u64_u32 v[45:46], null, s16, v45, 0
	v_mul_lo_u32 v84, s17, v47
	v_mad_co_u64_u32 v[47:48], null, s16, v47, 0
	s_wait_alu 0xfffe
	s_delay_alu instid0(VALU_DEP_3) | instskip(NEXT) | instid1(VALU_DEP_2)
	v_add3_u32 v46, v46, s3, v83
	v_add3_u32 v48, v48, s3, v84
	s_add_co_i32 s3, s24, -1
	s_wait_loadcnt 0x1
	v_add_co_u32 v2, vcc_lo, v79, s6
	s_wait_alu 0xfffd
	v_add_co_ci_u32_e64 v3, null, s7, v80, vcc_lo
	s_delay_alu instid0(VALU_DEP_2) | instskip(SKIP_1) | instid1(VALU_DEP_2)
	v_add_co_u32 v2, vcc_lo, v2, s34
	s_wait_alu 0xfffd
	v_add_co_ci_u32_e64 v3, null, s35, v3, vcc_lo
	s_delay_alu instid0(VALU_DEP_2) | instskip(SKIP_1) | instid1(VALU_DEP_2)
	;; [unrolled: 4-line block ×7, first 2 shown]
	v_add_co_u32 v19, vcc_lo, v17, s30
	s_wait_alu 0xfffd
	v_add_co_ci_u32_e64 v20, null, s31, v18, vcc_lo
	s_clause 0x2
	flat_load_b64 v[2:3], v[2:3]
	flat_load_b64 v[13:14], v[13:14]
	;; [unrolled: 1-line block ×3, first 2 shown]
	v_add_co_u32 v21, vcc_lo, v19, s30
	s_wait_alu 0xfffd
	v_add_co_ci_u32_e64 v22, null, s31, v20, vcc_lo
	s_delay_alu instid0(VALU_DEP_2) | instskip(SKIP_1) | instid1(VALU_DEP_2)
	v_add_co_u32 v23, vcc_lo, v21, s30
	s_wait_alu 0xfffd
	v_add_co_ci_u32_e64 v24, null, s31, v22, vcc_lo
	s_delay_alu instid0(VALU_DEP_2) | instskip(SKIP_1) | instid1(VALU_DEP_2)
	v_add_co_u32 v25, vcc_lo, v23, s30
	s_wait_alu 0xfffd
	v_add_co_ci_u32_e64 v26, null, s31, v24, vcc_lo
	s_clause 0x2
	flat_load_b64 v[19:20], v[19:20]
	flat_load_b64 v[21:22], v[21:22]
	;; [unrolled: 1-line block ×3, first 2 shown]
	v_add_co_u32 v27, vcc_lo, v25, s30
	s_wait_alu 0xfffd
	v_add_co_ci_u32_e64 v28, null, s31, v26, vcc_lo
	flat_load_b64 v[25:26], v[25:26]
	v_add_co_u32 v29, vcc_lo, v27, s30
	s_wait_alu 0xfffd
	v_add_co_ci_u32_e64 v30, null, s31, v28, vcc_lo
	flat_load_b64 v[27:28], v[27:28]
	;; [unrolled: 4-line block ×4, first 2 shown]
	v_add_co_u32 v35, vcc_lo, v33, s30
	s_wait_alu 0xfffd
	v_add_co_ci_u32_e64 v36, null, s31, v34, vcc_lo
	s_delay_alu instid0(VALU_DEP_2) | instskip(SKIP_1) | instid1(VALU_DEP_2)
	v_add_co_u32 v37, vcc_lo, v35, s30
	s_wait_alu 0xfffd
	v_add_co_ci_u32_e64 v38, null, s31, v36, vcc_lo
	s_delay_alu instid0(VALU_DEP_2) | instskip(SKIP_1) | instid1(VALU_DEP_2)
	;; [unrolled: 4-line block ×3, first 2 shown]
	v_add_co_u32 v41, vcc_lo, v39, s30
	s_wait_alu 0xfffd
	v_add_co_ci_u32_e64 v42, null, s31, v40, vcc_lo
	flat_load_b64 v[33:34], v[33:34]
	flat_load_b64 v[35:36], v[35:36]
	;; [unrolled: 1-line block ×6, first 2 shown]
	s_wait_loadcnt 0x10
	v_add_co_u32 v244, vcc_lo, v81, s10
	s_wait_alu 0xfffd
	v_add_co_ci_u32_e64 v245, null, s11, v82, vcc_lo
	v_add_co_u32 v81, vcc_lo, v79, v5
	s_wait_alu 0xfffd
	v_add_co_ci_u32_e64 v82, null, v80, v6, vcc_lo
	;; [unrolled: 3-line block ×31, first 2 shown]
	v_add_co_u32 v166, vcc_lo, v109, s40
	v_mov_b32_e32 v15, 0
	s_wait_alu 0xfffd
	v_add_co_ci_u32_e64 v167, null, s41, v110, vcc_lo
	v_add_co_u32 v168, vcc_lo, v79, s40
	v_mov_b32_e32 v16, 0
	s_wait_alu 0xfffd
	v_add_co_ci_u32_e64 v169, null, s41, v80, vcc_lo
	s_mov_b32 s40, 0
	s_wait_loadcnt_dscnt 0xf0f
	v_dual_mov_b32 v80, v3 :: v_dual_mov_b32 v79, v2
	s_wait_loadcnt_dscnt 0xe0e
	v_dual_mov_b32 v108, v14 :: v_dual_mov_b32 v107, v13
	;; [unrolled: 2-line block ×16, first 2 shown]
.LBB285_8:                              ;   Parent Loop BB285_4 Depth=1
                                        ; =>  This Inner Loop Header: Depth=2
	v_add_co_u32 v145, vcc_lo, v246, v147
	s_wait_alu 0xfffd
	v_add_co_ci_u32_e64 v146, null, 0, v247, vcc_lo
	s_wait_alu 0xfffe
	s_cmp_lg_u32 s3, s40
	v_add_co_u32 v111, vcc_lo, 0x200, v145
	s_wait_alu 0xfffd
	v_add_co_ci_u32_e64 v112, null, 0, v146, vcc_lo
	s_delay_alu instid0(VALU_DEP_2) | instskip(SKIP_1) | instid1(VALU_DEP_2)
	v_add_co_u32 v135, vcc_lo, v111, s28
	s_wait_alu 0xfffd
	v_add_co_ci_u32_e64 v136, null, s29, v112, vcc_lo
	s_delay_alu instid0(VALU_DEP_2) | instskip(SKIP_1) | instid1(VALU_DEP_2)
	;; [unrolled: 4-line block ×9, first 2 shown]
	v_add_co_u32 v121, vcc_lo, v119, s28
	s_wait_alu 0xfffd
	v_add_co_ci_u32_e64 v122, null, s29, v120, vcc_lo
	v_add_co_u32 v123, vcc_lo, v244, v47
	s_wait_alu 0xfffd
	v_add_co_ci_u32_e64 v124, null, v245, v48, vcc_lo
	;; [unrolled: 3-line block ×3, first 2 shown]
	flat_load_b64 v[143:144], v[123:124]
	v_add_co_u32 v127, vcc_lo, v125, s28
	s_wait_alu 0xfffd
	v_add_co_ci_u32_e64 v128, null, s29, v126, vcc_lo
	s_clause 0x3
	flat_load_b64 v[111:112], v[111:112]
	flat_load_b64 v[113:114], v[113:114]
	;; [unrolled: 1-line block ×4, first 2 shown]
	v_add_co_u32 v129, vcc_lo, v127, s28
	s_wait_alu 0xfffd
	v_add_co_ci_u32_e64 v130, null, s29, v128, vcc_lo
	flat_load_b64 v[119:120], v[119:120]
	v_add_co_u32 v131, vcc_lo, v129, s28
	s_wait_alu 0xfffd
	v_add_co_ci_u32_e64 v132, null, s29, v130, vcc_lo
	flat_load_b64 v[121:122], v[121:122]
	;; [unrolled: 4-line block ×4, first 2 shown]
	flat_load_b64 v[127:128], v[129:130]
	flat_load_b64 v[129:130], v[131:132]
	;; [unrolled: 1-line block ×4, first 2 shown]
	s_clause 0x3
	flat_load_b64 v[135:136], v[135:136]
	flat_load_b64 v[137:138], v[137:138]
	;; [unrolled: 1-line block ×3, first 2 shown]
	flat_load_b64 v[141:142], v[145:146] offset:512
	s_cbranch_scc0 .LBB285_10
; %bb.9:                                ;   in Loop: Header=BB285_8 Depth=2
	v_add_co_u32 v81, vcc_lo, v248, v147
	s_wait_alu 0xfffd
	v_add_co_ci_u32_e64 v82, null, 0, v249, vcc_lo
	v_add_co_u32 v83, vcc_lo, v250, v147
	s_wait_alu 0xfffd
	v_add_co_ci_u32_e64 v84, null, 0, v251, vcc_lo
	;; [unrolled: 3-line block ×15, first 2 shown]
	flat_load_b64 v[79:80], v[145:146] offset:1024
	flat_load_b64 v[81:82], v[81:82]
	flat_load_b64 v[83:84], v[83:84]
	;; [unrolled: 1-line block ×15, first 2 shown]
.LBB285_10:                             ;   in Loop: Header=BB285_8 Depth=2
	s_wait_loadcnt_dscnt 0x1010
	v_fma_f64 v[2:3], v[2:3], v[143:144], v[15:16]
	v_add_co_u32 v15, vcc_lo, v244, v45
	s_wait_alu 0xfffd
	v_add_co_ci_u32_e64 v16, null, v245, v46, vcc_lo
	v_fma_f64 v[43:44], v[43:44], v[143:144], v[69:70]
	v_fma_f64 v[41:42], v[41:42], v[143:144], v[53:54]
	;; [unrolled: 1-line block ×3, first 2 shown]
	flat_load_b64 v[69:70], v[15:16]
	v_fma_f64 v[37:38], v[37:38], v[143:144], v[51:52]
	v_fma_f64 v[35:36], v[35:36], v[143:144], v[65:66]
	v_fma_f64 v[33:34], v[33:34], v[143:144], v[67:68]
	v_fma_f64 v[31:32], v[31:32], v[143:144], v[55:56]
	v_fma_f64 v[29:30], v[29:30], v[143:144], v[57:58]
	v_fma_f64 v[27:28], v[27:28], v[143:144], v[59:60]
	v_fma_f64 v[25:26], v[25:26], v[143:144], v[61:62]
	v_fma_f64 v[23:24], v[23:24], v[143:144], v[63:64]
	v_fma_f64 v[21:22], v[21:22], v[143:144], v[77:78]
	v_fma_f64 v[19:20], v[19:20], v[143:144], v[73:74]
	v_fma_f64 v[17:18], v[17:18], v[143:144], v[75:76]
	v_fma_f64 v[13:14], v[13:14], v[143:144], v[71:72]
	v_add_co_u32 v246, vcc_lo, 0x400, v246
	s_wait_alu 0xfffd
	v_add_co_ci_u32_e64 v247, null, 0, v247, vcc_lo
	v_add_co_u32 v248, vcc_lo, 0x400, v248
	s_wait_alu 0xfffd
	v_add_co_ci_u32_e64 v249, null, 0, v249, vcc_lo
	;; [unrolled: 3-line block ×17, first 2 shown]
	s_add_co_i32 s40, s40, 1
	s_wait_alu 0xfffe
	s_cmp_ge_i32 s40, s24
	s_wait_loadcnt_dscnt 0x0
	v_fma_f64 v[15:16], v[141:142], v[69:70], v[2:3]
	v_fma_f64 v[53:54], v[135:136], v[69:70], v[41:42]
	;; [unrolled: 1-line block ×16, first 2 shown]
	s_cbranch_scc1 .LBB285_13
; %bb.11:                               ;   in Loop: Header=BB285_8 Depth=2
	v_dual_mov_b32 v2, v79 :: v_dual_mov_b32 v3, v80
	v_dual_mov_b32 v41, v81 :: v_dual_mov_b32 v42, v82
	;; [unrolled: 1-line block ×16, first 2 shown]
	s_branch .LBB285_8
.LBB285_12:                             ;   in Loop: Header=BB285_4 Depth=1
	v_mov_b32_e32 v69, 0
	v_mov_b32_e32 v75, 0
	;; [unrolled: 1-line block ×7, first 2 shown]
	v_dual_mov_b32 v53, 0 :: v_dual_mov_b32 v70, 0
	v_dual_mov_b32 v71, 0 :: v_dual_mov_b32 v76, 0
	;; [unrolled: 1-line block ×9, first 2 shown]
	v_mov_b32_e32 v74, 0
	v_mov_b32_e32 v64, 0
	;; [unrolled: 1-line block ×7, first 2 shown]
.LBB285_13:                             ;   in Loop: Header=BB285_4 Depth=1
	ds_store_2addr_stride64_b64 v242, v[15:16], v[53:54] offset1:1
	ds_store_2addr_stride64_b64 v242, v[49:50], v[51:52] offset0:2 offset1:3
	ds_store_2addr_stride64_b64 v242, v[65:66], v[67:68] offset0:4 offset1:5
	;; [unrolled: 1-line block ×6, first 2 shown]
	ds_store_b64 v242, v[71:72] offset:7168
	ds_store_b64 v243, v[69:70]
	s_wait_storecnt 0x0
	s_wait_loadcnt_dscnt 0x0
	s_barrier_signal -1
	s_barrier_wait -1
	global_inv scope:SCOPE_SE
	s_and_saveexec_b32 s3, s0
	s_cbranch_execz .LBB285_2
; %bb.14:                               ;   in Loop: Header=BB285_4 Depth=1
	s_clause 0x4
	scratch_load_b32 v2, off, off
	scratch_load_b32 v13, off, off offset:4
	scratch_load_b32 v15, off, off offset:8
	;; [unrolled: 1-line block ×4, first 2 shown]
	v_add_co_u32 v0, vcc_lo, v0, s14
	s_wait_alu 0xfffd
	v_add_co_ci_u32_e64 v1, null, s15, v1, vcc_lo
	s_mov_b32 s24, 0
	v_add_co_u32 v0, vcc_lo, v0, s38
	s_wait_alu 0xfffd
	v_add_co_ci_u32_e64 v1, null, s39, v1, vcc_lo
	s_wait_loadcnt 0x4
	ds_load_b64 v[2:3], v2
	s_wait_loadcnt 0x3
	ds_load_b64 v[13:14], v13
	;; [unrolled: 2-line block ×5, first 2 shown]
	s_wait_dscnt 0x4
	v_add_f64_e32 v[2:3], 0, v[2:3]
	s_wait_dscnt 0x3
	s_delay_alu instid0(VALU_DEP_1)
	v_add_f64_e32 v[2:3], v[2:3], v[13:14]
	scratch_load_b32 v13, off, off offset:16 ; 4-byte Folded Reload
	s_wait_dscnt 0x2
	v_add_f64_e32 v[2:3], v[2:3], v[15:16]
	scratch_load_b32 v15, off, off offset:20 ; 4-byte Folded Reload
	s_wait_dscnt 0x1
	v_add_f64_e32 v[2:3], v[2:3], v[17:18]
	scratch_load_b32 v17, off, off offset:24 ; 4-byte Folded Reload
	s_wait_loadcnt 0x2
	ds_load_b64 v[13:14], v13
	s_wait_loadcnt 0x1
	ds_load_b64 v[15:16], v15
	;; [unrolled: 2-line block ×3, first 2 shown]
	s_wait_dscnt 0x2
	v_add_f64_e32 v[2:3], v[2:3], v[13:14]
	scratch_load_b32 v13, off, off offset:32 ; 4-byte Folded Reload
	s_wait_dscnt 0x1
	v_add_f64_e32 v[2:3], v[2:3], v[15:16]
	scratch_load_b32 v15, off, off offset:36 ; 4-byte Folded Reload
	;; [unrolled: 3-line block ×3, first 2 shown]
	v_add_f64_e32 v[2:3], v[2:3], v[19:20]
	scratch_load_b32 v19, off, off offset:44 ; 4-byte Folded Reload
	s_wait_loadcnt 0x3
	ds_load_b64 v[13:14], v13
	s_wait_loadcnt 0x2
	ds_load_b64 v[15:16], v15
	;; [unrolled: 2-line block ×4, first 2 shown]
	s_wait_dscnt 0x3
	v_add_f64_e32 v[2:3], v[2:3], v[13:14]
	scratch_load_b32 v13, off, off offset:48 ; 4-byte Folded Reload
	s_wait_dscnt 0x2
	v_add_f64_e32 v[2:3], v[2:3], v[15:16]
	scratch_load_b32 v15, off, off offset:52 ; 4-byte Folded Reload
	;; [unrolled: 3-line block ×4, first 2 shown]
	s_wait_loadcnt 0x3
	ds_load_b64 v[13:14], v13
	s_wait_loadcnt 0x2
	ds_load_b64 v[15:16], v15
	s_wait_loadcnt 0x1
	ds_load_b64 v[17:18], v17
	s_wait_loadcnt 0x0
	ds_load_b64 v[19:20], v19
	s_wait_dscnt 0x3
	v_add_f64_e32 v[2:3], v[2:3], v[13:14]
	scratch_load_b32 v13, off, off offset:64 ; 4-byte Folded Reload
	s_wait_dscnt 0x2
	v_add_f64_e32 v[2:3], v[2:3], v[15:16]
	scratch_load_b32 v15, off, off offset:68 ; 4-byte Folded Reload
	;; [unrolled: 3-line block ×4, first 2 shown]
	s_wait_loadcnt 0x3
	ds_load_b64 v[13:14], v13
	s_wait_loadcnt 0x2
	ds_load_b64 v[15:16], v15
	s_wait_loadcnt 0x1
	ds_load_b64 v[17:18], v17
	s_wait_loadcnt 0x0
	ds_load_b64 v[19:20], v19
	s_wait_dscnt 0x3
	v_add_f64_e32 v[2:3], v[2:3], v[13:14]
	scratch_load_b32 v13, off, off offset:80 ; 4-byte Folded Reload
	s_wait_dscnt 0x2
	v_add_f64_e32 v[2:3], v[2:3], v[15:16]
	scratch_load_b32 v15, off, off offset:84 ; 4-byte Folded Reload
	s_wait_loadcnt 0x1
	ds_load_b64 v[13:14], v13
	s_wait_dscnt 0x2
	v_add_f64_e32 v[2:3], v[2:3], v[17:18]
	s_wait_dscnt 0x1
	s_delay_alu instid0(VALU_DEP_1)
	v_add_f64_e32 v[2:3], v[2:3], v[19:20]
	s_wait_loadcnt 0x0
	ds_load_b64 v[15:16], v15
	ds_load_b64 v[17:18], v170
	ds_load_b64 v[19:20], v171
	s_wait_dscnt 0x3
	v_add_f64_e32 v[2:3], v[2:3], v[13:14]
	s_wait_dscnt 0x2
	s_delay_alu instid0(VALU_DEP_1) | instskip(SKIP_1) | instid1(VALU_DEP_1)
	v_add_f64_e32 v[2:3], v[2:3], v[15:16]
	s_wait_dscnt 0x1
	v_add_f64_e32 v[2:3], v[2:3], v[17:18]
	s_wait_dscnt 0x0
	s_delay_alu instid0(VALU_DEP_1)
	v_add_f64_e32 v[2:3], v[2:3], v[19:20]
	ds_load_b64 v[13:14], v172
	ds_load_b64 v[15:16], v173
	ds_load_b64 v[17:18], v174
	ds_load_b64 v[19:20], v175
	s_wait_dscnt 0x3
	v_add_f64_e32 v[2:3], v[2:3], v[13:14]
	s_wait_dscnt 0x2
	s_delay_alu instid0(VALU_DEP_1) | instskip(SKIP_1) | instid1(VALU_DEP_1)
	v_add_f64_e32 v[2:3], v[2:3], v[15:16]
	s_wait_dscnt 0x1
	v_add_f64_e32 v[2:3], v[2:3], v[17:18]
	s_wait_dscnt 0x0
	s_delay_alu instid0(VALU_DEP_1)
	v_add_f64_e32 v[2:3], v[2:3], v[19:20]
	ds_load_b64 v[13:14], v176
	;; [unrolled: 14-line block ×9, first 2 shown]
	ds_load_b64 v[15:16], v205
	ds_load_b64 v[17:18], v206
	;; [unrolled: 1-line block ×3, first 2 shown]
	s_wait_dscnt 0x3
	v_add_f64_e32 v[21:22], v[2:3], v[13:14]
	v_add_co_u32 v13, vcc_lo, v0, v11
	s_wait_alu 0xfffd
	v_add_co_ci_u32_e64 v14, null, v1, v12, vcc_lo
	flat_load_b64 v[2:3], v[13:14]
	s_wait_dscnt 0x3
	v_add_f64_e32 v[0:1], v[21:22], v[15:16]
	s_wait_dscnt 0x2
	s_delay_alu instid0(VALU_DEP_1) | instskip(SKIP_1) | instid1(VALU_DEP_1)
	v_add_f64_e32 v[0:1], v[0:1], v[17:18]
	s_wait_dscnt 0x1
	v_add_f64_e32 v[0:1], v[0:1], v[19:20]
	ds_load_b64 v[15:16], v208
	ds_load_b64 v[17:18], v209
	;; [unrolled: 1-line block ×4, first 2 shown]
	s_wait_dscnt 0x3
	v_add_f64_e32 v[0:1], v[0:1], v[15:16]
	s_wait_dscnt 0x2
	s_delay_alu instid0(VALU_DEP_1) | instskip(SKIP_1) | instid1(VALU_DEP_1)
	v_add_f64_e32 v[0:1], v[0:1], v[17:18]
	s_wait_dscnt 0x1
	v_add_f64_e32 v[0:1], v[0:1], v[19:20]
	s_wait_dscnt 0x0
	s_delay_alu instid0(VALU_DEP_1) | instskip(NEXT) | instid1(VALU_DEP_1)
	v_add_f64_e32 v[0:1], v[0:1], v[21:22]
	v_mul_f64_e32 v[15:16], s[18:19], v[0:1]
.LBB285_15:                             ;   Parent Loop BB285_4 Depth=1
                                        ; =>  This Inner Loop Header: Depth=2
	s_wait_loadcnt 0x0
	s_delay_alu instid0(VALU_DEP_1)
	v_add_f64_e32 v[0:1], v[2:3], v[15:16]
	flat_atomic_cmpswap_b64 v[0:1], v[13:14], v[0:3] th:TH_ATOMIC_RETURN scope:SCOPE_DEV
	s_wait_loadcnt_dscnt 0x0
	v_cmp_eq_u64_e32 vcc_lo, v[0:1], v[2:3]
	v_dual_mov_b32 v3, v1 :: v_dual_mov_b32 v2, v0
	s_wait_alu 0xfffe
	s_or_b32 s24, vcc_lo, s24
	s_wait_alu 0xfffe
	s_and_not1_b32 exec_lo, exec_lo, s24
	s_cbranch_execnz .LBB285_15
	s_branch .LBB285_2
.LBB285_16:
	s_nop 0
	s_sendmsg sendmsg(MSG_DEALLOC_VGPRS)
	s_endpgm
	.section	.rodata,"a",@progbits
	.p2align	6, 0x0
	.amdhsa_kernel _ZL36rocblas_gemvt_double_buffered_kernelILb1ELi128ELi4ELi16EPKddKPdEviiT4_lPKT3_lilS7_lilPT5_lili
		.amdhsa_group_segment_fixed_size 65536
		.amdhsa_private_segment_fixed_size 92
		.amdhsa_kernarg_size 384
		.amdhsa_user_sgpr_count 2
		.amdhsa_user_sgpr_dispatch_ptr 0
		.amdhsa_user_sgpr_queue_ptr 0
		.amdhsa_user_sgpr_kernarg_segment_ptr 1
		.amdhsa_user_sgpr_dispatch_id 0
		.amdhsa_user_sgpr_private_segment_size 0
		.amdhsa_wavefront_size32 1
		.amdhsa_uses_dynamic_stack 0
		.amdhsa_enable_private_segment 1
		.amdhsa_system_sgpr_workgroup_id_x 1
		.amdhsa_system_sgpr_workgroup_id_y 1
		.amdhsa_system_sgpr_workgroup_id_z 1
		.amdhsa_system_sgpr_workgroup_info 0
		.amdhsa_system_vgpr_workitem_id 1
		.amdhsa_next_free_vgpr 256
		.amdhsa_next_free_sgpr 48
		.amdhsa_reserve_vcc 1
		.amdhsa_float_round_mode_32 0
		.amdhsa_float_round_mode_16_64 0
		.amdhsa_float_denorm_mode_32 3
		.amdhsa_float_denorm_mode_16_64 3
		.amdhsa_fp16_overflow 0
		.amdhsa_workgroup_processor_mode 1
		.amdhsa_memory_ordered 1
		.amdhsa_forward_progress 1
		.amdhsa_inst_pref_size 67
		.amdhsa_round_robin_scheduling 0
		.amdhsa_exception_fp_ieee_invalid_op 0
		.amdhsa_exception_fp_denorm_src 0
		.amdhsa_exception_fp_ieee_div_zero 0
		.amdhsa_exception_fp_ieee_overflow 0
		.amdhsa_exception_fp_ieee_underflow 0
		.amdhsa_exception_fp_ieee_inexact 0
		.amdhsa_exception_int_div_zero 0
	.end_amdhsa_kernel
	.section	.text._ZL36rocblas_gemvt_double_buffered_kernelILb1ELi128ELi4ELi16EPKddKPdEviiT4_lPKT3_lilS7_lilPT5_lili,"axG",@progbits,_ZL36rocblas_gemvt_double_buffered_kernelILb1ELi128ELi4ELi16EPKddKPdEviiT4_lPKT3_lilS7_lilPT5_lili,comdat
.Lfunc_end285:
	.size	_ZL36rocblas_gemvt_double_buffered_kernelILb1ELi128ELi4ELi16EPKddKPdEviiT4_lPKT3_lilS7_lilPT5_lili, .Lfunc_end285-_ZL36rocblas_gemvt_double_buffered_kernelILb1ELi128ELi4ELi16EPKddKPdEviiT4_lPKT3_lilS7_lilPT5_lili
                                        ; -- End function
	.set _ZL36rocblas_gemvt_double_buffered_kernelILb1ELi128ELi4ELi16EPKddKPdEviiT4_lPKT3_lilS7_lilPT5_lili.num_vgpr, 256
	.set _ZL36rocblas_gemvt_double_buffered_kernelILb1ELi128ELi4ELi16EPKddKPdEviiT4_lPKT3_lilS7_lilPT5_lili.num_agpr, 0
	.set _ZL36rocblas_gemvt_double_buffered_kernelILb1ELi128ELi4ELi16EPKddKPdEviiT4_lPKT3_lilS7_lilPT5_lili.numbered_sgpr, 48
	.set _ZL36rocblas_gemvt_double_buffered_kernelILb1ELi128ELi4ELi16EPKddKPdEviiT4_lPKT3_lilS7_lilPT5_lili.num_named_barrier, 0
	.set _ZL36rocblas_gemvt_double_buffered_kernelILb1ELi128ELi4ELi16EPKddKPdEviiT4_lPKT3_lilS7_lilPT5_lili.private_seg_size, 92
	.set _ZL36rocblas_gemvt_double_buffered_kernelILb1ELi128ELi4ELi16EPKddKPdEviiT4_lPKT3_lilS7_lilPT5_lili.uses_vcc, 1
	.set _ZL36rocblas_gemvt_double_buffered_kernelILb1ELi128ELi4ELi16EPKddKPdEviiT4_lPKT3_lilS7_lilPT5_lili.uses_flat_scratch, 1
	.set _ZL36rocblas_gemvt_double_buffered_kernelILb1ELi128ELi4ELi16EPKddKPdEviiT4_lPKT3_lilS7_lilPT5_lili.has_dyn_sized_stack, 0
	.set _ZL36rocblas_gemvt_double_buffered_kernelILb1ELi128ELi4ELi16EPKddKPdEviiT4_lPKT3_lilS7_lilPT5_lili.has_recursion, 0
	.set _ZL36rocblas_gemvt_double_buffered_kernelILb1ELi128ELi4ELi16EPKddKPdEviiT4_lPKT3_lilS7_lilPT5_lili.has_indirect_call, 0
	.section	.AMDGPU.csdata,"",@progbits
; Kernel info:
; codeLenInByte = 8480
; TotalNumSgprs: 50
; NumVgprs: 256
; ScratchSize: 92
; MemoryBound: 0
; FloatMode: 240
; IeeeMode: 1
; LDSByteSize: 65536 bytes/workgroup (compile time only)
; SGPRBlocks: 0
; VGPRBlocks: 31
; NumSGPRsForWavesPerEU: 50
; NumVGPRsForWavesPerEU: 256
; Occupancy: 5
; WaveLimiterHint : 1
; COMPUTE_PGM_RSRC2:SCRATCH_EN: 1
; COMPUTE_PGM_RSRC2:USER_SGPR: 2
; COMPUTE_PGM_RSRC2:TRAP_HANDLER: 0
; COMPUTE_PGM_RSRC2:TGID_X_EN: 1
; COMPUTE_PGM_RSRC2:TGID_Y_EN: 1
; COMPUTE_PGM_RSRC2:TGID_Z_EN: 1
; COMPUTE_PGM_RSRC2:TIDIG_COMP_CNT: 1
	.section	.text._ZL20rocblas_gemvt_kernelILb1ELi256EPKdS1_KPdEviiT2_lPKT1_lilS7_lilS4_lPT3_lili,"axG",@progbits,_ZL20rocblas_gemvt_kernelILb1ELi256EPKdS1_KPdEviiT2_lPKT1_lilS7_lilS4_lPT3_lili,comdat
	.globl	_ZL20rocblas_gemvt_kernelILb1ELi256EPKdS1_KPdEviiT2_lPKT1_lilS7_lilS4_lPT3_lili ; -- Begin function _ZL20rocblas_gemvt_kernelILb1ELi256EPKdS1_KPdEviiT2_lPKT1_lilS7_lilS4_lPT3_lili
	.p2align	8
	.type	_ZL20rocblas_gemvt_kernelILb1ELi256EPKdS1_KPdEviiT2_lPKT1_lilS7_lilS4_lPT3_lili,@function
_ZL20rocblas_gemvt_kernelILb1ELi256EPKdS1_KPdEviiT2_lPKT1_lilS7_lilS4_lPT3_lili: ; @_ZL20rocblas_gemvt_kernelILb1ELi256EPKdS1_KPdEviiT2_lPKT1_lilS7_lilS4_lPT3_lili
; %bb.0:
	s_load_b32 s11, s[0:1], 0x88
	s_lshr_b32 s34, ttmp7, 16
	s_wait_kmcnt 0x0
	s_cmp_ge_u32 s34, s11
	s_cbranch_scc1 .LBB286_44
; %bb.1:
	s_clause 0x6
	s_load_b32 s4, s[0:1], 0x28
	s_load_b32 s38, s[0:1], 0x48
	;; [unrolled: 1-line block ×4, first 2 shown]
	s_load_b128 s[28:31], s[0:1], 0x38
	s_load_b256 s[12:19], s[0:1], 0x8
	s_load_b256 s[20:27], s[0:1], 0x58
	s_mov_b32 s2, ttmp9
	s_ashr_i32 s3, ttmp9, 31
	v_cmp_eq_u32_e64 s0, 0, v0
	v_dual_mov_b32 v18, 0 :: v_dual_lshlrev_b32 v19, 3, v0
	v_cmp_gt_u32_e64 s1, 0x80, v0
	s_mov_b32 s35, 0
	s_wait_kmcnt 0x0
	s_ashr_i32 s5, s4, 31
	v_mad_co_i64_i32 v[1:2], null, s38, v0, 0
	s_ashr_i32 s9, s8, 31
	s_ashr_i32 s7, s6, 31
	s_lshr_b32 s9, s9, 24
	v_cmp_gt_i32_e32 vcc_lo, s8, v0
	s_add_co_i32 s9, s8, s9
	s_mul_u64 s[40:41], s[6:7], s[2:3]
	s_wait_alu 0xfffe
	s_and_b32 s36, s9, 0xffffff00
	s_mul_u64 s[42:43], s[4:5], s[2:3]
	v_or_b32_e32 v3, s36, v0
	v_cndmask_b32_e32 v5, 0, v0, vcc_lo
	s_ashr_i32 s39, s38, 31
	s_cmp_gt_i32 s8, 0xff
	v_cmp_gt_u32_e64 s3, 64, v0
	v_cmp_gt_i32_e64 s2, s8, v3
	v_mad_co_i64_i32 v[3:4], null, s38, v3, 0
	v_cmp_gt_u32_e64 s4, 32, v0
	v_cmp_gt_u32_e64 s5, 16, v0
	;; [unrolled: 1-line block ×5, first 2 shown]
	v_lshlrev_b64_e32 v[0:1], 3, v[1:2]
	v_lshlrev_b64_e32 v[2:3], 3, v[3:4]
	v_lshlrev_b32_e32 v20, 3, v5
	s_cselect_b32 s33, -1, 0
	s_ashr_i32 s37, s36, 31
	s_wait_alu 0xfffe
	s_lshl_b64 s[38:39], s[38:39], 11
	s_lshl_b64 s[18:19], s[18:19], 3
	;; [unrolled: 1-line block ×7, first 2 shown]
	s_branch .LBB286_4
.LBB286_2:                              ;   in Loop: Header=BB286_4 Depth=1
	s_or_b32 exec_lo, exec_lo, s10
.LBB286_3:                              ;   in Loop: Header=BB286_4 Depth=1
	s_add_co_i32 s34, s34, 0x10000
	s_delay_alu instid0(SALU_CYCLE_1)
	s_cmp_lt_u32 s34, s11
	s_cbranch_scc0 .LBB286_44
.LBB286_4:                              ; =>This Loop Header: Depth=1
                                        ;     Child Loop BB286_18 Depth 2
	s_mul_u64 s[46:47], s[14:15], s[34:35]
	s_mul_u64 s[48:49], s[22:23], s[34:35]
	s_lshl_b64 s[46:47], s[46:47], 3
	s_lshl_b64 s[48:49], s[48:49], 3
	s_add_nc_u64 s[46:47], s[12:13], s[46:47]
	s_add_nc_u64 s[48:49], s[20:21], s[48:49]
	s_clause 0x1
	global_load_b64 v[6:7], v18, s[46:47]
	global_load_b64 v[4:5], v18, s[48:49]
	s_wait_loadcnt 0x1
	v_cmp_eq_f64_e64 s9, 0, v[6:7]
	s_wait_loadcnt 0x0
	v_cmp_eq_f64_e32 vcc_lo, 1.0, v[4:5]
	s_and_b32 s10, s9, vcc_lo
	s_delay_alu instid0(SALU_CYCLE_1)
	s_and_b32 vcc_lo, exec_lo, s10
	s_wait_alu 0xfffe
	s_cbranch_vccnz .LBB286_3
; %bb.5:                                ;   in Loop: Header=BB286_4 Depth=1
	v_cmp_neq_f64_e64 s10, 0, v[6:7]
	v_mov_b32_e32 v8, 0
	v_dual_mov_b32 v9, 0 :: v_dual_mov_b32 v10, 0
	v_mov_b32_e32 v11, 0
	s_and_b32 vcc_lo, exec_lo, s9
	s_wait_alu 0xfffe
	s_cbranch_vccnz .LBB286_7
; %bb.6:                                ;   in Loop: Header=BB286_4 Depth=1
	s_lshl_b64 s[46:47], s[34:35], 3
	s_delay_alu instid0(SALU_CYCLE_1)
	s_add_nc_u64 s[46:47], s[16:17], s[46:47]
	global_load_b64 v[10:11], v18, s[46:47]
	s_wait_loadcnt 0x0
	v_add_co_u32 v10, vcc_lo, v10, s18
	s_wait_alu 0xfffd
	v_add_co_ci_u32_e64 v11, null, s19, v11, vcc_lo
.LBB286_7:                              ;   in Loop: Header=BB286_4 Depth=1
	s_and_not1_b32 vcc_lo, exec_lo, s10
	s_wait_alu 0xfffe
	s_cbranch_vccnz .LBB286_9
; %bb.8:                                ;   in Loop: Header=BB286_4 Depth=1
	s_lshl_b64 s[46:47], s[34:35], 3
	s_delay_alu instid0(SALU_CYCLE_1)
	s_add_nc_u64 s[46:47], s[28:29], s[46:47]
	global_load_b64 v[8:9], v18, s[46:47]
	s_wait_loadcnt 0x0
	v_add_co_u32 v8, vcc_lo, v8, s30
	s_wait_alu 0xfffd
	v_add_co_ci_u32_e64 v9, null, s31, v9, vcc_lo
.LBB286_9:                              ;   in Loop: Header=BB286_4 Depth=1
	s_lshl_b64 s[46:47], s[34:35], 3
	s_delay_alu instid0(SALU_CYCLE_1)
	s_add_nc_u64 s[46:47], s[24:25], s[46:47]
	global_load_b64 v[12:13], v18, s[46:47]
	s_wait_loadcnt 0x0
	v_add_co_u32 v21, vcc_lo, v12, s26
	s_wait_alu 0xfffd
	v_add_co_ci_u32_e64 v22, null, s27, v13, vcc_lo
	s_and_not1_b32 vcc_lo, exec_lo, s9
	s_wait_alu 0xfffe
	s_cbranch_vccnz .LBB286_14
; %bb.10:                               ;   in Loop: Header=BB286_4 Depth=1
	s_mov_b32 s10, 0
	s_mov_b32 s9, 0
                                        ; implicit-def: $vgpr12_vgpr13
	s_and_saveexec_b32 s37, s0
	s_cbranch_execz .LBB286_15
; %bb.11:                               ;   in Loop: Header=BB286_4 Depth=1
	v_cmp_eq_f64_e32 vcc_lo, 0, v[4:5]
	v_mov_b32_e32 v12, 0
	v_mov_b32_e32 v13, 0
	s_cbranch_vccnz .LBB286_13
; %bb.12:                               ;   in Loop: Header=BB286_4 Depth=1
	v_add_co_u32 v12, vcc_lo, v21, s40
	s_wait_alu 0xfffd
	v_add_co_ci_u32_e64 v13, null, s41, v22, vcc_lo
	flat_load_b64 v[12:13], v[12:13]
	s_wait_loadcnt_dscnt 0x0
	v_mul_f64_e32 v[12:13], v[4:5], v[12:13]
.LBB286_13:                             ;   in Loop: Header=BB286_4 Depth=1
	s_mov_b32 s9, exec_lo
	s_wait_alu 0xfffe
	s_or_b32 exec_lo, exec_lo, s37
	s_delay_alu instid0(SALU_CYCLE_1)
	s_and_b32 vcc_lo, exec_lo, s10
	s_wait_alu 0xfffe
	s_cbranch_vccnz .LBB286_16
	s_branch .LBB286_42
.LBB286_14:                             ;   in Loop: Header=BB286_4 Depth=1
	s_mov_b32 s9, 0
                                        ; implicit-def: $vgpr12_vgpr13
	s_cbranch_execnz .LBB286_16
	s_branch .LBB286_42
.LBB286_15:                             ;   in Loop: Header=BB286_4 Depth=1
	s_wait_alu 0xfffe
	s_or_b32 exec_lo, exec_lo, s37
	s_delay_alu instid0(SALU_CYCLE_1)
	s_and_b32 vcc_lo, exec_lo, s10
	s_wait_alu 0xfffe
	s_cbranch_vccz .LBB286_42
.LBB286_16:                             ;   in Loop: Header=BB286_4 Depth=1
	v_add_co_u32 v12, vcc_lo, v10, v20
	s_wait_alu 0xfffd
	v_add_co_ci_u32_e64 v13, null, 0, v11, vcc_lo
	v_mov_b32_e32 v10, 0
	s_delay_alu instid0(VALU_DEP_3)
	v_add_co_u32 v12, vcc_lo, v12, s42
	v_mov_b32_e32 v11, 0
	s_wait_alu 0xfffd
	v_add_co_ci_u32_e64 v13, null, s43, v13, vcc_lo
	s_and_not1_b32 vcc_lo, exec_lo, s33
	s_wait_alu 0xfffe
	s_cbranch_vccnz .LBB286_19
; %bb.17:                               ;   in Loop: Header=BB286_4 Depth=1
	v_add_co_u32 v14, vcc_lo, v8, v0
	v_dual_mov_b32 v10, 0 :: v_dual_mov_b32 v17, v13
	s_wait_alu 0xfffd
	v_add_co_ci_u32_e64 v15, null, v9, v1, vcc_lo
	v_dual_mov_b32 v11, 0 :: v_dual_mov_b32 v16, v12
	s_mov_b32 s10, 0
.LBB286_18:                             ;   Parent Loop BB286_4 Depth=1
                                        ; =>  This Inner Loop Header: Depth=2
	flat_load_b64 v[23:24], v[16:17]
	flat_load_b64 v[25:26], v[14:15]
	v_add_co_u32 v14, vcc_lo, v14, s38
	s_wait_alu 0xfffd
	v_add_co_ci_u32_e64 v15, null, s39, v15, vcc_lo
	v_add_co_u32 v16, vcc_lo, 0x800, v16
	s_wait_alu 0xfffd
	v_add_co_ci_u32_e64 v17, null, 0, v17, vcc_lo
	s_addk_co_i32 s10, 0x100
	s_delay_alu instid0(SALU_CYCLE_1)
	s_cmp_ge_i32 s10, s36
	s_wait_loadcnt_dscnt 0x0
	v_fma_f64 v[10:11], v[23:24], v[25:26], v[10:11]
	s_cbranch_scc0 .LBB286_18
.LBB286_19:                             ;   in Loop: Header=BB286_4 Depth=1
	s_and_saveexec_b32 s10, s2
	s_cbranch_execz .LBB286_21
; %bb.20:                               ;   in Loop: Header=BB286_4 Depth=1
	v_add_co_u32 v12, vcc_lo, v12, s44
	s_wait_alu 0xfffd
	v_add_co_ci_u32_e64 v13, null, s45, v13, vcc_lo
	v_add_co_u32 v8, vcc_lo, v8, v2
	s_wait_alu 0xfffd
	v_add_co_ci_u32_e64 v9, null, v9, v3, vcc_lo
	flat_load_b64 v[12:13], v[12:13]
	flat_load_b64 v[8:9], v[8:9]
	s_wait_loadcnt_dscnt 0x0
	v_fma_f64 v[10:11], v[12:13], v[8:9], v[10:11]
.LBB286_21:                             ;   in Loop: Header=BB286_4 Depth=1
	s_or_b32 exec_lo, exec_lo, s10
	ds_store_b64 v19, v[10:11]
	s_wait_dscnt 0x0
	s_barrier_signal -1
	s_barrier_wait -1
	global_inv scope:SCOPE_SE
	s_and_saveexec_b32 s10, s1
	s_cbranch_execz .LBB286_23
; %bb.22:                               ;   in Loop: Header=BB286_4 Depth=1
	ds_load_2addr_stride64_b64 v[8:11], v19 offset1:2
	s_wait_dscnt 0x0
	v_add_f64_e32 v[8:9], v[10:11], v[8:9]
	ds_store_b64 v19, v[8:9]
.LBB286_23:                             ;   in Loop: Header=BB286_4 Depth=1
	s_or_b32 exec_lo, exec_lo, s10
	s_wait_loadcnt_dscnt 0x0
	s_barrier_signal -1
	s_barrier_wait -1
	global_inv scope:SCOPE_SE
	s_and_saveexec_b32 s10, s3
	s_cbranch_execz .LBB286_25
; %bb.24:                               ;   in Loop: Header=BB286_4 Depth=1
	ds_load_2addr_stride64_b64 v[8:11], v19 offset1:1
	s_wait_dscnt 0x0
	v_add_f64_e32 v[8:9], v[10:11], v[8:9]
	ds_store_b64 v19, v[8:9]
.LBB286_25:                             ;   in Loop: Header=BB286_4 Depth=1
	s_or_b32 exec_lo, exec_lo, s10
	s_wait_loadcnt_dscnt 0x0
	s_barrier_signal -1
	s_barrier_wait -1
	global_inv scope:SCOPE_SE
	s_and_saveexec_b32 s10, s4
	s_cbranch_execz .LBB286_27
; %bb.26:                               ;   in Loop: Header=BB286_4 Depth=1
	ds_load_2addr_b64 v[8:11], v19 offset1:32
	s_wait_dscnt 0x0
	v_add_f64_e32 v[8:9], v[10:11], v[8:9]
	ds_store_b64 v19, v[8:9]
.LBB286_27:                             ;   in Loop: Header=BB286_4 Depth=1
	s_or_b32 exec_lo, exec_lo, s10
	s_wait_loadcnt_dscnt 0x0
	s_barrier_signal -1
	s_barrier_wait -1
	global_inv scope:SCOPE_SE
	s_and_saveexec_b32 s10, s5
	s_cbranch_execz .LBB286_29
; %bb.28:                               ;   in Loop: Header=BB286_4 Depth=1
	ds_load_2addr_b64 v[8:11], v19 offset1:16
	s_wait_dscnt 0x0
	v_add_f64_e32 v[8:9], v[10:11], v[8:9]
	ds_store_b64 v19, v[8:9]
.LBB286_29:                             ;   in Loop: Header=BB286_4 Depth=1
	;; [unrolled: 13-line block ×5, first 2 shown]
	s_or_b32 exec_lo, exec_lo, s10
	s_wait_loadcnt_dscnt 0x0
	s_barrier_signal -1
	s_barrier_wait -1
	global_inv scope:SCOPE_SE
	s_and_saveexec_b32 s10, s0
	s_cbranch_execz .LBB286_37
; %bb.36:                               ;   in Loop: Header=BB286_4 Depth=1
	ds_load_b128 v[8:11], v18
	s_wait_dscnt 0x0
	v_add_f64_e32 v[8:9], v[10:11], v[8:9]
	ds_store_b64 v18, v[8:9]
.LBB286_37:                             ;   in Loop: Header=BB286_4 Depth=1
	s_or_b32 exec_lo, exec_lo, s10
	s_wait_loadcnt_dscnt 0x0
	s_barrier_signal -1
	s_barrier_wait -1
	global_inv scope:SCOPE_SE
                                        ; implicit-def: $vgpr12_vgpr13
	s_and_saveexec_b32 s10, s0
	s_cbranch_execz .LBB286_41
; %bb.38:                               ;   in Loop: Header=BB286_4 Depth=1
	ds_load_b64 v[8:9], v18
	v_cmp_eq_f64_e32 vcc_lo, 0, v[4:5]
	s_wait_dscnt 0x0
	v_mul_f64_e32 v[12:13], v[6:7], v[8:9]
	s_cbranch_vccnz .LBB286_40
; %bb.39:                               ;   in Loop: Header=BB286_4 Depth=1
	v_add_co_u32 v6, vcc_lo, v21, s40
	s_wait_alu 0xfffd
	v_add_co_ci_u32_e64 v7, null, s41, v22, vcc_lo
	flat_load_b64 v[6:7], v[6:7]
	s_wait_loadcnt_dscnt 0x0
	v_fma_f64 v[12:13], v[4:5], v[6:7], v[12:13]
.LBB286_40:                             ;   in Loop: Header=BB286_4 Depth=1
	s_or_b32 s9, s9, exec_lo
.LBB286_41:                             ;   in Loop: Header=BB286_4 Depth=1
	s_or_b32 exec_lo, exec_lo, s10
.LBB286_42:                             ;   in Loop: Header=BB286_4 Depth=1
	s_wait_alu 0xfffe
	s_and_saveexec_b32 s10, s9
	s_cbranch_execz .LBB286_2
; %bb.43:                               ;   in Loop: Header=BB286_4 Depth=1
	v_add_co_u32 v4, vcc_lo, v21, s40
	s_wait_alu 0xfffd
	v_add_co_ci_u32_e64 v5, null, s41, v22, vcc_lo
	flat_store_b64 v[4:5], v[12:13]
	s_branch .LBB286_2
.LBB286_44:
	s_endpgm
	.section	.rodata,"a",@progbits
	.p2align	6, 0x0
	.amdhsa_kernel _ZL20rocblas_gemvt_kernelILb1ELi256EPKdS1_KPdEviiT2_lPKT1_lilS7_lilS4_lPT3_lili
		.amdhsa_group_segment_fixed_size 2048
		.amdhsa_private_segment_fixed_size 0
		.amdhsa_kernarg_size 140
		.amdhsa_user_sgpr_count 2
		.amdhsa_user_sgpr_dispatch_ptr 0
		.amdhsa_user_sgpr_queue_ptr 0
		.amdhsa_user_sgpr_kernarg_segment_ptr 1
		.amdhsa_user_sgpr_dispatch_id 0
		.amdhsa_user_sgpr_private_segment_size 0
		.amdhsa_wavefront_size32 1
		.amdhsa_uses_dynamic_stack 0
		.amdhsa_enable_private_segment 0
		.amdhsa_system_sgpr_workgroup_id_x 1
		.amdhsa_system_sgpr_workgroup_id_y 0
		.amdhsa_system_sgpr_workgroup_id_z 1
		.amdhsa_system_sgpr_workgroup_info 0
		.amdhsa_system_vgpr_workitem_id 0
		.amdhsa_next_free_vgpr 27
		.amdhsa_next_free_sgpr 50
		.amdhsa_reserve_vcc 1
		.amdhsa_float_round_mode_32 0
		.amdhsa_float_round_mode_16_64 0
		.amdhsa_float_denorm_mode_32 3
		.amdhsa_float_denorm_mode_16_64 3
		.amdhsa_fp16_overflow 0
		.amdhsa_workgroup_processor_mode 1
		.amdhsa_memory_ordered 1
		.amdhsa_forward_progress 1
		.amdhsa_inst_pref_size 14
		.amdhsa_round_robin_scheduling 0
		.amdhsa_exception_fp_ieee_invalid_op 0
		.amdhsa_exception_fp_denorm_src 0
		.amdhsa_exception_fp_ieee_div_zero 0
		.amdhsa_exception_fp_ieee_overflow 0
		.amdhsa_exception_fp_ieee_underflow 0
		.amdhsa_exception_fp_ieee_inexact 0
		.amdhsa_exception_int_div_zero 0
	.end_amdhsa_kernel
	.section	.text._ZL20rocblas_gemvt_kernelILb1ELi256EPKdS1_KPdEviiT2_lPKT1_lilS7_lilS4_lPT3_lili,"axG",@progbits,_ZL20rocblas_gemvt_kernelILb1ELi256EPKdS1_KPdEviiT2_lPKT1_lilS7_lilS4_lPT3_lili,comdat
.Lfunc_end286:
	.size	_ZL20rocblas_gemvt_kernelILb1ELi256EPKdS1_KPdEviiT2_lPKT1_lilS7_lilS4_lPT3_lili, .Lfunc_end286-_ZL20rocblas_gemvt_kernelILb1ELi256EPKdS1_KPdEviiT2_lPKT1_lilS7_lilS4_lPT3_lili
                                        ; -- End function
	.set _ZL20rocblas_gemvt_kernelILb1ELi256EPKdS1_KPdEviiT2_lPKT1_lilS7_lilS4_lPT3_lili.num_vgpr, 27
	.set _ZL20rocblas_gemvt_kernelILb1ELi256EPKdS1_KPdEviiT2_lPKT1_lilS7_lilS4_lPT3_lili.num_agpr, 0
	.set _ZL20rocblas_gemvt_kernelILb1ELi256EPKdS1_KPdEviiT2_lPKT1_lilS7_lilS4_lPT3_lili.numbered_sgpr, 50
	.set _ZL20rocblas_gemvt_kernelILb1ELi256EPKdS1_KPdEviiT2_lPKT1_lilS7_lilS4_lPT3_lili.num_named_barrier, 0
	.set _ZL20rocblas_gemvt_kernelILb1ELi256EPKdS1_KPdEviiT2_lPKT1_lilS7_lilS4_lPT3_lili.private_seg_size, 0
	.set _ZL20rocblas_gemvt_kernelILb1ELi256EPKdS1_KPdEviiT2_lPKT1_lilS7_lilS4_lPT3_lili.uses_vcc, 1
	.set _ZL20rocblas_gemvt_kernelILb1ELi256EPKdS1_KPdEviiT2_lPKT1_lilS7_lilS4_lPT3_lili.uses_flat_scratch, 0
	.set _ZL20rocblas_gemvt_kernelILb1ELi256EPKdS1_KPdEviiT2_lPKT1_lilS7_lilS4_lPT3_lili.has_dyn_sized_stack, 0
	.set _ZL20rocblas_gemvt_kernelILb1ELi256EPKdS1_KPdEviiT2_lPKT1_lilS7_lilS4_lPT3_lili.has_recursion, 0
	.set _ZL20rocblas_gemvt_kernelILb1ELi256EPKdS1_KPdEviiT2_lPKT1_lilS7_lilS4_lPT3_lili.has_indirect_call, 0
	.section	.AMDGPU.csdata,"",@progbits
; Kernel info:
; codeLenInByte = 1716
; TotalNumSgprs: 52
; NumVgprs: 27
; ScratchSize: 0
; MemoryBound: 1
; FloatMode: 240
; IeeeMode: 1
; LDSByteSize: 2048 bytes/workgroup (compile time only)
; SGPRBlocks: 0
; VGPRBlocks: 3
; NumSGPRsForWavesPerEU: 52
; NumVGPRsForWavesPerEU: 27
; Occupancy: 16
; WaveLimiterHint : 1
; COMPUTE_PGM_RSRC2:SCRATCH_EN: 0
; COMPUTE_PGM_RSRC2:USER_SGPR: 2
; COMPUTE_PGM_RSRC2:TRAP_HANDLER: 0
; COMPUTE_PGM_RSRC2:TGID_X_EN: 1
; COMPUTE_PGM_RSRC2:TGID_Y_EN: 0
; COMPUTE_PGM_RSRC2:TGID_Z_EN: 1
; COMPUTE_PGM_RSRC2:TIDIG_COMP_CNT: 0
	.section	.text._ZL20rocblas_gemvt_kernelILb1ELi256EPKddKPdEviiT2_lPKT1_lilS7_lilS4_lPT3_lili,"axG",@progbits,_ZL20rocblas_gemvt_kernelILb1ELi256EPKddKPdEviiT2_lPKT1_lilS7_lilS4_lPT3_lili,comdat
	.globl	_ZL20rocblas_gemvt_kernelILb1ELi256EPKddKPdEviiT2_lPKT1_lilS7_lilS4_lPT3_lili ; -- Begin function _ZL20rocblas_gemvt_kernelILb1ELi256EPKddKPdEviiT2_lPKT1_lilS7_lilS4_lPT3_lili
	.p2align	8
	.type	_ZL20rocblas_gemvt_kernelILb1ELi256EPKddKPdEviiT2_lPKT1_lilS7_lilS4_lPT3_lili,@function
_ZL20rocblas_gemvt_kernelILb1ELi256EPKddKPdEviiT2_lPKT1_lilS7_lilS4_lPT3_lili: ; @_ZL20rocblas_gemvt_kernelILb1ELi256EPKddKPdEviiT2_lPKT1_lilS7_lilS4_lPT3_lili
; %bb.0:
	s_load_b32 s9, s[0:1], 0x88
	s_lshr_b32 s10, ttmp7, 16
	s_wait_kmcnt 0x0
	s_cmp_ge_u32 s10, s9
	s_cbranch_scc1 .LBB287_48
; %bb.1:
	s_clause 0x8
	s_load_b64 s[24:25], s[0:1], 0x58
	s_load_b64 s[26:27], s[0:1], 0x8
	s_load_b32 s29, s[0:1], 0x0
	s_load_b32 s34, s[0:1], 0x28
	s_load_b128 s[12:15], s[0:1], 0x18
	s_load_b32 s36, s[0:1], 0x48
	s_load_b128 s[16:19], s[0:1], 0x38
	;; [unrolled: 2-line block ×3, first 2 shown]
	s_ashr_i32 s31, ttmp9, 31
	s_mov_b32 s30, ttmp9
	v_cmp_eq_u32_e64 s0, 0, v0
	v_dual_mov_b32 v14, 0 :: v_dual_lshlrev_b32 v15, 3, v0
	v_cmp_gt_u32_e64 s1, 0x80, v0
	v_cmp_gt_u32_e64 s2, 64, v0
	;; [unrolled: 1-line block ×6, first 2 shown]
	s_wait_kmcnt 0x0
	v_cmp_neq_f64_e64 s41, s[24:25], 1.0
	v_cmp_neq_f64_e64 s42, s[26:27], 0
	v_cmp_eq_f64_e64 s33, s[26:27], 0
	v_cmp_neq_f64_e64 s40, s[24:25], 0
	s_ashr_i32 s8, s29, 31
	v_cmp_gt_i32_e32 vcc_lo, s29, v0
	s_lshr_b32 s8, s8, 24
	v_mad_co_i64_i32 v[1:2], null, s36, v0, 0
	s_add_co_i32 s8, s29, s8
	v_cndmask_b32_e32 v5, 0, v0, vcc_lo
	s_and_b32 s28, s8, 0xffffff00
	s_ashr_i32 s35, s34, 31
	s_wait_alu 0xfffe
	v_or_b32_e32 v6, s28, v0
	s_ashr_i32 s37, s36, 31
	s_ashr_i32 s39, s38, 31
	v_cmp_gt_u32_e64 s7, 2, v0
	v_lshlrev_b64_e32 v[0:1], 3, v[1:2]
	v_mad_co_i64_i32 v[3:4], null, s36, v6, 0
	v_lshlrev_b32_e32 v17, 3, v5
	v_cmp_gt_i32_e64 s8, s29, v6
	s_mul_u64 s[38:39], s[38:39], s[30:31]
	s_mul_u64 s[44:45], s[34:35], s[30:31]
	s_mov_b32 s11, 0
	v_lshlrev_b64_e32 v[2:3], 3, v[3:4]
	s_or_b32 s41, s42, s41
	s_cmp_gt_i32 s29, 0xff
	v_cndmask_b32_e64 v16, 0, 1, s42
	s_cselect_b32 s42, -1, 0
	s_ashr_i32 s29, s28, 31
	s_wait_alu 0xfffe
	s_lshl_b64 s[30:31], s[36:37], 11
	s_lshl_b64 s[14:15], s[14:15], 3
	;; [unrolled: 1-line block ×7, first 2 shown]
	s_branch .LBB287_4
.LBB287_2:                              ;   in Loop: Header=BB287_4 Depth=1
	s_wait_alu 0xfffe
	s_or_b32 exec_lo, exec_lo, s43
.LBB287_3:                              ;   in Loop: Header=BB287_4 Depth=1
	s_add_co_i32 s10, s10, 0x10000
	s_delay_alu instid0(SALU_CYCLE_1)
	s_cmp_lt_u32 s10, s9
	s_cbranch_scc0 .LBB287_48
.LBB287_4:                              ; =>This Loop Header: Depth=1
                                        ;     Child Loop BB287_22 Depth 2
	s_and_not1_b32 vcc_lo, exec_lo, s41
	s_wait_alu 0xfffe
	s_cbranch_vccnz .LBB287_3
; %bb.5:                                ;   in Loop: Header=BB287_4 Depth=1
	s_and_not1_b32 vcc_lo, exec_lo, s33
	s_wait_alu 0xfffe
	s_cbranch_vccnz .LBB287_7
; %bb.6:                                ;   in Loop: Header=BB287_4 Depth=1
	s_mov_b32 s29, 0
	s_branch .LBB287_8
.LBB287_7:                              ;   in Loop: Header=BB287_4 Depth=1
	s_mov_b32 s29, -1
.LBB287_8:                              ;   in Loop: Header=BB287_4 Depth=1
	v_mov_b32_e32 v4, 0
	v_dual_mov_b32 v5, 0 :: v_dual_mov_b32 v6, 0
	v_mov_b32_e32 v7, 0
	s_wait_alu 0xfffe
	s_and_not1_b32 vcc_lo, exec_lo, s29
	s_wait_alu 0xfffe
	s_cbranch_vccnz .LBB287_10
; %bb.9:                                ;   in Loop: Header=BB287_4 Depth=1
	s_lshl_b64 s[44:45], s[10:11], 3
	s_delay_alu instid0(SALU_CYCLE_1)
	s_add_nc_u64 s[44:45], s[12:13], s[44:45]
	global_load_b64 v[6:7], v14, s[44:45]
	s_wait_loadcnt 0x0
	v_add_co_u32 v6, vcc_lo, v6, s14
	s_wait_alu 0xfffd
	v_add_co_ci_u32_e64 v7, null, s15, v7, vcc_lo
.LBB287_10:                             ;   in Loop: Header=BB287_4 Depth=1
	v_cmp_ne_u32_e32 vcc_lo, 1, v16
	s_cbranch_vccnz .LBB287_12
; %bb.11:                               ;   in Loop: Header=BB287_4 Depth=1
	s_lshl_b64 s[44:45], s[10:11], 3
	s_delay_alu instid0(SALU_CYCLE_1)
	s_add_nc_u64 s[44:45], s[16:17], s[44:45]
	global_load_b64 v[4:5], v14, s[44:45]
	s_wait_loadcnt 0x0
	v_add_co_u32 v4, vcc_lo, v4, s18
	s_wait_alu 0xfffd
	v_add_co_ci_u32_e64 v5, null, s19, v5, vcc_lo
.LBB287_12:                             ;   in Loop: Header=BB287_4 Depth=1
	s_lshl_b64 s[44:45], s[10:11], 3
	s_delay_alu instid0(SALU_CYCLE_1)
	s_add_nc_u64 s[44:45], s[20:21], s[44:45]
	global_load_b64 v[8:9], v14, s[44:45]
	s_wait_loadcnt 0x0
	v_add_co_u32 v18, vcc_lo, v8, s22
	s_wait_alu 0xfffd
	v_add_co_ci_u32_e64 v19, null, s23, v9, vcc_lo
	s_and_not1_b32 vcc_lo, exec_lo, s33
	s_wait_alu 0xfffe
	s_cbranch_vccnz .LBB287_16
; %bb.13:                               ;   in Loop: Header=BB287_4 Depth=1
	s_mov_b32 s43, 0
	s_mov_b32 s29, 0
                                        ; implicit-def: $vgpr8_vgpr9
	s_and_saveexec_b32 s44, s0
	s_cbranch_execz .LBB287_17
; %bb.14:                               ;   in Loop: Header=BB287_4 Depth=1
	s_and_not1_b32 vcc_lo, exec_lo, s40
	s_wait_alu 0xfffe
	s_cbranch_vccnz .LBB287_18
; %bb.15:                               ;   in Loop: Header=BB287_4 Depth=1
	v_add_co_u32 v8, vcc_lo, v18, s34
	s_wait_alu 0xfffd
	v_add_co_ci_u32_e64 v9, null, s35, v19, vcc_lo
	flat_load_b64 v[8:9], v[8:9]
	s_wait_loadcnt_dscnt 0x0
	v_mul_f64_e32 v[8:9], s[24:25], v[8:9]
	s_branch .LBB287_19
.LBB287_16:                             ;   in Loop: Header=BB287_4 Depth=1
	s_mov_b32 s29, 0
                                        ; implicit-def: $vgpr8_vgpr9
	s_cbranch_execnz .LBB287_20
	s_branch .LBB287_46
.LBB287_17:                             ;   in Loop: Header=BB287_4 Depth=1
	s_or_b32 exec_lo, exec_lo, s44
	s_wait_alu 0xfffe
	s_and_b32 vcc_lo, exec_lo, s43
	s_wait_alu 0xfffe
	s_cbranch_vccnz .LBB287_20
	s_branch .LBB287_46
.LBB287_18:                             ;   in Loop: Header=BB287_4 Depth=1
	v_mov_b32_e32 v8, 0
	v_mov_b32_e32 v9, 0
.LBB287_19:                             ;   in Loop: Header=BB287_4 Depth=1
	s_mov_b32 s29, exec_lo
	s_or_b32 exec_lo, exec_lo, s44
	s_delay_alu instid0(SALU_CYCLE_1)
	s_and_b32 vcc_lo, exec_lo, s43
	s_wait_alu 0xfffe
	s_cbranch_vccz .LBB287_46
.LBB287_20:                             ;   in Loop: Header=BB287_4 Depth=1
	v_add_co_u32 v8, vcc_lo, v6, v17
	s_wait_alu 0xfffd
	v_add_co_ci_u32_e64 v9, null, 0, v7, vcc_lo
	v_mov_b32_e32 v6, 0
	s_delay_alu instid0(VALU_DEP_3)
	v_add_co_u32 v8, vcc_lo, v8, s36
	v_mov_b32_e32 v7, 0
	s_wait_alu 0xfffd
	v_add_co_ci_u32_e64 v9, null, s37, v9, vcc_lo
	s_and_not1_b32 vcc_lo, exec_lo, s42
	s_wait_alu 0xfffe
	s_cbranch_vccnz .LBB287_23
; %bb.21:                               ;   in Loop: Header=BB287_4 Depth=1
	v_add_co_u32 v10, vcc_lo, v4, v0
	v_dual_mov_b32 v6, 0 :: v_dual_mov_b32 v13, v9
	s_wait_alu 0xfffd
	v_add_co_ci_u32_e64 v11, null, v5, v1, vcc_lo
	v_dual_mov_b32 v7, 0 :: v_dual_mov_b32 v12, v8
	s_mov_b32 s43, 0
.LBB287_22:                             ;   Parent Loop BB287_4 Depth=1
                                        ; =>  This Inner Loop Header: Depth=2
	flat_load_b64 v[20:21], v[12:13]
	flat_load_b64 v[22:23], v[10:11]
	v_add_co_u32 v10, vcc_lo, v10, s30
	s_wait_alu 0xfffd
	v_add_co_ci_u32_e64 v11, null, s31, v11, vcc_lo
	v_add_co_u32 v12, vcc_lo, 0x800, v12
	s_wait_alu 0xfffd
	v_add_co_ci_u32_e64 v13, null, 0, v13, vcc_lo
	s_wait_alu 0xfffe
	s_addk_co_i32 s43, 0x100
	s_wait_alu 0xfffe
	s_cmp_ge_i32 s43, s28
	s_wait_loadcnt_dscnt 0x0
	v_fma_f64 v[6:7], v[20:21], v[22:23], v[6:7]
	s_cbranch_scc0 .LBB287_22
.LBB287_23:                             ;   in Loop: Header=BB287_4 Depth=1
	s_and_saveexec_b32 s43, s8
	s_cbranch_execz .LBB287_25
; %bb.24:                               ;   in Loop: Header=BB287_4 Depth=1
	v_add_co_u32 v8, vcc_lo, v8, s38
	s_wait_alu 0xfffd
	v_add_co_ci_u32_e64 v9, null, s39, v9, vcc_lo
	v_add_co_u32 v4, vcc_lo, v4, v2
	s_wait_alu 0xfffd
	v_add_co_ci_u32_e64 v5, null, v5, v3, vcc_lo
	flat_load_b64 v[8:9], v[8:9]
	flat_load_b64 v[4:5], v[4:5]
	s_wait_loadcnt_dscnt 0x0
	v_fma_f64 v[6:7], v[8:9], v[4:5], v[6:7]
.LBB287_25:                             ;   in Loop: Header=BB287_4 Depth=1
	s_wait_alu 0xfffe
	s_or_b32 exec_lo, exec_lo, s43
	ds_store_b64 v15, v[6:7]
	s_wait_dscnt 0x0
	s_barrier_signal -1
	s_barrier_wait -1
	global_inv scope:SCOPE_SE
	s_and_saveexec_b32 s43, s1
	s_cbranch_execz .LBB287_27
; %bb.26:                               ;   in Loop: Header=BB287_4 Depth=1
	ds_load_2addr_stride64_b64 v[4:7], v15 offset1:2
	s_wait_dscnt 0x0
	v_add_f64_e32 v[4:5], v[6:7], v[4:5]
	ds_store_b64 v15, v[4:5]
.LBB287_27:                             ;   in Loop: Header=BB287_4 Depth=1
	s_wait_alu 0xfffe
	s_or_b32 exec_lo, exec_lo, s43
	s_wait_loadcnt_dscnt 0x0
	s_barrier_signal -1
	s_barrier_wait -1
	global_inv scope:SCOPE_SE
	s_and_saveexec_b32 s43, s2
	s_cbranch_execz .LBB287_29
; %bb.28:                               ;   in Loop: Header=BB287_4 Depth=1
	ds_load_2addr_stride64_b64 v[4:7], v15 offset1:1
	s_wait_dscnt 0x0
	v_add_f64_e32 v[4:5], v[6:7], v[4:5]
	ds_store_b64 v15, v[4:5]
.LBB287_29:                             ;   in Loop: Header=BB287_4 Depth=1
	s_wait_alu 0xfffe
	s_or_b32 exec_lo, exec_lo, s43
	s_wait_loadcnt_dscnt 0x0
	s_barrier_signal -1
	s_barrier_wait -1
	global_inv scope:SCOPE_SE
	s_and_saveexec_b32 s43, s3
	s_cbranch_execz .LBB287_31
; %bb.30:                               ;   in Loop: Header=BB287_4 Depth=1
	ds_load_2addr_b64 v[4:7], v15 offset1:32
	s_wait_dscnt 0x0
	v_add_f64_e32 v[4:5], v[6:7], v[4:5]
	ds_store_b64 v15, v[4:5]
.LBB287_31:                             ;   in Loop: Header=BB287_4 Depth=1
	s_wait_alu 0xfffe
	s_or_b32 exec_lo, exec_lo, s43
	s_wait_loadcnt_dscnt 0x0
	s_barrier_signal -1
	s_barrier_wait -1
	global_inv scope:SCOPE_SE
	s_and_saveexec_b32 s43, s4
	s_cbranch_execz .LBB287_33
; %bb.32:                               ;   in Loop: Header=BB287_4 Depth=1
	ds_load_2addr_b64 v[4:7], v15 offset1:16
	s_wait_dscnt 0x0
	v_add_f64_e32 v[4:5], v[6:7], v[4:5]
	ds_store_b64 v15, v[4:5]
.LBB287_33:                             ;   in Loop: Header=BB287_4 Depth=1
	;; [unrolled: 14-line block ×5, first 2 shown]
	s_wait_alu 0xfffe
	s_or_b32 exec_lo, exec_lo, s43
	s_wait_loadcnt_dscnt 0x0
	s_barrier_signal -1
	s_barrier_wait -1
	global_inv scope:SCOPE_SE
	s_and_saveexec_b32 s43, s0
	s_cbranch_execz .LBB287_41
; %bb.40:                               ;   in Loop: Header=BB287_4 Depth=1
	ds_load_b128 v[4:7], v14
	s_wait_dscnt 0x0
	v_add_f64_e32 v[4:5], v[6:7], v[4:5]
	ds_store_b64 v14, v[4:5]
.LBB287_41:                             ;   in Loop: Header=BB287_4 Depth=1
	s_wait_alu 0xfffe
	s_or_b32 exec_lo, exec_lo, s43
	s_wait_loadcnt_dscnt 0x0
	s_barrier_signal -1
	s_barrier_wait -1
	global_inv scope:SCOPE_SE
                                        ; implicit-def: $vgpr8_vgpr9
	s_and_saveexec_b32 s43, s0
	s_cbranch_execz .LBB287_45
; %bb.42:                               ;   in Loop: Header=BB287_4 Depth=1
	ds_load_b64 v[4:5], v14
	s_and_not1_b32 vcc_lo, exec_lo, s40
	s_wait_dscnt 0x0
	v_mul_f64_e32 v[8:9], s[26:27], v[4:5]
	s_wait_alu 0xfffe
	s_cbranch_vccnz .LBB287_44
; %bb.43:                               ;   in Loop: Header=BB287_4 Depth=1
	v_add_co_u32 v4, vcc_lo, v18, s34
	s_wait_alu 0xfffd
	v_add_co_ci_u32_e64 v5, null, s35, v19, vcc_lo
	flat_load_b64 v[4:5], v[4:5]
	s_wait_loadcnt_dscnt 0x0
	v_fma_f64 v[8:9], s[24:25], v[4:5], v[8:9]
.LBB287_44:                             ;   in Loop: Header=BB287_4 Depth=1
	s_or_b32 s29, s29, exec_lo
.LBB287_45:                             ;   in Loop: Header=BB287_4 Depth=1
	s_wait_alu 0xfffe
	s_or_b32 exec_lo, exec_lo, s43
.LBB287_46:                             ;   in Loop: Header=BB287_4 Depth=1
	s_wait_alu 0xfffe
	s_and_saveexec_b32 s43, s29
	s_cbranch_execz .LBB287_2
; %bb.47:                               ;   in Loop: Header=BB287_4 Depth=1
	v_add_co_u32 v4, vcc_lo, v18, s34
	s_wait_alu 0xfffd
	v_add_co_ci_u32_e64 v5, null, s35, v19, vcc_lo
	flat_store_b64 v[4:5], v[8:9]
	s_branch .LBB287_2
.LBB287_48:
	s_endpgm
	.section	.rodata,"a",@progbits
	.p2align	6, 0x0
	.amdhsa_kernel _ZL20rocblas_gemvt_kernelILb1ELi256EPKddKPdEviiT2_lPKT1_lilS7_lilS4_lPT3_lili
		.amdhsa_group_segment_fixed_size 2048
		.amdhsa_private_segment_fixed_size 0
		.amdhsa_kernarg_size 140
		.amdhsa_user_sgpr_count 2
		.amdhsa_user_sgpr_dispatch_ptr 0
		.amdhsa_user_sgpr_queue_ptr 0
		.amdhsa_user_sgpr_kernarg_segment_ptr 1
		.amdhsa_user_sgpr_dispatch_id 0
		.amdhsa_user_sgpr_private_segment_size 0
		.amdhsa_wavefront_size32 1
		.amdhsa_uses_dynamic_stack 0
		.amdhsa_enable_private_segment 0
		.amdhsa_system_sgpr_workgroup_id_x 1
		.amdhsa_system_sgpr_workgroup_id_y 0
		.amdhsa_system_sgpr_workgroup_id_z 1
		.amdhsa_system_sgpr_workgroup_info 0
		.amdhsa_system_vgpr_workitem_id 0
		.amdhsa_next_free_vgpr 24
		.amdhsa_next_free_sgpr 46
		.amdhsa_reserve_vcc 1
		.amdhsa_float_round_mode_32 0
		.amdhsa_float_round_mode_16_64 0
		.amdhsa_float_denorm_mode_32 3
		.amdhsa_float_denorm_mode_16_64 3
		.amdhsa_fp16_overflow 0
		.amdhsa_workgroup_processor_mode 1
		.amdhsa_memory_ordered 1
		.amdhsa_forward_progress 1
		.amdhsa_inst_pref_size 14
		.amdhsa_round_robin_scheduling 0
		.amdhsa_exception_fp_ieee_invalid_op 0
		.amdhsa_exception_fp_denorm_src 0
		.amdhsa_exception_fp_ieee_div_zero 0
		.amdhsa_exception_fp_ieee_overflow 0
		.amdhsa_exception_fp_ieee_underflow 0
		.amdhsa_exception_fp_ieee_inexact 0
		.amdhsa_exception_int_div_zero 0
	.end_amdhsa_kernel
	.section	.text._ZL20rocblas_gemvt_kernelILb1ELi256EPKddKPdEviiT2_lPKT1_lilS7_lilS4_lPT3_lili,"axG",@progbits,_ZL20rocblas_gemvt_kernelILb1ELi256EPKddKPdEviiT2_lPKT1_lilS7_lilS4_lPT3_lili,comdat
.Lfunc_end287:
	.size	_ZL20rocblas_gemvt_kernelILb1ELi256EPKddKPdEviiT2_lPKT1_lilS7_lilS4_lPT3_lili, .Lfunc_end287-_ZL20rocblas_gemvt_kernelILb1ELi256EPKddKPdEviiT2_lPKT1_lilS7_lilS4_lPT3_lili
                                        ; -- End function
	.set _ZL20rocblas_gemvt_kernelILb1ELi256EPKddKPdEviiT2_lPKT1_lilS7_lilS4_lPT3_lili.num_vgpr, 24
	.set _ZL20rocblas_gemvt_kernelILb1ELi256EPKddKPdEviiT2_lPKT1_lilS7_lilS4_lPT3_lili.num_agpr, 0
	.set _ZL20rocblas_gemvt_kernelILb1ELi256EPKddKPdEviiT2_lPKT1_lilS7_lilS4_lPT3_lili.numbered_sgpr, 46
	.set _ZL20rocblas_gemvt_kernelILb1ELi256EPKddKPdEviiT2_lPKT1_lilS7_lilS4_lPT3_lili.num_named_barrier, 0
	.set _ZL20rocblas_gemvt_kernelILb1ELi256EPKddKPdEviiT2_lPKT1_lilS7_lilS4_lPT3_lili.private_seg_size, 0
	.set _ZL20rocblas_gemvt_kernelILb1ELi256EPKddKPdEviiT2_lPKT1_lilS7_lilS4_lPT3_lili.uses_vcc, 1
	.set _ZL20rocblas_gemvt_kernelILb1ELi256EPKddKPdEviiT2_lPKT1_lilS7_lilS4_lPT3_lili.uses_flat_scratch, 0
	.set _ZL20rocblas_gemvt_kernelILb1ELi256EPKddKPdEviiT2_lPKT1_lilS7_lilS4_lPT3_lili.has_dyn_sized_stack, 0
	.set _ZL20rocblas_gemvt_kernelILb1ELi256EPKddKPdEviiT2_lPKT1_lilS7_lilS4_lPT3_lili.has_recursion, 0
	.set _ZL20rocblas_gemvt_kernelILb1ELi256EPKddKPdEviiT2_lPKT1_lilS7_lilS4_lPT3_lili.has_indirect_call, 0
	.section	.AMDGPU.csdata,"",@progbits
; Kernel info:
; codeLenInByte = 1764
; TotalNumSgprs: 48
; NumVgprs: 24
; ScratchSize: 0
; MemoryBound: 1
; FloatMode: 240
; IeeeMode: 1
; LDSByteSize: 2048 bytes/workgroup (compile time only)
; SGPRBlocks: 0
; VGPRBlocks: 2
; NumSGPRsForWavesPerEU: 48
; NumVGPRsForWavesPerEU: 24
; Occupancy: 16
; WaveLimiterHint : 1
; COMPUTE_PGM_RSRC2:SCRATCH_EN: 0
; COMPUTE_PGM_RSRC2:USER_SGPR: 2
; COMPUTE_PGM_RSRC2:TRAP_HANDLER: 0
; COMPUTE_PGM_RSRC2:TGID_X_EN: 1
; COMPUTE_PGM_RSRC2:TGID_Y_EN: 0
; COMPUTE_PGM_RSRC2:TGID_Z_EN: 1
; COMPUTE_PGM_RSRC2:TIDIG_COMP_CNT: 0
	.section	.text._ZL32rocblas_gemvt_warp_reduce_kernelILb1ELi1024EiPKdS1_KPdEviiT3_lPKT2_lT1_lS7_lS8_lS4_lPT4_lS8_li,"axG",@progbits,_ZL32rocblas_gemvt_warp_reduce_kernelILb1ELi1024EiPKdS1_KPdEviiT3_lPKT2_lT1_lS7_lS8_lS4_lPT4_lS8_li,comdat
	.globl	_ZL32rocblas_gemvt_warp_reduce_kernelILb1ELi1024EiPKdS1_KPdEviiT3_lPKT2_lT1_lS7_lS8_lS4_lPT4_lS8_li ; -- Begin function _ZL32rocblas_gemvt_warp_reduce_kernelILb1ELi1024EiPKdS1_KPdEviiT3_lPKT2_lT1_lS7_lS8_lS4_lPT4_lS8_li
	.p2align	8
	.type	_ZL32rocblas_gemvt_warp_reduce_kernelILb1ELi1024EiPKdS1_KPdEviiT3_lPKT2_lT1_lS7_lS8_lS4_lPT4_lS8_li,@function
_ZL32rocblas_gemvt_warp_reduce_kernelILb1ELi1024EiPKdS1_KPdEviiT3_lPKT2_lT1_lS7_lS8_lS4_lPT4_lS8_li: ; @_ZL32rocblas_gemvt_warp_reduce_kernelILb1ELi1024EiPKdS1_KPdEviiT3_lPKT2_lT1_lS7_lS8_lS4_lPT4_lS8_li
; %bb.0:
	s_load_b32 s7, s[0:1], 0x88
	s_lshr_b32 s28, ttmp7, 16
	s_wait_kmcnt 0x0
	s_cmp_ge_u32 s28, s7
	s_cbranch_scc1 .LBB288_37
; %bb.1:
	s_clause 0x6
	s_load_b32 s4, s[0:1], 0x0
	s_load_b32 s3, s[0:1], 0x78
	s_load_b256 s[8:15], s[0:1], 0x8
	s_load_b32 s5, s[0:1], 0x28
	s_load_b128 s[24:27], s[0:1], 0x38
	s_load_b32 s6, s[0:1], 0x48
	s_load_b256 s[16:23], s[0:1], 0x58
	v_lshrrev_b32_e32 v3, 2, v0
	v_dual_mov_b32 v1, 0 :: v_dual_and_b32 v2, 31, v0
	v_mbcnt_lo_u32_b32 v22, -1, 0
	v_cmp_eq_u32_e64 s0, 0, v0
	s_delay_alu instid0(VALU_DEP_4)
	v_and_b32_e32 v20, 0xf8, v3
	v_cmp_gt_u32_e64 s1, 32, v0
	s_mov_b32 s29, 0
	v_lshl_or_b32 v24, v22, 2, 64
	s_wait_kmcnt 0x0
	s_ashr_i32 s2, s4, 31
	v_cmp_gt_i32_e32 vcc_lo, s4, v0
	s_lshr_b32 s2, s2, 22
	v_lshlrev_b32_e32 v19, 3, v2
	s_add_co_i32 s30, s4, s2
	v_cmp_eq_u32_e64 s2, 0, v2
	s_and_b32 s30, s30, 0xfffffc00
	v_cndmask_b32_e32 v4, 0, v0, vcc_lo
	v_or_b32_e32 v3, s30, v0
	v_mul_lo_u32 v21, v0, s6
	s_mul_i32 s34, s3, ttmp9
	s_mul_i32 s36, s5, ttmp9
	v_lshlrev_b32_e32 v23, 3, v4
	v_mul_lo_u32 v2, s6, v3
	v_cmp_gt_i32_e64 s4, s4, v3
	v_cmp_gt_i32_e64 s3, s30, v0
	s_ashr_i32 s35, s34, 31
	s_ashr_i32 s37, s36, 31
	;; [unrolled: 1-line block ×3, first 2 shown]
	s_lshl_b32 s33, s6, 10
	s_lshl_b64 s[14:15], s[14:15], 3
	v_ashrrev_i32_e32 v3, 31, v2
	s_lshl_b64 s[26:27], s[26:27], 3
	s_lshl_b64 s[22:23], s[22:23], 3
	;; [unrolled: 1-line block ×4, first 2 shown]
	v_lshlrev_b64_e32 v[3:4], 3, v[2:3]
	s_wait_alu 0xfffe
	s_lshl_b64 s[38:39], s[30:31], 3
	s_branch .LBB288_4
.LBB288_2:                              ;   in Loop: Header=BB288_4 Depth=1
	s_wait_alu 0xfffe
	s_or_b32 exec_lo, exec_lo, s5
.LBB288_3:                              ;   in Loop: Header=BB288_4 Depth=1
	s_add_co_i32 s28, s28, 0x10000
	s_delay_alu instid0(SALU_CYCLE_1)
	s_cmp_lt_u32 s28, s7
	s_cbranch_scc0 .LBB288_37
.LBB288_4:                              ; =>This Loop Header: Depth=1
                                        ;     Child Loop BB288_26 Depth 2
	s_mul_u64 s[40:41], s[10:11], s[28:29]
	s_mul_u64 s[42:43], s[18:19], s[28:29]
	s_lshl_b64 s[40:41], s[40:41], 3
	s_lshl_b64 s[42:43], s[42:43], 3
	s_add_nc_u64 s[40:41], s[8:9], s[40:41]
	s_add_nc_u64 s[42:43], s[16:17], s[42:43]
	s_clause 0x1
	global_load_b64 v[7:8], v1, s[40:41]
	global_load_b64 v[5:6], v1, s[42:43]
	s_wait_loadcnt 0x1
	v_cmp_eq_f64_e64 s5, 0, v[7:8]
	s_wait_loadcnt 0x0
	v_cmp_eq_f64_e32 vcc_lo, 1.0, v[5:6]
	s_and_b32 s6, s5, vcc_lo
	s_wait_alu 0xfffe
	s_and_b32 vcc_lo, exec_lo, s6
	s_wait_alu 0xfffe
	s_cbranch_vccnz .LBB288_3
; %bb.5:                                ;   in Loop: Header=BB288_4 Depth=1
	v_cmp_neq_f64_e64 s6, 0, v[7:8]
	s_wait_dscnt 0x0
	v_mov_b32_e32 v9, 0
	v_dual_mov_b32 v10, 0 :: v_dual_mov_b32 v11, 0
	v_mov_b32_e32 v12, 0
	s_and_b32 vcc_lo, exec_lo, s5
	s_wait_alu 0xfffe
	s_cbranch_vccnz .LBB288_7
; %bb.6:                                ;   in Loop: Header=BB288_4 Depth=1
	s_lshl_b64 s[40:41], s[28:29], 3
	s_delay_alu instid0(SALU_CYCLE_1)
	s_add_nc_u64 s[40:41], s[12:13], s[40:41]
	global_load_b64 v[11:12], v1, s[40:41]
	s_wait_loadcnt 0x0
	v_add_co_u32 v11, vcc_lo, v11, s14
	s_wait_alu 0xfffd
	v_add_co_ci_u32_e64 v12, null, s15, v12, vcc_lo
.LBB288_7:                              ;   in Loop: Header=BB288_4 Depth=1
	s_and_not1_b32 vcc_lo, exec_lo, s6
	s_wait_alu 0xfffe
	s_cbranch_vccnz .LBB288_9
; %bb.8:                                ;   in Loop: Header=BB288_4 Depth=1
	s_lshl_b64 s[40:41], s[28:29], 3
	s_delay_alu instid0(SALU_CYCLE_1)
	s_add_nc_u64 s[40:41], s[24:25], s[40:41]
	global_load_b64 v[9:10], v1, s[40:41]
	s_wait_loadcnt 0x0
	v_add_co_u32 v9, vcc_lo, v9, s26
	s_wait_alu 0xfffd
	v_add_co_ci_u32_e64 v10, null, s27, v10, vcc_lo
.LBB288_9:                              ;   in Loop: Header=BB288_4 Depth=1
	s_lshl_b64 s[40:41], s[28:29], 3
	s_delay_alu instid0(SALU_CYCLE_1)
	s_add_nc_u64 s[40:41], s[20:21], s[40:41]
	global_load_b64 v[13:14], v1, s[40:41]
	s_wait_loadcnt 0x0
	v_add_co_u32 v25, vcc_lo, v13, s22
	s_wait_alu 0xfffd
	v_add_co_ci_u32_e64 v26, null, s23, v14, vcc_lo
	s_and_not1_b32 vcc_lo, exec_lo, s5
	s_wait_alu 0xfffe
	s_cbranch_vccnz .LBB288_14
; %bb.10:                               ;   in Loop: Header=BB288_4 Depth=1
	s_mov_b32 s5, 0
	s_mov_b32 s6, 0
                                        ; implicit-def: $vgpr13_vgpr14
	s_and_saveexec_b32 s31, s0
	s_cbranch_execz .LBB288_15
; %bb.11:                               ;   in Loop: Header=BB288_4 Depth=1
	v_cmp_eq_f64_e32 vcc_lo, 0, v[5:6]
	v_mov_b32_e32 v13, 0
	v_mov_b32_e32 v14, 0
	s_cbranch_vccnz .LBB288_13
; %bb.12:                               ;   in Loop: Header=BB288_4 Depth=1
	v_add_co_u32 v13, vcc_lo, v25, s34
	s_wait_alu 0xfffd
	v_add_co_ci_u32_e64 v14, null, s35, v26, vcc_lo
	flat_load_b64 v[13:14], v[13:14]
	s_wait_loadcnt_dscnt 0x0
	v_mul_f64_e32 v[13:14], v[5:6], v[13:14]
.LBB288_13:                             ;   in Loop: Header=BB288_4 Depth=1
	s_mov_b32 s6, exec_lo
	s_wait_alu 0xfffe
	s_or_b32 exec_lo, exec_lo, s31
	s_delay_alu instid0(SALU_CYCLE_1)
	s_and_b32 vcc_lo, exec_lo, s5
	s_wait_alu 0xfffe
	s_cbranch_vccnz .LBB288_16
	s_branch .LBB288_35
.LBB288_14:                             ;   in Loop: Header=BB288_4 Depth=1
	s_mov_b32 s6, 0
                                        ; implicit-def: $vgpr13_vgpr14
	s_cbranch_execnz .LBB288_16
	s_branch .LBB288_35
.LBB288_15:                             ;   in Loop: Header=BB288_4 Depth=1
	s_wait_alu 0xfffe
	s_or_b32 exec_lo, exec_lo, s31
	s_delay_alu instid0(SALU_CYCLE_1)
	s_and_b32 vcc_lo, exec_lo, s5
	s_wait_alu 0xfffe
	s_cbranch_vccz .LBB288_35
.LBB288_16:                             ;   in Loop: Header=BB288_4 Depth=1
	v_add_co_u32 v2, vcc_lo, v11, v23
	s_wait_alu 0xfffd
	v_add_co_ci_u32_e64 v14, null, 0, v12, vcc_lo
	v_mov_b32_e32 v11, 0
	s_delay_alu instid0(VALU_DEP_3)
	v_add_co_u32 v13, vcc_lo, v2, s36
	v_mov_b32_e32 v12, 0
	s_wait_alu 0xfffd
	v_add_co_ci_u32_e64 v14, null, s37, v14, vcc_lo
	s_and_saveexec_b32 s31, s3
	s_cbranch_execnz .LBB288_25
; %bb.17:                               ;   in Loop: Header=BB288_4 Depth=1
	s_wait_alu 0xfffe
	s_or_b32 exec_lo, exec_lo, s31
	s_and_saveexec_b32 s5, s4
	s_cbranch_execnz .LBB288_28
.LBB288_18:                             ;   in Loop: Header=BB288_4 Depth=1
	s_wait_alu 0xfffe
	s_or_b32 exec_lo, exec_lo, s5
	s_and_saveexec_b32 s5, s1
.LBB288_19:                             ;   in Loop: Header=BB288_4 Depth=1
	v_mov_b32_e32 v2, v1
	ds_store_b64 v19, v[1:2]
.LBB288_20:                             ;   in Loop: Header=BB288_4 Depth=1
	s_wait_alu 0xfffe
	s_or_b32 exec_lo, exec_lo, s5
	ds_bpermute_b32 v9, v24, v11
	ds_bpermute_b32 v10, v24, v12
	v_cmp_gt_u32_e32 vcc_lo, 24, v22
	s_wait_dscnt 0x0
	s_barrier_signal -1
	s_barrier_wait -1
	global_inv scope:SCOPE_SE
	s_wait_alu 0xfffd
	v_cndmask_b32_e64 v2, 0, 8, vcc_lo
	v_cmp_gt_u32_e32 vcc_lo, 28, v22
	s_delay_alu instid0(VALU_DEP_2)
	v_add_lshl_u32 v2, v2, v22, 2
	v_add_f64_e32 v[9:10], v[11:12], v[9:10]
	ds_bpermute_b32 v11, v2, v9
	ds_bpermute_b32 v12, v2, v10
	s_wait_dscnt 0x0
	v_add_f64_e32 v[9:10], v[9:10], v[11:12]
	s_wait_alu 0xfffd
	v_cndmask_b32_e64 v11, 0, 4, vcc_lo
	v_cmp_gt_u32_e32 vcc_lo, 30, v22
	s_delay_alu instid0(VALU_DEP_2)
	v_add_lshl_u32 v13, v11, v22, 2
	ds_bpermute_b32 v11, v13, v9
	ds_bpermute_b32 v12, v13, v10
	s_wait_dscnt 0x0
	v_add_f64_e32 v[9:10], v[9:10], v[11:12]
	s_wait_alu 0xfffd
	v_cndmask_b32_e64 v11, 0, 2, vcc_lo
	v_cmp_ne_u32_e32 vcc_lo, 31, v22
	s_delay_alu instid0(VALU_DEP_2)
	v_add_lshl_u32 v14, v11, v22, 2
	ds_bpermute_b32 v11, v14, v9
	ds_bpermute_b32 v12, v14, v10
	s_wait_dscnt 0x0
	v_add_f64_e32 v[9:10], v[9:10], v[11:12]
	s_wait_alu 0xfffd
	v_add_co_ci_u32_e64 v11, null, 0, v22, vcc_lo
	s_delay_alu instid0(VALU_DEP_1)
	v_lshlrev_b32_e32 v15, 2, v11
	ds_bpermute_b32 v11, v15, v9
	ds_bpermute_b32 v12, v15, v10
	s_and_saveexec_b32 s5, s2
	s_cbranch_execz .LBB288_22
; %bb.21:                               ;   in Loop: Header=BB288_4 Depth=1
	s_wait_dscnt 0x0
	v_add_f64_e32 v[9:10], v[9:10], v[11:12]
	ds_store_b64 v20, v[9:10]
.LBB288_22:                             ;   in Loop: Header=BB288_4 Depth=1
	s_wait_alu 0xfffe
	s_or_b32 exec_lo, exec_lo, s5
	v_mov_b32_e32 v9, 0
	v_mov_b32_e32 v10, 0
	s_wait_loadcnt_dscnt 0x0
	s_barrier_signal -1
	s_barrier_wait -1
	global_inv scope:SCOPE_SE
	s_and_saveexec_b32 s5, s1
	s_cbranch_execnz .LBB288_29
; %bb.23:                               ;   in Loop: Header=BB288_4 Depth=1
	s_wait_alu 0xfffe
	s_or_b32 exec_lo, exec_lo, s5
	s_and_saveexec_b32 s5, s1
	s_cbranch_execnz .LBB288_30
.LBB288_24:                             ;   in Loop: Header=BB288_4 Depth=1
	s_wait_alu 0xfffe
	s_or_b32 exec_lo, exec_lo, s5
                                        ; implicit-def: $vgpr13_vgpr14
	s_and_saveexec_b32 s5, s0
	s_cbranch_execnz .LBB288_31
	s_branch .LBB288_34
.LBB288_25:                             ;   in Loop: Header=BB288_4 Depth=1
	v_dual_mov_b32 v11, 0 :: v_dual_mov_b32 v16, v14
	v_dual_mov_b32 v12, 0 :: v_dual_mov_b32 v15, v13
	;; [unrolled: 1-line block ×3, first 2 shown]
	s_mov_b32 s40, 0
.LBB288_26:                             ;   Parent Loop BB288_4 Depth=1
                                        ; =>  This Inner Loop Header: Depth=2
	s_delay_alu instid0(VALU_DEP_1) | instskip(NEXT) | instid1(VALU_DEP_2)
	v_ashrrev_i32_e32 v18, 31, v17
	v_add_nc_u32_e32 v2, 0x400, v2
	s_delay_alu instid0(VALU_DEP_2) | instskip(NEXT) | instid1(VALU_DEP_2)
	v_lshlrev_b64_e32 v[27:28], 3, v[17:18]
	v_cmp_le_i32_e64 s5, s30, v2
	v_add_nc_u32_e32 v17, s33, v17
	s_or_b32 s40, s5, s40
	v_add_co_u32 v27, vcc_lo, v9, v27
	s_wait_alu 0xfffd
	v_add_co_ci_u32_e64 v28, null, v10, v28, vcc_lo
	flat_load_b64 v[29:30], v[15:16]
	flat_load_b64 v[27:28], v[27:28]
	v_add_co_u32 v15, vcc_lo, 0x2000, v15
	s_wait_alu 0xfffd
	v_add_co_ci_u32_e64 v16, null, 0, v16, vcc_lo
	s_wait_loadcnt_dscnt 0x0
	v_fma_f64 v[11:12], v[29:30], v[27:28], v[11:12]
	s_and_not1_b32 exec_lo, exec_lo, s40
	s_cbranch_execnz .LBB288_26
; %bb.27:                               ;   in Loop: Header=BB288_4 Depth=1
	s_or_b32 exec_lo, exec_lo, s40
	s_wait_alu 0xfffe
	s_or_b32 exec_lo, exec_lo, s31
	s_and_saveexec_b32 s5, s4
	s_cbranch_execz .LBB288_18
.LBB288_28:                             ;   in Loop: Header=BB288_4 Depth=1
	v_add_co_u32 v13, vcc_lo, v13, s38
	s_wait_alu 0xfffd
	v_add_co_ci_u32_e64 v14, null, s39, v14, vcc_lo
	v_add_co_u32 v9, vcc_lo, v9, v3
	s_wait_alu 0xfffd
	v_add_co_ci_u32_e64 v10, null, v10, v4, vcc_lo
	flat_load_b64 v[13:14], v[13:14]
	flat_load_b64 v[9:10], v[9:10]
	s_wait_loadcnt_dscnt 0x0
	v_fma_f64 v[11:12], v[13:14], v[9:10], v[11:12]
	s_wait_alu 0xfffe
	s_or_b32 exec_lo, exec_lo, s5
	s_and_saveexec_b32 s5, s1
	s_cbranch_execnz .LBB288_19
	s_branch .LBB288_20
.LBB288_29:                             ;   in Loop: Header=BB288_4 Depth=1
	ds_load_b64 v[9:10], v19
	s_wait_alu 0xfffe
	s_or_b32 exec_lo, exec_lo, s5
	s_and_saveexec_b32 s5, s1
	s_cbranch_execz .LBB288_24
.LBB288_30:                             ;   in Loop: Header=BB288_4 Depth=1
	s_wait_dscnt 0x0
	ds_bpermute_b32 v11, v24, v9
	ds_bpermute_b32 v12, v24, v10
	s_wait_dscnt 0x0
	v_add_f64_e32 v[9:10], v[9:10], v[11:12]
	ds_bpermute_b32 v11, v2, v9
	ds_bpermute_b32 v12, v2, v10
	s_wait_dscnt 0x0
	v_add_f64_e32 v[9:10], v[9:10], v[11:12]
	;; [unrolled: 4-line block ×5, first 2 shown]
	s_wait_alu 0xfffe
	s_or_b32 exec_lo, exec_lo, s5
                                        ; implicit-def: $vgpr13_vgpr14
	s_and_saveexec_b32 s5, s0
	s_cbranch_execz .LBB288_34
.LBB288_31:                             ;   in Loop: Header=BB288_4 Depth=1
	v_cmp_eq_f64_e32 vcc_lo, 0, v[5:6]
	s_wait_dscnt 0x0
	s_delay_alu instid0(VALU_DEP_2)
	v_mul_f64_e32 v[13:14], v[7:8], v[9:10]
	s_cbranch_vccnz .LBB288_33
; %bb.32:                               ;   in Loop: Header=BB288_4 Depth=1
	v_add_co_u32 v7, vcc_lo, v25, s34
	s_wait_alu 0xfffd
	v_add_co_ci_u32_e64 v8, null, s35, v26, vcc_lo
	flat_load_b64 v[7:8], v[7:8]
	s_wait_loadcnt_dscnt 0x0
	v_fma_f64 v[13:14], v[5:6], v[7:8], v[13:14]
.LBB288_33:                             ;   in Loop: Header=BB288_4 Depth=1
	s_or_b32 s6, s6, exec_lo
.LBB288_34:                             ;   in Loop: Header=BB288_4 Depth=1
	s_wait_alu 0xfffe
	s_or_b32 exec_lo, exec_lo, s5
.LBB288_35:                             ;   in Loop: Header=BB288_4 Depth=1
	s_wait_alu 0xfffe
	s_and_saveexec_b32 s5, s6
	s_cbranch_execz .LBB288_2
; %bb.36:                               ;   in Loop: Header=BB288_4 Depth=1
	v_add_co_u32 v5, vcc_lo, v25, s34
	s_wait_alu 0xfffd
	v_add_co_ci_u32_e64 v6, null, s35, v26, vcc_lo
	flat_store_b64 v[5:6], v[13:14]
	s_branch .LBB288_2
.LBB288_37:
	s_endpgm
	.section	.rodata,"a",@progbits
	.p2align	6, 0x0
	.amdhsa_kernel _ZL32rocblas_gemvt_warp_reduce_kernelILb1ELi1024EiPKdS1_KPdEviiT3_lPKT2_lT1_lS7_lS8_lS4_lPT4_lS8_li
		.amdhsa_group_segment_fixed_size 256
		.amdhsa_private_segment_fixed_size 0
		.amdhsa_kernarg_size 140
		.amdhsa_user_sgpr_count 2
		.amdhsa_user_sgpr_dispatch_ptr 0
		.amdhsa_user_sgpr_queue_ptr 0
		.amdhsa_user_sgpr_kernarg_segment_ptr 1
		.amdhsa_user_sgpr_dispatch_id 0
		.amdhsa_user_sgpr_private_segment_size 0
		.amdhsa_wavefront_size32 1
		.amdhsa_uses_dynamic_stack 0
		.amdhsa_enable_private_segment 0
		.amdhsa_system_sgpr_workgroup_id_x 1
		.amdhsa_system_sgpr_workgroup_id_y 0
		.amdhsa_system_sgpr_workgroup_id_z 1
		.amdhsa_system_sgpr_workgroup_info 0
		.amdhsa_system_vgpr_workitem_id 0
		.amdhsa_next_free_vgpr 31
		.amdhsa_next_free_sgpr 44
		.amdhsa_reserve_vcc 1
		.amdhsa_float_round_mode_32 0
		.amdhsa_float_round_mode_16_64 0
		.amdhsa_float_denorm_mode_32 3
		.amdhsa_float_denorm_mode_16_64 3
		.amdhsa_fp16_overflow 0
		.amdhsa_workgroup_processor_mode 1
		.amdhsa_memory_ordered 1
		.amdhsa_forward_progress 1
		.amdhsa_inst_pref_size 14
		.amdhsa_round_robin_scheduling 0
		.amdhsa_exception_fp_ieee_invalid_op 0
		.amdhsa_exception_fp_denorm_src 0
		.amdhsa_exception_fp_ieee_div_zero 0
		.amdhsa_exception_fp_ieee_overflow 0
		.amdhsa_exception_fp_ieee_underflow 0
		.amdhsa_exception_fp_ieee_inexact 0
		.amdhsa_exception_int_div_zero 0
	.end_amdhsa_kernel
	.section	.text._ZL32rocblas_gemvt_warp_reduce_kernelILb1ELi1024EiPKdS1_KPdEviiT3_lPKT2_lT1_lS7_lS8_lS4_lPT4_lS8_li,"axG",@progbits,_ZL32rocblas_gemvt_warp_reduce_kernelILb1ELi1024EiPKdS1_KPdEviiT3_lPKT2_lT1_lS7_lS8_lS4_lPT4_lS8_li,comdat
.Lfunc_end288:
	.size	_ZL32rocblas_gemvt_warp_reduce_kernelILb1ELi1024EiPKdS1_KPdEviiT3_lPKT2_lT1_lS7_lS8_lS4_lPT4_lS8_li, .Lfunc_end288-_ZL32rocblas_gemvt_warp_reduce_kernelILb1ELi1024EiPKdS1_KPdEviiT3_lPKT2_lT1_lS7_lS8_lS4_lPT4_lS8_li
                                        ; -- End function
	.set _ZL32rocblas_gemvt_warp_reduce_kernelILb1ELi1024EiPKdS1_KPdEviiT3_lPKT2_lT1_lS7_lS8_lS4_lPT4_lS8_li.num_vgpr, 31
	.set _ZL32rocblas_gemvt_warp_reduce_kernelILb1ELi1024EiPKdS1_KPdEviiT3_lPKT2_lT1_lS7_lS8_lS4_lPT4_lS8_li.num_agpr, 0
	.set _ZL32rocblas_gemvt_warp_reduce_kernelILb1ELi1024EiPKdS1_KPdEviiT3_lPKT2_lT1_lS7_lS8_lS4_lPT4_lS8_li.numbered_sgpr, 44
	.set _ZL32rocblas_gemvt_warp_reduce_kernelILb1ELi1024EiPKdS1_KPdEviiT3_lPKT2_lT1_lS7_lS8_lS4_lPT4_lS8_li.num_named_barrier, 0
	.set _ZL32rocblas_gemvt_warp_reduce_kernelILb1ELi1024EiPKdS1_KPdEviiT3_lPKT2_lT1_lS7_lS8_lS4_lPT4_lS8_li.private_seg_size, 0
	.set _ZL32rocblas_gemvt_warp_reduce_kernelILb1ELi1024EiPKdS1_KPdEviiT3_lPKT2_lT1_lS7_lS8_lS4_lPT4_lS8_li.uses_vcc, 1
	.set _ZL32rocblas_gemvt_warp_reduce_kernelILb1ELi1024EiPKdS1_KPdEviiT3_lPKT2_lT1_lS7_lS8_lS4_lPT4_lS8_li.uses_flat_scratch, 0
	.set _ZL32rocblas_gemvt_warp_reduce_kernelILb1ELi1024EiPKdS1_KPdEviiT3_lPKT2_lT1_lS7_lS8_lS4_lPT4_lS8_li.has_dyn_sized_stack, 0
	.set _ZL32rocblas_gemvt_warp_reduce_kernelILb1ELi1024EiPKdS1_KPdEviiT3_lPKT2_lT1_lS7_lS8_lS4_lPT4_lS8_li.has_recursion, 0
	.set _ZL32rocblas_gemvt_warp_reduce_kernelILb1ELi1024EiPKdS1_KPdEviiT3_lPKT2_lT1_lS7_lS8_lS4_lPT4_lS8_li.has_indirect_call, 0
	.section	.AMDGPU.csdata,"",@progbits
; Kernel info:
; codeLenInByte = 1780
; TotalNumSgprs: 46
; NumVgprs: 31
; ScratchSize: 0
; MemoryBound: 1
; FloatMode: 240
; IeeeMode: 1
; LDSByteSize: 256 bytes/workgroup (compile time only)
; SGPRBlocks: 0
; VGPRBlocks: 3
; NumSGPRsForWavesPerEU: 46
; NumVGPRsForWavesPerEU: 31
; Occupancy: 16
; WaveLimiterHint : 1
; COMPUTE_PGM_RSRC2:SCRATCH_EN: 0
; COMPUTE_PGM_RSRC2:USER_SGPR: 2
; COMPUTE_PGM_RSRC2:TRAP_HANDLER: 0
; COMPUTE_PGM_RSRC2:TGID_X_EN: 1
; COMPUTE_PGM_RSRC2:TGID_Y_EN: 0
; COMPUTE_PGM_RSRC2:TGID_Z_EN: 1
; COMPUTE_PGM_RSRC2:TIDIG_COMP_CNT: 0
	.section	.text._ZL32rocblas_gemvt_warp_reduce_kernelILb1ELi1024ElPKdS1_KPdEviiT3_lPKT2_lT1_lS7_lS8_lS4_lPT4_lS8_li,"axG",@progbits,_ZL32rocblas_gemvt_warp_reduce_kernelILb1ELi1024ElPKdS1_KPdEviiT3_lPKT2_lT1_lS7_lS8_lS4_lPT4_lS8_li,comdat
	.globl	_ZL32rocblas_gemvt_warp_reduce_kernelILb1ELi1024ElPKdS1_KPdEviiT3_lPKT2_lT1_lS7_lS8_lS4_lPT4_lS8_li ; -- Begin function _ZL32rocblas_gemvt_warp_reduce_kernelILb1ELi1024ElPKdS1_KPdEviiT3_lPKT2_lT1_lS7_lS8_lS4_lPT4_lS8_li
	.p2align	8
	.type	_ZL32rocblas_gemvt_warp_reduce_kernelILb1ELi1024ElPKdS1_KPdEviiT3_lPKT2_lT1_lS7_lS8_lS4_lPT4_lS8_li,@function
_ZL32rocblas_gemvt_warp_reduce_kernelILb1ELi1024ElPKdS1_KPdEviiT3_lPKT2_lT1_lS7_lS8_lS4_lPT4_lS8_li: ; @_ZL32rocblas_gemvt_warp_reduce_kernelILb1ELi1024ElPKdS1_KPdEviiT3_lPKT2_lT1_lS7_lS8_lS4_lPT4_lS8_li
; %bb.0:
	s_load_b32 s7, s[0:1], 0x88
	s_lshr_b32 s28, ttmp7, 16
	s_wait_kmcnt 0x0
	s_cmp_ge_u32 s28, s7
	s_cbranch_scc1 .LBB289_37
; %bb.1:
	s_clause 0x6
	s_load_b32 s6, s[0:1], 0x0
	s_load_b64 s[36:37], s[0:1], 0x48
	s_load_b256 s[8:15], s[0:1], 0x8
	s_load_b64 s[34:35], s[0:1], 0x78
	s_load_b64 s[38:39], s[0:1], 0x28
	s_load_b128 s[24:27], s[0:1], 0x38
	s_load_b256 s[16:23], s[0:1], 0x58
	v_lshrrev_b32_e32 v5, 2, v0
	v_dual_mov_b32 v1, 0 :: v_dual_and_b32 v4, 31, v0
	v_mbcnt_lo_u32_b32 v21, -1, 0
	s_mov_b32 s4, ttmp9
	s_ashr_i32 s5, ttmp9, 31
	s_delay_alu instid0(VALU_DEP_2)
	v_lshlrev_b32_e32 v22, 3, v4
	v_cmp_eq_u32_e64 s0, 0, v0
	v_cmp_gt_u32_e64 s1, 32, v0
	v_lshl_or_b32 v25, v21, 2, 64
	s_mov_b32 s29, 0
	s_wait_kmcnt 0x0
	s_ashr_i32 s2, s6, 31
	v_mad_co_u64_u32 v[2:3], null, s36, v0, 0
	s_lshr_b32 s3, s2, 22
	v_cmp_gt_i32_e32 vcc_lo, s6, v0
	s_add_co_i32 s3, s6, s3
	v_and_b32_e32 v23, 0xf8, v5
	s_and_b32 s30, s3, 0xfffffc00
	v_cmp_eq_u32_e64 s2, 0, v4
	v_or_b32_e32 v7, s30, v0
	s_ashr_i32 s31, s30, 31
	v_mad_co_u64_u32 v[3:4], null, s37, v0, v[3:4]
	s_wait_alu 0xfffe
	s_mul_i32 s3, s36, s31
	v_mul_lo_u32 v9, s37, v7
	v_mad_co_u64_u32 v[5:6], null, s36, v7, 0
	v_cndmask_b32_e32 v8, 0, v0, vcc_lo
	s_mul_u64 s[40:41], s[34:35], s[4:5]
	s_delay_alu instid0(VALU_DEP_4)
	v_lshlrev_b64_e32 v[3:4], 3, v[2:3]
	s_mul_u64 s[38:39], s[38:39], s[4:5]
	v_cmp_gt_i32_e64 s4, s6, v7
	v_lshlrev_b32_e32 v24, 3, v8
	v_add3_u32 v6, v6, s3, v9
	v_cmp_gt_i32_e64 s3, s30, v0
	s_lshl_b64 s[34:35], s[36:37], 13
	s_lshl_b64 s[14:15], s[14:15], 3
	;; [unrolled: 1-line block ×3, first 2 shown]
	v_lshlrev_b64_e32 v[5:6], 3, v[5:6]
	s_lshl_b64 s[22:23], s[22:23], 3
	s_lshl_b64 s[36:37], s[40:41], 3
	;; [unrolled: 1-line block ×4, first 2 shown]
	s_branch .LBB289_4
.LBB289_2:                              ;   in Loop: Header=BB289_4 Depth=1
	s_wait_alu 0xfffe
	s_or_b32 exec_lo, exec_lo, s5
.LBB289_3:                              ;   in Loop: Header=BB289_4 Depth=1
	s_add_co_i32 s28, s28, 0x10000
	s_delay_alu instid0(SALU_CYCLE_1)
	s_cmp_lt_u32 s28, s7
	s_cbranch_scc0 .LBB289_37
.LBB289_4:                              ; =>This Loop Header: Depth=1
                                        ;     Child Loop BB289_26 Depth 2
	s_mul_u64 s[42:43], s[10:11], s[28:29]
	s_mul_u64 s[44:45], s[18:19], s[28:29]
	s_lshl_b64 s[42:43], s[42:43], 3
	s_lshl_b64 s[44:45], s[44:45], 3
	s_add_nc_u64 s[42:43], s[8:9], s[42:43]
	s_add_nc_u64 s[44:45], s[16:17], s[44:45]
	s_clause 0x1
	global_load_b64 v[9:10], v1, s[42:43]
	global_load_b64 v[7:8], v1, s[44:45]
	s_wait_loadcnt 0x1
	v_cmp_eq_f64_e64 s5, 0, v[9:10]
	s_wait_loadcnt 0x0
	v_cmp_eq_f64_e32 vcc_lo, 1.0, v[7:8]
	s_and_b32 s6, s5, vcc_lo
	s_wait_alu 0xfffe
	s_and_b32 vcc_lo, exec_lo, s6
	s_wait_alu 0xfffe
	s_cbranch_vccnz .LBB289_3
; %bb.5:                                ;   in Loop: Header=BB289_4 Depth=1
	v_cmp_neq_f64_e64 s6, 0, v[9:10]
	s_wait_dscnt 0x0
	v_mov_b32_e32 v11, 0
	v_dual_mov_b32 v12, 0 :: v_dual_mov_b32 v13, 0
	v_mov_b32_e32 v14, 0
	s_and_b32 vcc_lo, exec_lo, s5
	s_wait_alu 0xfffe
	s_cbranch_vccnz .LBB289_7
; %bb.6:                                ;   in Loop: Header=BB289_4 Depth=1
	s_lshl_b64 s[42:43], s[28:29], 3
	s_delay_alu instid0(SALU_CYCLE_1)
	s_add_nc_u64 s[42:43], s[12:13], s[42:43]
	global_load_b64 v[13:14], v1, s[42:43]
	s_wait_loadcnt 0x0
	v_add_co_u32 v13, vcc_lo, v13, s14
	s_wait_alu 0xfffd
	v_add_co_ci_u32_e64 v14, null, s15, v14, vcc_lo
.LBB289_7:                              ;   in Loop: Header=BB289_4 Depth=1
	s_and_not1_b32 vcc_lo, exec_lo, s6
	s_wait_alu 0xfffe
	s_cbranch_vccnz .LBB289_9
; %bb.8:                                ;   in Loop: Header=BB289_4 Depth=1
	s_lshl_b64 s[42:43], s[28:29], 3
	s_delay_alu instid0(SALU_CYCLE_1)
	s_add_nc_u64 s[42:43], s[24:25], s[42:43]
	global_load_b64 v[11:12], v1, s[42:43]
	s_wait_loadcnt 0x0
	v_add_co_u32 v11, vcc_lo, v11, s26
	s_wait_alu 0xfffd
	v_add_co_ci_u32_e64 v12, null, s27, v12, vcc_lo
.LBB289_9:                              ;   in Loop: Header=BB289_4 Depth=1
	s_lshl_b64 s[42:43], s[28:29], 3
	s_delay_alu instid0(SALU_CYCLE_1)
	s_add_nc_u64 s[42:43], s[20:21], s[42:43]
	global_load_b64 v[15:16], v1, s[42:43]
	s_wait_loadcnt 0x0
	v_add_co_u32 v26, vcc_lo, v15, s22
	s_wait_alu 0xfffd
	v_add_co_ci_u32_e64 v27, null, s23, v16, vcc_lo
	s_and_not1_b32 vcc_lo, exec_lo, s5
	s_wait_alu 0xfffe
	s_cbranch_vccnz .LBB289_14
; %bb.10:                               ;   in Loop: Header=BB289_4 Depth=1
	s_mov_b32 s5, 0
	s_mov_b32 s6, 0
                                        ; implicit-def: $vgpr15_vgpr16
	s_and_saveexec_b32 s31, s0
	s_cbranch_execz .LBB289_15
; %bb.11:                               ;   in Loop: Header=BB289_4 Depth=1
	v_cmp_eq_f64_e32 vcc_lo, 0, v[7:8]
	v_mov_b32_e32 v15, 0
	v_mov_b32_e32 v16, 0
	s_cbranch_vccnz .LBB289_13
; %bb.12:                               ;   in Loop: Header=BB289_4 Depth=1
	v_add_co_u32 v15, vcc_lo, v26, s36
	s_wait_alu 0xfffd
	v_add_co_ci_u32_e64 v16, null, s37, v27, vcc_lo
	flat_load_b64 v[15:16], v[15:16]
	s_wait_loadcnt_dscnt 0x0
	v_mul_f64_e32 v[15:16], v[7:8], v[15:16]
.LBB289_13:                             ;   in Loop: Header=BB289_4 Depth=1
	s_mov_b32 s6, exec_lo
	s_wait_alu 0xfffe
	s_or_b32 exec_lo, exec_lo, s31
	s_delay_alu instid0(SALU_CYCLE_1)
	s_and_b32 vcc_lo, exec_lo, s5
	s_wait_alu 0xfffe
	s_cbranch_vccnz .LBB289_16
	s_branch .LBB289_35
.LBB289_14:                             ;   in Loop: Header=BB289_4 Depth=1
	s_mov_b32 s6, 0
                                        ; implicit-def: $vgpr15_vgpr16
	s_cbranch_execnz .LBB289_16
	s_branch .LBB289_35
.LBB289_15:                             ;   in Loop: Header=BB289_4 Depth=1
	s_wait_alu 0xfffe
	s_or_b32 exec_lo, exec_lo, s31
	s_delay_alu instid0(SALU_CYCLE_1)
	s_and_b32 vcc_lo, exec_lo, s5
	s_wait_alu 0xfffe
	s_cbranch_vccz .LBB289_35
.LBB289_16:                             ;   in Loop: Header=BB289_4 Depth=1
	v_add_co_u32 v2, vcc_lo, v13, v24
	s_wait_alu 0xfffd
	v_add_co_ci_u32_e64 v16, null, 0, v14, vcc_lo
	v_mov_b32_e32 v13, 0
	s_delay_alu instid0(VALU_DEP_3)
	v_add_co_u32 v15, vcc_lo, v2, s38
	v_mov_b32_e32 v14, 0
	s_wait_alu 0xfffd
	v_add_co_ci_u32_e64 v16, null, s39, v16, vcc_lo
	s_and_saveexec_b32 s31, s3
	s_cbranch_execnz .LBB289_25
; %bb.17:                               ;   in Loop: Header=BB289_4 Depth=1
	s_wait_alu 0xfffe
	s_or_b32 exec_lo, exec_lo, s31
	s_and_saveexec_b32 s5, s4
	s_cbranch_execnz .LBB289_28
.LBB289_18:                             ;   in Loop: Header=BB289_4 Depth=1
	s_wait_alu 0xfffe
	s_or_b32 exec_lo, exec_lo, s5
	s_and_saveexec_b32 s5, s1
.LBB289_19:                             ;   in Loop: Header=BB289_4 Depth=1
	v_mov_b32_e32 v2, v1
	ds_store_b64 v22, v[1:2]
.LBB289_20:                             ;   in Loop: Header=BB289_4 Depth=1
	s_wait_alu 0xfffe
	s_or_b32 exec_lo, exec_lo, s5
	ds_bpermute_b32 v11, v25, v13
	ds_bpermute_b32 v12, v25, v14
	v_cmp_gt_u32_e32 vcc_lo, 24, v21
	s_wait_dscnt 0x0
	s_barrier_signal -1
	s_barrier_wait -1
	global_inv scope:SCOPE_SE
	s_wait_alu 0xfffd
	v_cndmask_b32_e64 v2, 0, 8, vcc_lo
	v_cmp_gt_u32_e32 vcc_lo, 28, v21
	s_delay_alu instid0(VALU_DEP_2)
	v_add_lshl_u32 v2, v2, v21, 2
	v_add_f64_e32 v[11:12], v[13:14], v[11:12]
	ds_bpermute_b32 v13, v2, v11
	ds_bpermute_b32 v14, v2, v12
	s_wait_dscnt 0x0
	v_add_f64_e32 v[11:12], v[11:12], v[13:14]
	s_wait_alu 0xfffd
	v_cndmask_b32_e64 v13, 0, 4, vcc_lo
	v_cmp_gt_u32_e32 vcc_lo, 30, v21
	s_delay_alu instid0(VALU_DEP_2)
	v_add_lshl_u32 v15, v13, v21, 2
	ds_bpermute_b32 v13, v15, v11
	ds_bpermute_b32 v14, v15, v12
	s_wait_dscnt 0x0
	v_add_f64_e32 v[11:12], v[11:12], v[13:14]
	s_wait_alu 0xfffd
	v_cndmask_b32_e64 v13, 0, 2, vcc_lo
	v_cmp_ne_u32_e32 vcc_lo, 31, v21
	s_delay_alu instid0(VALU_DEP_2)
	v_add_lshl_u32 v16, v13, v21, 2
	ds_bpermute_b32 v13, v16, v11
	ds_bpermute_b32 v14, v16, v12
	s_wait_dscnt 0x0
	v_add_f64_e32 v[11:12], v[11:12], v[13:14]
	s_wait_alu 0xfffd
	v_add_co_ci_u32_e64 v13, null, 0, v21, vcc_lo
	s_delay_alu instid0(VALU_DEP_1)
	v_lshlrev_b32_e32 v17, 2, v13
	ds_bpermute_b32 v13, v17, v11
	ds_bpermute_b32 v14, v17, v12
	s_and_saveexec_b32 s5, s2
	s_cbranch_execz .LBB289_22
; %bb.21:                               ;   in Loop: Header=BB289_4 Depth=1
	s_wait_dscnt 0x0
	v_add_f64_e32 v[11:12], v[11:12], v[13:14]
	ds_store_b64 v23, v[11:12]
.LBB289_22:                             ;   in Loop: Header=BB289_4 Depth=1
	s_wait_alu 0xfffe
	s_or_b32 exec_lo, exec_lo, s5
	v_mov_b32_e32 v11, 0
	v_mov_b32_e32 v12, 0
	s_wait_loadcnt_dscnt 0x0
	s_barrier_signal -1
	s_barrier_wait -1
	global_inv scope:SCOPE_SE
	s_and_saveexec_b32 s5, s1
	s_cbranch_execnz .LBB289_29
; %bb.23:                               ;   in Loop: Header=BB289_4 Depth=1
	s_wait_alu 0xfffe
	s_or_b32 exec_lo, exec_lo, s5
	s_and_saveexec_b32 s5, s1
	s_cbranch_execnz .LBB289_30
.LBB289_24:                             ;   in Loop: Header=BB289_4 Depth=1
	s_wait_alu 0xfffe
	s_or_b32 exec_lo, exec_lo, s5
                                        ; implicit-def: $vgpr15_vgpr16
	s_and_saveexec_b32 s5, s0
	s_cbranch_execnz .LBB289_31
	s_branch .LBB289_34
.LBB289_25:                             ;   in Loop: Header=BB289_4 Depth=1
	v_add_co_u32 v17, vcc_lo, v11, v3
	v_dual_mov_b32 v13, 0 :: v_dual_mov_b32 v20, v16
	s_wait_alu 0xfffd
	v_add_co_ci_u32_e64 v18, null, v12, v4, vcc_lo
	v_dual_mov_b32 v14, 0 :: v_dual_mov_b32 v19, v15
	v_mov_b32_e32 v2, v0
	s_mov_b32 s33, 0
.LBB289_26:                             ;   Parent Loop BB289_4 Depth=1
                                        ; =>  This Inner Loop Header: Depth=2
	flat_load_b64 v[28:29], v[19:20]
	flat_load_b64 v[30:31], v[17:18]
	v_add_nc_u32_e32 v2, 0x400, v2
	v_add_co_u32 v19, vcc_lo, 0x2000, v19
	s_wait_alu 0xfffd
	v_add_co_ci_u32_e64 v20, null, 0, v20, vcc_lo
	s_delay_alu instid0(VALU_DEP_3)
	v_cmp_le_i32_e32 vcc_lo, s30, v2
	v_add_co_u32 v17, s5, v17, s34
	s_wait_alu 0xf1ff
	v_add_co_ci_u32_e64 v18, null, s35, v18, s5
	s_or_b32 s33, vcc_lo, s33
	s_wait_loadcnt_dscnt 0x0
	v_fma_f64 v[13:14], v[28:29], v[30:31], v[13:14]
	s_and_not1_b32 exec_lo, exec_lo, s33
	s_cbranch_execnz .LBB289_26
; %bb.27:                               ;   in Loop: Header=BB289_4 Depth=1
	s_or_b32 exec_lo, exec_lo, s33
	s_wait_alu 0xfffe
	s_or_b32 exec_lo, exec_lo, s31
	s_and_saveexec_b32 s5, s4
	s_cbranch_execz .LBB289_18
.LBB289_28:                             ;   in Loop: Header=BB289_4 Depth=1
	v_add_co_u32 v15, vcc_lo, v15, s40
	s_wait_alu 0xfffd
	v_add_co_ci_u32_e64 v16, null, s41, v16, vcc_lo
	v_add_co_u32 v11, vcc_lo, v11, v5
	s_wait_alu 0xfffd
	v_add_co_ci_u32_e64 v12, null, v12, v6, vcc_lo
	flat_load_b64 v[15:16], v[15:16]
	flat_load_b64 v[11:12], v[11:12]
	s_wait_loadcnt_dscnt 0x0
	v_fma_f64 v[13:14], v[15:16], v[11:12], v[13:14]
	s_wait_alu 0xfffe
	s_or_b32 exec_lo, exec_lo, s5
	s_and_saveexec_b32 s5, s1
	s_cbranch_execnz .LBB289_19
	s_branch .LBB289_20
.LBB289_29:                             ;   in Loop: Header=BB289_4 Depth=1
	ds_load_b64 v[11:12], v22
	s_wait_alu 0xfffe
	s_or_b32 exec_lo, exec_lo, s5
	s_and_saveexec_b32 s5, s1
	s_cbranch_execz .LBB289_24
.LBB289_30:                             ;   in Loop: Header=BB289_4 Depth=1
	s_wait_dscnt 0x0
	ds_bpermute_b32 v13, v25, v11
	ds_bpermute_b32 v14, v25, v12
	s_wait_dscnt 0x0
	v_add_f64_e32 v[11:12], v[11:12], v[13:14]
	ds_bpermute_b32 v13, v2, v11
	ds_bpermute_b32 v14, v2, v12
	s_wait_dscnt 0x0
	v_add_f64_e32 v[11:12], v[11:12], v[13:14]
	;; [unrolled: 4-line block ×5, first 2 shown]
	s_wait_alu 0xfffe
	s_or_b32 exec_lo, exec_lo, s5
                                        ; implicit-def: $vgpr15_vgpr16
	s_and_saveexec_b32 s5, s0
	s_cbranch_execz .LBB289_34
.LBB289_31:                             ;   in Loop: Header=BB289_4 Depth=1
	v_cmp_eq_f64_e32 vcc_lo, 0, v[7:8]
	s_wait_dscnt 0x0
	s_delay_alu instid0(VALU_DEP_2)
	v_mul_f64_e32 v[15:16], v[9:10], v[11:12]
	s_cbranch_vccnz .LBB289_33
; %bb.32:                               ;   in Loop: Header=BB289_4 Depth=1
	v_add_co_u32 v9, vcc_lo, v26, s36
	s_wait_alu 0xfffd
	v_add_co_ci_u32_e64 v10, null, s37, v27, vcc_lo
	flat_load_b64 v[9:10], v[9:10]
	s_wait_loadcnt_dscnt 0x0
	v_fma_f64 v[15:16], v[7:8], v[9:10], v[15:16]
.LBB289_33:                             ;   in Loop: Header=BB289_4 Depth=1
	s_or_b32 s6, s6, exec_lo
.LBB289_34:                             ;   in Loop: Header=BB289_4 Depth=1
	s_wait_alu 0xfffe
	s_or_b32 exec_lo, exec_lo, s5
.LBB289_35:                             ;   in Loop: Header=BB289_4 Depth=1
	s_wait_alu 0xfffe
	s_and_saveexec_b32 s5, s6
	s_cbranch_execz .LBB289_2
; %bb.36:                               ;   in Loop: Header=BB289_4 Depth=1
	v_add_co_u32 v7, vcc_lo, v26, s36
	s_wait_alu 0xfffd
	v_add_co_ci_u32_e64 v8, null, s37, v27, vcc_lo
	flat_store_b64 v[7:8], v[15:16]
	s_branch .LBB289_2
.LBB289_37:
	s_endpgm
	.section	.rodata,"a",@progbits
	.p2align	6, 0x0
	.amdhsa_kernel _ZL32rocblas_gemvt_warp_reduce_kernelILb1ELi1024ElPKdS1_KPdEviiT3_lPKT2_lT1_lS7_lS8_lS4_lPT4_lS8_li
		.amdhsa_group_segment_fixed_size 256
		.amdhsa_private_segment_fixed_size 0
		.amdhsa_kernarg_size 140
		.amdhsa_user_sgpr_count 2
		.amdhsa_user_sgpr_dispatch_ptr 0
		.amdhsa_user_sgpr_queue_ptr 0
		.amdhsa_user_sgpr_kernarg_segment_ptr 1
		.amdhsa_user_sgpr_dispatch_id 0
		.amdhsa_user_sgpr_private_segment_size 0
		.amdhsa_wavefront_size32 1
		.amdhsa_uses_dynamic_stack 0
		.amdhsa_enable_private_segment 0
		.amdhsa_system_sgpr_workgroup_id_x 1
		.amdhsa_system_sgpr_workgroup_id_y 0
		.amdhsa_system_sgpr_workgroup_id_z 1
		.amdhsa_system_sgpr_workgroup_info 0
		.amdhsa_system_vgpr_workitem_id 0
		.amdhsa_next_free_vgpr 32
		.amdhsa_next_free_sgpr 46
		.amdhsa_reserve_vcc 1
		.amdhsa_float_round_mode_32 0
		.amdhsa_float_round_mode_16_64 0
		.amdhsa_float_denorm_mode_32 3
		.amdhsa_float_denorm_mode_16_64 3
		.amdhsa_fp16_overflow 0
		.amdhsa_workgroup_processor_mode 1
		.amdhsa_memory_ordered 1
		.amdhsa_forward_progress 1
		.amdhsa_inst_pref_size 15
		.amdhsa_round_robin_scheduling 0
		.amdhsa_exception_fp_ieee_invalid_op 0
		.amdhsa_exception_fp_denorm_src 0
		.amdhsa_exception_fp_ieee_div_zero 0
		.amdhsa_exception_fp_ieee_overflow 0
		.amdhsa_exception_fp_ieee_underflow 0
		.amdhsa_exception_fp_ieee_inexact 0
		.amdhsa_exception_int_div_zero 0
	.end_amdhsa_kernel
	.section	.text._ZL32rocblas_gemvt_warp_reduce_kernelILb1ELi1024ElPKdS1_KPdEviiT3_lPKT2_lT1_lS7_lS8_lS4_lPT4_lS8_li,"axG",@progbits,_ZL32rocblas_gemvt_warp_reduce_kernelILb1ELi1024ElPKdS1_KPdEviiT3_lPKT2_lT1_lS7_lS8_lS4_lPT4_lS8_li,comdat
.Lfunc_end289:
	.size	_ZL32rocblas_gemvt_warp_reduce_kernelILb1ELi1024ElPKdS1_KPdEviiT3_lPKT2_lT1_lS7_lS8_lS4_lPT4_lS8_li, .Lfunc_end289-_ZL32rocblas_gemvt_warp_reduce_kernelILb1ELi1024ElPKdS1_KPdEviiT3_lPKT2_lT1_lS7_lS8_lS4_lPT4_lS8_li
                                        ; -- End function
	.set _ZL32rocblas_gemvt_warp_reduce_kernelILb1ELi1024ElPKdS1_KPdEviiT3_lPKT2_lT1_lS7_lS8_lS4_lPT4_lS8_li.num_vgpr, 32
	.set _ZL32rocblas_gemvt_warp_reduce_kernelILb1ELi1024ElPKdS1_KPdEviiT3_lPKT2_lT1_lS7_lS8_lS4_lPT4_lS8_li.num_agpr, 0
	.set _ZL32rocblas_gemvt_warp_reduce_kernelILb1ELi1024ElPKdS1_KPdEviiT3_lPKT2_lT1_lS7_lS8_lS4_lPT4_lS8_li.numbered_sgpr, 46
	.set _ZL32rocblas_gemvt_warp_reduce_kernelILb1ELi1024ElPKdS1_KPdEviiT3_lPKT2_lT1_lS7_lS8_lS4_lPT4_lS8_li.num_named_barrier, 0
	.set _ZL32rocblas_gemvt_warp_reduce_kernelILb1ELi1024ElPKdS1_KPdEviiT3_lPKT2_lT1_lS7_lS8_lS4_lPT4_lS8_li.private_seg_size, 0
	.set _ZL32rocblas_gemvt_warp_reduce_kernelILb1ELi1024ElPKdS1_KPdEviiT3_lPKT2_lT1_lS7_lS8_lS4_lPT4_lS8_li.uses_vcc, 1
	.set _ZL32rocblas_gemvt_warp_reduce_kernelILb1ELi1024ElPKdS1_KPdEviiT3_lPKT2_lT1_lS7_lS8_lS4_lPT4_lS8_li.uses_flat_scratch, 0
	.set _ZL32rocblas_gemvt_warp_reduce_kernelILb1ELi1024ElPKdS1_KPdEviiT3_lPKT2_lT1_lS7_lS8_lS4_lPT4_lS8_li.has_dyn_sized_stack, 0
	.set _ZL32rocblas_gemvt_warp_reduce_kernelILb1ELi1024ElPKdS1_KPdEviiT3_lPKT2_lT1_lS7_lS8_lS4_lPT4_lS8_li.has_recursion, 0
	.set _ZL32rocblas_gemvt_warp_reduce_kernelILb1ELi1024ElPKdS1_KPdEviiT3_lPKT2_lT1_lS7_lS8_lS4_lPT4_lS8_li.has_indirect_call, 0
	.section	.AMDGPU.csdata,"",@progbits
; Kernel info:
; codeLenInByte = 1808
; TotalNumSgprs: 48
; NumVgprs: 32
; ScratchSize: 0
; MemoryBound: 1
; FloatMode: 240
; IeeeMode: 1
; LDSByteSize: 256 bytes/workgroup (compile time only)
; SGPRBlocks: 0
; VGPRBlocks: 3
; NumSGPRsForWavesPerEU: 48
; NumVGPRsForWavesPerEU: 32
; Occupancy: 16
; WaveLimiterHint : 1
; COMPUTE_PGM_RSRC2:SCRATCH_EN: 0
; COMPUTE_PGM_RSRC2:USER_SGPR: 2
; COMPUTE_PGM_RSRC2:TRAP_HANDLER: 0
; COMPUTE_PGM_RSRC2:TGID_X_EN: 1
; COMPUTE_PGM_RSRC2:TGID_Y_EN: 0
; COMPUTE_PGM_RSRC2:TGID_Z_EN: 1
; COMPUTE_PGM_RSRC2:TIDIG_COMP_CNT: 0
	.section	.text._ZL32rocblas_gemvt_warp_reduce_kernelILb1ELi1024EiPKddKPdEviiT3_lPKT2_lT1_lS7_lS8_lS4_lPT4_lS8_li,"axG",@progbits,_ZL32rocblas_gemvt_warp_reduce_kernelILb1ELi1024EiPKddKPdEviiT3_lPKT2_lT1_lS7_lS8_lS4_lPT4_lS8_li,comdat
	.globl	_ZL32rocblas_gemvt_warp_reduce_kernelILb1ELi1024EiPKddKPdEviiT3_lPKT2_lT1_lS7_lS8_lS4_lPT4_lS8_li ; -- Begin function _ZL32rocblas_gemvt_warp_reduce_kernelILb1ELi1024EiPKddKPdEviiT3_lPKT2_lT1_lS7_lS8_lS4_lPT4_lS8_li
	.p2align	8
	.type	_ZL32rocblas_gemvt_warp_reduce_kernelILb1ELi1024EiPKddKPdEviiT3_lPKT2_lT1_lS7_lS8_lS4_lPT4_lS8_li,@function
_ZL32rocblas_gemvt_warp_reduce_kernelILb1ELi1024EiPKddKPdEviiT3_lPKT2_lT1_lS7_lS8_lS4_lPT4_lS8_li: ; @_ZL32rocblas_gemvt_warp_reduce_kernelILb1ELi1024EiPKddKPdEviiT3_lPKT2_lT1_lS7_lS8_lS4_lPT4_lS8_li
; %bb.0:
	s_load_b32 s33, s[0:1], 0x88
	s_lshr_b32 s6, ttmp7, 16
	s_wait_kmcnt 0x0
	s_cmp_ge_u32 s6, s33
	s_cbranch_scc1 .LBB290_41
; %bb.1:
	s_clause 0x8
	s_load_b64 s[20:21], s[0:1], 0x58
	s_load_b64 s[22:23], s[0:1], 0x8
	s_load_b32 s4, s[0:1], 0x0
	s_load_b32 s3, s[0:1], 0x78
	s_load_b128 s[8:11], s[0:1], 0x18
	s_load_b32 s5, s[0:1], 0x28
	s_load_b128 s[12:15], s[0:1], 0x38
	;; [unrolled: 2-line block ×3, first 2 shown]
	v_dual_mov_b32 v1, 0 :: v_dual_and_b32 v2, 31, v0
	v_lshrrev_b32_e32 v3, 2, v0
	v_mbcnt_lo_u32_b32 v15, -1, 0
	v_cmp_eq_u32_e64 s0, 0, v0
	s_delay_alu instid0(VALU_DEP_4)
	v_lshlrev_b32_e32 v16, 3, v2
	v_cmp_eq_u32_e64 s2, 0, v2
	v_cmp_gt_u32_e64 s1, 32, v0
	v_lshl_or_b32 v21, v15, 2, 64
	s_mov_b32 s7, 0
	s_wait_kmcnt 0x0
	v_cmp_neq_f64_e64 s30, s[20:21], 1.0
	v_cmp_neq_f64_e64 s31, s[22:23], 0
	v_cmp_eq_f64_e64 s35, s[22:23], 0
	v_cmp_neq_f64_e64 s36, s[20:21], 0
	s_ashr_i32 s24, s4, 31
	s_mul_i32 s26, s3, ttmp9
	s_lshr_b32 s3, s24, 22
	v_cmp_gt_i32_e32 vcc_lo, s4, v0
	s_add_co_i32 s3, s4, s3
	v_and_b32_e32 v17, 0xf8, v3
	s_and_b32 s24, s3, 0xfffffc00
	v_mul_lo_u32 v18, v0, s25
	v_or_b32_e32 v5, s24, v0
	v_cndmask_b32_e32 v4, 0, v0, vcc_lo
	s_mul_i32 s28, s5, ttmp9
	v_cmp_gt_i32_e64 s3, s24, v0
	s_lshl_b32 s34, s25, 10
	v_mul_lo_u32 v2, s25, v5
	v_lshlrev_b32_e32 v20, 3, v4
	v_cmp_gt_i32_e64 s4, s4, v5
	s_ashr_i32 s27, s26, 31
	s_ashr_i32 s29, s28, 31
	;; [unrolled: 1-line block ×3, first 2 shown]
	s_lshl_b64 s[10:11], s[10:11], 3
	s_lshl_b64 s[14:15], s[14:15], 3
	v_ashrrev_i32_e32 v3, 31, v2
	s_lshl_b64 s[18:19], s[18:19], 3
	s_lshl_b64 s[26:27], s[26:27], 3
	s_lshl_b64 s[28:29], s[28:29], 3
	s_delay_alu instid0(VALU_DEP_1)
	v_lshlrev_b64_e32 v[3:4], 3, v[2:3]
	v_cndmask_b32_e64 v19, 0, 1, s31
	s_or_b32 s37, s31, s30
	s_wait_alu 0xfffe
	s_lshl_b64 s[30:31], s[24:25], 3
	s_branch .LBB290_4
.LBB290_2:                              ;   in Loop: Header=BB290_4 Depth=1
	s_wait_alu 0xfffe
	s_or_b32 exec_lo, exec_lo, s5
.LBB290_3:                              ;   in Loop: Header=BB290_4 Depth=1
	s_add_co_i32 s6, s6, 0x10000
	s_delay_alu instid0(SALU_CYCLE_1)
	s_cmp_lt_u32 s6, s33
	s_cbranch_scc0 .LBB290_41
.LBB290_4:                              ; =>This Loop Header: Depth=1
                                        ;     Child Loop BB290_30 Depth 2
	s_and_not1_b32 vcc_lo, exec_lo, s37
	s_wait_alu 0xfffe
	s_cbranch_vccnz .LBB290_3
; %bb.5:                                ;   in Loop: Header=BB290_4 Depth=1
	s_and_not1_b32 vcc_lo, exec_lo, s35
	s_wait_alu 0xfffe
	s_cbranch_vccnz .LBB290_7
; %bb.6:                                ;   in Loop: Header=BB290_4 Depth=1
	s_mov_b32 s5, 0
	s_branch .LBB290_8
.LBB290_7:                              ;   in Loop: Header=BB290_4 Depth=1
	s_mov_b32 s5, -1
.LBB290_8:                              ;   in Loop: Header=BB290_4 Depth=1
	s_wait_dscnt 0x0
	v_mov_b32_e32 v5, 0
	v_dual_mov_b32 v6, 0 :: v_dual_mov_b32 v7, 0
	v_mov_b32_e32 v8, 0
	s_wait_alu 0xfffe
	s_and_not1_b32 vcc_lo, exec_lo, s5
	s_wait_alu 0xfffe
	s_cbranch_vccnz .LBB290_10
; %bb.9:                                ;   in Loop: Header=BB290_4 Depth=1
	s_lshl_b64 s[38:39], s[6:7], 3
	s_delay_alu instid0(SALU_CYCLE_1)
	s_add_nc_u64 s[38:39], s[8:9], s[38:39]
	global_load_b64 v[7:8], v1, s[38:39]
	s_wait_loadcnt 0x0
	v_add_co_u32 v7, vcc_lo, v7, s10
	s_wait_alu 0xfffd
	v_add_co_ci_u32_e64 v8, null, s11, v8, vcc_lo
.LBB290_10:                             ;   in Loop: Header=BB290_4 Depth=1
	v_cmp_ne_u32_e32 vcc_lo, 1, v19
	s_cbranch_vccnz .LBB290_12
; %bb.11:                               ;   in Loop: Header=BB290_4 Depth=1
	s_lshl_b64 s[38:39], s[6:7], 3
	s_delay_alu instid0(SALU_CYCLE_1)
	s_add_nc_u64 s[38:39], s[12:13], s[38:39]
	global_load_b64 v[5:6], v1, s[38:39]
	s_wait_loadcnt 0x0
	v_add_co_u32 v5, vcc_lo, v5, s14
	s_wait_alu 0xfffd
	v_add_co_ci_u32_e64 v6, null, s15, v6, vcc_lo
.LBB290_12:                             ;   in Loop: Header=BB290_4 Depth=1
	s_lshl_b64 s[38:39], s[6:7], 3
	s_delay_alu instid0(SALU_CYCLE_1)
	s_add_nc_u64 s[38:39], s[16:17], s[38:39]
	global_load_b64 v[9:10], v1, s[38:39]
	s_wait_loadcnt 0x0
	v_add_co_u32 v22, vcc_lo, v9, s18
	s_wait_alu 0xfffd
	v_add_co_ci_u32_e64 v23, null, s19, v10, vcc_lo
	s_and_not1_b32 vcc_lo, exec_lo, s35
	s_wait_alu 0xfffe
	s_cbranch_vccnz .LBB290_16
; %bb.13:                               ;   in Loop: Header=BB290_4 Depth=1
	s_mov_b32 s5, 0
	s_mov_b32 s25, 0
                                        ; implicit-def: $vgpr9_vgpr10
	s_and_saveexec_b32 s38, s0
	s_cbranch_execz .LBB290_17
; %bb.14:                               ;   in Loop: Header=BB290_4 Depth=1
	s_and_not1_b32 vcc_lo, exec_lo, s36
	s_wait_alu 0xfffe
	s_cbranch_vccnz .LBB290_18
; %bb.15:                               ;   in Loop: Header=BB290_4 Depth=1
	v_add_co_u32 v9, vcc_lo, v22, s26
	s_wait_alu 0xfffd
	v_add_co_ci_u32_e64 v10, null, s27, v23, vcc_lo
	flat_load_b64 v[9:10], v[9:10]
	s_wait_loadcnt_dscnt 0x0
	v_mul_f64_e32 v[9:10], s[20:21], v[9:10]
	s_branch .LBB290_19
.LBB290_16:                             ;   in Loop: Header=BB290_4 Depth=1
	s_mov_b32 s25, 0
                                        ; implicit-def: $vgpr9_vgpr10
	s_cbranch_execnz .LBB290_20
	s_branch .LBB290_39
.LBB290_17:                             ;   in Loop: Header=BB290_4 Depth=1
	s_or_b32 exec_lo, exec_lo, s38
	s_wait_alu 0xfffe
	s_and_b32 vcc_lo, exec_lo, s5
	s_wait_alu 0xfffe
	s_cbranch_vccnz .LBB290_20
	s_branch .LBB290_39
.LBB290_18:                             ;   in Loop: Header=BB290_4 Depth=1
	v_mov_b32_e32 v9, 0
	v_mov_b32_e32 v10, 0
.LBB290_19:                             ;   in Loop: Header=BB290_4 Depth=1
	s_mov_b32 s25, exec_lo
	s_or_b32 exec_lo, exec_lo, s38
	s_delay_alu instid0(SALU_CYCLE_1)
	s_and_b32 vcc_lo, exec_lo, s5
	s_wait_alu 0xfffe
	s_cbranch_vccz .LBB290_39
.LBB290_20:                             ;   in Loop: Header=BB290_4 Depth=1
	v_add_co_u32 v2, vcc_lo, v7, v20
	s_wait_alu 0xfffd
	v_add_co_ci_u32_e64 v10, null, 0, v8, vcc_lo
	v_mov_b32_e32 v7, 0
	s_delay_alu instid0(VALU_DEP_3)
	v_add_co_u32 v9, vcc_lo, v2, s28
	v_mov_b32_e32 v8, 0
	s_wait_alu 0xfffd
	v_add_co_ci_u32_e64 v10, null, s29, v10, vcc_lo
	s_and_saveexec_b32 s38, s3
	s_cbranch_execnz .LBB290_29
; %bb.21:                               ;   in Loop: Header=BB290_4 Depth=1
	s_or_b32 exec_lo, exec_lo, s38
	s_and_saveexec_b32 s5, s4
	s_cbranch_execnz .LBB290_32
.LBB290_22:                             ;   in Loop: Header=BB290_4 Depth=1
	s_wait_alu 0xfffe
	s_or_b32 exec_lo, exec_lo, s5
	s_and_saveexec_b32 s5, s1
.LBB290_23:                             ;   in Loop: Header=BB290_4 Depth=1
	v_mov_b32_e32 v2, v1
	ds_store_b64 v16, v[1:2]
.LBB290_24:                             ;   in Loop: Header=BB290_4 Depth=1
	s_wait_alu 0xfffe
	s_or_b32 exec_lo, exec_lo, s5
	ds_bpermute_b32 v5, v21, v7
	ds_bpermute_b32 v6, v21, v8
	v_cmp_gt_u32_e32 vcc_lo, 24, v15
	s_wait_dscnt 0x0
	s_barrier_signal -1
	s_barrier_wait -1
	global_inv scope:SCOPE_SE
	s_wait_alu 0xfffd
	v_cndmask_b32_e64 v2, 0, 8, vcc_lo
	v_cmp_gt_u32_e32 vcc_lo, 28, v15
	s_delay_alu instid0(VALU_DEP_2)
	v_add_lshl_u32 v2, v2, v15, 2
	v_add_f64_e32 v[5:6], v[7:8], v[5:6]
	ds_bpermute_b32 v7, v2, v5
	ds_bpermute_b32 v8, v2, v6
	s_wait_dscnt 0x0
	v_add_f64_e32 v[5:6], v[5:6], v[7:8]
	s_wait_alu 0xfffd
	v_cndmask_b32_e64 v7, 0, 4, vcc_lo
	v_cmp_gt_u32_e32 vcc_lo, 30, v15
	s_delay_alu instid0(VALU_DEP_2)
	v_add_lshl_u32 v9, v7, v15, 2
	ds_bpermute_b32 v7, v9, v5
	ds_bpermute_b32 v8, v9, v6
	s_wait_dscnt 0x0
	v_add_f64_e32 v[5:6], v[5:6], v[7:8]
	s_wait_alu 0xfffd
	v_cndmask_b32_e64 v7, 0, 2, vcc_lo
	v_cmp_ne_u32_e32 vcc_lo, 31, v15
	s_delay_alu instid0(VALU_DEP_2)
	v_add_lshl_u32 v10, v7, v15, 2
	ds_bpermute_b32 v7, v10, v5
	ds_bpermute_b32 v8, v10, v6
	s_wait_dscnt 0x0
	v_add_f64_e32 v[5:6], v[5:6], v[7:8]
	s_wait_alu 0xfffd
	v_add_co_ci_u32_e64 v7, null, 0, v15, vcc_lo
	s_delay_alu instid0(VALU_DEP_1)
	v_lshlrev_b32_e32 v11, 2, v7
	ds_bpermute_b32 v7, v11, v5
	ds_bpermute_b32 v8, v11, v6
	s_and_saveexec_b32 s5, s2
	s_cbranch_execz .LBB290_26
; %bb.25:                               ;   in Loop: Header=BB290_4 Depth=1
	s_wait_dscnt 0x0
	v_add_f64_e32 v[5:6], v[5:6], v[7:8]
	ds_store_b64 v17, v[5:6]
.LBB290_26:                             ;   in Loop: Header=BB290_4 Depth=1
	s_wait_alu 0xfffe
	s_or_b32 exec_lo, exec_lo, s5
	v_mov_b32_e32 v5, 0
	v_mov_b32_e32 v6, 0
	s_wait_loadcnt_dscnt 0x0
	s_barrier_signal -1
	s_barrier_wait -1
	global_inv scope:SCOPE_SE
	s_and_saveexec_b32 s5, s1
	s_cbranch_execnz .LBB290_33
; %bb.27:                               ;   in Loop: Header=BB290_4 Depth=1
	s_wait_alu 0xfffe
	s_or_b32 exec_lo, exec_lo, s5
	s_and_saveexec_b32 s5, s1
	s_cbranch_execnz .LBB290_34
.LBB290_28:                             ;   in Loop: Header=BB290_4 Depth=1
	s_wait_alu 0xfffe
	s_or_b32 exec_lo, exec_lo, s5
                                        ; implicit-def: $vgpr9_vgpr10
	s_and_saveexec_b32 s5, s0
	s_cbranch_execnz .LBB290_35
	s_branch .LBB290_38
.LBB290_29:                             ;   in Loop: Header=BB290_4 Depth=1
	v_dual_mov_b32 v7, 0 :: v_dual_mov_b32 v12, v10
	v_dual_mov_b32 v8, 0 :: v_dual_mov_b32 v11, v9
	;; [unrolled: 1-line block ×3, first 2 shown]
	s_mov_b32 s39, 0
.LBB290_30:                             ;   Parent Loop BB290_4 Depth=1
                                        ; =>  This Inner Loop Header: Depth=2
	s_delay_alu instid0(VALU_DEP_1) | instskip(NEXT) | instid1(VALU_DEP_2)
	v_ashrrev_i32_e32 v14, 31, v13
	v_add_nc_u32_e32 v2, 0x400, v2
	s_delay_alu instid0(VALU_DEP_2) | instskip(NEXT) | instid1(VALU_DEP_2)
	v_lshlrev_b64_e32 v[24:25], 3, v[13:14]
	v_cmp_le_i32_e64 s5, s24, v2
	v_add_nc_u32_e32 v13, s34, v13
	s_or_b32 s39, s5, s39
	v_add_co_u32 v24, vcc_lo, v5, v24
	s_wait_alu 0xfffd
	v_add_co_ci_u32_e64 v25, null, v6, v25, vcc_lo
	flat_load_b64 v[26:27], v[11:12]
	flat_load_b64 v[24:25], v[24:25]
	v_add_co_u32 v11, vcc_lo, 0x2000, v11
	s_wait_alu 0xfffd
	v_add_co_ci_u32_e64 v12, null, 0, v12, vcc_lo
	s_wait_loadcnt_dscnt 0x0
	v_fma_f64 v[7:8], v[26:27], v[24:25], v[7:8]
	s_and_not1_b32 exec_lo, exec_lo, s39
	s_cbranch_execnz .LBB290_30
; %bb.31:                               ;   in Loop: Header=BB290_4 Depth=1
	s_or_b32 exec_lo, exec_lo, s39
	s_delay_alu instid0(SALU_CYCLE_1)
	s_or_b32 exec_lo, exec_lo, s38
	s_and_saveexec_b32 s5, s4
	s_cbranch_execz .LBB290_22
.LBB290_32:                             ;   in Loop: Header=BB290_4 Depth=1
	v_add_co_u32 v9, vcc_lo, v9, s30
	s_wait_alu 0xfffd
	v_add_co_ci_u32_e64 v10, null, s31, v10, vcc_lo
	v_add_co_u32 v5, vcc_lo, v5, v3
	s_wait_alu 0xfffd
	v_add_co_ci_u32_e64 v6, null, v6, v4, vcc_lo
	flat_load_b64 v[9:10], v[9:10]
	flat_load_b64 v[5:6], v[5:6]
	s_wait_loadcnt_dscnt 0x0
	v_fma_f64 v[7:8], v[9:10], v[5:6], v[7:8]
	s_wait_alu 0xfffe
	s_or_b32 exec_lo, exec_lo, s5
	s_and_saveexec_b32 s5, s1
	s_cbranch_execnz .LBB290_23
	s_branch .LBB290_24
.LBB290_33:                             ;   in Loop: Header=BB290_4 Depth=1
	ds_load_b64 v[5:6], v16
	s_wait_alu 0xfffe
	s_or_b32 exec_lo, exec_lo, s5
	s_and_saveexec_b32 s5, s1
	s_cbranch_execz .LBB290_28
.LBB290_34:                             ;   in Loop: Header=BB290_4 Depth=1
	s_wait_dscnt 0x0
	ds_bpermute_b32 v7, v21, v5
	ds_bpermute_b32 v8, v21, v6
	s_wait_dscnt 0x0
	v_add_f64_e32 v[5:6], v[5:6], v[7:8]
	ds_bpermute_b32 v7, v2, v5
	ds_bpermute_b32 v8, v2, v6
	s_wait_dscnt 0x0
	v_add_f64_e32 v[5:6], v[5:6], v[7:8]
	;; [unrolled: 4-line block ×5, first 2 shown]
	s_wait_alu 0xfffe
	s_or_b32 exec_lo, exec_lo, s5
                                        ; implicit-def: $vgpr9_vgpr10
	s_and_saveexec_b32 s5, s0
	s_cbranch_execz .LBB290_38
.LBB290_35:                             ;   in Loop: Header=BB290_4 Depth=1
	s_wait_dscnt 0x0
	s_delay_alu instid0(VALU_DEP_1)
	v_mul_f64_e32 v[9:10], s[22:23], v[5:6]
	s_and_not1_b32 vcc_lo, exec_lo, s36
	s_wait_alu 0xfffe
	s_cbranch_vccnz .LBB290_37
; %bb.36:                               ;   in Loop: Header=BB290_4 Depth=1
	v_add_co_u32 v5, vcc_lo, v22, s26
	s_wait_alu 0xfffd
	v_add_co_ci_u32_e64 v6, null, s27, v23, vcc_lo
	flat_load_b64 v[5:6], v[5:6]
	s_wait_loadcnt_dscnt 0x0
	v_fma_f64 v[9:10], s[20:21], v[5:6], v[9:10]
.LBB290_37:                             ;   in Loop: Header=BB290_4 Depth=1
	s_or_b32 s25, s25, exec_lo
.LBB290_38:                             ;   in Loop: Header=BB290_4 Depth=1
	s_wait_alu 0xfffe
	s_or_b32 exec_lo, exec_lo, s5
.LBB290_39:                             ;   in Loop: Header=BB290_4 Depth=1
	s_wait_alu 0xfffe
	s_and_saveexec_b32 s5, s25
	s_cbranch_execz .LBB290_2
; %bb.40:                               ;   in Loop: Header=BB290_4 Depth=1
	s_wait_dscnt 0x0
	v_add_co_u32 v5, vcc_lo, v22, s26
	s_wait_alu 0xfffd
	v_add_co_ci_u32_e64 v6, null, s27, v23, vcc_lo
	flat_store_b64 v[5:6], v[9:10]
	s_branch .LBB290_2
.LBB290_41:
	s_endpgm
	.section	.rodata,"a",@progbits
	.p2align	6, 0x0
	.amdhsa_kernel _ZL32rocblas_gemvt_warp_reduce_kernelILb1ELi1024EiPKddKPdEviiT3_lPKT2_lT1_lS7_lS8_lS4_lPT4_lS8_li
		.amdhsa_group_segment_fixed_size 256
		.amdhsa_private_segment_fixed_size 0
		.amdhsa_kernarg_size 140
		.amdhsa_user_sgpr_count 2
		.amdhsa_user_sgpr_dispatch_ptr 0
		.amdhsa_user_sgpr_queue_ptr 0
		.amdhsa_user_sgpr_kernarg_segment_ptr 1
		.amdhsa_user_sgpr_dispatch_id 0
		.amdhsa_user_sgpr_private_segment_size 0
		.amdhsa_wavefront_size32 1
		.amdhsa_uses_dynamic_stack 0
		.amdhsa_enable_private_segment 0
		.amdhsa_system_sgpr_workgroup_id_x 1
		.amdhsa_system_sgpr_workgroup_id_y 0
		.amdhsa_system_sgpr_workgroup_id_z 1
		.amdhsa_system_sgpr_workgroup_info 0
		.amdhsa_system_vgpr_workitem_id 0
		.amdhsa_next_free_vgpr 28
		.amdhsa_next_free_sgpr 40
		.amdhsa_reserve_vcc 1
		.amdhsa_float_round_mode_32 0
		.amdhsa_float_round_mode_16_64 0
		.amdhsa_float_denorm_mode_32 3
		.amdhsa_float_denorm_mode_16_64 3
		.amdhsa_fp16_overflow 0
		.amdhsa_workgroup_processor_mode 1
		.amdhsa_memory_ordered 1
		.amdhsa_forward_progress 1
		.amdhsa_inst_pref_size 14
		.amdhsa_round_robin_scheduling 0
		.amdhsa_exception_fp_ieee_invalid_op 0
		.amdhsa_exception_fp_denorm_src 0
		.amdhsa_exception_fp_ieee_div_zero 0
		.amdhsa_exception_fp_ieee_overflow 0
		.amdhsa_exception_fp_ieee_underflow 0
		.amdhsa_exception_fp_ieee_inexact 0
		.amdhsa_exception_int_div_zero 0
	.end_amdhsa_kernel
	.section	.text._ZL32rocblas_gemvt_warp_reduce_kernelILb1ELi1024EiPKddKPdEviiT3_lPKT2_lT1_lS7_lS8_lS4_lPT4_lS8_li,"axG",@progbits,_ZL32rocblas_gemvt_warp_reduce_kernelILb1ELi1024EiPKddKPdEviiT3_lPKT2_lT1_lS7_lS8_lS4_lPT4_lS8_li,comdat
.Lfunc_end290:
	.size	_ZL32rocblas_gemvt_warp_reduce_kernelILb1ELi1024EiPKddKPdEviiT3_lPKT2_lT1_lS7_lS8_lS4_lPT4_lS8_li, .Lfunc_end290-_ZL32rocblas_gemvt_warp_reduce_kernelILb1ELi1024EiPKddKPdEviiT3_lPKT2_lT1_lS7_lS8_lS4_lPT4_lS8_li
                                        ; -- End function
	.set _ZL32rocblas_gemvt_warp_reduce_kernelILb1ELi1024EiPKddKPdEviiT3_lPKT2_lT1_lS7_lS8_lS4_lPT4_lS8_li.num_vgpr, 28
	.set _ZL32rocblas_gemvt_warp_reduce_kernelILb1ELi1024EiPKddKPdEviiT3_lPKT2_lT1_lS7_lS8_lS4_lPT4_lS8_li.num_agpr, 0
	.set _ZL32rocblas_gemvt_warp_reduce_kernelILb1ELi1024EiPKddKPdEviiT3_lPKT2_lT1_lS7_lS8_lS4_lPT4_lS8_li.numbered_sgpr, 40
	.set _ZL32rocblas_gemvt_warp_reduce_kernelILb1ELi1024EiPKddKPdEviiT3_lPKT2_lT1_lS7_lS8_lS4_lPT4_lS8_li.num_named_barrier, 0
	.set _ZL32rocblas_gemvt_warp_reduce_kernelILb1ELi1024EiPKddKPdEviiT3_lPKT2_lT1_lS7_lS8_lS4_lPT4_lS8_li.private_seg_size, 0
	.set _ZL32rocblas_gemvt_warp_reduce_kernelILb1ELi1024EiPKddKPdEviiT3_lPKT2_lT1_lS7_lS8_lS4_lPT4_lS8_li.uses_vcc, 1
	.set _ZL32rocblas_gemvt_warp_reduce_kernelILb1ELi1024EiPKddKPdEviiT3_lPKT2_lT1_lS7_lS8_lS4_lPT4_lS8_li.uses_flat_scratch, 0
	.set _ZL32rocblas_gemvt_warp_reduce_kernelILb1ELi1024EiPKddKPdEviiT3_lPKT2_lT1_lS7_lS8_lS4_lPT4_lS8_li.has_dyn_sized_stack, 0
	.set _ZL32rocblas_gemvt_warp_reduce_kernelILb1ELi1024EiPKddKPdEviiT3_lPKT2_lT1_lS7_lS8_lS4_lPT4_lS8_li.has_recursion, 0
	.set _ZL32rocblas_gemvt_warp_reduce_kernelILb1ELi1024EiPKddKPdEviiT3_lPKT2_lT1_lS7_lS8_lS4_lPT4_lS8_li.has_indirect_call, 0
	.section	.AMDGPU.csdata,"",@progbits
; Kernel info:
; codeLenInByte = 1784
; TotalNumSgprs: 42
; NumVgprs: 28
; ScratchSize: 0
; MemoryBound: 1
; FloatMode: 240
; IeeeMode: 1
; LDSByteSize: 256 bytes/workgroup (compile time only)
; SGPRBlocks: 0
; VGPRBlocks: 3
; NumSGPRsForWavesPerEU: 42
; NumVGPRsForWavesPerEU: 28
; Occupancy: 16
; WaveLimiterHint : 1
; COMPUTE_PGM_RSRC2:SCRATCH_EN: 0
; COMPUTE_PGM_RSRC2:USER_SGPR: 2
; COMPUTE_PGM_RSRC2:TRAP_HANDLER: 0
; COMPUTE_PGM_RSRC2:TGID_X_EN: 1
; COMPUTE_PGM_RSRC2:TGID_Y_EN: 0
; COMPUTE_PGM_RSRC2:TGID_Z_EN: 1
; COMPUTE_PGM_RSRC2:TIDIG_COMP_CNT: 0
	.section	.text._ZL32rocblas_gemvt_warp_reduce_kernelILb1ELi1024ElPKddKPdEviiT3_lPKT2_lT1_lS7_lS8_lS4_lPT4_lS8_li,"axG",@progbits,_ZL32rocblas_gemvt_warp_reduce_kernelILb1ELi1024ElPKddKPdEviiT3_lPKT2_lT1_lS7_lS8_lS4_lPT4_lS8_li,comdat
	.globl	_ZL32rocblas_gemvt_warp_reduce_kernelILb1ELi1024ElPKddKPdEviiT3_lPKT2_lT1_lS7_lS8_lS4_lPT4_lS8_li ; -- Begin function _ZL32rocblas_gemvt_warp_reduce_kernelILb1ELi1024ElPKddKPdEviiT3_lPKT2_lT1_lS7_lS8_lS4_lPT4_lS8_li
	.p2align	8
	.type	_ZL32rocblas_gemvt_warp_reduce_kernelILb1ELi1024ElPKddKPdEviiT3_lPKT2_lT1_lS7_lS8_lS4_lPT4_lS8_li,@function
_ZL32rocblas_gemvt_warp_reduce_kernelILb1ELi1024ElPKddKPdEviiT3_lPKT2_lT1_lS7_lS8_lS4_lPT4_lS8_li: ; @_ZL32rocblas_gemvt_warp_reduce_kernelILb1ELi1024ElPKddKPdEviiT3_lPKT2_lT1_lS7_lS8_lS4_lPT4_lS8_li
; %bb.0:
	s_load_b32 s33, s[0:1], 0x88
	s_lshr_b32 s6, ttmp7, 16
	s_wait_kmcnt 0x0
	s_cmp_ge_u32 s6, s33
	s_cbranch_scc1 .LBB291_41
; %bb.1:
	s_clause 0x8
	s_load_b64 s[20:21], s[0:1], 0x58
	s_load_b64 s[22:23], s[0:1], 0x8
	;; [unrolled: 1-line block ×3, first 2 shown]
	s_load_b32 s38, s[0:1], 0x0
	s_load_b128 s[8:11], s[0:1], 0x18
	s_load_b64 s[26:27], s[0:1], 0x28
	s_load_b128 s[12:15], s[0:1], 0x38
	s_load_b64 s[28:29], s[0:1], 0x48
	s_load_b128 s[16:19], s[0:1], 0x68
	v_dual_mov_b32 v1, 0 :: v_dual_and_b32 v2, 31, v0
	v_lshrrev_b32_e32 v3, 2, v0
	s_mov_b32 s4, ttmp9
	s_ashr_i32 s5, ttmp9, 31
	v_mbcnt_lo_u32_b32 v17, -1, 0
	v_cmp_eq_u32_e64 s2, 0, v2
	v_and_b32_e32 v19, 0xf8, v3
	v_cmp_eq_u32_e64 s0, 0, v0
	v_cmp_gt_u32_e64 s1, 32, v0
	v_lshl_or_b32 v22, v17, 2, 64
	s_wait_kmcnt 0x0
	v_cmp_neq_f64_e64 s39, s[20:21], 1.0
	v_cmp_neq_f64_e64 s40, s[22:23], 0
	v_cmp_eq_f64_e64 s36, s[22:23], 0
	v_cmp_neq_f64_e64 s37, s[20:21], 0
	s_ashr_i32 s3, s38, 31
	v_cmp_gt_i32_e32 vcc_lo, s38, v0
	s_lshr_b32 s3, s3, 22
	v_lshlrev_b32_e32 v18, 3, v2
	v_mad_co_u64_u32 v[2:3], null, s28, v0, 0
	s_add_co_i32 s3, s38, s3
	s_mul_u64 s[34:35], s[26:27], s[4:5]
	s_and_b32 s26, s3, 0xfffffc00
	s_mul_u64 s[30:31], s[24:25], s[4:5]
	v_or_b32_e32 v8, s26, v0
	s_ashr_i32 s27, s26, 31
	v_mad_co_u64_u32 v[3:4], null, s29, v0, v[3:4]
	s_wait_alu 0xfffe
	s_mul_i32 s4, s28, s27
	v_mul_lo_u32 v4, s29, v8
	v_mad_co_u64_u32 v[5:6], null, s28, v8, 0
	v_cndmask_b32_e32 v7, 0, v0, vcc_lo
	v_cmp_gt_i32_e64 s3, s26, v0
	s_mov_b32 s7, 0
	s_lshl_b64 s[24:25], s[28:29], 13
	s_lshl_b64 s[10:11], s[10:11], 3
	v_lshlrev_b32_e32 v21, 3, v7
	v_add3_u32 v6, v6, s4, v4
	v_lshlrev_b64_e32 v[3:4], 3, v[2:3]
	v_cmp_gt_i32_e64 s4, s38, v8
	s_lshl_b64 s[14:15], s[14:15], 3
	s_lshl_b64 s[18:19], s[18:19], 3
	v_lshlrev_b64_e32 v[5:6], 3, v[5:6]
	s_lshl_b64 s[28:29], s[30:31], 3
	s_lshl_b64 s[30:31], s[34:35], 3
	;; [unrolled: 1-line block ×3, first 2 shown]
	v_cndmask_b32_e64 v20, 0, 1, s40
	s_or_b32 s38, s40, s39
	s_branch .LBB291_4
.LBB291_2:                              ;   in Loop: Header=BB291_4 Depth=1
	s_wait_alu 0xfffe
	s_or_b32 exec_lo, exec_lo, s5
.LBB291_3:                              ;   in Loop: Header=BB291_4 Depth=1
	s_add_co_i32 s6, s6, 0x10000
	s_delay_alu instid0(SALU_CYCLE_1)
	s_cmp_lt_u32 s6, s33
	s_cbranch_scc0 .LBB291_41
.LBB291_4:                              ; =>This Loop Header: Depth=1
                                        ;     Child Loop BB291_30 Depth 2
	s_wait_alu 0xfffe
	s_and_not1_b32 vcc_lo, exec_lo, s38
	s_wait_alu 0xfffe
	s_cbranch_vccnz .LBB291_3
; %bb.5:                                ;   in Loop: Header=BB291_4 Depth=1
	s_and_not1_b32 vcc_lo, exec_lo, s36
	s_wait_alu 0xfffe
	s_cbranch_vccnz .LBB291_7
; %bb.6:                                ;   in Loop: Header=BB291_4 Depth=1
	s_mov_b32 s5, 0
	s_branch .LBB291_8
.LBB291_7:                              ;   in Loop: Header=BB291_4 Depth=1
	s_mov_b32 s5, -1
.LBB291_8:                              ;   in Loop: Header=BB291_4 Depth=1
	s_wait_dscnt 0x0
	v_mov_b32_e32 v7, 0
	v_dual_mov_b32 v8, 0 :: v_dual_mov_b32 v9, 0
	v_mov_b32_e32 v10, 0
	s_wait_alu 0xfffe
	s_and_not1_b32 vcc_lo, exec_lo, s5
	s_wait_alu 0xfffe
	s_cbranch_vccnz .LBB291_10
; %bb.9:                                ;   in Loop: Header=BB291_4 Depth=1
	s_lshl_b64 s[40:41], s[6:7], 3
	s_wait_alu 0xfffe
	s_add_nc_u64 s[40:41], s[8:9], s[40:41]
	global_load_b64 v[9:10], v1, s[40:41]
	s_wait_loadcnt 0x0
	v_add_co_u32 v9, vcc_lo, v9, s10
	s_wait_alu 0xfffd
	v_add_co_ci_u32_e64 v10, null, s11, v10, vcc_lo
.LBB291_10:                             ;   in Loop: Header=BB291_4 Depth=1
	v_cmp_ne_u32_e32 vcc_lo, 1, v20
	s_cbranch_vccnz .LBB291_12
; %bb.11:                               ;   in Loop: Header=BB291_4 Depth=1
	s_lshl_b64 s[40:41], s[6:7], 3
	s_wait_alu 0xfffe
	s_add_nc_u64 s[40:41], s[12:13], s[40:41]
	global_load_b64 v[7:8], v1, s[40:41]
	s_wait_loadcnt 0x0
	v_add_co_u32 v7, vcc_lo, v7, s14
	s_wait_alu 0xfffd
	v_add_co_ci_u32_e64 v8, null, s15, v8, vcc_lo
.LBB291_12:                             ;   in Loop: Header=BB291_4 Depth=1
	s_lshl_b64 s[40:41], s[6:7], 3
	s_wait_alu 0xfffe
	s_add_nc_u64 s[40:41], s[16:17], s[40:41]
	global_load_b64 v[11:12], v1, s[40:41]
	s_wait_loadcnt 0x0
	v_add_co_u32 v23, vcc_lo, v11, s18
	s_wait_alu 0xfffd
	v_add_co_ci_u32_e64 v24, null, s19, v12, vcc_lo
	s_and_not1_b32 vcc_lo, exec_lo, s36
	s_wait_alu 0xfffe
	s_cbranch_vccnz .LBB291_16
; %bb.13:                               ;   in Loop: Header=BB291_4 Depth=1
	s_mov_b32 s5, 0
	s_mov_b32 s27, 0
                                        ; implicit-def: $vgpr11_vgpr12
	s_and_saveexec_b32 s39, s0
	s_cbranch_execz .LBB291_17
; %bb.14:                               ;   in Loop: Header=BB291_4 Depth=1
	s_and_not1_b32 vcc_lo, exec_lo, s37
	s_wait_alu 0xfffe
	s_cbranch_vccnz .LBB291_18
; %bb.15:                               ;   in Loop: Header=BB291_4 Depth=1
	v_add_co_u32 v11, vcc_lo, v23, s28
	s_wait_alu 0xfffd
	v_add_co_ci_u32_e64 v12, null, s29, v24, vcc_lo
	flat_load_b64 v[11:12], v[11:12]
	s_wait_loadcnt_dscnt 0x0
	v_mul_f64_e32 v[11:12], s[20:21], v[11:12]
	s_branch .LBB291_19
.LBB291_16:                             ;   in Loop: Header=BB291_4 Depth=1
	s_mov_b32 s27, 0
                                        ; implicit-def: $vgpr11_vgpr12
	s_cbranch_execnz .LBB291_20
	s_branch .LBB291_39
.LBB291_17:                             ;   in Loop: Header=BB291_4 Depth=1
	s_wait_alu 0xfffe
	s_or_b32 exec_lo, exec_lo, s39
	s_delay_alu instid0(SALU_CYCLE_1)
	s_and_b32 vcc_lo, exec_lo, s5
	s_wait_alu 0xfffe
	s_cbranch_vccnz .LBB291_20
	s_branch .LBB291_39
.LBB291_18:                             ;   in Loop: Header=BB291_4 Depth=1
	v_mov_b32_e32 v11, 0
	v_mov_b32_e32 v12, 0
.LBB291_19:                             ;   in Loop: Header=BB291_4 Depth=1
	s_mov_b32 s27, exec_lo
	s_or_b32 exec_lo, exec_lo, s39
	s_delay_alu instid0(SALU_CYCLE_1)
	s_and_b32 vcc_lo, exec_lo, s5
	s_wait_alu 0xfffe
	s_cbranch_vccz .LBB291_39
.LBB291_20:                             ;   in Loop: Header=BB291_4 Depth=1
	v_add_co_u32 v2, vcc_lo, v9, v21
	s_wait_alu 0xfffd
	v_add_co_ci_u32_e64 v12, null, 0, v10, vcc_lo
	v_mov_b32_e32 v9, 0
	s_delay_alu instid0(VALU_DEP_3)
	v_add_co_u32 v11, vcc_lo, v2, s30
	v_mov_b32_e32 v10, 0
	s_wait_alu 0xfffd
	v_add_co_ci_u32_e64 v12, null, s31, v12, vcc_lo
	s_and_saveexec_b32 s39, s3
	s_cbranch_execnz .LBB291_29
; %bb.21:                               ;   in Loop: Header=BB291_4 Depth=1
	s_wait_alu 0xfffe
	s_or_b32 exec_lo, exec_lo, s39
	s_and_saveexec_b32 s5, s4
	s_cbranch_execnz .LBB291_32
.LBB291_22:                             ;   in Loop: Header=BB291_4 Depth=1
	s_wait_alu 0xfffe
	s_or_b32 exec_lo, exec_lo, s5
	s_and_saveexec_b32 s5, s1
.LBB291_23:                             ;   in Loop: Header=BB291_4 Depth=1
	v_mov_b32_e32 v2, v1
	ds_store_b64 v18, v[1:2]
.LBB291_24:                             ;   in Loop: Header=BB291_4 Depth=1
	s_wait_alu 0xfffe
	s_or_b32 exec_lo, exec_lo, s5
	ds_bpermute_b32 v7, v22, v9
	ds_bpermute_b32 v8, v22, v10
	v_cmp_gt_u32_e32 vcc_lo, 24, v17
	s_wait_dscnt 0x0
	s_barrier_signal -1
	s_barrier_wait -1
	global_inv scope:SCOPE_SE
	s_wait_alu 0xfffd
	v_cndmask_b32_e64 v2, 0, 8, vcc_lo
	v_cmp_gt_u32_e32 vcc_lo, 28, v17
	s_delay_alu instid0(VALU_DEP_2)
	v_add_lshl_u32 v2, v2, v17, 2
	v_add_f64_e32 v[7:8], v[9:10], v[7:8]
	ds_bpermute_b32 v9, v2, v7
	ds_bpermute_b32 v10, v2, v8
	s_wait_dscnt 0x0
	v_add_f64_e32 v[7:8], v[7:8], v[9:10]
	s_wait_alu 0xfffd
	v_cndmask_b32_e64 v9, 0, 4, vcc_lo
	v_cmp_gt_u32_e32 vcc_lo, 30, v17
	s_delay_alu instid0(VALU_DEP_2)
	v_add_lshl_u32 v11, v9, v17, 2
	ds_bpermute_b32 v9, v11, v7
	ds_bpermute_b32 v10, v11, v8
	s_wait_dscnt 0x0
	v_add_f64_e32 v[7:8], v[7:8], v[9:10]
	s_wait_alu 0xfffd
	v_cndmask_b32_e64 v9, 0, 2, vcc_lo
	v_cmp_ne_u32_e32 vcc_lo, 31, v17
	s_delay_alu instid0(VALU_DEP_2)
	v_add_lshl_u32 v12, v9, v17, 2
	ds_bpermute_b32 v9, v12, v7
	ds_bpermute_b32 v10, v12, v8
	s_wait_dscnt 0x0
	v_add_f64_e32 v[7:8], v[7:8], v[9:10]
	s_wait_alu 0xfffd
	v_add_co_ci_u32_e64 v9, null, 0, v17, vcc_lo
	s_delay_alu instid0(VALU_DEP_1)
	v_lshlrev_b32_e32 v13, 2, v9
	ds_bpermute_b32 v9, v13, v7
	ds_bpermute_b32 v10, v13, v8
	s_and_saveexec_b32 s5, s2
	s_cbranch_execz .LBB291_26
; %bb.25:                               ;   in Loop: Header=BB291_4 Depth=1
	s_wait_dscnt 0x0
	v_add_f64_e32 v[7:8], v[7:8], v[9:10]
	ds_store_b64 v19, v[7:8]
.LBB291_26:                             ;   in Loop: Header=BB291_4 Depth=1
	s_wait_alu 0xfffe
	s_or_b32 exec_lo, exec_lo, s5
	v_mov_b32_e32 v7, 0
	v_mov_b32_e32 v8, 0
	s_wait_loadcnt_dscnt 0x0
	s_barrier_signal -1
	s_barrier_wait -1
	global_inv scope:SCOPE_SE
	s_and_saveexec_b32 s5, s1
	s_cbranch_execnz .LBB291_33
; %bb.27:                               ;   in Loop: Header=BB291_4 Depth=1
	s_wait_alu 0xfffe
	s_or_b32 exec_lo, exec_lo, s5
	s_and_saveexec_b32 s5, s1
	s_cbranch_execnz .LBB291_34
.LBB291_28:                             ;   in Loop: Header=BB291_4 Depth=1
	s_wait_alu 0xfffe
	s_or_b32 exec_lo, exec_lo, s5
                                        ; implicit-def: $vgpr11_vgpr12
	s_and_saveexec_b32 s5, s0
	s_cbranch_execnz .LBB291_35
	s_branch .LBB291_38
.LBB291_29:                             ;   in Loop: Header=BB291_4 Depth=1
	v_add_co_u32 v13, vcc_lo, v7, v3
	v_dual_mov_b32 v9, 0 :: v_dual_mov_b32 v16, v12
	s_wait_alu 0xfffd
	v_add_co_ci_u32_e64 v14, null, v8, v4, vcc_lo
	v_dual_mov_b32 v10, 0 :: v_dual_mov_b32 v15, v11
	v_mov_b32_e32 v2, v0
	s_mov_b32 s40, 0
.LBB291_30:                             ;   Parent Loop BB291_4 Depth=1
                                        ; =>  This Inner Loop Header: Depth=2
	flat_load_b64 v[25:26], v[15:16]
	flat_load_b64 v[27:28], v[13:14]
	v_add_nc_u32_e32 v2, 0x400, v2
	v_add_co_u32 v15, vcc_lo, 0x2000, v15
	s_wait_alu 0xfffd
	v_add_co_ci_u32_e64 v16, null, 0, v16, vcc_lo
	s_delay_alu instid0(VALU_DEP_3)
	v_cmp_le_i32_e32 vcc_lo, s26, v2
	v_add_co_u32 v13, s5, v13, s24
	s_wait_alu 0xf1ff
	v_add_co_ci_u32_e64 v14, null, s25, v14, s5
	s_wait_alu 0xfffe
	s_or_b32 s40, vcc_lo, s40
	s_wait_loadcnt_dscnt 0x0
	v_fma_f64 v[9:10], v[25:26], v[27:28], v[9:10]
	s_wait_alu 0xfffe
	s_and_not1_b32 exec_lo, exec_lo, s40
	s_cbranch_execnz .LBB291_30
; %bb.31:                               ;   in Loop: Header=BB291_4 Depth=1
	s_or_b32 exec_lo, exec_lo, s40
	s_delay_alu instid0(SALU_CYCLE_1)
	s_or_b32 exec_lo, exec_lo, s39
	s_and_saveexec_b32 s5, s4
	s_cbranch_execz .LBB291_22
.LBB291_32:                             ;   in Loop: Header=BB291_4 Depth=1
	v_add_co_u32 v11, vcc_lo, v11, s34
	s_wait_alu 0xfffd
	v_add_co_ci_u32_e64 v12, null, s35, v12, vcc_lo
	v_add_co_u32 v7, vcc_lo, v7, v5
	s_wait_alu 0xfffd
	v_add_co_ci_u32_e64 v8, null, v8, v6, vcc_lo
	flat_load_b64 v[11:12], v[11:12]
	flat_load_b64 v[7:8], v[7:8]
	s_wait_loadcnt_dscnt 0x0
	v_fma_f64 v[9:10], v[11:12], v[7:8], v[9:10]
	s_wait_alu 0xfffe
	s_or_b32 exec_lo, exec_lo, s5
	s_and_saveexec_b32 s5, s1
	s_cbranch_execnz .LBB291_23
	s_branch .LBB291_24
.LBB291_33:                             ;   in Loop: Header=BB291_4 Depth=1
	ds_load_b64 v[7:8], v18
	s_wait_alu 0xfffe
	s_or_b32 exec_lo, exec_lo, s5
	s_and_saveexec_b32 s5, s1
	s_cbranch_execz .LBB291_28
.LBB291_34:                             ;   in Loop: Header=BB291_4 Depth=1
	s_wait_dscnt 0x0
	ds_bpermute_b32 v9, v22, v7
	ds_bpermute_b32 v10, v22, v8
	s_wait_dscnt 0x0
	v_add_f64_e32 v[7:8], v[7:8], v[9:10]
	ds_bpermute_b32 v9, v2, v7
	ds_bpermute_b32 v10, v2, v8
	s_wait_dscnt 0x0
	v_add_f64_e32 v[7:8], v[7:8], v[9:10]
	;; [unrolled: 4-line block ×5, first 2 shown]
	s_wait_alu 0xfffe
	s_or_b32 exec_lo, exec_lo, s5
                                        ; implicit-def: $vgpr11_vgpr12
	s_and_saveexec_b32 s5, s0
	s_cbranch_execz .LBB291_38
.LBB291_35:                             ;   in Loop: Header=BB291_4 Depth=1
	s_wait_dscnt 0x0
	s_delay_alu instid0(VALU_DEP_1)
	v_mul_f64_e32 v[11:12], s[22:23], v[7:8]
	s_and_not1_b32 vcc_lo, exec_lo, s37
	s_wait_alu 0xfffe
	s_cbranch_vccnz .LBB291_37
; %bb.36:                               ;   in Loop: Header=BB291_4 Depth=1
	v_add_co_u32 v7, vcc_lo, v23, s28
	s_wait_alu 0xfffd
	v_add_co_ci_u32_e64 v8, null, s29, v24, vcc_lo
	flat_load_b64 v[7:8], v[7:8]
	s_wait_loadcnt_dscnt 0x0
	v_fma_f64 v[11:12], s[20:21], v[7:8], v[11:12]
.LBB291_37:                             ;   in Loop: Header=BB291_4 Depth=1
	s_or_b32 s27, s27, exec_lo
.LBB291_38:                             ;   in Loop: Header=BB291_4 Depth=1
	s_wait_alu 0xfffe
	s_or_b32 exec_lo, exec_lo, s5
.LBB291_39:                             ;   in Loop: Header=BB291_4 Depth=1
	s_wait_alu 0xfffe
	s_and_saveexec_b32 s5, s27
	s_cbranch_execz .LBB291_2
; %bb.40:                               ;   in Loop: Header=BB291_4 Depth=1
	s_wait_dscnt 0x0
	v_add_co_u32 v7, vcc_lo, v23, s28
	s_wait_alu 0xfffd
	v_add_co_ci_u32_e64 v8, null, s29, v24, vcc_lo
	flat_store_b64 v[7:8], v[11:12]
	s_branch .LBB291_2
.LBB291_41:
	s_endpgm
	.section	.rodata,"a",@progbits
	.p2align	6, 0x0
	.amdhsa_kernel _ZL32rocblas_gemvt_warp_reduce_kernelILb1ELi1024ElPKddKPdEviiT3_lPKT2_lT1_lS7_lS8_lS4_lPT4_lS8_li
		.amdhsa_group_segment_fixed_size 256
		.amdhsa_private_segment_fixed_size 0
		.amdhsa_kernarg_size 140
		.amdhsa_user_sgpr_count 2
		.amdhsa_user_sgpr_dispatch_ptr 0
		.amdhsa_user_sgpr_queue_ptr 0
		.amdhsa_user_sgpr_kernarg_segment_ptr 1
		.amdhsa_user_sgpr_dispatch_id 0
		.amdhsa_user_sgpr_private_segment_size 0
		.amdhsa_wavefront_size32 1
		.amdhsa_uses_dynamic_stack 0
		.amdhsa_enable_private_segment 0
		.amdhsa_system_sgpr_workgroup_id_x 1
		.amdhsa_system_sgpr_workgroup_id_y 0
		.amdhsa_system_sgpr_workgroup_id_z 1
		.amdhsa_system_sgpr_workgroup_info 0
		.amdhsa_system_vgpr_workitem_id 0
		.amdhsa_next_free_vgpr 29
		.amdhsa_next_free_sgpr 42
		.amdhsa_reserve_vcc 1
		.amdhsa_float_round_mode_32 0
		.amdhsa_float_round_mode_16_64 0
		.amdhsa_float_denorm_mode_32 3
		.amdhsa_float_denorm_mode_16_64 3
		.amdhsa_fp16_overflow 0
		.amdhsa_workgroup_processor_mode 1
		.amdhsa_memory_ordered 1
		.amdhsa_forward_progress 1
		.amdhsa_inst_pref_size 15
		.amdhsa_round_robin_scheduling 0
		.amdhsa_exception_fp_ieee_invalid_op 0
		.amdhsa_exception_fp_denorm_src 0
		.amdhsa_exception_fp_ieee_div_zero 0
		.amdhsa_exception_fp_ieee_overflow 0
		.amdhsa_exception_fp_ieee_underflow 0
		.amdhsa_exception_fp_ieee_inexact 0
		.amdhsa_exception_int_div_zero 0
	.end_amdhsa_kernel
	.section	.text._ZL32rocblas_gemvt_warp_reduce_kernelILb1ELi1024ElPKddKPdEviiT3_lPKT2_lT1_lS7_lS8_lS4_lPT4_lS8_li,"axG",@progbits,_ZL32rocblas_gemvt_warp_reduce_kernelILb1ELi1024ElPKddKPdEviiT3_lPKT2_lT1_lS7_lS8_lS4_lPT4_lS8_li,comdat
.Lfunc_end291:
	.size	_ZL32rocblas_gemvt_warp_reduce_kernelILb1ELi1024ElPKddKPdEviiT3_lPKT2_lT1_lS7_lS8_lS4_lPT4_lS8_li, .Lfunc_end291-_ZL32rocblas_gemvt_warp_reduce_kernelILb1ELi1024ElPKddKPdEviiT3_lPKT2_lT1_lS7_lS8_lS4_lPT4_lS8_li
                                        ; -- End function
	.set _ZL32rocblas_gemvt_warp_reduce_kernelILb1ELi1024ElPKddKPdEviiT3_lPKT2_lT1_lS7_lS8_lS4_lPT4_lS8_li.num_vgpr, 29
	.set _ZL32rocblas_gemvt_warp_reduce_kernelILb1ELi1024ElPKddKPdEviiT3_lPKT2_lT1_lS7_lS8_lS4_lPT4_lS8_li.num_agpr, 0
	.set _ZL32rocblas_gemvt_warp_reduce_kernelILb1ELi1024ElPKddKPdEviiT3_lPKT2_lT1_lS7_lS8_lS4_lPT4_lS8_li.numbered_sgpr, 42
	.set _ZL32rocblas_gemvt_warp_reduce_kernelILb1ELi1024ElPKddKPdEviiT3_lPKT2_lT1_lS7_lS8_lS4_lPT4_lS8_li.num_named_barrier, 0
	.set _ZL32rocblas_gemvt_warp_reduce_kernelILb1ELi1024ElPKddKPdEviiT3_lPKT2_lT1_lS7_lS8_lS4_lPT4_lS8_li.private_seg_size, 0
	.set _ZL32rocblas_gemvt_warp_reduce_kernelILb1ELi1024ElPKddKPdEviiT3_lPKT2_lT1_lS7_lS8_lS4_lPT4_lS8_li.uses_vcc, 1
	.set _ZL32rocblas_gemvt_warp_reduce_kernelILb1ELi1024ElPKddKPdEviiT3_lPKT2_lT1_lS7_lS8_lS4_lPT4_lS8_li.uses_flat_scratch, 0
	.set _ZL32rocblas_gemvt_warp_reduce_kernelILb1ELi1024ElPKddKPdEviiT3_lPKT2_lT1_lS7_lS8_lS4_lPT4_lS8_li.has_dyn_sized_stack, 0
	.set _ZL32rocblas_gemvt_warp_reduce_kernelILb1ELi1024ElPKddKPdEviiT3_lPKT2_lT1_lS7_lS8_lS4_lPT4_lS8_li.has_recursion, 0
	.set _ZL32rocblas_gemvt_warp_reduce_kernelILb1ELi1024ElPKddKPdEviiT3_lPKT2_lT1_lS7_lS8_lS4_lPT4_lS8_li.has_indirect_call, 0
	.section	.AMDGPU.csdata,"",@progbits
; Kernel info:
; codeLenInByte = 1820
; TotalNumSgprs: 44
; NumVgprs: 29
; ScratchSize: 0
; MemoryBound: 1
; FloatMode: 240
; IeeeMode: 1
; LDSByteSize: 256 bytes/workgroup (compile time only)
; SGPRBlocks: 0
; VGPRBlocks: 3
; NumSGPRsForWavesPerEU: 44
; NumVGPRsForWavesPerEU: 29
; Occupancy: 16
; WaveLimiterHint : 1
; COMPUTE_PGM_RSRC2:SCRATCH_EN: 0
; COMPUTE_PGM_RSRC2:USER_SGPR: 2
; COMPUTE_PGM_RSRC2:TRAP_HANDLER: 0
; COMPUTE_PGM_RSRC2:TGID_X_EN: 1
; COMPUTE_PGM_RSRC2:TGID_Y_EN: 0
; COMPUTE_PGM_RSRC2:TGID_Z_EN: 1
; COMPUTE_PGM_RSRC2:TIDIG_COMP_CNT: 0
	.section	.text._ZL34rocblas_gemvn_sm_mn_batched_kernelILi32ELi24EPK19rocblas_complex_numIfES3_KPS1_EviiT2_lPKT1_lilS9_lilS6_lPT3_lili,"axG",@progbits,_ZL34rocblas_gemvn_sm_mn_batched_kernelILi32ELi24EPK19rocblas_complex_numIfES3_KPS1_EviiT2_lPKT1_lilS9_lilS6_lPT3_lili,comdat
	.globl	_ZL34rocblas_gemvn_sm_mn_batched_kernelILi32ELi24EPK19rocblas_complex_numIfES3_KPS1_EviiT2_lPKT1_lilS9_lilS6_lPT3_lili ; -- Begin function _ZL34rocblas_gemvn_sm_mn_batched_kernelILi32ELi24EPK19rocblas_complex_numIfES3_KPS1_EviiT2_lPKT1_lilS9_lilS6_lPT3_lili
	.p2align	8
	.type	_ZL34rocblas_gemvn_sm_mn_batched_kernelILi32ELi24EPK19rocblas_complex_numIfES3_KPS1_EviiT2_lPKT1_lilS9_lilS6_lPT3_lili,@function
_ZL34rocblas_gemvn_sm_mn_batched_kernelILi32ELi24EPK19rocblas_complex_numIfES3_KPS1_EviiT2_lPKT1_lilS9_lilS6_lPT3_lili: ; @_ZL34rocblas_gemvn_sm_mn_batched_kernelILi32ELi24EPK19rocblas_complex_numIfES3_KPS1_EviiT2_lPKT1_lilS9_lilS6_lPT3_lili
; %bb.0:
	s_endpgm
	.section	.rodata,"a",@progbits
	.p2align	6, 0x0
	.amdhsa_kernel _ZL34rocblas_gemvn_sm_mn_batched_kernelILi32ELi24EPK19rocblas_complex_numIfES3_KPS1_EviiT2_lPKT1_lilS9_lilS6_lPT3_lili
		.amdhsa_group_segment_fixed_size 0
		.amdhsa_private_segment_fixed_size 0
		.amdhsa_kernarg_size 140
		.amdhsa_user_sgpr_count 2
		.amdhsa_user_sgpr_dispatch_ptr 0
		.amdhsa_user_sgpr_queue_ptr 0
		.amdhsa_user_sgpr_kernarg_segment_ptr 1
		.amdhsa_user_sgpr_dispatch_id 0
		.amdhsa_user_sgpr_private_segment_size 0
		.amdhsa_wavefront_size32 1
		.amdhsa_uses_dynamic_stack 0
		.amdhsa_enable_private_segment 0
		.amdhsa_system_sgpr_workgroup_id_x 1
		.amdhsa_system_sgpr_workgroup_id_y 0
		.amdhsa_system_sgpr_workgroup_id_z 0
		.amdhsa_system_sgpr_workgroup_info 0
		.amdhsa_system_vgpr_workitem_id 0
		.amdhsa_next_free_vgpr 1
		.amdhsa_next_free_sgpr 1
		.amdhsa_reserve_vcc 0
		.amdhsa_float_round_mode_32 0
		.amdhsa_float_round_mode_16_64 0
		.amdhsa_float_denorm_mode_32 3
		.amdhsa_float_denorm_mode_16_64 3
		.amdhsa_fp16_overflow 0
		.amdhsa_workgroup_processor_mode 1
		.amdhsa_memory_ordered 1
		.amdhsa_forward_progress 1
		.amdhsa_inst_pref_size 1
		.amdhsa_round_robin_scheduling 0
		.amdhsa_exception_fp_ieee_invalid_op 0
		.amdhsa_exception_fp_denorm_src 0
		.amdhsa_exception_fp_ieee_div_zero 0
		.amdhsa_exception_fp_ieee_overflow 0
		.amdhsa_exception_fp_ieee_underflow 0
		.amdhsa_exception_fp_ieee_inexact 0
		.amdhsa_exception_int_div_zero 0
	.end_amdhsa_kernel
	.section	.text._ZL34rocblas_gemvn_sm_mn_batched_kernelILi32ELi24EPK19rocblas_complex_numIfES3_KPS1_EviiT2_lPKT1_lilS9_lilS6_lPT3_lili,"axG",@progbits,_ZL34rocblas_gemvn_sm_mn_batched_kernelILi32ELi24EPK19rocblas_complex_numIfES3_KPS1_EviiT2_lPKT1_lilS9_lilS6_lPT3_lili,comdat
.Lfunc_end292:
	.size	_ZL34rocblas_gemvn_sm_mn_batched_kernelILi32ELi24EPK19rocblas_complex_numIfES3_KPS1_EviiT2_lPKT1_lilS9_lilS6_lPT3_lili, .Lfunc_end292-_ZL34rocblas_gemvn_sm_mn_batched_kernelILi32ELi24EPK19rocblas_complex_numIfES3_KPS1_EviiT2_lPKT1_lilS9_lilS6_lPT3_lili
                                        ; -- End function
	.set _ZL34rocblas_gemvn_sm_mn_batched_kernelILi32ELi24EPK19rocblas_complex_numIfES3_KPS1_EviiT2_lPKT1_lilS9_lilS6_lPT3_lili.num_vgpr, 0
	.set _ZL34rocblas_gemvn_sm_mn_batched_kernelILi32ELi24EPK19rocblas_complex_numIfES3_KPS1_EviiT2_lPKT1_lilS9_lilS6_lPT3_lili.num_agpr, 0
	.set _ZL34rocblas_gemvn_sm_mn_batched_kernelILi32ELi24EPK19rocblas_complex_numIfES3_KPS1_EviiT2_lPKT1_lilS9_lilS6_lPT3_lili.numbered_sgpr, 0
	.set _ZL34rocblas_gemvn_sm_mn_batched_kernelILi32ELi24EPK19rocblas_complex_numIfES3_KPS1_EviiT2_lPKT1_lilS9_lilS6_lPT3_lili.num_named_barrier, 0
	.set _ZL34rocblas_gemvn_sm_mn_batched_kernelILi32ELi24EPK19rocblas_complex_numIfES3_KPS1_EviiT2_lPKT1_lilS9_lilS6_lPT3_lili.private_seg_size, 0
	.set _ZL34rocblas_gemvn_sm_mn_batched_kernelILi32ELi24EPK19rocblas_complex_numIfES3_KPS1_EviiT2_lPKT1_lilS9_lilS6_lPT3_lili.uses_vcc, 0
	.set _ZL34rocblas_gemvn_sm_mn_batched_kernelILi32ELi24EPK19rocblas_complex_numIfES3_KPS1_EviiT2_lPKT1_lilS9_lilS6_lPT3_lili.uses_flat_scratch, 0
	.set _ZL34rocblas_gemvn_sm_mn_batched_kernelILi32ELi24EPK19rocblas_complex_numIfES3_KPS1_EviiT2_lPKT1_lilS9_lilS6_lPT3_lili.has_dyn_sized_stack, 0
	.set _ZL34rocblas_gemvn_sm_mn_batched_kernelILi32ELi24EPK19rocblas_complex_numIfES3_KPS1_EviiT2_lPKT1_lilS9_lilS6_lPT3_lili.has_recursion, 0
	.set _ZL34rocblas_gemvn_sm_mn_batched_kernelILi32ELi24EPK19rocblas_complex_numIfES3_KPS1_EviiT2_lPKT1_lilS9_lilS6_lPT3_lili.has_indirect_call, 0
	.section	.AMDGPU.csdata,"",@progbits
; Kernel info:
; codeLenInByte = 4
; TotalNumSgprs: 0
; NumVgprs: 0
; ScratchSize: 0
; MemoryBound: 0
; FloatMode: 240
; IeeeMode: 1
; LDSByteSize: 0 bytes/workgroup (compile time only)
; SGPRBlocks: 0
; VGPRBlocks: 0
; NumSGPRsForWavesPerEU: 1
; NumVGPRsForWavesPerEU: 1
; Occupancy: 16
; WaveLimiterHint : 0
; COMPUTE_PGM_RSRC2:SCRATCH_EN: 0
; COMPUTE_PGM_RSRC2:USER_SGPR: 2
; COMPUTE_PGM_RSRC2:TRAP_HANDLER: 0
; COMPUTE_PGM_RSRC2:TGID_X_EN: 1
; COMPUTE_PGM_RSRC2:TGID_Y_EN: 0
; COMPUTE_PGM_RSRC2:TGID_Z_EN: 0
; COMPUTE_PGM_RSRC2:TIDIG_COMP_CNT: 0
	.section	.text._ZL34rocblas_gemvn_sm_mn_batched_kernelILi32ELi24EPK19rocblas_complex_numIfES1_KPS1_EviiT2_lPKT1_lilS9_lilS6_lPT3_lili,"axG",@progbits,_ZL34rocblas_gemvn_sm_mn_batched_kernelILi32ELi24EPK19rocblas_complex_numIfES1_KPS1_EviiT2_lPKT1_lilS9_lilS6_lPT3_lili,comdat
	.globl	_ZL34rocblas_gemvn_sm_mn_batched_kernelILi32ELi24EPK19rocblas_complex_numIfES1_KPS1_EviiT2_lPKT1_lilS9_lilS6_lPT3_lili ; -- Begin function _ZL34rocblas_gemvn_sm_mn_batched_kernelILi32ELi24EPK19rocblas_complex_numIfES1_KPS1_EviiT2_lPKT1_lilS9_lilS6_lPT3_lili
	.p2align	8
	.type	_ZL34rocblas_gemvn_sm_mn_batched_kernelILi32ELi24EPK19rocblas_complex_numIfES1_KPS1_EviiT2_lPKT1_lilS9_lilS6_lPT3_lili,@function
_ZL34rocblas_gemvn_sm_mn_batched_kernelILi32ELi24EPK19rocblas_complex_numIfES1_KPS1_EviiT2_lPKT1_lilS9_lilS6_lPT3_lili: ; @_ZL34rocblas_gemvn_sm_mn_batched_kernelILi32ELi24EPK19rocblas_complex_numIfES1_KPS1_EviiT2_lPKT1_lilS9_lilS6_lPT3_lili
; %bb.0:
	s_endpgm
	.section	.rodata,"a",@progbits
	.p2align	6, 0x0
	.amdhsa_kernel _ZL34rocblas_gemvn_sm_mn_batched_kernelILi32ELi24EPK19rocblas_complex_numIfES1_KPS1_EviiT2_lPKT1_lilS9_lilS6_lPT3_lili
		.amdhsa_group_segment_fixed_size 0
		.amdhsa_private_segment_fixed_size 0
		.amdhsa_kernarg_size 140
		.amdhsa_user_sgpr_count 2
		.amdhsa_user_sgpr_dispatch_ptr 0
		.amdhsa_user_sgpr_queue_ptr 0
		.amdhsa_user_sgpr_kernarg_segment_ptr 1
		.amdhsa_user_sgpr_dispatch_id 0
		.amdhsa_user_sgpr_private_segment_size 0
		.amdhsa_wavefront_size32 1
		.amdhsa_uses_dynamic_stack 0
		.amdhsa_enable_private_segment 0
		.amdhsa_system_sgpr_workgroup_id_x 1
		.amdhsa_system_sgpr_workgroup_id_y 0
		.amdhsa_system_sgpr_workgroup_id_z 0
		.amdhsa_system_sgpr_workgroup_info 0
		.amdhsa_system_vgpr_workitem_id 0
		.amdhsa_next_free_vgpr 1
		.amdhsa_next_free_sgpr 1
		.amdhsa_reserve_vcc 0
		.amdhsa_float_round_mode_32 0
		.amdhsa_float_round_mode_16_64 0
		.amdhsa_float_denorm_mode_32 3
		.amdhsa_float_denorm_mode_16_64 3
		.amdhsa_fp16_overflow 0
		.amdhsa_workgroup_processor_mode 1
		.amdhsa_memory_ordered 1
		.amdhsa_forward_progress 1
		.amdhsa_inst_pref_size 1
		.amdhsa_round_robin_scheduling 0
		.amdhsa_exception_fp_ieee_invalid_op 0
		.amdhsa_exception_fp_denorm_src 0
		.amdhsa_exception_fp_ieee_div_zero 0
		.amdhsa_exception_fp_ieee_overflow 0
		.amdhsa_exception_fp_ieee_underflow 0
		.amdhsa_exception_fp_ieee_inexact 0
		.amdhsa_exception_int_div_zero 0
	.end_amdhsa_kernel
	.section	.text._ZL34rocblas_gemvn_sm_mn_batched_kernelILi32ELi24EPK19rocblas_complex_numIfES1_KPS1_EviiT2_lPKT1_lilS9_lilS6_lPT3_lili,"axG",@progbits,_ZL34rocblas_gemvn_sm_mn_batched_kernelILi32ELi24EPK19rocblas_complex_numIfES1_KPS1_EviiT2_lPKT1_lilS9_lilS6_lPT3_lili,comdat
.Lfunc_end293:
	.size	_ZL34rocblas_gemvn_sm_mn_batched_kernelILi32ELi24EPK19rocblas_complex_numIfES1_KPS1_EviiT2_lPKT1_lilS9_lilS6_lPT3_lili, .Lfunc_end293-_ZL34rocblas_gemvn_sm_mn_batched_kernelILi32ELi24EPK19rocblas_complex_numIfES1_KPS1_EviiT2_lPKT1_lilS9_lilS6_lPT3_lili
                                        ; -- End function
	.set _ZL34rocblas_gemvn_sm_mn_batched_kernelILi32ELi24EPK19rocblas_complex_numIfES1_KPS1_EviiT2_lPKT1_lilS9_lilS6_lPT3_lili.num_vgpr, 0
	.set _ZL34rocblas_gemvn_sm_mn_batched_kernelILi32ELi24EPK19rocblas_complex_numIfES1_KPS1_EviiT2_lPKT1_lilS9_lilS6_lPT3_lili.num_agpr, 0
	.set _ZL34rocblas_gemvn_sm_mn_batched_kernelILi32ELi24EPK19rocblas_complex_numIfES1_KPS1_EviiT2_lPKT1_lilS9_lilS6_lPT3_lili.numbered_sgpr, 0
	.set _ZL34rocblas_gemvn_sm_mn_batched_kernelILi32ELi24EPK19rocblas_complex_numIfES1_KPS1_EviiT2_lPKT1_lilS9_lilS6_lPT3_lili.num_named_barrier, 0
	.set _ZL34rocblas_gemvn_sm_mn_batched_kernelILi32ELi24EPK19rocblas_complex_numIfES1_KPS1_EviiT2_lPKT1_lilS9_lilS6_lPT3_lili.private_seg_size, 0
	.set _ZL34rocblas_gemvn_sm_mn_batched_kernelILi32ELi24EPK19rocblas_complex_numIfES1_KPS1_EviiT2_lPKT1_lilS9_lilS6_lPT3_lili.uses_vcc, 0
	.set _ZL34rocblas_gemvn_sm_mn_batched_kernelILi32ELi24EPK19rocblas_complex_numIfES1_KPS1_EviiT2_lPKT1_lilS9_lilS6_lPT3_lili.uses_flat_scratch, 0
	.set _ZL34rocblas_gemvn_sm_mn_batched_kernelILi32ELi24EPK19rocblas_complex_numIfES1_KPS1_EviiT2_lPKT1_lilS9_lilS6_lPT3_lili.has_dyn_sized_stack, 0
	.set _ZL34rocblas_gemvn_sm_mn_batched_kernelILi32ELi24EPK19rocblas_complex_numIfES1_KPS1_EviiT2_lPKT1_lilS9_lilS6_lPT3_lili.has_recursion, 0
	.set _ZL34rocblas_gemvn_sm_mn_batched_kernelILi32ELi24EPK19rocblas_complex_numIfES1_KPS1_EviiT2_lPKT1_lilS9_lilS6_lPT3_lili.has_indirect_call, 0
	.section	.AMDGPU.csdata,"",@progbits
; Kernel info:
; codeLenInByte = 4
; TotalNumSgprs: 0
; NumVgprs: 0
; ScratchSize: 0
; MemoryBound: 0
; FloatMode: 240
; IeeeMode: 1
; LDSByteSize: 0 bytes/workgroup (compile time only)
; SGPRBlocks: 0
; VGPRBlocks: 0
; NumSGPRsForWavesPerEU: 1
; NumVGPRsForWavesPerEU: 1
; Occupancy: 16
; WaveLimiterHint : 0
; COMPUTE_PGM_RSRC2:SCRATCH_EN: 0
; COMPUTE_PGM_RSRC2:USER_SGPR: 2
; COMPUTE_PGM_RSRC2:TRAP_HANDLER: 0
; COMPUTE_PGM_RSRC2:TGID_X_EN: 1
; COMPUTE_PGM_RSRC2:TGID_Y_EN: 0
; COMPUTE_PGM_RSRC2:TGID_Z_EN: 0
; COMPUTE_PGM_RSRC2:TIDIG_COMP_CNT: 0
	.section	.text._ZL20rocblas_gemvn_kernelILi64ELi4EiPK19rocblas_complex_numIfES3_KPS1_EviiT3_lPKT2_lT1_lS9_lSA_lS6_lPT4_lSA_li,"axG",@progbits,_ZL20rocblas_gemvn_kernelILi64ELi4EiPK19rocblas_complex_numIfES3_KPS1_EviiT3_lPKT2_lT1_lS9_lSA_lS6_lPT4_lSA_li,comdat
	.globl	_ZL20rocblas_gemvn_kernelILi64ELi4EiPK19rocblas_complex_numIfES3_KPS1_EviiT3_lPKT2_lT1_lS9_lSA_lS6_lPT4_lSA_li ; -- Begin function _ZL20rocblas_gemvn_kernelILi64ELi4EiPK19rocblas_complex_numIfES3_KPS1_EviiT3_lPKT2_lT1_lS9_lSA_lS6_lPT4_lSA_li
	.p2align	8
	.type	_ZL20rocblas_gemvn_kernelILi64ELi4EiPK19rocblas_complex_numIfES3_KPS1_EviiT3_lPKT2_lT1_lS9_lSA_lS6_lPT4_lSA_li,@function
_ZL20rocblas_gemvn_kernelILi64ELi4EiPK19rocblas_complex_numIfES3_KPS1_EviiT3_lPKT2_lT1_lS9_lSA_lS6_lPT4_lSA_li: ; @_ZL20rocblas_gemvn_kernelILi64ELi4EiPK19rocblas_complex_numIfES3_KPS1_EviiT3_lPKT2_lT1_lS9_lSA_lS6_lPT4_lSA_li
; %bb.0:
	s_clause 0x1
	s_load_b64 s[2:3], s[0:1], 0x9c
	s_load_b32 s33, s[0:1], 0x88
	s_lshr_b32 s28, ttmp7, 16
	s_wait_kmcnt 0x0
	s_lshr_b32 s4, s2, 16
	s_and_b32 s2, s2, 0xffff
	s_and_b32 s3, s3, 0xffff
	s_mul_i32 s2, s4, s2
	s_delay_alu instid0(SALU_CYCLE_1) | instskip(NEXT) | instid1(SALU_CYCLE_1)
	s_mul_i32 s2, s2, s3
	s_cmp_lg_u32 s2, 0x100
	s_cselect_b32 s2, -1, 0
	s_cmp_ge_u32 s28, s33
	s_cselect_b32 s3, -1, 0
	s_delay_alu instid0(SALU_CYCLE_1) | instskip(NEXT) | instid1(SALU_CYCLE_1)
	s_or_b32 s2, s2, s3
	s_and_b32 vcc_lo, exec_lo, s2
	s_cbranch_vccnz .LBB294_53
; %bb.1:
	s_clause 0x2
	s_load_b32 s6, s[0:1], 0x78
	s_load_b64 s[30:31], s[0:1], 0x0
	s_load_b256 s[8:15], s[0:1], 0x8
	v_and_b32_e32 v5, 0x3ff, v0
	v_bfe_u32 v4, v0, 10, 10
	s_lshl_b32 s36, ttmp9, 8
	s_clause 0x3
	s_load_b32 s35, s[0:1], 0x28
	s_load_b128 s[24:27], s[0:1], 0x38
	s_load_b32 s34, s[0:1], 0x48
	s_load_b256 s[16:23], s[0:1], 0x58
	v_mov_b32_e32 v1, 0
	s_mov_b32 s29, 0
	v_lshl_add_u32 v9, v4, 6, v5
	v_lshlrev_b32_e32 v62, 2, v4
	s_delay_alu instid0(VALU_DEP_2) | instskip(SKIP_2) | instid1(VALU_DEP_2)
	v_add_nc_u32_e32 v0, s36, v9
	v_or_b32_e32 v12, s36, v9
	s_wait_kmcnt 0x0
	v_mad_co_u64_u32 v[6:7], null, s6, v0, 0
	s_ashr_i32 s3, s6, 31
	s_ashr_i32 s7, s31, 31
	;; [unrolled: 1-line block ×3, first 2 shown]
	s_wait_alu 0xfffe
	s_lshr_b32 s7, s7, 28
	s_mov_b32 s4, s30
	s_wait_alu 0xfffe
	s_add_co_i32 s7, s31, s7
	v_mov_b32_e32 v2, v7
	v_or_b32_e32 v61, s36, v5
	v_lshlrev_b32_e32 v10, 3, v5
	s_wait_alu 0xfffe
	s_and_b32 s37, s7, -16
	v_mul_lo_u32 v13, v4, s34
	v_add_nc_u32_e32 v3, 64, v61
	v_add_nc_u32_e32 v8, 0x80, v61
	;; [unrolled: 1-line block ×3, first 2 shown]
	v_lshl_add_u32 v63, v4, 9, v10
	v_cmp_gt_i32_e64 s0, s30, v61
	v_cmp_gt_i32_e64 s1, s30, v3
	v_mad_co_u64_u32 v[2:3], null, s3, v0, v[2:3]
	v_cmp_gt_i32_e64 s2, s30, v8
	v_mul_lo_u32 v8, s6, v12
	v_cmp_gt_i32_e64 s3, s30, v11
	v_mul_lo_u32 v11, v4, s35
	v_cmp_gt_i32_e64 s6, s30, v12
	v_or_b32_e32 v12, 3, v62
	v_mov_b32_e32 v7, v2
	v_mul_lo_u32 v2, s35, v62
	v_cmp_gt_i64_e32 vcc_lo, s[4:5], v[0:1]
	v_lshl_add_u32 v0, v4, 11, v10
	v_or_b32_e32 v10, 2, v62
	s_wait_alu 0xfffe
	s_sub_co_i32 s5, s31, s37
	v_lshl_add_u32 v65, v11, 2, v5
	s_wait_alu 0xfffe
	s_cmp_gt_i32 s5, 0
	v_cmp_gt_u32_e64 s5, 0x100, v9
	v_ashrrev_i32_e32 v9, 31, v8
	v_add3_u32 v64, v2, s35, v5
	v_mad_co_u64_u32 v[2:3], null, s35, v10, v[5:6]
	v_mad_co_u64_u32 v[3:4], null, s35, v12, v[5:6]
	;; [unrolled: 1-line block ×3, first 2 shown]
	v_mul_lo_u32 v66, s34, v10
	v_mul_lo_u32 v67, s34, v12
	v_lshlrev_b64_e32 v[5:6], 3, v[6:7]
	v_lshlrev_b64_e32 v[7:8], 3, v[8:9]
	v_cmp_gt_i32_e64 s4, s37, v62
	v_lshlrev_b32_e32 v68, 2, v13
	s_cselect_b32 s38, -1, 0
	s_and_b32 s30, s5, vcc_lo
	s_lshl_b32 s39, s35, 4
	s_lshl_b32 s40, s34, 4
	s_lshl_b64 s[14:15], s[14:15], 3
	s_lshl_b64 s[26:27], s[26:27], 3
	;; [unrolled: 1-line block ×3, first 2 shown]
	s_branch .LBB294_5
.LBB294_2:                              ;   in Loop: Header=BB294_5 Depth=1
	v_add_co_u32 v11, vcc_lo, v69, v7
	s_wait_alu 0xfffd
	v_add_co_ci_u32_e64 v12, null, v70, v8, vcc_lo
	flat_store_b64 v[11:12], v[9:10]
.LBB294_3:                              ;   in Loop: Header=BB294_5 Depth=1
	s_wait_alu 0xfffe
	s_or_b32 exec_lo, exec_lo, s7
.LBB294_4:                              ;   in Loop: Header=BB294_5 Depth=1
	s_add_co_i32 s28, s28, 0x10000
	s_delay_alu instid0(SALU_CYCLE_1)
	s_cmp_lt_u32 s28, s33
	s_cbranch_scc0 .LBB294_53
.LBB294_5:                              ; =>This Loop Header: Depth=1
                                        ;     Child Loop BB294_25 Depth 2
	s_mul_u64 s[42:43], s[10:11], s[28:29]
	s_wait_alu 0xfffe
	s_lshl_b64 s[42:43], s[42:43], 3
	s_wait_alu 0xfffe
	s_add_nc_u64 s[42:43], s[8:9], s[42:43]
	global_load_b64 v[9:10], v1, s[42:43]
	s_mul_u64 s[42:43], s[18:19], s[28:29]
	s_wait_alu 0xfffe
	s_lshl_b64 s[42:43], s[42:43], 3
	s_wait_alu 0xfffe
	s_add_nc_u64 s[42:43], s[16:17], s[42:43]
	global_load_b64 v[11:12], v1, s[42:43]
	s_wait_loadcnt 0x1
	v_readfirstlane_b32 s43, v9
	v_readfirstlane_b32 s44, v10
	s_wait_alu 0xfffe
	s_cmp_neq_f32 s43, 0
	s_wait_loadcnt 0x0
	v_readfirstlane_b32 s41, v11
	s_cselect_b32 s7, -1, 0
	s_cmp_neq_f32 s44, 0
	s_cselect_b32 s42, -1, 0
	s_wait_alu 0xfffe
	s_or_b32 s7, s7, s42
	v_readfirstlane_b32 s42, v12
	s_wait_alu 0xfffe
	s_and_b32 vcc_lo, exec_lo, s7
	s_mov_b32 s7, -1
	s_wait_alu 0xfffe
	s_cbranch_vccnz .LBB294_7
; %bb.6:                                ;   in Loop: Header=BB294_5 Depth=1
	s_cmp_neq_f32 s41, 1.0
	s_cselect_b32 s7, -1, 0
	s_cmp_neq_f32 s42, 0
	s_cselect_b32 s45, -1, 0
	s_wait_alu 0xfffe
	s_or_b32 s7, s7, s45
.LBB294_7:                              ;   in Loop: Header=BB294_5 Depth=1
	s_wait_alu 0xfffe
	s_and_not1_b32 vcc_lo, exec_lo, s7
	s_wait_alu 0xfffe
	s_cbranch_vccnz .LBB294_4
; %bb.8:                                ;   in Loop: Header=BB294_5 Depth=1
	s_or_b32 s7, s43, s44
	v_mov_b32_e32 v19, 0
	s_wait_alu 0xfffe
	s_bitset0_b32 s7, 31
	v_dual_mov_b32 v20, 0 :: v_dual_mov_b32 v17, 0
	s_wait_alu 0xfffe
	s_cmp_lg_u32 s7, 0
	v_mov_b32_e32 v18, 0
	s_cselect_b32 s45, -1, 0
	s_cmp_eq_u32 s7, 0
	s_cselect_b32 s7, -1, 0
	s_wait_alu 0xfffe
	s_and_b32 vcc_lo, exec_lo, s7
	s_wait_alu 0xfffe
	s_cbranch_vccnz .LBB294_10
; %bb.9:                                ;   in Loop: Header=BB294_5 Depth=1
	s_lshl_b64 s[46:47], s[28:29], 3
	s_wait_alu 0xfffe
	s_add_nc_u64 s[46:47], s[12:13], s[46:47]
	global_load_b64 v[9:10], v1, s[46:47]
	s_wait_loadcnt 0x0
	v_add_co_u32 v17, vcc_lo, v9, s14
	s_wait_alu 0xfffd
	v_add_co_ci_u32_e64 v18, null, s15, v10, vcc_lo
.LBB294_10:                             ;   in Loop: Header=BB294_5 Depth=1
	s_and_not1_b32 vcc_lo, exec_lo, s45
	s_wait_alu 0xfffe
	s_cbranch_vccnz .LBB294_12
; %bb.11:                               ;   in Loop: Header=BB294_5 Depth=1
	s_lshl_b64 s[46:47], s[28:29], 3
	s_wait_alu 0xfffe
	s_add_nc_u64 s[46:47], s[24:25], s[46:47]
	global_load_b64 v[9:10], v1, s[46:47]
	s_wait_loadcnt 0x0
	v_add_co_u32 v19, vcc_lo, v9, s26
	s_wait_alu 0xfffd
	v_add_co_ci_u32_e64 v20, null, s27, v10, vcc_lo
.LBB294_12:                             ;   in Loop: Header=BB294_5 Depth=1
	s_lshl_b64 s[46:47], s[28:29], 3
	s_wait_alu 0xfffe
	s_add_nc_u64 s[46:47], s[20:21], s[46:47]
	global_load_b64 v[9:10], v1, s[46:47]
	s_wait_loadcnt 0x0
	v_add_co_u32 v69, vcc_lo, v9, s22
	s_wait_alu 0xfffd
	v_add_co_ci_u32_e64 v70, null, s23, v10, vcc_lo
	s_and_not1_b32 vcc_lo, exec_lo, s7
	s_mov_b32 s7, -1
	s_wait_alu 0xfffe
	s_cbranch_vccnz .LBB294_18
; %bb.13:                               ;   in Loop: Header=BB294_5 Depth=1
	s_and_saveexec_b32 s7, s30
	s_cbranch_execz .LBB294_17
; %bb.14:                               ;   in Loop: Header=BB294_5 Depth=1
	s_cmp_neq_f32 s41, 0
	v_dual_mov_b32 v9, 0 :: v_dual_mov_b32 v10, 0
	s_cselect_b32 s45, -1, 0
	s_cmp_neq_f32 s42, 0
	s_cselect_b32 s46, -1, 0
	s_wait_alu 0xfffe
	s_or_b32 s45, s45, s46
	s_wait_alu 0xfffe
	s_and_not1_b32 vcc_lo, exec_lo, s45
	s_wait_alu 0xfffe
	s_cbranch_vccnz .LBB294_16
; %bb.15:                               ;   in Loop: Header=BB294_5 Depth=1
	v_add_co_u32 v9, vcc_lo, v69, v5
	s_wait_alu 0xfffd
	v_add_co_ci_u32_e64 v10, null, v70, v6, vcc_lo
	flat_load_b64 v[11:12], v[9:10]
	s_wait_loadcnt_dscnt 0x0
	v_mul_f32_e32 v10, s41, v12
	s_delay_alu instid0(VALU_DEP_1) | instskip(NEXT) | instid1(VALU_DEP_1)
	v_dual_mul_f32 v9, s42, v12 :: v_dual_fmac_f32 v10, s42, v11
	v_fma_f32 v9, s41, v11, -v9
.LBB294_16:                             ;   in Loop: Header=BB294_5 Depth=1
	v_add_co_u32 v11, vcc_lo, v69, v5
	s_wait_alu 0xfffd
	v_add_co_ci_u32_e64 v12, null, v70, v6, vcc_lo
	flat_store_b64 v[11:12], v[9:10]
.LBB294_17:                             ;   in Loop: Header=BB294_5 Depth=1
	s_wait_alu 0xfffe
	s_or_b32 exec_lo, exec_lo, s7
	s_mov_b32 s7, 0
.LBB294_18:                             ;   in Loop: Header=BB294_5 Depth=1
	s_wait_alu 0xfffe
	s_and_not1_b32 vcc_lo, exec_lo, s7
	s_wait_alu 0xfffe
	s_cbranch_vccnz .LBB294_4
; %bb.19:                               ;   in Loop: Header=BB294_5 Depth=1
	v_dual_mov_b32 v10, 0 :: v_dual_mov_b32 v71, v62
	v_dual_mov_b32 v9, 0 :: v_dual_mov_b32 v12, 0
	;; [unrolled: 1-line block ×4, first 2 shown]
	v_mov_b32_e32 v15, 0
	s_and_saveexec_b32 s7, s4
	s_cbranch_execz .LBB294_31
; %bb.20:                               ;   in Loop: Header=BB294_5 Depth=1
	v_dual_mov_b32 v10, 0 :: v_dual_mov_b32 v73, v3
	v_dual_mov_b32 v72, v65 :: v_dual_mov_b32 v75, v64
	;; [unrolled: 1-line block ×3, first 2 shown]
	s_delay_alu instid0(VALU_DEP_3)
	v_dual_mov_b32 v9, v10 :: v_dual_mov_b32 v12, v10
	v_dual_mov_b32 v11, v10 :: v_dual_mov_b32 v14, v10
	;; [unrolled: 1-line block ×3, first 2 shown]
	v_mov_b32_e32 v15, v10
	s_mov_b32 s45, 0
	s_mov_b32 s46, 0
	s_branch .LBB294_25
.LBB294_21:                             ;   in Loop: Header=BB294_25 Depth=2
	s_or_b32 exec_lo, exec_lo, s50
	s_wait_loadcnt_dscnt 0x303
	v_mul_f32_e32 v53, v34, v52
	v_mul_f32_e32 v52, v33, v52
	s_wait_loadcnt_dscnt 0x101
	v_dual_mul_f32 v54, v30, v50 :: v_dual_mul_f32 v55, v24, v48
	v_mul_f32_e32 v50, v29, v50
	v_fma_f32 v53, v33, v51, -v53
	v_fmac_f32_e32 v52, v34, v51
	s_delay_alu instid0(VALU_DEP_4) | instskip(SKIP_4) | instid1(VALU_DEP_2)
	v_fma_f32 v54, v29, v49, -v54
	s_wait_loadcnt_dscnt 0x0
	v_mul_f32_e32 v51, v22, v46
	v_dual_mul_f32 v46, v21, v46 :: v_dual_add_f32 v11, v11, v53
	v_mul_f32_e32 v48, v23, v48
	v_fmac_f32_e32 v46, v22, v45
	s_delay_alu instid0(VALU_DEP_3) | instskip(SKIP_4) | instid1(VALU_DEP_3)
	v_add_f32_e32 v11, v54, v11
	v_fmac_f32_e32 v50, v30, v49
	v_fma_f32 v49, v23, v47, -v55
	v_fmac_f32_e32 v48, v24, v47
	v_fma_f32 v47, v21, v45, -v51
	v_dual_add_f32 v11, v49, v11 :: v_dual_add_f32 v12, v12, v52
	s_delay_alu instid0(VALU_DEP_1) | instskip(NEXT) | instid1(VALU_DEP_1)
	v_dual_add_f32 v11, v47, v11 :: v_dual_add_f32 v12, v50, v12
	v_add_f32_e32 v12, v48, v12
	s_delay_alu instid0(VALU_DEP_1)
	v_add_f32_e32 v12, v46, v12
.LBB294_22:                             ;   in Loop: Header=BB294_25 Depth=2
	s_or_b32 exec_lo, exec_lo, s49
	s_wait_loadcnt_dscnt 0x303
	v_mul_f32_e32 v45, v34, v44
	s_wait_loadcnt_dscnt 0x101
	v_dual_mul_f32 v46, v30, v42 :: v_dual_mul_f32 v47, v24, v40
	v_mul_f32_e32 v42, v29, v42
	v_mul_f32_e32 v44, v33, v44
	v_fma_f32 v45, v33, v43, -v45
	v_mul_f32_e32 v40, v23, v40
	v_fma_f32 v46, v29, v41, -v46
	v_fmac_f32_e32 v42, v30, v41
	v_fma_f32 v41, v23, v39, -v47
	s_delay_alu instid0(VALU_DEP_4) | instskip(NEXT) | instid1(VALU_DEP_1)
	v_dual_add_f32 v13, v13, v45 :: v_dual_fmac_f32 v40, v24, v39
	v_add_f32_e32 v13, v46, v13
	v_fmac_f32_e32 v44, v34, v43
	s_wait_loadcnt_dscnt 0x0
	v_mul_f32_e32 v43, v22, v38
	v_mul_f32_e32 v38, v21, v38
	v_add_f32_e32 v13, v41, v13
	s_delay_alu instid0(VALU_DEP_3) | instskip(SKIP_1) | instid1(VALU_DEP_4)
	v_fma_f32 v39, v21, v37, -v43
	v_add_f32_e32 v14, v14, v44
	v_fmac_f32_e32 v38, v22, v37
	s_delay_alu instid0(VALU_DEP_2) | instskip(NEXT) | instid1(VALU_DEP_1)
	v_dual_add_f32 v13, v39, v13 :: v_dual_add_f32 v14, v42, v14
	v_add_f32_e32 v14, v40, v14
	s_delay_alu instid0(VALU_DEP_1)
	v_add_f32_e32 v14, v38, v14
.LBB294_23:                             ;   in Loop: Header=BB294_25 Depth=2
	s_or_b32 exec_lo, exec_lo, s48
	s_wait_loadcnt_dscnt 0x303
	v_mul_f32_e32 v37, v34, v36
	v_mul_f32_e32 v36, v33, v36
	s_wait_loadcnt_dscnt 0x101
	s_delay_alu instid0(VALU_DEP_1)
	v_dual_mul_f32 v39, v24, v28 :: v_dual_fmac_f32 v36, v34, v35
	s_wait_loadcnt_dscnt 0x0
	v_mul_f32_e32 v34, v22, v26
	v_mul_f32_e32 v26, v21, v26
	v_fma_f32 v33, v33, v35, -v37
	v_add_f32_e32 v16, v16, v36
	s_delay_alu instid0(VALU_DEP_4) | instskip(SKIP_1) | instid1(VALU_DEP_4)
	v_fma_f32 v21, v21, v25, -v34
	v_mul_f32_e32 v28, v23, v28
	v_dual_add_f32 v15, v15, v33 :: v_dual_mul_f32 v38, v30, v32
	v_fma_f32 v23, v23, v27, -v39
	v_mul_f32_e32 v32, v29, v32
	v_fmac_f32_e32 v26, v22, v25
	s_delay_alu instid0(VALU_DEP_4) | instskip(NEXT) | instid1(VALU_DEP_1)
	v_fma_f32 v29, v29, v31, -v38
	v_add_f32_e32 v15, v29, v15
	s_delay_alu instid0(VALU_DEP_1) | instskip(SKIP_1) | instid1(VALU_DEP_2)
	v_add_f32_e32 v15, v23, v15
	v_fmac_f32_e32 v32, v30, v31
	v_add_f32_e32 v15, v21, v15
	v_fmac_f32_e32 v28, v24, v27
	s_delay_alu instid0(VALU_DEP_3) | instskip(NEXT) | instid1(VALU_DEP_1)
	v_add_f32_e32 v16, v32, v16
	v_add_f32_e32 v16, v28, v16
	s_delay_alu instid0(VALU_DEP_1)
	v_add_f32_e32 v16, v26, v16
.LBB294_24:                             ;   in Loop: Header=BB294_25 Depth=2
	s_wait_alu 0xfffe
	s_or_b32 exec_lo, exec_lo, s47
	v_add_nc_u32_e32 v71, 16, v71
	v_add_nc_u32_e32 v75, s39, v75
	;; [unrolled: 1-line block ×5, first 2 shown]
	v_cmp_le_i32_e32 vcc_lo, s37, v71
	s_add_co_i32 s46, s46, s40
	s_or_b32 s45, vcc_lo, s45
	s_wait_alu 0xfffe
	s_and_not1_b32 exec_lo, exec_lo, s45
	s_cbranch_execz .LBB294_30
.LBB294_25:                             ;   Parent Loop BB294_5 Depth=1
                                        ; =>  This Inner Loop Header: Depth=2
	s_and_saveexec_b32 s47, s0
	s_cbranch_execz .LBB294_24
; %bb.26:                               ;   in Loop: Header=BB294_25 Depth=2
	s_wait_alu 0xfffe
	v_add_nc_u32_e32 v21, s46, v68
	v_add_nc_u32_e32 v23, s46, v4
	;; [unrolled: 1-line block ×5, first 2 shown]
	v_ashrrev_i32_e32 v22, 31, v21
	v_ashrrev_i32_e32 v24, 31, v23
	;; [unrolled: 1-line block ×3, first 2 shown]
	v_add_nc_u32_e32 v31, s36, v75
	v_ashrrev_i32_e32 v28, 31, v27
	v_lshlrev_b64_e32 v[21:22], 3, v[21:22]
	v_lshlrev_b64_e32 v[23:24], 3, v[23:24]
	v_ashrrev_i32_e32 v30, 31, v29
	v_lshlrev_b64_e32 v[25:26], 3, v[25:26]
	v_ashrrev_i32_e32 v32, 31, v31
	v_lshlrev_b64_e32 v[27:28], 3, v[27:28]
	v_add_co_u32 v21, vcc_lo, v19, v21
	v_add_nc_u32_e32 v33, s36, v74
	s_wait_alu 0xfffd
	v_add_co_ci_u32_e64 v22, null, v20, v22, vcc_lo
	v_add_co_u32 v23, vcc_lo, v19, v23
	v_lshlrev_b64_e32 v[29:30], 3, v[29:30]
	v_add_nc_u32_e32 v35, s36, v73
	s_wait_alu 0xfffd
	v_add_co_ci_u32_e64 v24, null, v20, v24, vcc_lo
	v_add_co_u32 v25, vcc_lo, v19, v25
	v_lshlrev_b64_e32 v[31:32], 3, v[31:32]
	v_ashrrev_i32_e32 v34, 31, v33
	s_wait_alu 0xfffd
	v_add_co_ci_u32_e64 v26, null, v20, v26, vcc_lo
	v_add_co_u32 v27, vcc_lo, v19, v27
	v_ashrrev_i32_e32 v36, 31, v35
	s_wait_alu 0xfffd
	v_add_co_ci_u32_e64 v28, null, v20, v28, vcc_lo
	v_add_co_u32 v59, vcc_lo, v17, v29
	s_wait_alu 0xfffd
	v_add_co_ci_u32_e64 v60, null, v18, v30, vcc_lo
	v_lshlrev_b64_e32 v[29:30], 3, v[33:34]
	v_add_co_u32 v57, vcc_lo, v17, v31
	s_wait_alu 0xfffd
	v_add_co_ci_u32_e64 v58, null, v18, v32, vcc_lo
	v_lshlrev_b64_e32 v[31:32], 3, v[35:36]
	s_delay_alu instid0(VALU_DEP_4) | instskip(SKIP_2) | instid1(VALU_DEP_3)
	v_add_co_u32 v55, vcc_lo, v17, v29
	s_wait_alu 0xfffd
	v_add_co_ci_u32_e64 v56, null, v18, v30, vcc_lo
	v_add_co_u32 v53, vcc_lo, v17, v31
	s_wait_alu 0xfffd
	v_add_co_ci_u32_e64 v54, null, v18, v32, vcc_lo
	s_clause 0x3
	flat_load_b64 v[33:34], v[21:22]
	flat_load_b64 v[29:30], v[23:24]
	;; [unrolled: 1-line block ×4, first 2 shown]
	s_clause 0x3
	flat_load_b64 v[35:36], v[59:60]
	flat_load_b64 v[31:32], v[57:58]
	flat_load_b64 v[27:28], v[55:56]
	flat_load_b64 v[25:26], v[53:54]
	s_and_saveexec_b32 s48, s1
	s_cbranch_execz .LBB294_23
; %bb.27:                               ;   in Loop: Header=BB294_25 Depth=2
	s_clause 0x3
	flat_load_b64 v[43:44], v[59:60] offset:512
	flat_load_b64 v[41:42], v[57:58] offset:512
	flat_load_b64 v[39:40], v[55:56] offset:512
	flat_load_b64 v[37:38], v[53:54] offset:512
	s_and_saveexec_b32 s49, s2
	s_cbranch_execz .LBB294_22
; %bb.28:                               ;   in Loop: Header=BB294_25 Depth=2
	s_clause 0x3
	flat_load_b64 v[51:52], v[59:60] offset:1024
	flat_load_b64 v[49:50], v[57:58] offset:1024
	flat_load_b64 v[47:48], v[55:56] offset:1024
	flat_load_b64 v[45:46], v[53:54] offset:1024
	s_and_saveexec_b32 s50, s3
	s_cbranch_execz .LBB294_21
; %bb.29:                               ;   in Loop: Header=BB294_25 Depth=2
	s_clause 0x3
	flat_load_b64 v[59:60], v[59:60] offset:1536
	flat_load_b64 v[57:58], v[57:58] offset:1536
	flat_load_b64 v[55:56], v[55:56] offset:1536
	flat_load_b64 v[53:54], v[53:54] offset:1536
	s_wait_loadcnt_dscnt 0x101
	v_dual_mul_f32 v77, v30, v58 :: v_dual_mul_f32 v78, v24, v56
	v_mul_f32_e32 v58, v29, v58
	s_delay_alu instid0(VALU_DEP_2) | instskip(SKIP_2) | instid1(VALU_DEP_4)
	v_fma_f32 v77, v29, v57, -v77
	v_mul_f32_e32 v76, v34, v60
	v_mul_f32_e32 v60, v33, v60
	v_fmac_f32_e32 v58, v30, v57
	v_fma_f32 v57, v23, v55, -v78
	s_delay_alu instid0(VALU_DEP_4) | instskip(NEXT) | instid1(VALU_DEP_4)
	v_fma_f32 v76, v33, v59, -v76
	v_fmac_f32_e32 v60, v34, v59
	s_wait_loadcnt_dscnt 0x0
	v_mul_f32_e32 v59, v22, v54
	v_mul_f32_e32 v54, v21, v54
	v_add_f32_e32 v9, v9, v76
	v_add_f32_e32 v10, v10, v60
	s_delay_alu instid0(VALU_DEP_3) | instskip(NEXT) | instid1(VALU_DEP_3)
	v_fmac_f32_e32 v54, v22, v53
	v_dual_add_f32 v9, v77, v9 :: v_dual_mul_f32 v56, v23, v56
	s_delay_alu instid0(VALU_DEP_1) | instskip(NEXT) | instid1(VALU_DEP_2)
	v_dual_add_f32 v10, v58, v10 :: v_dual_add_f32 v9, v57, v9
	v_fmac_f32_e32 v56, v24, v55
	v_fma_f32 v55, v21, v53, -v59
	s_delay_alu instid0(VALU_DEP_1) | instskip(NEXT) | instid1(VALU_DEP_1)
	v_dual_add_f32 v10, v56, v10 :: v_dual_add_f32 v9, v55, v9
	v_add_f32_e32 v10, v54, v10
	s_branch .LBB294_21
.LBB294_30:                             ;   in Loop: Header=BB294_5 Depth=1
	s_or_b32 exec_lo, exec_lo, s45
.LBB294_31:                             ;   in Loop: Header=BB294_5 Depth=1
	s_wait_alu 0xfffe
	s_or_b32 exec_lo, exec_lo, s7
	s_delay_alu instid0(SALU_CYCLE_1)
	s_and_not1_b32 vcc_lo, exec_lo, s38
	s_wait_alu 0xfffe
	s_cbranch_vccnz .LBB294_49
; %bb.32:                               ;   in Loop: Header=BB294_5 Depth=1
	v_cmp_gt_i32_e32 vcc_lo, s31, v71
	v_dual_mov_b32 v21, 0 :: v_dual_mov_b32 v22, 0
	v_or_b32_e32 v29, 1, v71
	v_dual_mov_b32 v23, 0 :: v_dual_mov_b32 v24, 0
	v_dual_mov_b32 v25, 0 :: v_dual_mov_b32 v26, 0
	;; [unrolled: 1-line block ×3, first 2 shown]
	s_and_saveexec_b32 s45, vcc_lo
	s_cbranch_execz .LBB294_40
; %bb.33:                               ;   in Loop: Header=BB294_5 Depth=1
	v_mul_lo_u32 v21, v71, s34
	v_dual_mov_b32 v28, 0 :: v_dual_mov_b32 v27, 0
	v_dual_mov_b32 v26, 0 :: v_dual_mov_b32 v25, 0
	;; [unrolled: 1-line block ×3, first 2 shown]
	s_mov_b32 s46, exec_lo
	s_delay_alu instid0(VALU_DEP_4) | instskip(NEXT) | instid1(VALU_DEP_1)
	v_ashrrev_i32_e32 v22, 31, v21
	v_lshlrev_b64_e32 v[21:22], 3, v[21:22]
	s_delay_alu instid0(VALU_DEP_1) | instskip(SKIP_1) | instid1(VALU_DEP_2)
	v_add_co_u32 v21, s7, v19, v21
	s_wait_alu 0xf1ff
	v_add_co_ci_u32_e64 v22, null, v20, v22, s7
	flat_load_b64 v[21:22], v[21:22]
	v_cmpx_gt_i32_e64 s31, v29
	s_cbranch_execz .LBB294_39
; %bb.34:                               ;   in Loop: Header=BB294_5 Depth=1
	v_mul_lo_u32 v23, v29, s34
	v_or_b32_e32 v30, 2, v71
	v_dual_mov_b32 v28, 0 :: v_dual_mov_b32 v27, 0
	v_dual_mov_b32 v26, 0 :: v_dual_mov_b32 v25, 0
	s_mov_b32 s47, exec_lo
	s_delay_alu instid0(VALU_DEP_4) | instskip(NEXT) | instid1(VALU_DEP_1)
	v_ashrrev_i32_e32 v24, 31, v23
	v_lshlrev_b64_e32 v[23:24], 3, v[23:24]
	s_delay_alu instid0(VALU_DEP_1) | instskip(SKIP_1) | instid1(VALU_DEP_2)
	v_add_co_u32 v23, s7, v19, v23
	s_wait_alu 0xf1ff
	v_add_co_ci_u32_e64 v24, null, v20, v24, s7
	flat_load_b64 v[23:24], v[23:24]
	v_cmpx_gt_i32_e64 s31, v30
	s_cbranch_execz .LBB294_38
; %bb.35:                               ;   in Loop: Header=BB294_5 Depth=1
	v_mul_lo_u32 v25, v30, s34
	v_or_b32_e32 v30, 3, v71
	v_dual_mov_b32 v28, 0 :: v_dual_mov_b32 v27, 0
	s_mov_b32 s48, exec_lo
	s_delay_alu instid0(VALU_DEP_3) | instskip(NEXT) | instid1(VALU_DEP_1)
	v_ashrrev_i32_e32 v26, 31, v25
	v_lshlrev_b64_e32 v[25:26], 3, v[25:26]
	s_delay_alu instid0(VALU_DEP_1) | instskip(SKIP_1) | instid1(VALU_DEP_2)
	v_add_co_u32 v25, s7, v19, v25
	s_wait_alu 0xf1ff
	v_add_co_ci_u32_e64 v26, null, v20, v26, s7
	flat_load_b64 v[25:26], v[25:26]
	v_cmpx_gt_i32_e64 s31, v30
	s_cbranch_execz .LBB294_37
; %bb.36:                               ;   in Loop: Header=BB294_5 Depth=1
	v_mul_lo_u32 v27, v30, s34
	s_delay_alu instid0(VALU_DEP_1) | instskip(NEXT) | instid1(VALU_DEP_1)
	v_ashrrev_i32_e32 v28, 31, v27
	v_lshlrev_b64_e32 v[27:28], 3, v[27:28]
	s_delay_alu instid0(VALU_DEP_1) | instskip(SKIP_1) | instid1(VALU_DEP_2)
	v_add_co_u32 v19, s7, v19, v27
	s_wait_alu 0xf1ff
	v_add_co_ci_u32_e64 v20, null, v20, v28, s7
	flat_load_b64 v[27:28], v[19:20]
.LBB294_37:                             ;   in Loop: Header=BB294_5 Depth=1
	s_or_b32 exec_lo, exec_lo, s48
.LBB294_38:                             ;   in Loop: Header=BB294_5 Depth=1
	s_wait_alu 0xfffe
	s_or_b32 exec_lo, exec_lo, s47
.LBB294_39:                             ;   in Loop: Header=BB294_5 Depth=1
	s_wait_alu 0xfffe
	s_or_b32 exec_lo, exec_lo, s46
.LBB294_40:                             ;   in Loop: Header=BB294_5 Depth=1
	s_wait_alu 0xfffe
	s_or_b32 exec_lo, exec_lo, s45
	s_and_saveexec_b32 s7, s0
	s_cbranch_execz .LBB294_48
; %bb.41:                               ;   in Loop: Header=BB294_5 Depth=1
	v_mul_lo_u32 v20, v71, s35
	v_or_b32_e32 v19, 2, v71
	v_mul_lo_u32 v31, v29, s35
	v_or_b32_e32 v30, 3, v71
	s_delay_alu instid0(VALU_DEP_3) | instskip(NEXT) | instid1(VALU_DEP_2)
	v_mul_lo_u32 v32, v19, s35
	v_mul_lo_u32 v33, v30, s35
	v_cndmask_b32_e32 v20, 0, v20, vcc_lo
	v_cmp_gt_i32_e32 vcc_lo, s31, v29
	s_wait_alu 0xfffd
	v_cndmask_b32_e32 v29, 0, v31, vcc_lo
	v_cmp_gt_i32_e32 vcc_lo, s31, v19
	v_add_nc_u32_e32 v19, v20, v61
	s_delay_alu instid0(VALU_DEP_3)
	v_add_nc_u32_e32 v29, v29, v61
	s_wait_alu 0xfffd
	v_cndmask_b32_e32 v31, 0, v32, vcc_lo
	v_cmp_gt_i32_e32 vcc_lo, s31, v30
	v_ashrrev_i32_e32 v20, 31, v19
	s_wait_alu 0xfffd
	v_cndmask_b32_e32 v30, 0, v33, vcc_lo
	v_add_nc_u32_e32 v31, v31, v61
	s_delay_alu instid0(VALU_DEP_3) | instskip(NEXT) | instid1(VALU_DEP_3)
	v_lshlrev_b64_e32 v[19:20], 3, v[19:20]
	v_add_nc_u32_e32 v33, v30, v61
	v_ashrrev_i32_e32 v30, 31, v29
	s_delay_alu instid0(VALU_DEP_4) | instskip(NEXT) | instid1(VALU_DEP_4)
	v_ashrrev_i32_e32 v32, 31, v31
	v_add_co_u32 v55, vcc_lo, v17, v19
	s_delay_alu instid0(VALU_DEP_4) | instskip(NEXT) | instid1(VALU_DEP_4)
	v_ashrrev_i32_e32 v34, 31, v33
	v_lshlrev_b64_e32 v[29:30], 3, v[29:30]
	s_delay_alu instid0(VALU_DEP_4) | instskip(SKIP_3) | instid1(VALU_DEP_4)
	v_lshlrev_b64_e32 v[31:32], 3, v[31:32]
	s_wait_alu 0xfffd
	v_add_co_ci_u32_e64 v56, null, v18, v20, vcc_lo
	v_lshlrev_b64_e32 v[33:34], 3, v[33:34]
	v_add_co_u32 v53, vcc_lo, v17, v29
	s_wait_alu 0xfffd
	v_add_co_ci_u32_e64 v54, null, v18, v30, vcc_lo
	v_add_co_u32 v51, vcc_lo, v17, v31
	s_wait_alu 0xfffd
	v_add_co_ci_u32_e64 v52, null, v18, v32, vcc_lo
	;; [unrolled: 3-line block ×3, first 2 shown]
	s_clause 0x3
	flat_load_b64 v[31:32], v[55:56]
	flat_load_b64 v[29:30], v[53:54]
	;; [unrolled: 1-line block ×4, first 2 shown]
	s_and_saveexec_b32 s45, s1
	s_cbranch_execz .LBB294_47
; %bb.42:                               ;   in Loop: Header=BB294_5 Depth=1
	s_clause 0x3
	flat_load_b64 v[39:40], v[55:56] offset:512
	flat_load_b64 v[37:38], v[53:54] offset:512
	flat_load_b64 v[35:36], v[51:52] offset:512
	flat_load_b64 v[33:34], v[49:50] offset:512
	s_and_saveexec_b32 s46, s2
	s_cbranch_execz .LBB294_46
; %bb.43:                               ;   in Loop: Header=BB294_5 Depth=1
	s_clause 0x3
	flat_load_b64 v[47:48], v[55:56] offset:1024
	flat_load_b64 v[45:46], v[53:54] offset:1024
	flat_load_b64 v[43:44], v[51:52] offset:1024
	flat_load_b64 v[41:42], v[49:50] offset:1024
	;; [unrolled: 8-line block ×3, first 2 shown]
	s_wait_loadcnt_dscnt 0x202
	v_dual_mul_f32 v57, v22, v56 :: v_dual_mul_f32 v58, v24, v54
	v_mul_f32_e32 v56, v21, v56
	s_wait_loadcnt_dscnt 0x101
	v_dual_mul_f32 v54, v23, v54 :: v_dual_mul_f32 v59, v26, v52
	s_delay_alu instid0(VALU_DEP_3)
	v_fma_f32 v57, v21, v55, -v57
	v_fma_f32 v58, v23, v53, -v58
	s_wait_loadcnt_dscnt 0x0
	v_dual_fmac_f32 v56, v22, v55 :: v_dual_mul_f32 v55, v28, v50
	v_fmac_f32_e32 v54, v24, v53
	v_add_f32_e32 v9, v9, v57
	v_mul_f32_e32 v52, v25, v52
	v_fma_f32 v53, v25, v51, -v59
	s_delay_alu instid0(VALU_DEP_3) | instskip(SKIP_1) | instid1(VALU_DEP_2)
	v_dual_mul_f32 v50, v27, v50 :: v_dual_add_f32 v9, v58, v9
	v_add_f32_e32 v10, v10, v56
	v_fmac_f32_e32 v50, v28, v49
	s_delay_alu instid0(VALU_DEP_3) | instskip(NEXT) | instid1(VALU_DEP_3)
	v_dual_add_f32 v9, v53, v9 :: v_dual_fmac_f32 v52, v26, v51
	v_add_f32_e32 v10, v54, v10
	v_fma_f32 v51, v27, v49, -v55
	s_delay_alu instid0(VALU_DEP_1) | instskip(NEXT) | instid1(VALU_DEP_1)
	v_dual_add_f32 v9, v51, v9 :: v_dual_add_f32 v10, v52, v10
	v_add_f32_e32 v10, v50, v10
.LBB294_45:                             ;   in Loop: Header=BB294_5 Depth=1
	s_wait_alu 0xfffe
	s_or_b32 exec_lo, exec_lo, s47
	s_wait_loadcnt_dscnt 0x202
	v_dual_mul_f32 v49, v22, v48 :: v_dual_mul_f32 v50, v24, v46
	v_mul_f32_e32 v48, v21, v48
	s_wait_loadcnt_dscnt 0x101
	v_dual_mul_f32 v46, v23, v46 :: v_dual_mul_f32 v51, v26, v44
	s_delay_alu instid0(VALU_DEP_3)
	v_fma_f32 v49, v21, v47, -v49
	v_mul_f32_e32 v44, v25, v44
	v_fmac_f32_e32 v48, v22, v47
	v_fma_f32 v50, v23, v45, -v50
	s_wait_loadcnt_dscnt 0x0
	v_mul_f32_e32 v47, v28, v42
	v_add_f32_e32 v11, v11, v49
	v_fmac_f32_e32 v46, v24, v45
	v_fma_f32 v45, v25, v43, -v51
	v_mul_f32_e32 v42, v27, v42
	v_fmac_f32_e32 v44, v26, v43
	v_dual_add_f32 v11, v50, v11 :: v_dual_add_f32 v12, v12, v48
	v_fma_f32 v43, v27, v41, -v47
	s_delay_alu instid0(VALU_DEP_2) | instskip(NEXT) | instid1(VALU_DEP_1)
	v_dual_fmac_f32 v42, v28, v41 :: v_dual_add_f32 v11, v45, v11
	v_dual_add_f32 v12, v46, v12 :: v_dual_add_f32 v11, v43, v11
	s_delay_alu instid0(VALU_DEP_1) | instskip(NEXT) | instid1(VALU_DEP_1)
	v_add_f32_e32 v12, v44, v12
	v_add_f32_e32 v12, v42, v12
.LBB294_46:                             ;   in Loop: Header=BB294_5 Depth=1
	s_wait_alu 0xfffe
	s_or_b32 exec_lo, exec_lo, s46
	s_wait_loadcnt_dscnt 0x202
	v_dual_mul_f32 v41, v22, v40 :: v_dual_mul_f32 v42, v24, v38
	v_mul_f32_e32 v40, v21, v40
	s_wait_loadcnt_dscnt 0x101
	v_dual_mul_f32 v38, v23, v38 :: v_dual_mul_f32 v43, v26, v36
	s_delay_alu instid0(VALU_DEP_3)
	v_fma_f32 v41, v21, v39, -v41
	v_fma_f32 v42, v23, v37, -v42
	s_wait_loadcnt_dscnt 0x0
	v_dual_fmac_f32 v40, v22, v39 :: v_dual_mul_f32 v39, v28, v34
	v_fmac_f32_e32 v38, v24, v37
	v_add_f32_e32 v13, v13, v41
	v_mul_f32_e32 v36, v25, v36
	v_fma_f32 v37, v25, v35, -v43
	s_delay_alu instid0(VALU_DEP_3) | instskip(SKIP_1) | instid1(VALU_DEP_2)
	v_dual_mul_f32 v34, v27, v34 :: v_dual_add_f32 v13, v42, v13
	v_add_f32_e32 v14, v14, v40
	v_fmac_f32_e32 v34, v28, v33
	s_delay_alu instid0(VALU_DEP_3) | instskip(NEXT) | instid1(VALU_DEP_3)
	v_dual_add_f32 v13, v37, v13 :: v_dual_fmac_f32 v36, v26, v35
	v_add_f32_e32 v14, v38, v14
	v_fma_f32 v35, v27, v33, -v39
	s_delay_alu instid0(VALU_DEP_1) | instskip(NEXT) | instid1(VALU_DEP_1)
	v_dual_add_f32 v13, v35, v13 :: v_dual_add_f32 v14, v36, v14
	v_add_f32_e32 v14, v34, v14
.LBB294_47:                             ;   in Loop: Header=BB294_5 Depth=1
	s_wait_alu 0xfffe
	s_or_b32 exec_lo, exec_lo, s45
	s_wait_loadcnt_dscnt 0x202
	v_dual_mul_f32 v33, v22, v32 :: v_dual_mul_f32 v34, v24, v30
	v_mul_f32_e32 v32, v21, v32
	s_wait_loadcnt_dscnt 0x101
	v_dual_mul_f32 v30, v23, v30 :: v_dual_mul_f32 v35, v26, v20
	s_delay_alu instid0(VALU_DEP_3) | instskip(SKIP_1) | instid1(VALU_DEP_2)
	v_fma_f32 v21, v21, v31, -v33
	v_fma_f32 v23, v23, v29, -v34
	v_dual_add_f32 v15, v15, v21 :: v_dual_mul_f32 v20, v25, v20
	v_fmac_f32_e32 v32, v22, v31
	v_fma_f32 v21, v25, v19, -v35
	s_wait_loadcnt_dscnt 0x0
	s_delay_alu instid0(VALU_DEP_3) | instskip(NEXT) | instid1(VALU_DEP_3)
	v_dual_add_f32 v15, v23, v15 :: v_dual_mul_f32 v22, v28, v18
	v_add_f32_e32 v16, v16, v32
	v_fmac_f32_e32 v20, v26, v19
	s_delay_alu instid0(VALU_DEP_3) | instskip(NEXT) | instid1(VALU_DEP_4)
	v_dual_mul_f32 v18, v27, v18 :: v_dual_add_f32 v15, v21, v15
	v_fma_f32 v19, v27, v17, -v22
	v_fmac_f32_e32 v30, v24, v29
	s_delay_alu instid0(VALU_DEP_2) | instskip(NEXT) | instid1(VALU_DEP_2)
	v_dual_fmac_f32 v18, v28, v17 :: v_dual_add_f32 v15, v19, v15
	v_add_f32_e32 v16, v30, v16
	s_delay_alu instid0(VALU_DEP_1) | instskip(NEXT) | instid1(VALU_DEP_1)
	v_add_f32_e32 v16, v20, v16
	v_add_f32_e32 v16, v18, v16
.LBB294_48:                             ;   in Loop: Header=BB294_5 Depth=1
	s_wait_alu 0xfffe
	s_or_b32 exec_lo, exec_lo, s7
.LBB294_49:                             ;   in Loop: Header=BB294_5 Depth=1
	ds_store_2addr_stride64_b64 v0, v[15:16], v[13:14] offset1:1
	ds_store_2addr_stride64_b64 v0, v[11:12], v[9:10] offset0:2 offset1:3
	s_wait_storecnt 0x0
	s_wait_loadcnt_dscnt 0x0
	s_barrier_signal -1
	s_barrier_wait -1
	global_inv scope:SCOPE_SE
	s_and_saveexec_b32 s7, s5
	s_cbranch_execz .LBB294_3
; %bb.50:                               ;   in Loop: Header=BB294_5 Depth=1
	ds_load_2addr_stride64_b64 v[9:12], v63 offset1:4
	ds_load_2addr_stride64_b64 v[13:16], v63 offset0:8 offset1:12
	s_wait_dscnt 0x1
	v_dual_add_f32 v9, v9, v11 :: v_dual_add_f32 v10, v10, v12
	s_wait_dscnt 0x0
	s_delay_alu instid0(VALU_DEP_1) | instskip(NEXT) | instid1(VALU_DEP_1)
	v_dual_add_f32 v9, v9, v13 :: v_dual_add_f32 v10, v10, v14
	v_dual_add_f32 v11, v9, v15 :: v_dual_add_f32 v12, v10, v16
	ds_store_b64 v63, v[11:12]
	s_and_b32 exec_lo, exec_lo, s6
	s_cbranch_execz .LBB294_3
; %bb.51:                               ;   in Loop: Header=BB294_5 Depth=1
	s_cmp_neq_f32 s41, 0
	v_mul_f32_e32 v10, s43, v12
	v_mul_f32_e32 v9, s44, v12
	s_cselect_b32 s45, -1, 0
	s_cmp_neq_f32 s42, 0
	s_delay_alu instid0(VALU_DEP_2) | instskip(NEXT) | instid1(VALU_DEP_2)
	v_fmac_f32_e32 v10, s44, v11
	v_fma_f32 v9, v11, s43, -v9
	s_cselect_b32 s46, -1, 0
	s_wait_alu 0xfffe
	s_or_b32 s45, s45, s46
	s_wait_alu 0xfffe
	s_and_not1_b32 vcc_lo, exec_lo, s45
	s_wait_alu 0xfffe
	s_cbranch_vccnz .LBB294_2
; %bb.52:                               ;   in Loop: Header=BB294_5 Depth=1
	v_add_co_u32 v11, vcc_lo, v69, v7
	s_wait_alu 0xfffd
	v_add_co_ci_u32_e64 v12, null, v70, v8, vcc_lo
	flat_load_b64 v[11:12], v[11:12]
	s_wait_loadcnt_dscnt 0x0
	v_mul_f32_e32 v13, s42, v12
	v_mul_f32_e32 v12, s41, v12
	s_delay_alu instid0(VALU_DEP_1) | instskip(NEXT) | instid1(VALU_DEP_3)
	v_fmac_f32_e32 v12, s42, v11
	v_fma_f32 v13, s41, v11, -v13
	s_delay_alu instid0(VALU_DEP_1)
	v_dual_add_f32 v10, v10, v12 :: v_dual_add_f32 v9, v9, v13
	s_branch .LBB294_2
.LBB294_53:
	s_endpgm
	.section	.rodata,"a",@progbits
	.p2align	6, 0x0
	.amdhsa_kernel _ZL20rocblas_gemvn_kernelILi64ELi4EiPK19rocblas_complex_numIfES3_KPS1_EviiT3_lPKT2_lT1_lS9_lSA_lS6_lPT4_lSA_li
		.amdhsa_group_segment_fixed_size 8192
		.amdhsa_private_segment_fixed_size 0
		.amdhsa_kernarg_size 400
		.amdhsa_user_sgpr_count 2
		.amdhsa_user_sgpr_dispatch_ptr 0
		.amdhsa_user_sgpr_queue_ptr 0
		.amdhsa_user_sgpr_kernarg_segment_ptr 1
		.amdhsa_user_sgpr_dispatch_id 0
		.amdhsa_user_sgpr_private_segment_size 0
		.amdhsa_wavefront_size32 1
		.amdhsa_uses_dynamic_stack 0
		.amdhsa_enable_private_segment 0
		.amdhsa_system_sgpr_workgroup_id_x 1
		.amdhsa_system_sgpr_workgroup_id_y 0
		.amdhsa_system_sgpr_workgroup_id_z 1
		.amdhsa_system_sgpr_workgroup_info 0
		.amdhsa_system_vgpr_workitem_id 1
		.amdhsa_next_free_vgpr 79
		.amdhsa_next_free_sgpr 51
		.amdhsa_reserve_vcc 1
		.amdhsa_float_round_mode_32 0
		.amdhsa_float_round_mode_16_64 0
		.amdhsa_float_denorm_mode_32 3
		.amdhsa_float_denorm_mode_16_64 3
		.amdhsa_fp16_overflow 0
		.amdhsa_workgroup_processor_mode 1
		.amdhsa_memory_ordered 1
		.amdhsa_forward_progress 1
		.amdhsa_inst_pref_size 34
		.amdhsa_round_robin_scheduling 0
		.amdhsa_exception_fp_ieee_invalid_op 0
		.amdhsa_exception_fp_denorm_src 0
		.amdhsa_exception_fp_ieee_div_zero 0
		.amdhsa_exception_fp_ieee_overflow 0
		.amdhsa_exception_fp_ieee_underflow 0
		.amdhsa_exception_fp_ieee_inexact 0
		.amdhsa_exception_int_div_zero 0
	.end_amdhsa_kernel
	.section	.text._ZL20rocblas_gemvn_kernelILi64ELi4EiPK19rocblas_complex_numIfES3_KPS1_EviiT3_lPKT2_lT1_lS9_lSA_lS6_lPT4_lSA_li,"axG",@progbits,_ZL20rocblas_gemvn_kernelILi64ELi4EiPK19rocblas_complex_numIfES3_KPS1_EviiT3_lPKT2_lT1_lS9_lSA_lS6_lPT4_lSA_li,comdat
.Lfunc_end294:
	.size	_ZL20rocblas_gemvn_kernelILi64ELi4EiPK19rocblas_complex_numIfES3_KPS1_EviiT3_lPKT2_lT1_lS9_lSA_lS6_lPT4_lSA_li, .Lfunc_end294-_ZL20rocblas_gemvn_kernelILi64ELi4EiPK19rocblas_complex_numIfES3_KPS1_EviiT3_lPKT2_lT1_lS9_lSA_lS6_lPT4_lSA_li
                                        ; -- End function
	.set _ZL20rocblas_gemvn_kernelILi64ELi4EiPK19rocblas_complex_numIfES3_KPS1_EviiT3_lPKT2_lT1_lS9_lSA_lS6_lPT4_lSA_li.num_vgpr, 79
	.set _ZL20rocblas_gemvn_kernelILi64ELi4EiPK19rocblas_complex_numIfES3_KPS1_EviiT3_lPKT2_lT1_lS9_lSA_lS6_lPT4_lSA_li.num_agpr, 0
	.set _ZL20rocblas_gemvn_kernelILi64ELi4EiPK19rocblas_complex_numIfES3_KPS1_EviiT3_lPKT2_lT1_lS9_lSA_lS6_lPT4_lSA_li.numbered_sgpr, 51
	.set _ZL20rocblas_gemvn_kernelILi64ELi4EiPK19rocblas_complex_numIfES3_KPS1_EviiT3_lPKT2_lT1_lS9_lSA_lS6_lPT4_lSA_li.num_named_barrier, 0
	.set _ZL20rocblas_gemvn_kernelILi64ELi4EiPK19rocblas_complex_numIfES3_KPS1_EviiT3_lPKT2_lT1_lS9_lSA_lS6_lPT4_lSA_li.private_seg_size, 0
	.set _ZL20rocblas_gemvn_kernelILi64ELi4EiPK19rocblas_complex_numIfES3_KPS1_EviiT3_lPKT2_lT1_lS9_lSA_lS6_lPT4_lSA_li.uses_vcc, 1
	.set _ZL20rocblas_gemvn_kernelILi64ELi4EiPK19rocblas_complex_numIfES3_KPS1_EviiT3_lPKT2_lT1_lS9_lSA_lS6_lPT4_lSA_li.uses_flat_scratch, 1
	.set _ZL20rocblas_gemvn_kernelILi64ELi4EiPK19rocblas_complex_numIfES3_KPS1_EviiT3_lPKT2_lT1_lS9_lSA_lS6_lPT4_lSA_li.has_dyn_sized_stack, 0
	.set _ZL20rocblas_gemvn_kernelILi64ELi4EiPK19rocblas_complex_numIfES3_KPS1_EviiT3_lPKT2_lT1_lS9_lSA_lS6_lPT4_lSA_li.has_recursion, 0
	.set _ZL20rocblas_gemvn_kernelILi64ELi4EiPK19rocblas_complex_numIfES3_KPS1_EviiT3_lPKT2_lT1_lS9_lSA_lS6_lPT4_lSA_li.has_indirect_call, 0
	.section	.AMDGPU.csdata,"",@progbits
; Kernel info:
; codeLenInByte = 4260
; TotalNumSgprs: 53
; NumVgprs: 79
; ScratchSize: 0
; MemoryBound: 0
; FloatMode: 240
; IeeeMode: 1
; LDSByteSize: 8192 bytes/workgroup (compile time only)
; SGPRBlocks: 0
; VGPRBlocks: 9
; NumSGPRsForWavesPerEU: 53
; NumVGPRsForWavesPerEU: 79
; Occupancy: 16
; WaveLimiterHint : 1
; COMPUTE_PGM_RSRC2:SCRATCH_EN: 0
; COMPUTE_PGM_RSRC2:USER_SGPR: 2
; COMPUTE_PGM_RSRC2:TRAP_HANDLER: 0
; COMPUTE_PGM_RSRC2:TGID_X_EN: 1
; COMPUTE_PGM_RSRC2:TGID_Y_EN: 0
; COMPUTE_PGM_RSRC2:TGID_Z_EN: 1
; COMPUTE_PGM_RSRC2:TIDIG_COMP_CNT: 1
	.section	.text._ZL20rocblas_gemvn_kernelILi64ELi4ElPK19rocblas_complex_numIfES3_KPS1_EviiT3_lPKT2_lT1_lS9_lSA_lS6_lPT4_lSA_li,"axG",@progbits,_ZL20rocblas_gemvn_kernelILi64ELi4ElPK19rocblas_complex_numIfES3_KPS1_EviiT3_lPKT2_lT1_lS9_lSA_lS6_lPT4_lSA_li,comdat
	.globl	_ZL20rocblas_gemvn_kernelILi64ELi4ElPK19rocblas_complex_numIfES3_KPS1_EviiT3_lPKT2_lT1_lS9_lSA_lS6_lPT4_lSA_li ; -- Begin function _ZL20rocblas_gemvn_kernelILi64ELi4ElPK19rocblas_complex_numIfES3_KPS1_EviiT3_lPKT2_lT1_lS9_lSA_lS6_lPT4_lSA_li
	.p2align	8
	.type	_ZL20rocblas_gemvn_kernelILi64ELi4ElPK19rocblas_complex_numIfES3_KPS1_EviiT3_lPKT2_lT1_lS9_lSA_lS6_lPT4_lSA_li,@function
_ZL20rocblas_gemvn_kernelILi64ELi4ElPK19rocblas_complex_numIfES3_KPS1_EviiT3_lPKT2_lT1_lS9_lSA_lS6_lPT4_lSA_li: ; @_ZL20rocblas_gemvn_kernelILi64ELi4ElPK19rocblas_complex_numIfES3_KPS1_EviiT3_lPKT2_lT1_lS9_lSA_lS6_lPT4_lSA_li
; %bb.0:
	s_clause 0x1
	s_load_b64 s[2:3], s[0:1], 0x9c
	s_load_b32 s33, s[0:1], 0x88
	s_lshr_b32 s28, ttmp7, 16
	s_wait_kmcnt 0x0
	s_lshr_b32 s4, s2, 16
	s_and_b32 s2, s2, 0xffff
	s_and_b32 s3, s3, 0xffff
	s_mul_i32 s2, s4, s2
	s_delay_alu instid0(SALU_CYCLE_1) | instskip(NEXT) | instid1(SALU_CYCLE_1)
	s_mul_i32 s2, s2, s3
	s_cmp_lg_u32 s2, 0x100
	s_cselect_b32 s2, -1, 0
	s_cmp_ge_u32 s28, s33
	s_cselect_b32 s3, -1, 0
	s_delay_alu instid0(SALU_CYCLE_1) | instskip(NEXT) | instid1(SALU_CYCLE_1)
	s_or_b32 s2, s2, s3
	s_and_b32 vcc_lo, exec_lo, s2
	s_cbranch_vccnz .LBB295_53
; %bb.1:
	s_clause 0x2
	s_load_b64 s[38:39], s[0:1], 0x78
	s_load_b64 s[30:31], s[0:1], 0x0
	s_load_b256 s[8:15], s[0:1], 0x8
	v_dual_mov_b32 v1, 0 :: v_dual_and_b32 v2, 0x3ff, v0
	v_bfe_u32 v13, v0, 10, 10
	s_lshl_b32 s7, ttmp9, 8
	s_clause 0x3
	s_load_b64 s[34:35], s[0:1], 0x28
	s_load_b128 s[24:27], s[0:1], 0x38
	s_load_b64 s[36:37], s[0:1], 0x48
	s_load_b256 s[16:23], s[0:1], 0x58
	v_or_b32_e32 v4, s7, v2
	s_mov_b32 s29, 0
	v_lshl_add_u32 v6, v13, 6, v2
	s_delay_alu instid0(VALU_DEP_2) | instskip(SKIP_1) | instid1(VALU_DEP_3)
	v_add_nc_u32_e32 v3, 0x80, v4
	v_add_nc_u32_e32 v8, 0xc0, v4
	v_add_nc_u32_e32 v0, s7, v6
	v_ashrrev_i32_e32 v5, 31, v4
	s_wait_kmcnt 0x0
	s_delay_alu instid0(VALU_DEP_2)
	v_mad_co_u64_u32 v[14:15], null, s38, v0, 0
	v_lshlrev_b32_e32 v7, 3, v2
	v_add_nc_u32_e32 v2, 64, v4
	s_ashr_i32 s2, s31, 31
	s_ashr_i32 s5, s30, 31
	s_lshr_b32 s3, s2, 28
	v_cmp_gt_i32_e64 s2, s30, v3
	v_cmp_gt_i32_e64 s1, s30, v2
	v_mov_b32_e32 v2, v15
	s_add_co_i32 s3, s31, s3
	s_mov_b32 s4, s30
	s_and_b32 s44, s3, -16
	v_cmp_gt_i32_e64 s3, s30, v8
	v_mad_co_u64_u32 v[2:3], null, s39, v0, v[2:3]
	v_lshlrev_b32_e32 v72, 2, v13
	v_or_b32_e32 v8, s7, v6
	s_sub_co_i32 s6, s31, s44
	v_lshl_add_u32 v73, v13, 9, v7
	s_wait_alu 0xfffe
	s_cmp_gt_i32 s6, 0
	v_cmp_gt_i32_e64 s0, s30, v4
	v_mov_b32_e32 v15, v2
	v_mad_co_u64_u32 v[2:3], null, s36, v13, 0
	v_cmp_gt_i32_e64 s6, s30, v8
	v_mul_lo_u32 v20, s39, v8
	v_mad_co_u64_u32 v[16:17], null, s38, v8, 0
	v_or_b32_e32 v21, 3, v72
	v_or_b32_e32 v22, 2, v72
	v_mad_co_u64_u32 v[8:9], null, s37, v13, v[3:4]
	v_mad_co_u64_u32 v[9:10], null, s34, v13, 0
	s_delay_alu instid0(VALU_DEP_3) | instskip(SKIP_1) | instid1(VALU_DEP_4)
	v_mad_co_u64_u32 v[11:12], null, s34, v22, 0
	v_mad_co_u64_u32 v[18:19], null, s34, v72, s[34:35]
	v_mov_b32_e32 v3, v8
	v_cmp_gt_i64_e32 vcc_lo, s[4:5], v[0:1]
	v_lshl_add_u32 v0, v13, 11, v7
	v_cmp_gt_u32_e64 s5, 0x100, v6
	v_mad_co_u64_u32 v[6:7], null, s34, v21, 0
	v_mov_b32_e32 v8, v10
	s_cselect_b32 s45, -1, 0
	s_ashr_i32 s7, s7, 31
	v_mov_b32_e32 v10, v19
	s_wait_alu 0xfffe
	s_mul_i32 s7, s38, s7
	v_lshlrev_b64_e32 v[2:3], 5, v[2:3]
	s_wait_alu 0xfffe
	v_add3_u32 v17, v17, s7, v20
	v_mad_co_u64_u32 v[20:21], null, s35, v21, v[7:8]
	v_mov_b32_e32 v7, v12
	v_mad_co_u64_u32 v[12:13], null, s35, v13, v[8:9]
	v_lshlrev_b64_e32 v[4:5], 3, v[4:5]
	v_lshlrev_b64_e32 v[14:15], 3, v[14:15]
	s_delay_alu instid0(VALU_DEP_4)
	v_mad_co_u64_u32 v[21:22], null, s35, v22, v[7:8]
	v_mad_co_u64_u32 v[22:23], null, s35, v72, v[10:11]
	v_dual_mov_b32 v7, v20 :: v_dual_mov_b32 v10, v12
	v_lshlrev_b64_e32 v[16:17], 3, v[16:17]
	v_cmp_gt_i32_e64 s4, s44, v72
	v_mov_b32_e32 v12, v21
	s_delay_alu instid0(VALU_DEP_4)
	v_lshlrev_b64_e32 v[6:7], 3, v[6:7]
	v_mov_b32_e32 v19, v22
	v_lshlrev_b64_e32 v[8:9], 5, v[9:10]
	s_and_b32 s30, s5, vcc_lo
	v_lshlrev_b64_e32 v[10:11], 3, v[11:12]
	s_lshl_b64 s[38:39], s[36:37], 7
	v_lshlrev_b64_e32 v[12:13], 3, v[18:19]
	s_lshl_b64 s[40:41], s[34:35], 7
	s_lshl_b64 s[42:43], s[36:37], 3
	;; [unrolled: 1-line block ×5, first 2 shown]
	s_branch .LBB295_5
.LBB295_2:                              ;   in Loop: Header=BB295_5 Depth=1
	v_add_co_u32 v20, vcc_lo, v74, v16
	s_wait_alu 0xfffd
	v_add_co_ci_u32_e64 v21, null, v75, v17, vcc_lo
	flat_store_b64 v[20:21], v[18:19]
.LBB295_3:                              ;   in Loop: Header=BB295_5 Depth=1
	s_wait_alu 0xfffe
	s_or_b32 exec_lo, exec_lo, s7
.LBB295_4:                              ;   in Loop: Header=BB295_5 Depth=1
	s_add_co_i32 s28, s28, 0x10000
	s_delay_alu instid0(SALU_CYCLE_1)
	s_cmp_lt_u32 s28, s33
	s_cbranch_scc0 .LBB295_53
.LBB295_5:                              ; =>This Loop Header: Depth=1
                                        ;     Child Loop BB295_25 Depth 2
	s_mul_u64 s[46:47], s[10:11], s[28:29]
	s_wait_alu 0xfffe
	s_lshl_b64 s[46:47], s[46:47], 3
	s_wait_alu 0xfffe
	s_add_nc_u64 s[46:47], s[8:9], s[46:47]
	global_load_b64 v[18:19], v1, s[46:47]
	s_mul_u64 s[46:47], s[18:19], s[28:29]
	s_wait_alu 0xfffe
	s_lshl_b64 s[46:47], s[46:47], 3
	s_wait_alu 0xfffe
	s_add_nc_u64 s[46:47], s[16:17], s[46:47]
	global_load_b64 v[20:21], v1, s[46:47]
	s_wait_loadcnt 0x1
	v_readfirstlane_b32 s48, v18
	v_readfirstlane_b32 s49, v19
	s_cmp_neq_f32 s48, 0
	s_wait_loadcnt 0x0
	v_readfirstlane_b32 s46, v20
	s_cselect_b32 s7, -1, 0
	s_cmp_neq_f32 s49, 0
	s_cselect_b32 s47, -1, 0
	s_wait_alu 0xfffe
	s_or_b32 s7, s7, s47
	v_readfirstlane_b32 s47, v21
	s_wait_alu 0xfffe
	s_and_b32 vcc_lo, exec_lo, s7
	s_mov_b32 s7, -1
	s_wait_alu 0xfffe
	s_cbranch_vccnz .LBB295_7
; %bb.6:                                ;   in Loop: Header=BB295_5 Depth=1
	s_cmp_neq_f32 s46, 1.0
	s_cselect_b32 s7, -1, 0
	s_cmp_neq_f32 s47, 0
	s_cselect_b32 s50, -1, 0
	s_wait_alu 0xfffe
	s_or_b32 s7, s7, s50
.LBB295_7:                              ;   in Loop: Header=BB295_5 Depth=1
	s_wait_alu 0xfffe
	s_and_not1_b32 vcc_lo, exec_lo, s7
	s_wait_alu 0xfffe
	s_cbranch_vccnz .LBB295_4
; %bb.8:                                ;   in Loop: Header=BB295_5 Depth=1
	s_or_b32 s7, s48, s49
	v_mov_b32_e32 v28, 0
	s_wait_alu 0xfffe
	s_bitset0_b32 s7, 31
	v_dual_mov_b32 v29, 0 :: v_dual_mov_b32 v26, 0
	s_wait_alu 0xfffe
	s_cmp_lg_u32 s7, 0
	v_mov_b32_e32 v27, 0
	s_cselect_b32 s50, -1, 0
	s_cmp_eq_u32 s7, 0
	s_cselect_b32 s7, -1, 0
	s_wait_alu 0xfffe
	s_and_b32 vcc_lo, exec_lo, s7
	s_wait_alu 0xfffe
	s_cbranch_vccnz .LBB295_10
; %bb.9:                                ;   in Loop: Header=BB295_5 Depth=1
	s_lshl_b64 s[52:53], s[28:29], 3
	s_delay_alu instid0(SALU_CYCLE_1)
	s_add_nc_u64 s[52:53], s[12:13], s[52:53]
	global_load_b64 v[18:19], v1, s[52:53]
	s_wait_loadcnt 0x0
	v_add_co_u32 v26, vcc_lo, v18, s14
	s_wait_alu 0xfffd
	v_add_co_ci_u32_e64 v27, null, s15, v19, vcc_lo
.LBB295_10:                             ;   in Loop: Header=BB295_5 Depth=1
	s_and_not1_b32 vcc_lo, exec_lo, s50
	s_wait_alu 0xfffe
	s_cbranch_vccnz .LBB295_12
; %bb.11:                               ;   in Loop: Header=BB295_5 Depth=1
	s_lshl_b64 s[50:51], s[28:29], 3
	s_delay_alu instid0(SALU_CYCLE_1)
	s_add_nc_u64 s[50:51], s[24:25], s[50:51]
	global_load_b64 v[18:19], v1, s[50:51]
	s_wait_loadcnt 0x0
	v_add_co_u32 v28, vcc_lo, v18, s26
	s_wait_alu 0xfffd
	v_add_co_ci_u32_e64 v29, null, s27, v19, vcc_lo
.LBB295_12:                             ;   in Loop: Header=BB295_5 Depth=1
	s_lshl_b64 s[50:51], s[28:29], 3
	s_delay_alu instid0(SALU_CYCLE_1)
	s_add_nc_u64 s[50:51], s[20:21], s[50:51]
	global_load_b64 v[18:19], v1, s[50:51]
	s_wait_loadcnt 0x0
	v_add_co_u32 v74, vcc_lo, v18, s22
	s_wait_alu 0xfffd
	v_add_co_ci_u32_e64 v75, null, s23, v19, vcc_lo
	s_and_not1_b32 vcc_lo, exec_lo, s7
	s_mov_b32 s7, -1
	s_wait_alu 0xfffe
	s_cbranch_vccnz .LBB295_18
; %bb.13:                               ;   in Loop: Header=BB295_5 Depth=1
	s_and_saveexec_b32 s7, s30
	s_cbranch_execz .LBB295_17
; %bb.14:                               ;   in Loop: Header=BB295_5 Depth=1
	s_cmp_neq_f32 s46, 0
	v_dual_mov_b32 v18, 0 :: v_dual_mov_b32 v19, 0
	s_cselect_b32 s50, -1, 0
	s_cmp_neq_f32 s47, 0
	s_cselect_b32 s51, -1, 0
	s_delay_alu instid0(SALU_CYCLE_1) | instskip(NEXT) | instid1(SALU_CYCLE_1)
	s_or_b32 s50, s50, s51
	s_and_not1_b32 vcc_lo, exec_lo, s50
	s_wait_alu 0xfffe
	s_cbranch_vccnz .LBB295_16
; %bb.15:                               ;   in Loop: Header=BB295_5 Depth=1
	v_add_co_u32 v18, vcc_lo, v74, v14
	s_wait_alu 0xfffd
	v_add_co_ci_u32_e64 v19, null, v75, v15, vcc_lo
	flat_load_b64 v[20:21], v[18:19]
	s_wait_loadcnt_dscnt 0x0
	v_mul_f32_e32 v19, s46, v21
	s_delay_alu instid0(VALU_DEP_1) | instskip(NEXT) | instid1(VALU_DEP_1)
	v_dual_mul_f32 v18, s47, v21 :: v_dual_fmac_f32 v19, s47, v20
	v_fma_f32 v18, s46, v20, -v18
.LBB295_16:                             ;   in Loop: Header=BB295_5 Depth=1
	v_add_co_u32 v20, vcc_lo, v74, v14
	s_wait_alu 0xfffd
	v_add_co_ci_u32_e64 v21, null, v75, v15, vcc_lo
	flat_store_b64 v[20:21], v[18:19]
.LBB295_17:                             ;   in Loop: Header=BB295_5 Depth=1
	s_wait_alu 0xfffe
	s_or_b32 exec_lo, exec_lo, s7
	s_mov_b32 s7, 0
.LBB295_18:                             ;   in Loop: Header=BB295_5 Depth=1
	s_wait_alu 0xfffe
	s_and_not1_b32 vcc_lo, exec_lo, s7
	s_wait_alu 0xfffe
	s_cbranch_vccnz .LBB295_4
; %bb.19:                               ;   in Loop: Header=BB295_5 Depth=1
	v_dual_mov_b32 v19, 0 :: v_dual_mov_b32 v76, v72
	v_dual_mov_b32 v18, 0 :: v_dual_mov_b32 v21, 0
	;; [unrolled: 1-line block ×4, first 2 shown]
	v_mov_b32_e32 v24, 0
	s_and_saveexec_b32 s50, s4
	s_cbranch_execz .LBB295_31
; %bb.20:                               ;   in Loop: Header=BB295_5 Depth=1
	v_add_co_u32 v30, vcc_lo, v28, v2
	s_wait_alu 0xfffd
	v_add_co_ci_u32_e64 v31, null, v29, v3, vcc_lo
	v_add_co_u32 v77, vcc_lo, v26, v6
	s_wait_alu 0xfffd
	v_add_co_ci_u32_e64 v78, null, v27, v7, vcc_lo
	v_add_co_u32 v79, vcc_lo, v26, v8
	v_dual_mov_b32 v19, 0 :: v_dual_mov_b32 v76, v72
	s_wait_alu 0xfffd
	v_add_co_ci_u32_e64 v80, null, v27, v9, vcc_lo
	v_add_co_u32 v81, vcc_lo, v26, v10
	s_wait_alu 0xfffd
	v_add_co_ci_u32_e64 v82, null, v27, v11, vcc_lo
	v_add_co_u32 v83, vcc_lo, v26, v12
	s_wait_alu 0xfffd
	v_add_co_ci_u32_e64 v84, null, v27, v13, vcc_lo
	v_dual_mov_b32 v18, v19 :: v_dual_mov_b32 v21, v19
	v_dual_mov_b32 v20, v19 :: v_dual_mov_b32 v23, v19
	;; [unrolled: 1-line block ×3, first 2 shown]
	v_mov_b32_e32 v24, v19
	s_mov_b32 s51, 0
	s_branch .LBB295_25
.LBB295_21:                             ;   in Loop: Header=BB295_25 Depth=2
	s_or_b32 exec_lo, exec_lo, s54
	s_wait_loadcnt_dscnt 0x303
	v_mul_f32_e32 v64, v45, v63
	s_wait_loadcnt_dscnt 0x101
	v_dual_mul_f32 v65, v41, v61 :: v_dual_mul_f32 v66, v35, v59
	v_mul_f32_e32 v61, v40, v61
	v_mul_f32_e32 v63, v44, v63
	v_fma_f32 v64, v44, v62, -v64
	v_mul_f32_e32 v59, v34, v59
	v_fma_f32 v65, v40, v60, -v65
	v_fmac_f32_e32 v61, v41, v60
	v_fma_f32 v60, v34, v58, -v66
	s_delay_alu instid0(VALU_DEP_4) | instskip(NEXT) | instid1(VALU_DEP_1)
	v_dual_add_f32 v20, v20, v64 :: v_dual_fmac_f32 v59, v35, v58
	v_add_f32_e32 v20, v65, v20
	v_fmac_f32_e32 v63, v45, v62
	s_wait_loadcnt_dscnt 0x0
	v_mul_f32_e32 v62, v33, v57
	v_mul_f32_e32 v57, v32, v57
	v_add_f32_e32 v20, v60, v20
	s_delay_alu instid0(VALU_DEP_3) | instskip(SKIP_1) | instid1(VALU_DEP_4)
	v_fma_f32 v58, v32, v56, -v62
	v_add_f32_e32 v21, v21, v63
	v_fmac_f32_e32 v57, v33, v56
	s_delay_alu instid0(VALU_DEP_2) | instskip(NEXT) | instid1(VALU_DEP_1)
	v_dual_add_f32 v20, v58, v20 :: v_dual_add_f32 v21, v61, v21
	v_add_f32_e32 v21, v59, v21
	s_delay_alu instid0(VALU_DEP_1)
	v_add_f32_e32 v21, v57, v21
.LBB295_22:                             ;   in Loop: Header=BB295_25 Depth=2
	s_or_b32 exec_lo, exec_lo, s53
	s_wait_loadcnt_dscnt 0x303
	v_mul_f32_e32 v56, v45, v55
	v_mul_f32_e32 v55, v44, v55
	s_wait_loadcnt_dscnt 0x101
	v_dual_mul_f32 v57, v41, v53 :: v_dual_mul_f32 v58, v35, v51
	v_mul_f32_e32 v53, v40, v53
	v_fma_f32 v56, v44, v54, -v56
	v_fmac_f32_e32 v55, v45, v54
	s_delay_alu instid0(VALU_DEP_4) | instskip(SKIP_4) | instid1(VALU_DEP_2)
	v_fma_f32 v57, v40, v52, -v57
	s_wait_loadcnt_dscnt 0x0
	v_mul_f32_e32 v54, v33, v49
	v_dual_mul_f32 v49, v32, v49 :: v_dual_add_f32 v22, v22, v56
	v_mul_f32_e32 v51, v34, v51
	v_fmac_f32_e32 v49, v33, v48
	s_delay_alu instid0(VALU_DEP_3) | instskip(SKIP_4) | instid1(VALU_DEP_3)
	v_add_f32_e32 v22, v57, v22
	v_fmac_f32_e32 v53, v41, v52
	v_fma_f32 v52, v34, v50, -v58
	v_fmac_f32_e32 v51, v35, v50
	v_fma_f32 v50, v32, v48, -v54
	v_dual_add_f32 v22, v52, v22 :: v_dual_add_f32 v23, v23, v55
	s_delay_alu instid0(VALU_DEP_1) | instskip(NEXT) | instid1(VALU_DEP_1)
	v_dual_add_f32 v22, v50, v22 :: v_dual_add_f32 v23, v53, v23
	v_add_f32_e32 v23, v51, v23
	s_delay_alu instid0(VALU_DEP_1)
	v_add_f32_e32 v23, v49, v23
.LBB295_23:                             ;   in Loop: Header=BB295_25 Depth=2
	s_or_b32 exec_lo, exec_lo, s52
	s_wait_loadcnt_dscnt 0x101
	v_mul_f32_e32 v50, v35, v39
	v_mul_f32_e32 v48, v45, v47
	;; [unrolled: 1-line block ×3, first 2 shown]
	s_delay_alu instid0(VALU_DEP_3) | instskip(SKIP_1) | instid1(VALU_DEP_1)
	v_fma_f32 v34, v34, v38, -v50
	v_mul_f32_e32 v47, v44, v47
	v_fmac_f32_e32 v47, v45, v46
	s_wait_loadcnt_dscnt 0x0
	v_mul_f32_e32 v45, v33, v37
	v_mul_f32_e32 v37, v32, v37
	v_fma_f32 v44, v44, v46, -v48
	v_mul_f32_e32 v49, v41, v43
	v_mul_f32_e32 v43, v40, v43
	v_add_f32_e32 v25, v25, v47
	v_fma_f32 v32, v32, v36, -v45
	v_add_f32_e32 v24, v24, v44
	v_fma_f32 v40, v40, v42, -v49
	v_fmac_f32_e32 v43, v41, v42
	v_fmac_f32_e32 v37, v33, v36
	s_delay_alu instid0(VALU_DEP_3) | instskip(NEXT) | instid1(VALU_DEP_1)
	v_dual_add_f32 v24, v40, v24 :: v_dual_fmac_f32 v39, v35, v38
	v_dual_add_f32 v25, v43, v25 :: v_dual_add_f32 v24, v34, v24
	s_delay_alu instid0(VALU_DEP_1) | instskip(NEXT) | instid1(VALU_DEP_1)
	v_dual_add_f32 v25, v39, v25 :: v_dual_add_f32 v24, v32, v24
	v_add_f32_e32 v25, v37, v25
.LBB295_24:                             ;   in Loop: Header=BB295_25 Depth=2
	s_wait_alu 0xfffe
	s_or_b32 exec_lo, exec_lo, s7
	v_add_co_u32 v30, vcc_lo, v30, s38
	s_wait_alu 0xfffd
	v_add_co_ci_u32_e64 v31, null, s39, v31, vcc_lo
	v_add_co_u32 v77, vcc_lo, v77, s40
	v_add_nc_u32_e32 v76, 16, v76
	s_wait_alu 0xfffd
	v_add_co_ci_u32_e64 v78, null, s41, v78, vcc_lo
	v_add_co_u32 v79, vcc_lo, v79, s40
	s_wait_alu 0xfffd
	v_add_co_ci_u32_e64 v80, null, s41, v80, vcc_lo
	v_add_co_u32 v81, vcc_lo, v81, s40
	s_wait_alu 0xfffd
	v_add_co_ci_u32_e64 v82, null, s41, v82, vcc_lo
	v_cmp_le_i32_e32 vcc_lo, s44, v76
	v_add_co_u32 v83, s7, v83, s40
	s_wait_alu 0xf1ff
	v_add_co_ci_u32_e64 v84, null, s41, v84, s7
	s_or_b32 s51, vcc_lo, s51
	s_delay_alu instid0(SALU_CYCLE_1)
	s_and_not1_b32 exec_lo, exec_lo, s51
	s_cbranch_execz .LBB295_30
.LBB295_25:                             ;   Parent Loop BB295_5 Depth=1
                                        ; =>  This Inner Loop Header: Depth=2
	s_and_saveexec_b32 s7, s0
	s_cbranch_execz .LBB295_24
; %bb.26:                               ;   in Loop: Header=BB295_25 Depth=2
	v_add_co_u32 v32, vcc_lo, v30, s42
	s_wait_alu 0xfffd
	v_add_co_ci_u32_e64 v33, null, s43, v31, vcc_lo
	s_delay_alu instid0(VALU_DEP_2) | instskip(SKIP_1) | instid1(VALU_DEP_2)
	v_add_co_u32 v34, vcc_lo, v32, s42
	s_wait_alu 0xfffd
	v_add_co_ci_u32_e64 v35, null, s43, v33, vcc_lo
	s_delay_alu instid0(VALU_DEP_2) | instskip(SKIP_1) | instid1(VALU_DEP_2)
	v_add_co_u32 v36, vcc_lo, v34, s42
	s_wait_alu 0xfffd
	v_add_co_ci_u32_e64 v37, null, s43, v35, vcc_lo
	v_add_co_u32 v70, vcc_lo, v79, v4
	s_wait_alu 0xfffd
	v_add_co_ci_u32_e64 v71, null, v80, v5, vcc_lo
	;; [unrolled: 3-line block ×5, first 2 shown]
	s_clause 0x3
	flat_load_b64 v[44:45], v[30:31]
	flat_load_b64 v[40:41], v[32:33]
	;; [unrolled: 1-line block ×8, first 2 shown]
	s_and_saveexec_b32 s52, s1
	s_cbranch_execz .LBB295_23
; %bb.27:                               ;   in Loop: Header=BB295_25 Depth=2
	flat_load_b64 v[54:55], v[70:71] offset:512
	flat_load_b64 v[52:53], v[68:69] offset:512
	flat_load_b64 v[50:51], v[66:67] offset:512
	flat_load_b64 v[48:49], v[64:65] offset:512
	s_and_saveexec_b32 s53, s2
	s_cbranch_execz .LBB295_22
; %bb.28:                               ;   in Loop: Header=BB295_25 Depth=2
	flat_load_b64 v[62:63], v[70:71] offset:1024
	flat_load_b64 v[60:61], v[68:69] offset:1024
	flat_load_b64 v[58:59], v[66:67] offset:1024
	flat_load_b64 v[56:57], v[64:65] offset:1024
	;; [unrolled: 7-line block ×3, first 2 shown]
	s_wait_loadcnt_dscnt 0x101
	v_dual_mul_f32 v86, v41, v69 :: v_dual_mul_f32 v87, v35, v67
	v_mul_f32_e32 v69, v40, v69
	s_delay_alu instid0(VALU_DEP_2) | instskip(SKIP_2) | instid1(VALU_DEP_4)
	v_fma_f32 v86, v40, v68, -v86
	v_mul_f32_e32 v85, v45, v71
	v_mul_f32_e32 v71, v44, v71
	v_fmac_f32_e32 v69, v41, v68
	v_fma_f32 v68, v34, v66, -v87
	s_delay_alu instid0(VALU_DEP_4) | instskip(NEXT) | instid1(VALU_DEP_4)
	v_fma_f32 v85, v44, v70, -v85
	v_fmac_f32_e32 v71, v45, v70
	s_wait_loadcnt_dscnt 0x0
	v_mul_f32_e32 v70, v33, v65
	v_mul_f32_e32 v65, v32, v65
	s_delay_alu instid0(VALU_DEP_3) | instskip(NEXT) | instid1(VALU_DEP_1)
	v_dual_add_f32 v18, v18, v85 :: v_dual_add_f32 v19, v19, v71
	v_dual_fmac_f32 v65, v33, v64 :: v_dual_add_f32 v18, v86, v18
	v_mul_f32_e32 v67, v34, v67
	s_delay_alu instid0(VALU_DEP_2) | instskip(NEXT) | instid1(VALU_DEP_2)
	v_dual_add_f32 v19, v69, v19 :: v_dual_add_f32 v18, v68, v18
	v_fmac_f32_e32 v67, v35, v66
	v_fma_f32 v66, v32, v64, -v70
	s_delay_alu instid0(VALU_DEP_1) | instskip(NEXT) | instid1(VALU_DEP_1)
	v_dual_add_f32 v19, v67, v19 :: v_dual_add_f32 v18, v66, v18
	v_add_f32_e32 v19, v65, v19
	s_branch .LBB295_21
.LBB295_30:                             ;   in Loop: Header=BB295_5 Depth=1
	s_or_b32 exec_lo, exec_lo, s51
.LBB295_31:                             ;   in Loop: Header=BB295_5 Depth=1
	s_delay_alu instid0(SALU_CYCLE_1) | instskip(NEXT) | instid1(SALU_CYCLE_1)
	s_or_b32 exec_lo, exec_lo, s50
	s_and_not1_b32 vcc_lo, exec_lo, s45
	s_wait_alu 0xfffe
	s_cbranch_vccnz .LBB295_49
; %bb.32:                               ;   in Loop: Header=BB295_5 Depth=1
	v_cmp_gt_i32_e32 vcc_lo, s31, v76
	v_dual_mov_b32 v30, 0 :: v_dual_mov_b32 v31, 0
	v_or_b32_e32 v38, 1, v76
	v_dual_mov_b32 v32, 0 :: v_dual_mov_b32 v33, 0
	v_dual_mov_b32 v34, 0 :: v_dual_mov_b32 v35, 0
	;; [unrolled: 1-line block ×3, first 2 shown]
	s_and_saveexec_b32 s50, vcc_lo
	s_cbranch_execz .LBB295_40
; %bb.33:                               ;   in Loop: Header=BB295_5 Depth=1
	v_mad_co_u64_u32 v[30:31], null, s36, v76, 0
	v_dual_mov_b32 v37, 0 :: v_dual_mov_b32 v36, 0
	v_dual_mov_b32 v35, 0 :: v_dual_mov_b32 v34, 0
	v_mov_b32_e32 v33, 0
	s_mov_b32 s51, exec_lo
	s_delay_alu instid0(VALU_DEP_4) | instskip(SKIP_1) | instid1(VALU_DEP_2)
	v_mad_co_u64_u32 v[31:32], null, s37, v76, v[31:32]
	v_mov_b32_e32 v32, 0
	v_lshlrev_b64_e32 v[30:31], 3, v[30:31]
	s_delay_alu instid0(VALU_DEP_1) | instskip(SKIP_1) | instid1(VALU_DEP_2)
	v_add_co_u32 v30, s7, v28, v30
	s_wait_alu 0xf1ff
	v_add_co_ci_u32_e64 v31, null, v29, v31, s7
	flat_load_b64 v[30:31], v[30:31]
	v_cmpx_gt_i32_e64 s31, v38
	s_cbranch_execz .LBB295_39
; %bb.34:                               ;   in Loop: Header=BB295_5 Depth=1
	v_mad_co_u64_u32 v[32:33], null, s36, v38, 0
	v_or_b32_e32 v39, 2, v76
	v_dual_mov_b32 v37, 0 :: v_dual_mov_b32 v36, 0
	v_mov_b32_e32 v35, 0
	s_mov_b32 s52, exec_lo
	s_delay_alu instid0(VALU_DEP_4) | instskip(SKIP_1) | instid1(VALU_DEP_2)
	v_mad_co_u64_u32 v[33:34], null, s37, v38, v[33:34]
	v_mov_b32_e32 v34, 0
	v_lshlrev_b64_e32 v[32:33], 3, v[32:33]
	s_delay_alu instid0(VALU_DEP_1) | instskip(SKIP_1) | instid1(VALU_DEP_2)
	v_add_co_u32 v32, s7, v28, v32
	s_wait_alu 0xf1ff
	v_add_co_ci_u32_e64 v33, null, v29, v33, s7
	flat_load_b64 v[32:33], v[32:33]
	v_cmpx_gt_i32_e64 s31, v39
	s_cbranch_execz .LBB295_38
; %bb.35:                               ;   in Loop: Header=BB295_5 Depth=1
	v_mad_co_u64_u32 v[34:35], null, s36, v39, 0
	v_mov_b32_e32 v37, 0
	s_mov_b32 s53, exec_lo
	s_delay_alu instid0(VALU_DEP_2) | instskip(SKIP_2) | instid1(VALU_DEP_3)
	v_mad_co_u64_u32 v[35:36], null, s37, v39, v[35:36]
	v_or_b32_e32 v39, 3, v76
	v_mov_b32_e32 v36, 0
	v_lshlrev_b64_e32 v[34:35], 3, v[34:35]
	s_delay_alu instid0(VALU_DEP_1) | instskip(SKIP_1) | instid1(VALU_DEP_2)
	v_add_co_u32 v34, s7, v28, v34
	s_wait_alu 0xf1ff
	v_add_co_ci_u32_e64 v35, null, v29, v35, s7
	flat_load_b64 v[34:35], v[34:35]
	v_cmpx_gt_i32_e64 s31, v39
	s_cbranch_execz .LBB295_37
; %bb.36:                               ;   in Loop: Header=BB295_5 Depth=1
	v_mad_co_u64_u32 v[36:37], null, s36, v39, 0
	s_delay_alu instid0(VALU_DEP_1) | instskip(NEXT) | instid1(VALU_DEP_1)
	v_mad_co_u64_u32 v[39:40], null, s37, v39, v[37:38]
	v_mov_b32_e32 v37, v39
	s_delay_alu instid0(VALU_DEP_1) | instskip(NEXT) | instid1(VALU_DEP_1)
	v_lshlrev_b64_e32 v[36:37], 3, v[36:37]
	v_add_co_u32 v28, s7, v28, v36
	s_wait_alu 0xf1ff
	s_delay_alu instid0(VALU_DEP_2)
	v_add_co_ci_u32_e64 v29, null, v29, v37, s7
	flat_load_b64 v[36:37], v[28:29]
.LBB295_37:                             ;   in Loop: Header=BB295_5 Depth=1
	s_or_b32 exec_lo, exec_lo, s53
.LBB295_38:                             ;   in Loop: Header=BB295_5 Depth=1
	s_delay_alu instid0(SALU_CYCLE_1)
	s_or_b32 exec_lo, exec_lo, s52
.LBB295_39:                             ;   in Loop: Header=BB295_5 Depth=1
	s_delay_alu instid0(SALU_CYCLE_1)
	s_or_b32 exec_lo, exec_lo, s51
.LBB295_40:                             ;   in Loop: Header=BB295_5 Depth=1
	s_delay_alu instid0(SALU_CYCLE_1)
	s_or_b32 exec_lo, exec_lo, s50
	s_and_saveexec_b32 s50, s0
	s_cbranch_execz .LBB295_48
; %bb.41:                               ;   in Loop: Header=BB295_5 Depth=1
	v_or_b32_e32 v47, 2, v76
	v_mad_co_u64_u32 v[28:29], null, s34, v76, 0
	v_mad_co_u64_u32 v[39:40], null, s34, v38, 0
	s_delay_alu instid0(VALU_DEP_3) | instskip(SKIP_4) | instid1(VALU_DEP_4)
	v_mad_co_u64_u32 v[41:42], null, s34, v47, 0
	v_cmp_gt_i32_e64 s7, s31, v38
	v_or_b32_e32 v48, 3, v76
	s_wait_loadcnt_dscnt 0x0
	v_mad_co_u64_u32 v[43:44], null, s35, v76, v[29:30]
	v_dual_mov_b32 v29, v42 :: v_dual_cndmask_b32 v42, 0, v28
	v_mad_co_u64_u32 v[44:45], null, s35, v38, v[40:41]
	s_wait_alu 0xf1ff
	v_cndmask_b32_e64 v28, 0, v39, s7
	s_delay_alu instid0(VALU_DEP_3) | instskip(SKIP_4) | instid1(VALU_DEP_4)
	v_mad_co_u64_u32 v[38:39], null, s35, v47, v[29:30]
	v_cndmask_b32_e32 v43, 0, v43, vcc_lo
	v_mad_co_u64_u32 v[45:46], null, s34, v48, 0
	v_cndmask_b32_e64 v29, 0, v44, s7
	v_cmp_gt_i32_e32 vcc_lo, s31, v47
	v_lshlrev_b64_e32 v[39:40], 3, v[42:43]
	s_delay_alu instid0(VALU_DEP_3) | instskip(SKIP_3) | instid1(VALU_DEP_4)
	v_lshlrev_b64_e32 v[28:29], 3, v[28:29]
	v_mov_b32_e32 v43, v46
	s_wait_alu 0xfffd
	v_cndmask_b32_e32 v41, 0, v41, vcc_lo
	v_add_co_u32 v39, s7, v26, v39
	s_wait_alu 0xf1ff
	v_add_co_ci_u32_e64 v40, null, v27, v40, s7
	v_cndmask_b32_e32 v42, 0, v38, vcc_lo
	s_delay_alu instid0(VALU_DEP_3)
	v_add_co_u32 v60, vcc_lo, v39, v4
	v_mad_co_u64_u32 v[38:39], null, s35, v48, v[43:44]
	s_wait_alu 0xfffd
	v_add_co_ci_u32_e64 v61, null, v40, v5, vcc_lo
	v_cmp_gt_i32_e32 vcc_lo, s31, v48
	v_add_co_u32 v43, s7, v26, v28
	s_wait_alu 0xf1ff
	v_add_co_ci_u32_e64 v44, null, v27, v29, s7
	s_wait_alu 0xfffd
	v_dual_cndmask_b32 v39, 0, v45 :: v_dual_cndmask_b32 v40, 0, v38
	v_lshlrev_b64_e32 v[28:29], 3, v[41:42]
	v_add_co_u32 v62, vcc_lo, v43, v4
	s_wait_alu 0xfffd
	v_add_co_ci_u32_e64 v63, null, v44, v5, vcc_lo
	v_lshlrev_b64_e32 v[38:39], 3, v[39:40]
	s_delay_alu instid0(VALU_DEP_4) | instskip(SKIP_2) | instid1(VALU_DEP_3)
	v_add_co_u32 v28, vcc_lo, v26, v28
	s_wait_alu 0xfffd
	v_add_co_ci_u32_e64 v29, null, v27, v29, vcc_lo
	v_add_co_u32 v26, vcc_lo, v26, v38
	s_wait_alu 0xfffd
	v_add_co_ci_u32_e64 v27, null, v27, v39, vcc_lo
	;; [unrolled: 3-line block ×4, first 2 shown]
	s_clause 0x3
	flat_load_b64 v[40:41], v[60:61]
	flat_load_b64 v[38:39], v[62:63]
	;; [unrolled: 1-line block ×4, first 2 shown]
	s_and_saveexec_b32 s7, s1
	s_cbranch_execz .LBB295_47
; %bb.42:                               ;   in Loop: Header=BB295_5 Depth=1
	s_clause 0x3
	flat_load_b64 v[48:49], v[60:61] offset:512
	flat_load_b64 v[46:47], v[62:63] offset:512
	flat_load_b64 v[44:45], v[64:65] offset:512
	flat_load_b64 v[42:43], v[58:59] offset:512
	s_and_saveexec_b32 s51, s2
	s_cbranch_execz .LBB295_46
; %bb.43:                               ;   in Loop: Header=BB295_5 Depth=1
	s_clause 0x3
	flat_load_b64 v[56:57], v[60:61] offset:1024
	flat_load_b64 v[54:55], v[62:63] offset:1024
	flat_load_b64 v[52:53], v[64:65] offset:1024
	flat_load_b64 v[50:51], v[58:59] offset:1024
	;; [unrolled: 8-line block ×3, first 2 shown]
	s_wait_loadcnt_dscnt 0x202
	v_dual_mul_f32 v66, v31, v61 :: v_dual_mul_f32 v67, v33, v63
	v_mul_f32_e32 v61, v30, v61
	s_wait_loadcnt_dscnt 0x101
	v_dual_mul_f32 v63, v32, v63 :: v_dual_mul_f32 v68, v35, v65
	s_delay_alu instid0(VALU_DEP_3)
	v_fma_f32 v66, v30, v60, -v66
	v_fma_f32 v67, v32, v62, -v67
	s_wait_loadcnt_dscnt 0x0
	v_dual_fmac_f32 v61, v31, v60 :: v_dual_mul_f32 v60, v37, v59
	v_fmac_f32_e32 v63, v33, v62
	v_add_f32_e32 v18, v18, v66
	v_mul_f32_e32 v65, v34, v65
	v_mul_f32_e32 v59, v36, v59
	v_fma_f32 v60, v36, v58, -v60
	s_delay_alu instid0(VALU_DEP_4) | instskip(SKIP_3) | instid1(VALU_DEP_2)
	v_add_f32_e32 v18, v67, v18
	v_add_f32_e32 v19, v19, v61
	v_fma_f32 v61, v34, v64, -v68
	v_fmac_f32_e32 v59, v37, v58
	v_dual_add_f32 v18, v61, v18 :: v_dual_fmac_f32 v65, v35, v64
	s_delay_alu instid0(VALU_DEP_1) | instskip(NEXT) | instid1(VALU_DEP_1)
	v_dual_add_f32 v19, v63, v19 :: v_dual_add_f32 v18, v60, v18
	v_add_f32_e32 v19, v65, v19
	s_delay_alu instid0(VALU_DEP_1)
	v_add_f32_e32 v19, v59, v19
.LBB295_45:                             ;   in Loop: Header=BB295_5 Depth=1
	s_or_b32 exec_lo, exec_lo, s52
	s_wait_loadcnt_dscnt 0x202
	v_dual_mul_f32 v58, v31, v57 :: v_dual_mul_f32 v59, v33, v55
	v_mul_f32_e32 v57, v30, v57
	s_wait_loadcnt_dscnt 0x101
	v_dual_mul_f32 v55, v32, v55 :: v_dual_mul_f32 v60, v35, v53
	s_delay_alu instid0(VALU_DEP_3)
	v_fma_f32 v58, v30, v56, -v58
	v_mul_f32_e32 v53, v34, v53
	v_fmac_f32_e32 v57, v31, v56
	v_fma_f32 v59, v32, v54, -v59
	s_wait_loadcnt_dscnt 0x0
	v_mul_f32_e32 v56, v37, v51
	v_add_f32_e32 v20, v20, v58
	v_fmac_f32_e32 v55, v33, v54
	v_fma_f32 v54, v34, v52, -v60
	v_mul_f32_e32 v51, v36, v51
	v_fmac_f32_e32 v53, v35, v52
	v_dual_add_f32 v20, v59, v20 :: v_dual_add_f32 v21, v21, v57
	v_fma_f32 v52, v36, v50, -v56
	s_delay_alu instid0(VALU_DEP_2) | instskip(NEXT) | instid1(VALU_DEP_1)
	v_dual_fmac_f32 v51, v37, v50 :: v_dual_add_f32 v20, v54, v20
	v_dual_add_f32 v21, v55, v21 :: v_dual_add_f32 v20, v52, v20
	s_delay_alu instid0(VALU_DEP_1) | instskip(NEXT) | instid1(VALU_DEP_1)
	v_add_f32_e32 v21, v53, v21
	v_add_f32_e32 v21, v51, v21
.LBB295_46:                             ;   in Loop: Header=BB295_5 Depth=1
	s_or_b32 exec_lo, exec_lo, s51
	s_wait_loadcnt_dscnt 0x202
	v_dual_mul_f32 v50, v31, v49 :: v_dual_mul_f32 v51, v33, v47
	v_mul_f32_e32 v49, v30, v49
	s_wait_loadcnt_dscnt 0x101
	v_dual_mul_f32 v47, v32, v47 :: v_dual_mul_f32 v52, v35, v45
	s_delay_alu instid0(VALU_DEP_3)
	v_fma_f32 v50, v30, v48, -v50
	v_fma_f32 v51, v32, v46, -v51
	s_wait_loadcnt_dscnt 0x0
	v_dual_fmac_f32 v49, v31, v48 :: v_dual_mul_f32 v48, v37, v43
	v_fmac_f32_e32 v47, v33, v46
	v_add_f32_e32 v22, v22, v50
	v_mul_f32_e32 v45, v34, v45
	v_fma_f32 v46, v34, v44, -v52
	s_delay_alu instid0(VALU_DEP_3) | instskip(SKIP_1) | instid1(VALU_DEP_2)
	v_dual_mul_f32 v43, v36, v43 :: v_dual_add_f32 v22, v51, v22
	v_add_f32_e32 v23, v23, v49
	v_fmac_f32_e32 v43, v37, v42
	s_delay_alu instid0(VALU_DEP_3) | instskip(NEXT) | instid1(VALU_DEP_3)
	v_dual_add_f32 v22, v46, v22 :: v_dual_fmac_f32 v45, v35, v44
	v_add_f32_e32 v23, v47, v23
	v_fma_f32 v44, v36, v42, -v48
	s_delay_alu instid0(VALU_DEP_1) | instskip(NEXT) | instid1(VALU_DEP_1)
	v_dual_add_f32 v22, v44, v22 :: v_dual_add_f32 v23, v45, v23
	v_add_f32_e32 v23, v43, v23
.LBB295_47:                             ;   in Loop: Header=BB295_5 Depth=1
	s_wait_alu 0xfffe
	s_or_b32 exec_lo, exec_lo, s7
	s_wait_loadcnt_dscnt 0x202
	v_dual_mul_f32 v42, v31, v41 :: v_dual_mul_f32 v43, v33, v39
	v_mul_f32_e32 v41, v30, v41
	s_wait_loadcnt_dscnt 0x101
	v_dual_mul_f32 v39, v32, v39 :: v_dual_mul_f32 v44, v35, v29
	s_delay_alu instid0(VALU_DEP_3) | instskip(SKIP_1) | instid1(VALU_DEP_2)
	v_fma_f32 v30, v30, v40, -v42
	v_fma_f32 v32, v32, v38, -v43
	v_dual_add_f32 v24, v24, v30 :: v_dual_mul_f32 v29, v34, v29
	v_fmac_f32_e32 v41, v31, v40
	v_fma_f32 v30, v34, v28, -v44
	s_wait_loadcnt_dscnt 0x0
	s_delay_alu instid0(VALU_DEP_3) | instskip(NEXT) | instid1(VALU_DEP_3)
	v_dual_add_f32 v24, v32, v24 :: v_dual_mul_f32 v31, v37, v27
	v_add_f32_e32 v25, v25, v41
	v_fmac_f32_e32 v29, v35, v28
	s_delay_alu instid0(VALU_DEP_3) | instskip(NEXT) | instid1(VALU_DEP_4)
	v_dual_mul_f32 v27, v36, v27 :: v_dual_add_f32 v24, v30, v24
	v_fma_f32 v28, v36, v26, -v31
	v_fmac_f32_e32 v39, v33, v38
	s_delay_alu instid0(VALU_DEP_2) | instskip(NEXT) | instid1(VALU_DEP_2)
	v_dual_fmac_f32 v27, v37, v26 :: v_dual_add_f32 v24, v28, v24
	v_add_f32_e32 v25, v39, v25
	s_delay_alu instid0(VALU_DEP_1) | instskip(NEXT) | instid1(VALU_DEP_1)
	v_add_f32_e32 v25, v29, v25
	v_add_f32_e32 v25, v27, v25
.LBB295_48:                             ;   in Loop: Header=BB295_5 Depth=1
	s_or_b32 exec_lo, exec_lo, s50
.LBB295_49:                             ;   in Loop: Header=BB295_5 Depth=1
	ds_store_2addr_stride64_b64 v0, v[24:25], v[22:23] offset1:1
	ds_store_2addr_stride64_b64 v0, v[20:21], v[18:19] offset0:2 offset1:3
	s_wait_storecnt 0x0
	s_wait_loadcnt_dscnt 0x0
	s_barrier_signal -1
	s_barrier_wait -1
	global_inv scope:SCOPE_SE
	s_and_saveexec_b32 s7, s5
	s_cbranch_execz .LBB295_3
; %bb.50:                               ;   in Loop: Header=BB295_5 Depth=1
	ds_load_2addr_stride64_b64 v[18:21], v73 offset1:4
	ds_load_2addr_stride64_b64 v[22:25], v73 offset0:8 offset1:12
	s_wait_dscnt 0x1
	v_dual_add_f32 v18, v18, v20 :: v_dual_add_f32 v19, v19, v21
	s_wait_dscnt 0x0
	s_delay_alu instid0(VALU_DEP_1) | instskip(NEXT) | instid1(VALU_DEP_1)
	v_dual_add_f32 v18, v18, v22 :: v_dual_add_f32 v19, v19, v23
	v_dual_add_f32 v20, v18, v24 :: v_dual_add_f32 v21, v19, v25
	ds_store_b64 v73, v[20:21]
	s_and_b32 exec_lo, exec_lo, s6
	s_cbranch_execz .LBB295_3
; %bb.51:                               ;   in Loop: Header=BB295_5 Depth=1
	s_cmp_neq_f32 s46, 0
	v_mul_f32_e32 v19, s48, v21
	v_mul_f32_e32 v18, s49, v21
	s_cselect_b32 s50, -1, 0
	s_cmp_neq_f32 s47, 0
	s_delay_alu instid0(VALU_DEP_2) | instskip(NEXT) | instid1(VALU_DEP_2)
	v_fmac_f32_e32 v19, s49, v20
	v_fma_f32 v18, v20, s48, -v18
	s_cselect_b32 s51, -1, 0
	s_delay_alu instid0(SALU_CYCLE_1) | instskip(NEXT) | instid1(SALU_CYCLE_1)
	s_or_b32 s50, s50, s51
	s_and_not1_b32 vcc_lo, exec_lo, s50
	s_wait_alu 0xfffe
	s_cbranch_vccnz .LBB295_2
; %bb.52:                               ;   in Loop: Header=BB295_5 Depth=1
	v_add_co_u32 v20, vcc_lo, v74, v16
	s_wait_alu 0xfffd
	v_add_co_ci_u32_e64 v21, null, v75, v17, vcc_lo
	flat_load_b64 v[20:21], v[20:21]
	s_wait_loadcnt_dscnt 0x0
	v_mul_f32_e32 v22, s47, v21
	v_mul_f32_e32 v21, s46, v21
	s_delay_alu instid0(VALU_DEP_1) | instskip(NEXT) | instid1(VALU_DEP_3)
	v_fmac_f32_e32 v21, s47, v20
	v_fma_f32 v22, s46, v20, -v22
	s_delay_alu instid0(VALU_DEP_1)
	v_dual_add_f32 v19, v19, v21 :: v_dual_add_f32 v18, v18, v22
	s_branch .LBB295_2
.LBB295_53:
	s_endpgm
	.section	.rodata,"a",@progbits
	.p2align	6, 0x0
	.amdhsa_kernel _ZL20rocblas_gemvn_kernelILi64ELi4ElPK19rocblas_complex_numIfES3_KPS1_EviiT3_lPKT2_lT1_lS9_lSA_lS6_lPT4_lSA_li
		.amdhsa_group_segment_fixed_size 8192
		.amdhsa_private_segment_fixed_size 0
		.amdhsa_kernarg_size 400
		.amdhsa_user_sgpr_count 2
		.amdhsa_user_sgpr_dispatch_ptr 0
		.amdhsa_user_sgpr_queue_ptr 0
		.amdhsa_user_sgpr_kernarg_segment_ptr 1
		.amdhsa_user_sgpr_dispatch_id 0
		.amdhsa_user_sgpr_private_segment_size 0
		.amdhsa_wavefront_size32 1
		.amdhsa_uses_dynamic_stack 0
		.amdhsa_enable_private_segment 0
		.amdhsa_system_sgpr_workgroup_id_x 1
		.amdhsa_system_sgpr_workgroup_id_y 0
		.amdhsa_system_sgpr_workgroup_id_z 1
		.amdhsa_system_sgpr_workgroup_info 0
		.amdhsa_system_vgpr_workitem_id 1
		.amdhsa_next_free_vgpr 88
		.amdhsa_next_free_sgpr 55
		.amdhsa_reserve_vcc 1
		.amdhsa_float_round_mode_32 0
		.amdhsa_float_round_mode_16_64 0
		.amdhsa_float_denorm_mode_32 3
		.amdhsa_float_denorm_mode_16_64 3
		.amdhsa_fp16_overflow 0
		.amdhsa_workgroup_processor_mode 1
		.amdhsa_memory_ordered 1
		.amdhsa_forward_progress 1
		.amdhsa_inst_pref_size 35
		.amdhsa_round_robin_scheduling 0
		.amdhsa_exception_fp_ieee_invalid_op 0
		.amdhsa_exception_fp_denorm_src 0
		.amdhsa_exception_fp_ieee_div_zero 0
		.amdhsa_exception_fp_ieee_overflow 0
		.amdhsa_exception_fp_ieee_underflow 0
		.amdhsa_exception_fp_ieee_inexact 0
		.amdhsa_exception_int_div_zero 0
	.end_amdhsa_kernel
	.section	.text._ZL20rocblas_gemvn_kernelILi64ELi4ElPK19rocblas_complex_numIfES3_KPS1_EviiT3_lPKT2_lT1_lS9_lSA_lS6_lPT4_lSA_li,"axG",@progbits,_ZL20rocblas_gemvn_kernelILi64ELi4ElPK19rocblas_complex_numIfES3_KPS1_EviiT3_lPKT2_lT1_lS9_lSA_lS6_lPT4_lSA_li,comdat
.Lfunc_end295:
	.size	_ZL20rocblas_gemvn_kernelILi64ELi4ElPK19rocblas_complex_numIfES3_KPS1_EviiT3_lPKT2_lT1_lS9_lSA_lS6_lPT4_lSA_li, .Lfunc_end295-_ZL20rocblas_gemvn_kernelILi64ELi4ElPK19rocblas_complex_numIfES3_KPS1_EviiT3_lPKT2_lT1_lS9_lSA_lS6_lPT4_lSA_li
                                        ; -- End function
	.set _ZL20rocblas_gemvn_kernelILi64ELi4ElPK19rocblas_complex_numIfES3_KPS1_EviiT3_lPKT2_lT1_lS9_lSA_lS6_lPT4_lSA_li.num_vgpr, 88
	.set _ZL20rocblas_gemvn_kernelILi64ELi4ElPK19rocblas_complex_numIfES3_KPS1_EviiT3_lPKT2_lT1_lS9_lSA_lS6_lPT4_lSA_li.num_agpr, 0
	.set _ZL20rocblas_gemvn_kernelILi64ELi4ElPK19rocblas_complex_numIfES3_KPS1_EviiT3_lPKT2_lT1_lS9_lSA_lS6_lPT4_lSA_li.numbered_sgpr, 55
	.set _ZL20rocblas_gemvn_kernelILi64ELi4ElPK19rocblas_complex_numIfES3_KPS1_EviiT3_lPKT2_lT1_lS9_lSA_lS6_lPT4_lSA_li.num_named_barrier, 0
	.set _ZL20rocblas_gemvn_kernelILi64ELi4ElPK19rocblas_complex_numIfES3_KPS1_EviiT3_lPKT2_lT1_lS9_lSA_lS6_lPT4_lSA_li.private_seg_size, 0
	.set _ZL20rocblas_gemvn_kernelILi64ELi4ElPK19rocblas_complex_numIfES3_KPS1_EviiT3_lPKT2_lT1_lS9_lSA_lS6_lPT4_lSA_li.uses_vcc, 1
	.set _ZL20rocblas_gemvn_kernelILi64ELi4ElPK19rocblas_complex_numIfES3_KPS1_EviiT3_lPKT2_lT1_lS9_lSA_lS6_lPT4_lSA_li.uses_flat_scratch, 1
	.set _ZL20rocblas_gemvn_kernelILi64ELi4ElPK19rocblas_complex_numIfES3_KPS1_EviiT3_lPKT2_lT1_lS9_lSA_lS6_lPT4_lSA_li.has_dyn_sized_stack, 0
	.set _ZL20rocblas_gemvn_kernelILi64ELi4ElPK19rocblas_complex_numIfES3_KPS1_EviiT3_lPKT2_lT1_lS9_lSA_lS6_lPT4_lSA_li.has_recursion, 0
	.set _ZL20rocblas_gemvn_kernelILi64ELi4ElPK19rocblas_complex_numIfES3_KPS1_EviiT3_lPKT2_lT1_lS9_lSA_lS6_lPT4_lSA_li.has_indirect_call, 0
	.section	.AMDGPU.csdata,"",@progbits
; Kernel info:
; codeLenInByte = 4464
; TotalNumSgprs: 57
; NumVgprs: 88
; ScratchSize: 0
; MemoryBound: 0
; FloatMode: 240
; IeeeMode: 1
; LDSByteSize: 8192 bytes/workgroup (compile time only)
; SGPRBlocks: 0
; VGPRBlocks: 10
; NumSGPRsForWavesPerEU: 57
; NumVGPRsForWavesPerEU: 88
; Occupancy: 16
; WaveLimiterHint : 1
; COMPUTE_PGM_RSRC2:SCRATCH_EN: 0
; COMPUTE_PGM_RSRC2:USER_SGPR: 2
; COMPUTE_PGM_RSRC2:TRAP_HANDLER: 0
; COMPUTE_PGM_RSRC2:TGID_X_EN: 1
; COMPUTE_PGM_RSRC2:TGID_Y_EN: 0
; COMPUTE_PGM_RSRC2:TGID_Z_EN: 1
; COMPUTE_PGM_RSRC2:TIDIG_COMP_CNT: 1
	.section	.text._ZL20rocblas_gemvn_kernelILi64ELi4EiPK19rocblas_complex_numIfES1_KPS1_EviiT3_lPKT2_lT1_lS9_lSA_lS6_lPT4_lSA_li,"axG",@progbits,_ZL20rocblas_gemvn_kernelILi64ELi4EiPK19rocblas_complex_numIfES1_KPS1_EviiT3_lPKT2_lT1_lS9_lSA_lS6_lPT4_lSA_li,comdat
	.globl	_ZL20rocblas_gemvn_kernelILi64ELi4EiPK19rocblas_complex_numIfES1_KPS1_EviiT3_lPKT2_lT1_lS9_lSA_lS6_lPT4_lSA_li ; -- Begin function _ZL20rocblas_gemvn_kernelILi64ELi4EiPK19rocblas_complex_numIfES1_KPS1_EviiT3_lPKT2_lT1_lS9_lSA_lS6_lPT4_lSA_li
	.p2align	8
	.type	_ZL20rocblas_gemvn_kernelILi64ELi4EiPK19rocblas_complex_numIfES1_KPS1_EviiT3_lPKT2_lT1_lS9_lSA_lS6_lPT4_lSA_li,@function
_ZL20rocblas_gemvn_kernelILi64ELi4EiPK19rocblas_complex_numIfES1_KPS1_EviiT3_lPKT2_lT1_lS9_lSA_lS6_lPT4_lSA_li: ; @_ZL20rocblas_gemvn_kernelILi64ELi4EiPK19rocblas_complex_numIfES1_KPS1_EviiT3_lPKT2_lT1_lS9_lSA_lS6_lPT4_lSA_li
; %bb.0:
	s_clause 0x1
	s_load_b64 s[2:3], s[0:1], 0x9c
	s_load_b32 s29, s[0:1], 0x88
	s_lshr_b32 s24, ttmp7, 16
	s_wait_kmcnt 0x0
	s_lshr_b32 s4, s2, 16
	s_and_b32 s2, s2, 0xffff
	s_and_b32 s3, s3, 0xffff
	s_mul_i32 s2, s4, s2
	s_delay_alu instid0(SALU_CYCLE_1) | instskip(NEXT) | instid1(SALU_CYCLE_1)
	s_mul_i32 s2, s2, s3
	s_cmp_lg_u32 s2, 0x100
	s_cselect_b32 s2, -1, 0
	s_cmp_ge_u32 s24, s29
	s_cselect_b32 s3, -1, 0
	s_delay_alu instid0(SALU_CYCLE_1) | instskip(NEXT) | instid1(SALU_CYCLE_1)
	s_or_b32 s2, s2, s3
	s_and_b32 vcc_lo, exec_lo, s2
	s_cbranch_vccnz .LBB296_54
; %bb.1:
	s_clause 0x7
	s_load_b32 s4, s[0:1], 0x78
	s_load_b128 s[8:11], s[0:1], 0x0
	s_load_b64 s[26:27], s[0:1], 0x58
	s_load_b32 s30, s[0:1], 0x28
	s_load_b128 s[12:15], s[0:1], 0x38
	s_load_b32 s28, s[0:1], 0x48
	s_load_b128 s[16:19], s[0:1], 0x18
	s_load_b128 s[20:23], s[0:1], 0x68
	v_and_b32_e32 v5, 0x3ff, v0
	v_bfe_u32 v4, v0, 10, 10
	v_mov_b32_e32 v1, 0
	s_mov_b32 s25, 0
	s_delay_alu instid0(VALU_DEP_3) | instskip(NEXT) | instid1(VALU_DEP_3)
	v_lshlrev_b32_e32 v0, 3, v5
	v_lshlrev_b32_e32 v61, 2, v4
	v_lshl_add_u32 v2, v4, 6, v5
	s_delay_alu instid0(VALU_DEP_3)
	v_lshl_add_u32 v62, v4, 11, v0
	v_lshl_add_u32 v63, v4, 9, v0
	s_wait_kmcnt 0x0
	s_ashr_i32 s6, s4, 31
	s_cmp_neq_f32 s10, 0
	s_mov_b32 s2, s8
	v_mul_lo_u32 v0, s30, v61
	v_mul_lo_u32 v12, v4, s30
	s_cselect_b32 s0, -1, 0
	s_cmp_neq_f32 s11, 0
	v_or_b32_e32 v10, 2, v61
	v_or_b32_e32 v11, 3, v61
	s_cselect_b32 s1, -1, 0
	s_delay_alu instid0(VALU_DEP_4)
	v_add3_u32 v64, v0, s30, v5
	s_or_b32 s7, s0, s1
	s_cmp_neq_f32 s26, 1.0
	v_cmp_gt_u32_e64 s0, 0x100, v2
	v_mul_lo_u32 v66, s28, v10
	v_mul_lo_u32 v67, s28, v11
	s_cselect_b32 s37, -1, 0
	s_cmp_neq_f32 s27, 0
	s_cselect_b32 s40, -1, 0
	s_or_b32 s1, s10, s11
	s_delay_alu instid0(SALU_CYCLE_1) | instskip(NEXT) | instid1(SALU_CYCLE_1)
	s_bitset0_b32 s1, 31
	s_cmp_lg_u32 s1, 0
	s_cselect_b32 s31, -1, 0
	s_cmp_eq_u32 s1, 0
	s_cselect_b32 s33, -1, 0
	s_lshl_b32 s34, ttmp9, 8
	s_ashr_i32 s3, s8, 31
	v_add_nc_u32_e32 v0, s34, v2
	v_or_b32_e32 v2, s34, v2
	s_cmp_neq_f32 s26, 0
	s_delay_alu instid0(VALU_DEP_2) | instskip(SKIP_1) | instid1(VALU_DEP_3)
	v_mad_co_u64_u32 v[6:7], null, s4, v0, 0
	v_cmp_gt_i64_e32 vcc_lo, s[2:3], v[0:1]
	v_cmp_gt_i32_e64 s2, s8, v2
	v_mul_lo_u32 v8, s4, v2
	s_cselect_b32 s1, -1, 0
	s_ashr_i32 s5, s9, 31
	s_or_b32 s35, s1, s40
	v_mov_b32_e32 v2, v7
	v_or_b32_e32 v65, s34, v5
	s_wait_alu 0xfffe
	s_lshr_b32 s3, s5, 28
	s_wait_alu 0xfffe
	s_add_co_i32 s3, s9, s3
	v_add_nc_u32_e32 v3, 64, v65
	s_wait_alu 0xfffe
	s_and_b32 s36, s3, -16
	v_add_nc_u32_e32 v13, 0xc0, v65
	v_add_nc_u32_e32 v9, 0x80, v65
	v_cmp_gt_i32_e64 s1, s8, v65
	v_cmp_gt_i32_e64 s3, s8, v3
	v_mad_co_u64_u32 v[2:3], null, s6, v0, v[2:3]
	v_cmp_gt_i32_e64 s5, s8, v13
	v_mul_lo_u32 v13, v4, s28
	v_cmp_gt_i32_e64 s4, s8, v9
	v_ashrrev_i32_e32 v9, 31, v8
	s_sub_co_i32 s8, s9, s36
	v_lshl_add_u32 v0, v12, 2, v5
	v_mov_b32_e32 v7, v2
	v_mad_co_u64_u32 v[2:3], null, s30, v10, v[5:6]
	v_mad_co_u64_u32 v[3:4], null, s30, v11, v[5:6]
	;; [unrolled: 1-line block ×3, first 2 shown]
	s_wait_alu 0xfffe
	s_cmp_gt_i32 s8, 0
	v_lshlrev_b64_e32 v[5:6], 3, v[6:7]
	v_lshlrev_b64_e32 v[7:8], 3, v[8:9]
	v_cmp_gt_i32_e64 s6, s36, v61
	v_lshlrev_b32_e32 v68, 2, v13
	s_cselect_b32 s8, -1, 0
	s_or_b32 s7, s7, s37
	s_and_b32 s37, s0, vcc_lo
	s_lshl_b32 s38, s30, 4
	s_lshl_b32 s39, s28, 4
	s_wait_alu 0xfffe
	s_or_b32 s40, s7, s40
	s_lshl_b64 s[18:19], s[18:19], 3
	s_lshl_b64 s[14:15], s[14:15], 3
	;; [unrolled: 1-line block ×3, first 2 shown]
	s_branch .LBB296_5
.LBB296_2:                              ;   in Loop: Header=BB296_5 Depth=1
	v_add_co_u32 v11, vcc_lo, v69, v7
	s_wait_alu 0xfffd
	v_add_co_ci_u32_e64 v12, null, v70, v8, vcc_lo
	flat_store_b64 v[11:12], v[9:10]
.LBB296_3:                              ;   in Loop: Header=BB296_5 Depth=1
	s_wait_alu 0xfffe
	s_or_b32 exec_lo, exec_lo, s7
.LBB296_4:                              ;   in Loop: Header=BB296_5 Depth=1
	s_add_co_i32 s24, s24, 0x10000
	s_delay_alu instid0(SALU_CYCLE_1)
	s_cmp_lt_u32 s24, s29
	s_cbranch_scc0 .LBB296_54
.LBB296_5:                              ; =>This Loop Header: Depth=1
                                        ;     Child Loop BB296_26 Depth 2
	s_and_not1_b32 vcc_lo, exec_lo, s40
	s_wait_alu 0xfffe
	s_cbranch_vccnz .LBB296_4
; %bb.6:                                ;   in Loop: Header=BB296_5 Depth=1
	s_and_not1_b32 vcc_lo, exec_lo, s33
	s_wait_alu 0xfffe
	s_cbranch_vccnz .LBB296_8
; %bb.7:                                ;   in Loop: Header=BB296_5 Depth=1
	s_mov_b32 s7, 0
	s_branch .LBB296_9
.LBB296_8:                              ;   in Loop: Header=BB296_5 Depth=1
	s_mov_b32 s7, -1
.LBB296_9:                              ;   in Loop: Header=BB296_5 Depth=1
	v_mov_b32_e32 v19, 0
	v_dual_mov_b32 v20, 0 :: v_dual_mov_b32 v17, 0
	v_mov_b32_e32 v18, 0
	s_wait_alu 0xfffe
	s_and_not1_b32 vcc_lo, exec_lo, s7
	s_wait_alu 0xfffe
	s_cbranch_vccnz .LBB296_11
; %bb.10:                               ;   in Loop: Header=BB296_5 Depth=1
	s_lshl_b64 s[42:43], s[24:25], 3
	s_wait_alu 0xfffe
	s_add_nc_u64 s[42:43], s[16:17], s[42:43]
	global_load_b64 v[9:10], v1, s[42:43]
	s_wait_loadcnt 0x0
	v_add_co_u32 v17, vcc_lo, v9, s18
	s_wait_alu 0xfffd
	v_add_co_ci_u32_e64 v18, null, s19, v10, vcc_lo
.LBB296_11:                             ;   in Loop: Header=BB296_5 Depth=1
	s_and_not1_b32 vcc_lo, exec_lo, s31
	s_wait_alu 0xfffe
	s_cbranch_vccnz .LBB296_13
; %bb.12:                               ;   in Loop: Header=BB296_5 Depth=1
	s_lshl_b64 s[42:43], s[24:25], 3
	s_wait_alu 0xfffe
	s_add_nc_u64 s[42:43], s[12:13], s[42:43]
	global_load_b64 v[9:10], v1, s[42:43]
	s_wait_loadcnt 0x0
	v_add_co_u32 v19, vcc_lo, v9, s14
	s_wait_alu 0xfffd
	v_add_co_ci_u32_e64 v20, null, s15, v10, vcc_lo
.LBB296_13:                             ;   in Loop: Header=BB296_5 Depth=1
	s_lshl_b64 s[42:43], s[24:25], 3
	s_mov_b32 s7, -1
	s_wait_alu 0xfffe
	s_add_nc_u64 s[42:43], s[20:21], s[42:43]
	global_load_b64 v[9:10], v1, s[42:43]
	s_wait_loadcnt 0x0
	v_add_co_u32 v69, vcc_lo, v9, s22
	s_wait_alu 0xfffd
	v_add_co_ci_u32_e64 v70, null, s23, v10, vcc_lo
	s_and_not1_b32 vcc_lo, exec_lo, s33
	s_wait_alu 0xfffe
	s_cbranch_vccnz .LBB296_19
; %bb.14:                               ;   in Loop: Header=BB296_5 Depth=1
	s_and_saveexec_b32 s7, s37
	s_cbranch_execz .LBB296_18
; %bb.15:                               ;   in Loop: Header=BB296_5 Depth=1
	v_dual_mov_b32 v9, 0 :: v_dual_mov_b32 v10, 0
	s_and_not1_b32 vcc_lo, exec_lo, s35
	s_wait_alu 0xfffe
	s_cbranch_vccnz .LBB296_17
; %bb.16:                               ;   in Loop: Header=BB296_5 Depth=1
	v_add_co_u32 v9, vcc_lo, v69, v5
	s_wait_alu 0xfffd
	v_add_co_ci_u32_e64 v10, null, v70, v6, vcc_lo
	flat_load_b64 v[11:12], v[9:10]
	s_wait_loadcnt_dscnt 0x0
	v_mul_f32_e32 v10, s26, v12
	s_delay_alu instid0(VALU_DEP_1) | instskip(NEXT) | instid1(VALU_DEP_1)
	v_dual_mul_f32 v9, s27, v12 :: v_dual_fmac_f32 v10, s27, v11
	v_fma_f32 v9, s26, v11, -v9
.LBB296_17:                             ;   in Loop: Header=BB296_5 Depth=1
	v_add_co_u32 v11, vcc_lo, v69, v5
	s_wait_alu 0xfffd
	v_add_co_ci_u32_e64 v12, null, v70, v6, vcc_lo
	flat_store_b64 v[11:12], v[9:10]
.LBB296_18:                             ;   in Loop: Header=BB296_5 Depth=1
	s_wait_alu 0xfffe
	s_or_b32 exec_lo, exec_lo, s7
	s_mov_b32 s7, 0
.LBB296_19:                             ;   in Loop: Header=BB296_5 Depth=1
	s_wait_alu 0xfffe
	s_and_not1_b32 vcc_lo, exec_lo, s7
	s_wait_alu 0xfffe
	s_cbranch_vccnz .LBB296_4
; %bb.20:                               ;   in Loop: Header=BB296_5 Depth=1
	v_dual_mov_b32 v10, 0 :: v_dual_mov_b32 v71, v61
	v_dual_mov_b32 v9, 0 :: v_dual_mov_b32 v12, 0
	;; [unrolled: 1-line block ×4, first 2 shown]
	v_mov_b32_e32 v15, 0
	s_and_saveexec_b32 s7, s6
	s_cbranch_execz .LBB296_32
; %bb.21:                               ;   in Loop: Header=BB296_5 Depth=1
	v_dual_mov_b32 v10, 0 :: v_dual_mov_b32 v73, v3
	v_dual_mov_b32 v72, v0 :: v_dual_mov_b32 v75, v64
	;; [unrolled: 1-line block ×3, first 2 shown]
	s_delay_alu instid0(VALU_DEP_3)
	v_dual_mov_b32 v9, v10 :: v_dual_mov_b32 v12, v10
	v_dual_mov_b32 v11, v10 :: v_dual_mov_b32 v14, v10
	;; [unrolled: 1-line block ×3, first 2 shown]
	v_mov_b32_e32 v15, v10
	s_mov_b32 s41, 0
	s_mov_b32 s42, 0
	s_branch .LBB296_26
.LBB296_22:                             ;   in Loop: Header=BB296_26 Depth=2
	s_or_b32 exec_lo, exec_lo, s46
	s_wait_loadcnt_dscnt 0x303
	v_mul_f32_e32 v53, v34, v52
	v_mul_f32_e32 v52, v33, v52
	s_wait_loadcnt_dscnt 0x101
	v_dual_mul_f32 v54, v30, v50 :: v_dual_mul_f32 v55, v24, v48
	v_mul_f32_e32 v50, v29, v50
	v_fma_f32 v53, v33, v51, -v53
	v_fmac_f32_e32 v52, v34, v51
	s_delay_alu instid0(VALU_DEP_4) | instskip(SKIP_4) | instid1(VALU_DEP_2)
	v_fma_f32 v54, v29, v49, -v54
	s_wait_loadcnt_dscnt 0x0
	v_mul_f32_e32 v51, v22, v46
	v_dual_mul_f32 v46, v21, v46 :: v_dual_add_f32 v11, v11, v53
	v_mul_f32_e32 v48, v23, v48
	v_fmac_f32_e32 v46, v22, v45
	s_delay_alu instid0(VALU_DEP_3) | instskip(SKIP_4) | instid1(VALU_DEP_3)
	v_add_f32_e32 v11, v54, v11
	v_fmac_f32_e32 v50, v30, v49
	v_fma_f32 v49, v23, v47, -v55
	v_fmac_f32_e32 v48, v24, v47
	v_fma_f32 v47, v21, v45, -v51
	v_dual_add_f32 v11, v49, v11 :: v_dual_add_f32 v12, v12, v52
	s_delay_alu instid0(VALU_DEP_1) | instskip(NEXT) | instid1(VALU_DEP_1)
	v_dual_add_f32 v11, v47, v11 :: v_dual_add_f32 v12, v50, v12
	v_add_f32_e32 v12, v48, v12
	s_delay_alu instid0(VALU_DEP_1)
	v_add_f32_e32 v12, v46, v12
.LBB296_23:                             ;   in Loop: Header=BB296_26 Depth=2
	s_or_b32 exec_lo, exec_lo, s45
	s_wait_loadcnt_dscnt 0x303
	v_mul_f32_e32 v45, v34, v44
	s_wait_loadcnt_dscnt 0x101
	v_dual_mul_f32 v46, v30, v42 :: v_dual_mul_f32 v47, v24, v40
	v_mul_f32_e32 v42, v29, v42
	v_mul_f32_e32 v44, v33, v44
	v_fma_f32 v45, v33, v43, -v45
	v_mul_f32_e32 v40, v23, v40
	v_fma_f32 v46, v29, v41, -v46
	v_fmac_f32_e32 v42, v30, v41
	v_fma_f32 v41, v23, v39, -v47
	s_delay_alu instid0(VALU_DEP_4) | instskip(NEXT) | instid1(VALU_DEP_1)
	v_dual_add_f32 v13, v13, v45 :: v_dual_fmac_f32 v40, v24, v39
	v_add_f32_e32 v13, v46, v13
	v_fmac_f32_e32 v44, v34, v43
	s_wait_loadcnt_dscnt 0x0
	v_mul_f32_e32 v43, v22, v38
	v_mul_f32_e32 v38, v21, v38
	v_add_f32_e32 v13, v41, v13
	s_delay_alu instid0(VALU_DEP_3) | instskip(SKIP_1) | instid1(VALU_DEP_4)
	v_fma_f32 v39, v21, v37, -v43
	v_add_f32_e32 v14, v14, v44
	v_fmac_f32_e32 v38, v22, v37
	s_delay_alu instid0(VALU_DEP_2) | instskip(NEXT) | instid1(VALU_DEP_1)
	v_dual_add_f32 v13, v39, v13 :: v_dual_add_f32 v14, v42, v14
	v_add_f32_e32 v14, v40, v14
	s_delay_alu instid0(VALU_DEP_1)
	v_add_f32_e32 v14, v38, v14
.LBB296_24:                             ;   in Loop: Header=BB296_26 Depth=2
	s_or_b32 exec_lo, exec_lo, s44
	s_wait_loadcnt_dscnt 0x303
	v_mul_f32_e32 v37, v34, v36
	v_mul_f32_e32 v36, v33, v36
	s_wait_loadcnt_dscnt 0x101
	s_delay_alu instid0(VALU_DEP_1)
	v_dual_mul_f32 v39, v24, v28 :: v_dual_fmac_f32 v36, v34, v35
	s_wait_loadcnt_dscnt 0x0
	v_mul_f32_e32 v34, v22, v26
	v_mul_f32_e32 v26, v21, v26
	v_fma_f32 v33, v33, v35, -v37
	v_add_f32_e32 v16, v16, v36
	s_delay_alu instid0(VALU_DEP_4) | instskip(SKIP_1) | instid1(VALU_DEP_4)
	v_fma_f32 v21, v21, v25, -v34
	v_mul_f32_e32 v28, v23, v28
	v_dual_add_f32 v15, v15, v33 :: v_dual_mul_f32 v38, v30, v32
	v_fma_f32 v23, v23, v27, -v39
	v_mul_f32_e32 v32, v29, v32
	v_fmac_f32_e32 v26, v22, v25
	s_delay_alu instid0(VALU_DEP_4) | instskip(NEXT) | instid1(VALU_DEP_1)
	v_fma_f32 v29, v29, v31, -v38
	v_add_f32_e32 v15, v29, v15
	s_delay_alu instid0(VALU_DEP_1) | instskip(SKIP_1) | instid1(VALU_DEP_2)
	v_add_f32_e32 v15, v23, v15
	v_fmac_f32_e32 v32, v30, v31
	v_add_f32_e32 v15, v21, v15
	v_fmac_f32_e32 v28, v24, v27
	s_delay_alu instid0(VALU_DEP_3) | instskip(NEXT) | instid1(VALU_DEP_1)
	v_add_f32_e32 v16, v32, v16
	v_add_f32_e32 v16, v28, v16
	s_delay_alu instid0(VALU_DEP_1)
	v_add_f32_e32 v16, v26, v16
.LBB296_25:                             ;   in Loop: Header=BB296_26 Depth=2
	s_wait_alu 0xfffe
	s_or_b32 exec_lo, exec_lo, s43
	v_add_nc_u32_e32 v71, 16, v71
	v_add_nc_u32_e32 v75, s38, v75
	;; [unrolled: 1-line block ×5, first 2 shown]
	v_cmp_le_i32_e32 vcc_lo, s36, v71
	s_add_co_i32 s42, s42, s39
	s_or_b32 s41, vcc_lo, s41
	s_delay_alu instid0(SALU_CYCLE_1)
	s_and_not1_b32 exec_lo, exec_lo, s41
	s_cbranch_execz .LBB296_31
.LBB296_26:                             ;   Parent Loop BB296_5 Depth=1
                                        ; =>  This Inner Loop Header: Depth=2
	s_and_saveexec_b32 s43, s1
	s_cbranch_execz .LBB296_25
; %bb.27:                               ;   in Loop: Header=BB296_26 Depth=2
	s_wait_alu 0xfffe
	v_add_nc_u32_e32 v21, s42, v68
	v_add_nc_u32_e32 v23, s42, v4
	;; [unrolled: 1-line block ×5, first 2 shown]
	v_ashrrev_i32_e32 v22, 31, v21
	v_ashrrev_i32_e32 v24, 31, v23
	;; [unrolled: 1-line block ×3, first 2 shown]
	v_add_nc_u32_e32 v31, s34, v75
	v_ashrrev_i32_e32 v28, 31, v27
	v_lshlrev_b64_e32 v[21:22], 3, v[21:22]
	v_lshlrev_b64_e32 v[23:24], 3, v[23:24]
	v_ashrrev_i32_e32 v30, 31, v29
	v_lshlrev_b64_e32 v[25:26], 3, v[25:26]
	v_ashrrev_i32_e32 v32, 31, v31
	v_lshlrev_b64_e32 v[27:28], 3, v[27:28]
	v_add_co_u32 v21, vcc_lo, v19, v21
	v_add_nc_u32_e32 v33, s34, v74
	s_wait_alu 0xfffd
	v_add_co_ci_u32_e64 v22, null, v20, v22, vcc_lo
	v_add_co_u32 v23, vcc_lo, v19, v23
	v_lshlrev_b64_e32 v[29:30], 3, v[29:30]
	v_add_nc_u32_e32 v35, s34, v73
	s_wait_alu 0xfffd
	v_add_co_ci_u32_e64 v24, null, v20, v24, vcc_lo
	v_add_co_u32 v25, vcc_lo, v19, v25
	v_lshlrev_b64_e32 v[31:32], 3, v[31:32]
	v_ashrrev_i32_e32 v34, 31, v33
	s_wait_alu 0xfffd
	v_add_co_ci_u32_e64 v26, null, v20, v26, vcc_lo
	v_add_co_u32 v27, vcc_lo, v19, v27
	v_ashrrev_i32_e32 v36, 31, v35
	s_wait_alu 0xfffd
	v_add_co_ci_u32_e64 v28, null, v20, v28, vcc_lo
	v_add_co_u32 v59, vcc_lo, v17, v29
	s_wait_alu 0xfffd
	v_add_co_ci_u32_e64 v60, null, v18, v30, vcc_lo
	v_lshlrev_b64_e32 v[29:30], 3, v[33:34]
	v_add_co_u32 v57, vcc_lo, v17, v31
	s_wait_alu 0xfffd
	v_add_co_ci_u32_e64 v58, null, v18, v32, vcc_lo
	v_lshlrev_b64_e32 v[31:32], 3, v[35:36]
	s_delay_alu instid0(VALU_DEP_4) | instskip(SKIP_2) | instid1(VALU_DEP_3)
	v_add_co_u32 v55, vcc_lo, v17, v29
	s_wait_alu 0xfffd
	v_add_co_ci_u32_e64 v56, null, v18, v30, vcc_lo
	v_add_co_u32 v53, vcc_lo, v17, v31
	s_wait_alu 0xfffd
	v_add_co_ci_u32_e64 v54, null, v18, v32, vcc_lo
	s_clause 0x3
	flat_load_b64 v[33:34], v[21:22]
	flat_load_b64 v[29:30], v[23:24]
	;; [unrolled: 1-line block ×4, first 2 shown]
	s_clause 0x3
	flat_load_b64 v[35:36], v[59:60]
	flat_load_b64 v[31:32], v[57:58]
	;; [unrolled: 1-line block ×4, first 2 shown]
	s_and_saveexec_b32 s44, s3
	s_cbranch_execz .LBB296_24
; %bb.28:                               ;   in Loop: Header=BB296_26 Depth=2
	s_clause 0x3
	flat_load_b64 v[43:44], v[59:60] offset:512
	flat_load_b64 v[41:42], v[57:58] offset:512
	flat_load_b64 v[39:40], v[55:56] offset:512
	flat_load_b64 v[37:38], v[53:54] offset:512
	s_and_saveexec_b32 s45, s4
	s_cbranch_execz .LBB296_23
; %bb.29:                               ;   in Loop: Header=BB296_26 Depth=2
	s_clause 0x3
	flat_load_b64 v[51:52], v[59:60] offset:1024
	flat_load_b64 v[49:50], v[57:58] offset:1024
	flat_load_b64 v[47:48], v[55:56] offset:1024
	flat_load_b64 v[45:46], v[53:54] offset:1024
	;; [unrolled: 8-line block ×3, first 2 shown]
	s_wait_loadcnt_dscnt 0x101
	v_dual_mul_f32 v77, v30, v58 :: v_dual_mul_f32 v78, v24, v56
	v_mul_f32_e32 v58, v29, v58
	s_delay_alu instid0(VALU_DEP_2) | instskip(SKIP_2) | instid1(VALU_DEP_4)
	v_fma_f32 v77, v29, v57, -v77
	v_mul_f32_e32 v76, v34, v60
	v_mul_f32_e32 v60, v33, v60
	v_fmac_f32_e32 v58, v30, v57
	v_fma_f32 v57, v23, v55, -v78
	s_delay_alu instid0(VALU_DEP_4) | instskip(NEXT) | instid1(VALU_DEP_4)
	v_fma_f32 v76, v33, v59, -v76
	v_fmac_f32_e32 v60, v34, v59
	s_wait_loadcnt_dscnt 0x0
	v_mul_f32_e32 v59, v22, v54
	v_mul_f32_e32 v54, v21, v54
	v_add_f32_e32 v9, v9, v76
	v_add_f32_e32 v10, v10, v60
	s_delay_alu instid0(VALU_DEP_3) | instskip(NEXT) | instid1(VALU_DEP_3)
	v_fmac_f32_e32 v54, v22, v53
	v_dual_add_f32 v9, v77, v9 :: v_dual_mul_f32 v56, v23, v56
	s_delay_alu instid0(VALU_DEP_1) | instskip(NEXT) | instid1(VALU_DEP_2)
	v_dual_add_f32 v10, v58, v10 :: v_dual_add_f32 v9, v57, v9
	v_fmac_f32_e32 v56, v24, v55
	v_fma_f32 v55, v21, v53, -v59
	s_delay_alu instid0(VALU_DEP_1) | instskip(NEXT) | instid1(VALU_DEP_1)
	v_dual_add_f32 v10, v56, v10 :: v_dual_add_f32 v9, v55, v9
	v_add_f32_e32 v10, v54, v10
	s_branch .LBB296_22
.LBB296_31:                             ;   in Loop: Header=BB296_5 Depth=1
	s_or_b32 exec_lo, exec_lo, s41
.LBB296_32:                             ;   in Loop: Header=BB296_5 Depth=1
	s_wait_alu 0xfffe
	s_or_b32 exec_lo, exec_lo, s7
	s_delay_alu instid0(SALU_CYCLE_1)
	s_and_not1_b32 vcc_lo, exec_lo, s8
	s_wait_alu 0xfffe
	s_cbranch_vccnz .LBB296_50
; %bb.33:                               ;   in Loop: Header=BB296_5 Depth=1
	v_cmp_gt_i32_e32 vcc_lo, s9, v71
	v_dual_mov_b32 v21, 0 :: v_dual_mov_b32 v22, 0
	v_or_b32_e32 v29, 1, v71
	v_dual_mov_b32 v23, 0 :: v_dual_mov_b32 v24, 0
	v_dual_mov_b32 v25, 0 :: v_dual_mov_b32 v26, 0
	;; [unrolled: 1-line block ×3, first 2 shown]
	s_and_saveexec_b32 s41, vcc_lo
	s_cbranch_execz .LBB296_41
; %bb.34:                               ;   in Loop: Header=BB296_5 Depth=1
	v_mul_lo_u32 v21, v71, s28
	v_dual_mov_b32 v28, 0 :: v_dual_mov_b32 v27, 0
	v_dual_mov_b32 v26, 0 :: v_dual_mov_b32 v25, 0
	;; [unrolled: 1-line block ×3, first 2 shown]
	s_mov_b32 s42, exec_lo
	s_delay_alu instid0(VALU_DEP_4) | instskip(NEXT) | instid1(VALU_DEP_1)
	v_ashrrev_i32_e32 v22, 31, v21
	v_lshlrev_b64_e32 v[21:22], 3, v[21:22]
	s_delay_alu instid0(VALU_DEP_1) | instskip(SKIP_1) | instid1(VALU_DEP_2)
	v_add_co_u32 v21, s7, v19, v21
	s_wait_alu 0xf1ff
	v_add_co_ci_u32_e64 v22, null, v20, v22, s7
	flat_load_b64 v[21:22], v[21:22]
	v_cmpx_gt_i32_e64 s9, v29
	s_cbranch_execz .LBB296_40
; %bb.35:                               ;   in Loop: Header=BB296_5 Depth=1
	v_mul_lo_u32 v23, v29, s28
	v_or_b32_e32 v30, 2, v71
	v_dual_mov_b32 v28, 0 :: v_dual_mov_b32 v27, 0
	v_dual_mov_b32 v26, 0 :: v_dual_mov_b32 v25, 0
	s_mov_b32 s43, exec_lo
	s_delay_alu instid0(VALU_DEP_4) | instskip(NEXT) | instid1(VALU_DEP_1)
	v_ashrrev_i32_e32 v24, 31, v23
	v_lshlrev_b64_e32 v[23:24], 3, v[23:24]
	s_delay_alu instid0(VALU_DEP_1) | instskip(SKIP_1) | instid1(VALU_DEP_2)
	v_add_co_u32 v23, s7, v19, v23
	s_wait_alu 0xf1ff
	v_add_co_ci_u32_e64 v24, null, v20, v24, s7
	flat_load_b64 v[23:24], v[23:24]
	v_cmpx_gt_i32_e64 s9, v30
	s_cbranch_execz .LBB296_39
; %bb.36:                               ;   in Loop: Header=BB296_5 Depth=1
	v_mul_lo_u32 v25, v30, s28
	v_or_b32_e32 v30, 3, v71
	v_dual_mov_b32 v28, 0 :: v_dual_mov_b32 v27, 0
	s_mov_b32 s44, exec_lo
	s_delay_alu instid0(VALU_DEP_3) | instskip(NEXT) | instid1(VALU_DEP_1)
	v_ashrrev_i32_e32 v26, 31, v25
	v_lshlrev_b64_e32 v[25:26], 3, v[25:26]
	s_delay_alu instid0(VALU_DEP_1) | instskip(SKIP_1) | instid1(VALU_DEP_2)
	v_add_co_u32 v25, s7, v19, v25
	s_wait_alu 0xf1ff
	v_add_co_ci_u32_e64 v26, null, v20, v26, s7
	flat_load_b64 v[25:26], v[25:26]
	v_cmpx_gt_i32_e64 s9, v30
	s_cbranch_execz .LBB296_38
; %bb.37:                               ;   in Loop: Header=BB296_5 Depth=1
	v_mul_lo_u32 v27, v30, s28
	s_delay_alu instid0(VALU_DEP_1) | instskip(NEXT) | instid1(VALU_DEP_1)
	v_ashrrev_i32_e32 v28, 31, v27
	v_lshlrev_b64_e32 v[27:28], 3, v[27:28]
	s_delay_alu instid0(VALU_DEP_1) | instskip(SKIP_1) | instid1(VALU_DEP_2)
	v_add_co_u32 v19, s7, v19, v27
	s_wait_alu 0xf1ff
	v_add_co_ci_u32_e64 v20, null, v20, v28, s7
	flat_load_b64 v[27:28], v[19:20]
.LBB296_38:                             ;   in Loop: Header=BB296_5 Depth=1
	s_or_b32 exec_lo, exec_lo, s44
.LBB296_39:                             ;   in Loop: Header=BB296_5 Depth=1
	s_wait_alu 0xfffe
	s_or_b32 exec_lo, exec_lo, s43
.LBB296_40:                             ;   in Loop: Header=BB296_5 Depth=1
	s_wait_alu 0xfffe
	s_or_b32 exec_lo, exec_lo, s42
.LBB296_41:                             ;   in Loop: Header=BB296_5 Depth=1
	s_delay_alu instid0(SALU_CYCLE_1)
	s_or_b32 exec_lo, exec_lo, s41
	s_and_saveexec_b32 s7, s1
	s_cbranch_execz .LBB296_49
; %bb.42:                               ;   in Loop: Header=BB296_5 Depth=1
	v_mul_lo_u32 v20, v71, s30
	v_or_b32_e32 v19, 2, v71
	v_mul_lo_u32 v31, v29, s30
	v_or_b32_e32 v30, 3, v71
	s_delay_alu instid0(VALU_DEP_3) | instskip(NEXT) | instid1(VALU_DEP_2)
	v_mul_lo_u32 v32, v19, s30
	v_mul_lo_u32 v33, v30, s30
	v_cndmask_b32_e32 v20, 0, v20, vcc_lo
	v_cmp_gt_i32_e32 vcc_lo, s9, v29
	s_wait_alu 0xfffd
	v_cndmask_b32_e32 v29, 0, v31, vcc_lo
	v_cmp_gt_i32_e32 vcc_lo, s9, v19
	v_add_nc_u32_e32 v19, v20, v65
	s_delay_alu instid0(VALU_DEP_3)
	v_add_nc_u32_e32 v29, v29, v65
	s_wait_alu 0xfffd
	v_cndmask_b32_e32 v31, 0, v32, vcc_lo
	v_cmp_gt_i32_e32 vcc_lo, s9, v30
	v_ashrrev_i32_e32 v20, 31, v19
	s_wait_alu 0xfffd
	v_cndmask_b32_e32 v30, 0, v33, vcc_lo
	v_add_nc_u32_e32 v31, v31, v65
	s_delay_alu instid0(VALU_DEP_3) | instskip(NEXT) | instid1(VALU_DEP_3)
	v_lshlrev_b64_e32 v[19:20], 3, v[19:20]
	v_add_nc_u32_e32 v33, v30, v65
	v_ashrrev_i32_e32 v30, 31, v29
	s_delay_alu instid0(VALU_DEP_4) | instskip(NEXT) | instid1(VALU_DEP_4)
	v_ashrrev_i32_e32 v32, 31, v31
	v_add_co_u32 v55, vcc_lo, v17, v19
	s_delay_alu instid0(VALU_DEP_4) | instskip(NEXT) | instid1(VALU_DEP_4)
	v_ashrrev_i32_e32 v34, 31, v33
	v_lshlrev_b64_e32 v[29:30], 3, v[29:30]
	s_delay_alu instid0(VALU_DEP_4) | instskip(SKIP_3) | instid1(VALU_DEP_4)
	v_lshlrev_b64_e32 v[31:32], 3, v[31:32]
	s_wait_alu 0xfffd
	v_add_co_ci_u32_e64 v56, null, v18, v20, vcc_lo
	v_lshlrev_b64_e32 v[33:34], 3, v[33:34]
	v_add_co_u32 v53, vcc_lo, v17, v29
	s_wait_alu 0xfffd
	v_add_co_ci_u32_e64 v54, null, v18, v30, vcc_lo
	v_add_co_u32 v51, vcc_lo, v17, v31
	s_wait_alu 0xfffd
	v_add_co_ci_u32_e64 v52, null, v18, v32, vcc_lo
	;; [unrolled: 3-line block ×3, first 2 shown]
	s_clause 0x3
	flat_load_b64 v[31:32], v[55:56]
	flat_load_b64 v[29:30], v[53:54]
	;; [unrolled: 1-line block ×4, first 2 shown]
	s_and_saveexec_b32 s41, s3
	s_cbranch_execz .LBB296_48
; %bb.43:                               ;   in Loop: Header=BB296_5 Depth=1
	s_clause 0x3
	flat_load_b64 v[39:40], v[55:56] offset:512
	flat_load_b64 v[37:38], v[53:54] offset:512
	flat_load_b64 v[35:36], v[51:52] offset:512
	flat_load_b64 v[33:34], v[49:50] offset:512
	s_and_saveexec_b32 s42, s4
	s_cbranch_execz .LBB296_47
; %bb.44:                               ;   in Loop: Header=BB296_5 Depth=1
	s_clause 0x3
	flat_load_b64 v[47:48], v[55:56] offset:1024
	flat_load_b64 v[45:46], v[53:54] offset:1024
	flat_load_b64 v[43:44], v[51:52] offset:1024
	flat_load_b64 v[41:42], v[49:50] offset:1024
	;; [unrolled: 8-line block ×3, first 2 shown]
	s_wait_loadcnt_dscnt 0x202
	v_dual_mul_f32 v57, v22, v56 :: v_dual_mul_f32 v58, v24, v54
	v_mul_f32_e32 v56, v21, v56
	s_wait_loadcnt_dscnt 0x101
	v_dual_mul_f32 v54, v23, v54 :: v_dual_mul_f32 v59, v26, v52
	s_delay_alu instid0(VALU_DEP_3)
	v_fma_f32 v57, v21, v55, -v57
	v_fma_f32 v58, v23, v53, -v58
	s_wait_loadcnt_dscnt 0x0
	v_dual_fmac_f32 v56, v22, v55 :: v_dual_mul_f32 v55, v28, v50
	v_fmac_f32_e32 v54, v24, v53
	v_add_f32_e32 v9, v9, v57
	v_mul_f32_e32 v52, v25, v52
	v_fma_f32 v53, v25, v51, -v59
	s_delay_alu instid0(VALU_DEP_3) | instskip(SKIP_1) | instid1(VALU_DEP_2)
	v_dual_mul_f32 v50, v27, v50 :: v_dual_add_f32 v9, v58, v9
	v_add_f32_e32 v10, v10, v56
	v_fmac_f32_e32 v50, v28, v49
	s_delay_alu instid0(VALU_DEP_3) | instskip(NEXT) | instid1(VALU_DEP_3)
	v_dual_add_f32 v9, v53, v9 :: v_dual_fmac_f32 v52, v26, v51
	v_add_f32_e32 v10, v54, v10
	v_fma_f32 v51, v27, v49, -v55
	s_delay_alu instid0(VALU_DEP_1) | instskip(NEXT) | instid1(VALU_DEP_1)
	v_dual_add_f32 v9, v51, v9 :: v_dual_add_f32 v10, v52, v10
	v_add_f32_e32 v10, v50, v10
.LBB296_46:                             ;   in Loop: Header=BB296_5 Depth=1
	s_wait_alu 0xfffe
	s_or_b32 exec_lo, exec_lo, s43
	s_wait_loadcnt_dscnt 0x202
	v_dual_mul_f32 v49, v22, v48 :: v_dual_mul_f32 v50, v24, v46
	v_mul_f32_e32 v48, v21, v48
	s_wait_loadcnt_dscnt 0x101
	v_dual_mul_f32 v46, v23, v46 :: v_dual_mul_f32 v51, v26, v44
	s_delay_alu instid0(VALU_DEP_3)
	v_fma_f32 v49, v21, v47, -v49
	v_mul_f32_e32 v44, v25, v44
	v_fmac_f32_e32 v48, v22, v47
	v_fma_f32 v50, v23, v45, -v50
	s_wait_loadcnt_dscnt 0x0
	v_mul_f32_e32 v47, v28, v42
	v_add_f32_e32 v11, v11, v49
	v_fmac_f32_e32 v46, v24, v45
	v_fma_f32 v45, v25, v43, -v51
	v_mul_f32_e32 v42, v27, v42
	v_fmac_f32_e32 v44, v26, v43
	v_dual_add_f32 v11, v50, v11 :: v_dual_add_f32 v12, v12, v48
	v_fma_f32 v43, v27, v41, -v47
	s_delay_alu instid0(VALU_DEP_2) | instskip(NEXT) | instid1(VALU_DEP_1)
	v_dual_fmac_f32 v42, v28, v41 :: v_dual_add_f32 v11, v45, v11
	v_dual_add_f32 v12, v46, v12 :: v_dual_add_f32 v11, v43, v11
	s_delay_alu instid0(VALU_DEP_1) | instskip(NEXT) | instid1(VALU_DEP_1)
	v_add_f32_e32 v12, v44, v12
	v_add_f32_e32 v12, v42, v12
.LBB296_47:                             ;   in Loop: Header=BB296_5 Depth=1
	s_wait_alu 0xfffe
	s_or_b32 exec_lo, exec_lo, s42
	s_wait_loadcnt_dscnt 0x202
	v_dual_mul_f32 v41, v22, v40 :: v_dual_mul_f32 v42, v24, v38
	v_mul_f32_e32 v40, v21, v40
	s_wait_loadcnt_dscnt 0x101
	v_dual_mul_f32 v38, v23, v38 :: v_dual_mul_f32 v43, v26, v36
	s_delay_alu instid0(VALU_DEP_3)
	v_fma_f32 v41, v21, v39, -v41
	v_fma_f32 v42, v23, v37, -v42
	s_wait_loadcnt_dscnt 0x0
	v_dual_fmac_f32 v40, v22, v39 :: v_dual_mul_f32 v39, v28, v34
	v_fmac_f32_e32 v38, v24, v37
	v_add_f32_e32 v13, v13, v41
	v_mul_f32_e32 v36, v25, v36
	v_fma_f32 v37, v25, v35, -v43
	s_delay_alu instid0(VALU_DEP_3) | instskip(SKIP_1) | instid1(VALU_DEP_2)
	v_dual_mul_f32 v34, v27, v34 :: v_dual_add_f32 v13, v42, v13
	v_add_f32_e32 v14, v14, v40
	v_fmac_f32_e32 v34, v28, v33
	s_delay_alu instid0(VALU_DEP_3) | instskip(NEXT) | instid1(VALU_DEP_3)
	v_dual_add_f32 v13, v37, v13 :: v_dual_fmac_f32 v36, v26, v35
	v_add_f32_e32 v14, v38, v14
	v_fma_f32 v35, v27, v33, -v39
	s_delay_alu instid0(VALU_DEP_1) | instskip(NEXT) | instid1(VALU_DEP_1)
	v_dual_add_f32 v13, v35, v13 :: v_dual_add_f32 v14, v36, v14
	v_add_f32_e32 v14, v34, v14
.LBB296_48:                             ;   in Loop: Header=BB296_5 Depth=1
	s_or_b32 exec_lo, exec_lo, s41
	s_wait_loadcnt_dscnt 0x202
	v_dual_mul_f32 v33, v22, v32 :: v_dual_mul_f32 v34, v24, v30
	v_mul_f32_e32 v32, v21, v32
	s_wait_loadcnt_dscnt 0x101
	v_dual_mul_f32 v30, v23, v30 :: v_dual_mul_f32 v35, v26, v20
	s_delay_alu instid0(VALU_DEP_3) | instskip(SKIP_1) | instid1(VALU_DEP_2)
	v_fma_f32 v21, v21, v31, -v33
	v_fma_f32 v23, v23, v29, -v34
	v_dual_add_f32 v15, v15, v21 :: v_dual_mul_f32 v20, v25, v20
	v_fmac_f32_e32 v32, v22, v31
	v_fma_f32 v21, v25, v19, -v35
	s_wait_loadcnt_dscnt 0x0
	s_delay_alu instid0(VALU_DEP_3) | instskip(NEXT) | instid1(VALU_DEP_3)
	v_dual_add_f32 v15, v23, v15 :: v_dual_mul_f32 v22, v28, v18
	v_add_f32_e32 v16, v16, v32
	v_fmac_f32_e32 v20, v26, v19
	s_delay_alu instid0(VALU_DEP_3) | instskip(NEXT) | instid1(VALU_DEP_4)
	v_dual_mul_f32 v18, v27, v18 :: v_dual_add_f32 v15, v21, v15
	v_fma_f32 v19, v27, v17, -v22
	v_fmac_f32_e32 v30, v24, v29
	s_delay_alu instid0(VALU_DEP_2) | instskip(NEXT) | instid1(VALU_DEP_2)
	v_dual_fmac_f32 v18, v28, v17 :: v_dual_add_f32 v15, v19, v15
	v_add_f32_e32 v16, v30, v16
	s_delay_alu instid0(VALU_DEP_1) | instskip(NEXT) | instid1(VALU_DEP_1)
	v_add_f32_e32 v16, v20, v16
	v_add_f32_e32 v16, v18, v16
.LBB296_49:                             ;   in Loop: Header=BB296_5 Depth=1
	s_wait_alu 0xfffe
	s_or_b32 exec_lo, exec_lo, s7
.LBB296_50:                             ;   in Loop: Header=BB296_5 Depth=1
	ds_store_2addr_stride64_b64 v62, v[15:16], v[13:14] offset1:1
	ds_store_2addr_stride64_b64 v62, v[11:12], v[9:10] offset0:2 offset1:3
	s_wait_storecnt 0x0
	s_wait_loadcnt_dscnt 0x0
	s_barrier_signal -1
	s_barrier_wait -1
	global_inv scope:SCOPE_SE
	s_and_saveexec_b32 s7, s0
	s_cbranch_execz .LBB296_3
; %bb.51:                               ;   in Loop: Header=BB296_5 Depth=1
	ds_load_2addr_stride64_b64 v[9:12], v63 offset1:4
	ds_load_2addr_stride64_b64 v[13:16], v63 offset0:8 offset1:12
	s_wait_dscnt 0x1
	v_dual_add_f32 v9, v9, v11 :: v_dual_add_f32 v10, v10, v12
	s_wait_dscnt 0x0
	s_delay_alu instid0(VALU_DEP_1) | instskip(NEXT) | instid1(VALU_DEP_1)
	v_dual_add_f32 v9, v9, v13 :: v_dual_add_f32 v10, v10, v14
	v_dual_add_f32 v11, v9, v15 :: v_dual_add_f32 v12, v10, v16
	ds_store_b64 v63, v[11:12]
	s_and_b32 exec_lo, exec_lo, s2
	s_cbranch_execz .LBB296_3
; %bb.52:                               ;   in Loop: Header=BB296_5 Depth=1
	v_mul_f32_e32 v10, s10, v12
	v_mul_f32_e32 v9, s11, v12
	s_and_not1_b32 vcc_lo, exec_lo, s35
	s_delay_alu instid0(VALU_DEP_2) | instskip(NEXT) | instid1(VALU_DEP_2)
	v_fmac_f32_e32 v10, s11, v11
	v_fma_f32 v9, v11, s10, -v9
	s_wait_alu 0xfffe
	s_cbranch_vccnz .LBB296_2
; %bb.53:                               ;   in Loop: Header=BB296_5 Depth=1
	v_add_co_u32 v11, vcc_lo, v69, v7
	s_wait_alu 0xfffd
	v_add_co_ci_u32_e64 v12, null, v70, v8, vcc_lo
	flat_load_b64 v[11:12], v[11:12]
	s_wait_loadcnt_dscnt 0x0
	v_mul_f32_e32 v13, s27, v12
	v_mul_f32_e32 v12, s26, v12
	s_delay_alu instid0(VALU_DEP_1) | instskip(NEXT) | instid1(VALU_DEP_3)
	v_fmac_f32_e32 v12, s27, v11
	v_fma_f32 v13, s26, v11, -v13
	s_delay_alu instid0(VALU_DEP_1)
	v_dual_add_f32 v10, v10, v12 :: v_dual_add_f32 v9, v9, v13
	s_branch .LBB296_2
.LBB296_54:
	s_endpgm
	.section	.rodata,"a",@progbits
	.p2align	6, 0x0
	.amdhsa_kernel _ZL20rocblas_gemvn_kernelILi64ELi4EiPK19rocblas_complex_numIfES1_KPS1_EviiT3_lPKT2_lT1_lS9_lSA_lS6_lPT4_lSA_li
		.amdhsa_group_segment_fixed_size 8192
		.amdhsa_private_segment_fixed_size 0
		.amdhsa_kernarg_size 400
		.amdhsa_user_sgpr_count 2
		.amdhsa_user_sgpr_dispatch_ptr 0
		.amdhsa_user_sgpr_queue_ptr 0
		.amdhsa_user_sgpr_kernarg_segment_ptr 1
		.amdhsa_user_sgpr_dispatch_id 0
		.amdhsa_user_sgpr_private_segment_size 0
		.amdhsa_wavefront_size32 1
		.amdhsa_uses_dynamic_stack 0
		.amdhsa_enable_private_segment 0
		.amdhsa_system_sgpr_workgroup_id_x 1
		.amdhsa_system_sgpr_workgroup_id_y 0
		.amdhsa_system_sgpr_workgroup_id_z 1
		.amdhsa_system_sgpr_workgroup_info 0
		.amdhsa_system_vgpr_workitem_id 1
		.amdhsa_next_free_vgpr 79
		.amdhsa_next_free_sgpr 47
		.amdhsa_reserve_vcc 1
		.amdhsa_float_round_mode_32 0
		.amdhsa_float_round_mode_16_64 0
		.amdhsa_float_denorm_mode_32 3
		.amdhsa_float_denorm_mode_16_64 3
		.amdhsa_fp16_overflow 0
		.amdhsa_workgroup_processor_mode 1
		.amdhsa_memory_ordered 1
		.amdhsa_forward_progress 1
		.amdhsa_inst_pref_size 33
		.amdhsa_round_robin_scheduling 0
		.amdhsa_exception_fp_ieee_invalid_op 0
		.amdhsa_exception_fp_denorm_src 0
		.amdhsa_exception_fp_ieee_div_zero 0
		.amdhsa_exception_fp_ieee_overflow 0
		.amdhsa_exception_fp_ieee_underflow 0
		.amdhsa_exception_fp_ieee_inexact 0
		.amdhsa_exception_int_div_zero 0
	.end_amdhsa_kernel
	.section	.text._ZL20rocblas_gemvn_kernelILi64ELi4EiPK19rocblas_complex_numIfES1_KPS1_EviiT3_lPKT2_lT1_lS9_lSA_lS6_lPT4_lSA_li,"axG",@progbits,_ZL20rocblas_gemvn_kernelILi64ELi4EiPK19rocblas_complex_numIfES1_KPS1_EviiT3_lPKT2_lT1_lS9_lSA_lS6_lPT4_lSA_li,comdat
.Lfunc_end296:
	.size	_ZL20rocblas_gemvn_kernelILi64ELi4EiPK19rocblas_complex_numIfES1_KPS1_EviiT3_lPKT2_lT1_lS9_lSA_lS6_lPT4_lSA_li, .Lfunc_end296-_ZL20rocblas_gemvn_kernelILi64ELi4EiPK19rocblas_complex_numIfES1_KPS1_EviiT3_lPKT2_lT1_lS9_lSA_lS6_lPT4_lSA_li
                                        ; -- End function
	.set _ZL20rocblas_gemvn_kernelILi64ELi4EiPK19rocblas_complex_numIfES1_KPS1_EviiT3_lPKT2_lT1_lS9_lSA_lS6_lPT4_lSA_li.num_vgpr, 79
	.set _ZL20rocblas_gemvn_kernelILi64ELi4EiPK19rocblas_complex_numIfES1_KPS1_EviiT3_lPKT2_lT1_lS9_lSA_lS6_lPT4_lSA_li.num_agpr, 0
	.set _ZL20rocblas_gemvn_kernelILi64ELi4EiPK19rocblas_complex_numIfES1_KPS1_EviiT3_lPKT2_lT1_lS9_lSA_lS6_lPT4_lSA_li.numbered_sgpr, 47
	.set _ZL20rocblas_gemvn_kernelILi64ELi4EiPK19rocblas_complex_numIfES1_KPS1_EviiT3_lPKT2_lT1_lS9_lSA_lS6_lPT4_lSA_li.num_named_barrier, 0
	.set _ZL20rocblas_gemvn_kernelILi64ELi4EiPK19rocblas_complex_numIfES1_KPS1_EviiT3_lPKT2_lT1_lS9_lSA_lS6_lPT4_lSA_li.private_seg_size, 0
	.set _ZL20rocblas_gemvn_kernelILi64ELi4EiPK19rocblas_complex_numIfES1_KPS1_EviiT3_lPKT2_lT1_lS9_lSA_lS6_lPT4_lSA_li.uses_vcc, 1
	.set _ZL20rocblas_gemvn_kernelILi64ELi4EiPK19rocblas_complex_numIfES1_KPS1_EviiT3_lPKT2_lT1_lS9_lSA_lS6_lPT4_lSA_li.uses_flat_scratch, 1
	.set _ZL20rocblas_gemvn_kernelILi64ELi4EiPK19rocblas_complex_numIfES1_KPS1_EviiT3_lPKT2_lT1_lS9_lSA_lS6_lPT4_lSA_li.has_dyn_sized_stack, 0
	.set _ZL20rocblas_gemvn_kernelILi64ELi4EiPK19rocblas_complex_numIfES1_KPS1_EviiT3_lPKT2_lT1_lS9_lSA_lS6_lPT4_lSA_li.has_recursion, 0
	.set _ZL20rocblas_gemvn_kernelILi64ELi4EiPK19rocblas_complex_numIfES1_KPS1_EviiT3_lPKT2_lT1_lS9_lSA_lS6_lPT4_lSA_li.has_indirect_call, 0
	.section	.AMDGPU.csdata,"",@progbits
; Kernel info:
; codeLenInByte = 4128
; TotalNumSgprs: 49
; NumVgprs: 79
; ScratchSize: 0
; MemoryBound: 0
; FloatMode: 240
; IeeeMode: 1
; LDSByteSize: 8192 bytes/workgroup (compile time only)
; SGPRBlocks: 0
; VGPRBlocks: 9
; NumSGPRsForWavesPerEU: 49
; NumVGPRsForWavesPerEU: 79
; Occupancy: 16
; WaveLimiterHint : 1
; COMPUTE_PGM_RSRC2:SCRATCH_EN: 0
; COMPUTE_PGM_RSRC2:USER_SGPR: 2
; COMPUTE_PGM_RSRC2:TRAP_HANDLER: 0
; COMPUTE_PGM_RSRC2:TGID_X_EN: 1
; COMPUTE_PGM_RSRC2:TGID_Y_EN: 0
; COMPUTE_PGM_RSRC2:TGID_Z_EN: 1
; COMPUTE_PGM_RSRC2:TIDIG_COMP_CNT: 1
	.section	.text._ZL20rocblas_gemvn_kernelILi64ELi4ElPK19rocblas_complex_numIfES1_KPS1_EviiT3_lPKT2_lT1_lS9_lSA_lS6_lPT4_lSA_li,"axG",@progbits,_ZL20rocblas_gemvn_kernelILi64ELi4ElPK19rocblas_complex_numIfES1_KPS1_EviiT3_lPKT2_lT1_lS9_lSA_lS6_lPT4_lSA_li,comdat
	.globl	_ZL20rocblas_gemvn_kernelILi64ELi4ElPK19rocblas_complex_numIfES1_KPS1_EviiT3_lPKT2_lT1_lS9_lSA_lS6_lPT4_lSA_li ; -- Begin function _ZL20rocblas_gemvn_kernelILi64ELi4ElPK19rocblas_complex_numIfES1_KPS1_EviiT3_lPKT2_lT1_lS9_lSA_lS6_lPT4_lSA_li
	.p2align	8
	.type	_ZL20rocblas_gemvn_kernelILi64ELi4ElPK19rocblas_complex_numIfES1_KPS1_EviiT3_lPKT2_lT1_lS9_lSA_lS6_lPT4_lSA_li,@function
_ZL20rocblas_gemvn_kernelILi64ELi4ElPK19rocblas_complex_numIfES1_KPS1_EviiT3_lPKT2_lT1_lS9_lSA_lS6_lPT4_lSA_li: ; @_ZL20rocblas_gemvn_kernelILi64ELi4ElPK19rocblas_complex_numIfES1_KPS1_EviiT3_lPKT2_lT1_lS9_lSA_lS6_lPT4_lSA_li
; %bb.0:
	s_clause 0x1
	s_load_b64 s[2:3], s[0:1], 0x9c
	s_load_b32 s33, s[0:1], 0x88
	s_lshr_b32 s24, ttmp7, 16
	s_wait_kmcnt 0x0
	s_lshr_b32 s4, s2, 16
	s_and_b32 s2, s2, 0xffff
	s_and_b32 s3, s3, 0xffff
	s_mul_i32 s2, s4, s2
	s_delay_alu instid0(SALU_CYCLE_1) | instskip(NEXT) | instid1(SALU_CYCLE_1)
	s_mul_i32 s2, s2, s3
	s_cmp_lg_u32 s2, 0x100
	s_cselect_b32 s2, -1, 0
	s_cmp_ge_u32 s24, s33
	s_cselect_b32 s3, -1, 0
	s_delay_alu instid0(SALU_CYCLE_1) | instskip(NEXT) | instid1(SALU_CYCLE_1)
	s_or_b32 s2, s2, s3
	s_and_b32 vcc_lo, exec_lo, s2
	s_cbranch_vccnz .LBB297_54
; %bb.1:
	s_clause 0x7
	s_load_b128 s[8:11], s[0:1], 0x0
	s_load_b64 s[26:27], s[0:1], 0x58
	s_load_b64 s[28:29], s[0:1], 0x48
	s_load_b128 s[12:15], s[0:1], 0x18
	s_load_b64 s[30:31], s[0:1], 0x28
	s_load_b128 s[16:19], s[0:1], 0x38
	;; [unrolled: 2-line block ×3, first 2 shown]
	v_dual_mov_b32 v1, 0 :: v_dual_and_b32 v4, 0x3ff, v0
	v_bfe_u32 v13, v0, 10, 10
	s_mov_b32 s25, 0
	s_delay_alu instid0(VALU_DEP_2) | instskip(NEXT) | instid1(VALU_DEP_2)
	v_lshlrev_b32_e32 v0, 3, v4
	v_lshl_add_u32 v5, v13, 6, v4
	s_delay_alu instid0(VALU_DEP_2)
	v_lshl_add_u32 v73, v13, 11, v0
	v_lshl_add_u32 v74, v13, 9, v0
	s_wait_kmcnt 0x0
	s_cmp_neq_f32 s10, 0
	s_mov_b32 s2, s8
	v_mad_co_u64_u32 v[2:3], null, s28, v13, 0
	s_cselect_b32 s0, -1, 0
	s_cmp_neq_f32 s11, 0
	s_cselect_b32 s1, -1, 0
	s_delay_alu instid0(SALU_CYCLE_1)
	s_or_b32 s34, s0, s1
	s_cmp_neq_f32 s26, 1.0
	v_cmp_gt_u32_e64 s0, 0x100, v5
	s_cselect_b32 s35, -1, 0
	s_cmp_neq_f32 s27, 0
	s_cselect_b32 s45, -1, 0
	s_or_b32 s1, s10, s11
	s_delay_alu instid0(SALU_CYCLE_1) | instskip(NEXT) | instid1(SALU_CYCLE_1)
	s_bitset0_b32 s1, 31
	s_cmp_lg_u32 s1, 0
	s_cselect_b32 s40, -1, 0
	s_cmp_eq_u32 s1, 0
	s_cselect_b32 s41, -1, 0
	s_lshl_b32 s5, ttmp9, 8
	s_ashr_i32 s3, s8, 31
	v_add_nc_u32_e32 v0, s5, v5
	s_cmp_neq_f32 s26, 0
	v_or_b32_e32 v4, s5, v4
	v_or_b32_e32 v6, s5, v5
	s_delay_alu instid0(VALU_DEP_3)
	v_mad_co_u64_u32 v[14:15], null, s6, v0, 0
	s_cselect_b32 s1, -1, 0
	s_ashr_i32 s4, s9, 31
	v_cmp_gt_i64_e32 vcc_lo, s[2:3], v[0:1]
	s_wait_alu 0xfffe
	s_lshr_b32 s3, s4, 28
	v_add_nc_u32_e32 v7, 64, v4
	s_wait_alu 0xfffe
	s_add_co_i32 s3, s9, s3
	v_add_nc_u32_e32 v8, 0x80, v4
	s_wait_alu 0xfffe
	s_and_b32 s43, s3, -16
	v_add_nc_u32_e32 v9, 0xc0, v4
	v_cmp_gt_i32_e64 s2, s8, v6
	v_mul_lo_u32 v10, s7, v6
	v_mad_co_u64_u32 v[16:17], null, s6, v6, 0
	v_mov_b32_e32 v6, v15
	s_sub_co_i32 s4, s9, s43
	s_or_b32 s42, s1, s45
	s_wait_alu 0xfffe
	s_cmp_gt_i32 s4, 0
	v_cmp_gt_i32_e64 s3, s8, v7
	v_mad_co_u64_u32 v[6:7], null, s7, v0, v[6:7]
	v_cmp_gt_i32_e64 s4, s8, v8
	s_cselect_b32 s44, -1, 0
	s_ashr_i32 s7, s5, 31
	v_cmp_gt_i32_e64 s5, s8, v9
	v_mad_co_u64_u32 v[8:9], null, s29, v13, v[3:4]
	v_dual_mov_b32 v15, v6 :: v_dual_lshlrev_b32 v72, 2, v13
	s_wait_alu 0xfffe
	s_mul_i32 s7, s6, s7
	v_ashrrev_i32_e32 v5, 31, v4
	s_wait_alu 0xfffe
	v_add3_u32 v17, v17, s7, v10
	v_mad_co_u64_u32 v[9:10], null, s30, v13, 0
	v_mov_b32_e32 v3, v8
	v_or_b32_e32 v20, 3, v72
	v_or_b32_e32 v22, 2, v72
	v_mad_co_u64_u32 v[18:19], null, s30, v72, s[30:31]
	v_cmp_gt_i32_e64 s1, s8, v4
	s_delay_alu instid0(VALU_DEP_4) | instskip(NEXT) | instid1(VALU_DEP_4)
	v_mad_co_u64_u32 v[6:7], null, s30, v20, 0
	v_mad_co_u64_u32 v[11:12], null, s30, v22, 0
	v_lshlrev_b64_e32 v[2:3], 5, v[2:3]
	v_mov_b32_e32 v8, v19
	v_lshlrev_b64_e32 v[4:5], 3, v[4:5]
	v_lshlrev_b64_e32 v[14:15], 3, v[14:15]
	v_dual_mov_b32 v0, v7 :: v_dual_mov_b32 v7, v10
	v_lshlrev_b64_e32 v[16:17], 3, v[16:17]
	v_cmp_gt_i32_e64 s6, s43, v72
	s_or_b32 s7, s34, s35
	v_mad_co_u64_u32 v[20:21], null, s31, v20, v[0:1]
	v_mov_b32_e32 v0, v12
	v_mad_co_u64_u32 v[12:13], null, s31, v13, v[7:8]
	s_and_b32 s8, s0, vcc_lo
	s_lshl_b64 s[34:35], s[28:29], 7
	v_mad_co_u64_u32 v[21:22], null, s31, v22, v[0:1]
	v_mad_co_u64_u32 v[22:23], null, s31, v72, v[8:9]
	v_dual_mov_b32 v7, v20 :: v_dual_mov_b32 v10, v12
	s_lshl_b64 s[36:37], s[30:31], 7
	s_lshl_b64 s[38:39], s[28:29], 3
	s_delay_alu instid0(VALU_DEP_3) | instskip(NEXT) | instid1(VALU_DEP_2)
	v_mov_b32_e32 v12, v21
	v_lshlrev_b64_e32 v[6:7], 3, v[6:7]
	s_delay_alu instid0(VALU_DEP_4)
	v_mov_b32_e32 v19, v22
	v_lshlrev_b64_e32 v[8:9], 5, v[9:10]
	s_wait_alu 0xfffe
	s_or_b32 s45, s7, s45
	v_lshlrev_b64_e32 v[10:11], 3, v[11:12]
	s_lshl_b64 s[14:15], s[14:15], 3
	v_lshlrev_b64_e32 v[12:13], 3, v[18:19]
	s_lshl_b64 s[18:19], s[18:19], 3
	s_lshl_b64 s[22:23], s[22:23], 3
	s_branch .LBB297_5
.LBB297_2:                              ;   in Loop: Header=BB297_5 Depth=1
	v_add_co_u32 v20, vcc_lo, v0, v16
	s_wait_alu 0xfffd
	v_add_co_ci_u32_e64 v21, null, v75, v17, vcc_lo
	flat_store_b64 v[20:21], v[18:19]
.LBB297_3:                              ;   in Loop: Header=BB297_5 Depth=1
	s_wait_alu 0xfffe
	s_or_b32 exec_lo, exec_lo, s7
.LBB297_4:                              ;   in Loop: Header=BB297_5 Depth=1
	s_add_co_i32 s24, s24, 0x10000
	s_delay_alu instid0(SALU_CYCLE_1)
	s_cmp_lt_u32 s24, s33
	s_cbranch_scc0 .LBB297_54
.LBB297_5:                              ; =>This Loop Header: Depth=1
                                        ;     Child Loop BB297_26 Depth 2
	s_and_not1_b32 vcc_lo, exec_lo, s45
	s_wait_alu 0xfffe
	s_cbranch_vccnz .LBB297_4
; %bb.6:                                ;   in Loop: Header=BB297_5 Depth=1
	s_and_not1_b32 vcc_lo, exec_lo, s41
	s_wait_alu 0xfffe
	s_cbranch_vccnz .LBB297_8
; %bb.7:                                ;   in Loop: Header=BB297_5 Depth=1
	s_mov_b32 s7, 0
	s_branch .LBB297_9
.LBB297_8:                              ;   in Loop: Header=BB297_5 Depth=1
	s_mov_b32 s7, -1
.LBB297_9:                              ;   in Loop: Header=BB297_5 Depth=1
	v_mov_b32_e32 v28, 0
	v_dual_mov_b32 v29, 0 :: v_dual_mov_b32 v26, 0
	v_mov_b32_e32 v27, 0
	s_wait_alu 0xfffe
	s_and_not1_b32 vcc_lo, exec_lo, s7
	s_wait_alu 0xfffe
	s_cbranch_vccnz .LBB297_11
; %bb.10:                               ;   in Loop: Header=BB297_5 Depth=1
	s_lshl_b64 s[46:47], s[24:25], 3
	s_delay_alu instid0(SALU_CYCLE_1)
	s_add_nc_u64 s[46:47], s[12:13], s[46:47]
	global_load_b64 v[18:19], v1, s[46:47]
	s_wait_loadcnt 0x0
	v_add_co_u32 v26, vcc_lo, v18, s14
	s_wait_alu 0xfffd
	v_add_co_ci_u32_e64 v27, null, s15, v19, vcc_lo
.LBB297_11:                             ;   in Loop: Header=BB297_5 Depth=1
	s_and_not1_b32 vcc_lo, exec_lo, s40
	s_wait_alu 0xfffe
	s_cbranch_vccnz .LBB297_13
; %bb.12:                               ;   in Loop: Header=BB297_5 Depth=1
	s_lshl_b64 s[46:47], s[24:25], 3
	s_delay_alu instid0(SALU_CYCLE_1)
	s_add_nc_u64 s[46:47], s[16:17], s[46:47]
	global_load_b64 v[18:19], v1, s[46:47]
	s_wait_loadcnt 0x0
	v_add_co_u32 v28, vcc_lo, v18, s18
	s_wait_alu 0xfffd
	v_add_co_ci_u32_e64 v29, null, s19, v19, vcc_lo
.LBB297_13:                             ;   in Loop: Header=BB297_5 Depth=1
	s_lshl_b64 s[46:47], s[24:25], 3
	s_mov_b32 s7, -1
	s_add_nc_u64 s[46:47], s[20:21], s[46:47]
	global_load_b64 v[18:19], v1, s[46:47]
	s_wait_loadcnt 0x0
	v_add_co_u32 v0, vcc_lo, v18, s22
	s_wait_alu 0xfffd
	v_add_co_ci_u32_e64 v75, null, s23, v19, vcc_lo
	s_and_not1_b32 vcc_lo, exec_lo, s41
	s_wait_alu 0xfffe
	s_cbranch_vccnz .LBB297_19
; %bb.14:                               ;   in Loop: Header=BB297_5 Depth=1
	s_and_saveexec_b32 s7, s8
	s_cbranch_execz .LBB297_18
; %bb.15:                               ;   in Loop: Header=BB297_5 Depth=1
	v_dual_mov_b32 v18, 0 :: v_dual_mov_b32 v19, 0
	s_and_not1_b32 vcc_lo, exec_lo, s42
	s_wait_alu 0xfffe
	s_cbranch_vccnz .LBB297_17
; %bb.16:                               ;   in Loop: Header=BB297_5 Depth=1
	v_add_co_u32 v18, vcc_lo, v0, v14
	s_wait_alu 0xfffd
	v_add_co_ci_u32_e64 v19, null, v75, v15, vcc_lo
	flat_load_b64 v[20:21], v[18:19]
	s_wait_loadcnt_dscnt 0x0
	v_mul_f32_e32 v19, s26, v21
	s_delay_alu instid0(VALU_DEP_1) | instskip(NEXT) | instid1(VALU_DEP_1)
	v_dual_mul_f32 v18, s27, v21 :: v_dual_fmac_f32 v19, s27, v20
	v_fma_f32 v18, s26, v20, -v18
.LBB297_17:                             ;   in Loop: Header=BB297_5 Depth=1
	v_add_co_u32 v20, vcc_lo, v0, v14
	s_wait_alu 0xfffd
	v_add_co_ci_u32_e64 v21, null, v75, v15, vcc_lo
	flat_store_b64 v[20:21], v[18:19]
.LBB297_18:                             ;   in Loop: Header=BB297_5 Depth=1
	s_wait_alu 0xfffe
	s_or_b32 exec_lo, exec_lo, s7
	s_mov_b32 s7, 0
.LBB297_19:                             ;   in Loop: Header=BB297_5 Depth=1
	s_wait_alu 0xfffe
	s_and_not1_b32 vcc_lo, exec_lo, s7
	s_wait_alu 0xfffe
	s_cbranch_vccnz .LBB297_4
; %bb.20:                               ;   in Loop: Header=BB297_5 Depth=1
	v_dual_mov_b32 v19, 0 :: v_dual_mov_b32 v76, v72
	v_dual_mov_b32 v18, 0 :: v_dual_mov_b32 v21, 0
	;; [unrolled: 1-line block ×4, first 2 shown]
	v_mov_b32_e32 v24, 0
	s_and_saveexec_b32 s46, s6
	s_cbranch_execz .LBB297_32
; %bb.21:                               ;   in Loop: Header=BB297_5 Depth=1
	v_add_co_u32 v30, vcc_lo, v28, v2
	s_wait_alu 0xfffd
	v_add_co_ci_u32_e64 v31, null, v29, v3, vcc_lo
	v_add_co_u32 v77, vcc_lo, v26, v6
	s_wait_alu 0xfffd
	v_add_co_ci_u32_e64 v78, null, v27, v7, vcc_lo
	v_add_co_u32 v79, vcc_lo, v26, v8
	v_dual_mov_b32 v19, 0 :: v_dual_mov_b32 v76, v72
	s_wait_alu 0xfffd
	v_add_co_ci_u32_e64 v80, null, v27, v9, vcc_lo
	v_add_co_u32 v81, vcc_lo, v26, v10
	s_wait_alu 0xfffd
	v_add_co_ci_u32_e64 v82, null, v27, v11, vcc_lo
	v_add_co_u32 v83, vcc_lo, v26, v12
	s_wait_alu 0xfffd
	v_add_co_ci_u32_e64 v84, null, v27, v13, vcc_lo
	v_dual_mov_b32 v18, v19 :: v_dual_mov_b32 v21, v19
	v_dual_mov_b32 v20, v19 :: v_dual_mov_b32 v23, v19
	;; [unrolled: 1-line block ×3, first 2 shown]
	v_mov_b32_e32 v24, v19
	s_mov_b32 s47, 0
	s_branch .LBB297_26
.LBB297_22:                             ;   in Loop: Header=BB297_26 Depth=2
	s_or_b32 exec_lo, exec_lo, s50
	s_wait_loadcnt_dscnt 0x303
	v_mul_f32_e32 v64, v45, v63
	s_wait_loadcnt_dscnt 0x101
	v_dual_mul_f32 v65, v41, v61 :: v_dual_mul_f32 v66, v35, v59
	v_mul_f32_e32 v61, v40, v61
	v_mul_f32_e32 v63, v44, v63
	v_fma_f32 v64, v44, v62, -v64
	v_mul_f32_e32 v59, v34, v59
	v_fma_f32 v65, v40, v60, -v65
	v_fmac_f32_e32 v61, v41, v60
	v_fma_f32 v60, v34, v58, -v66
	s_delay_alu instid0(VALU_DEP_4) | instskip(NEXT) | instid1(VALU_DEP_1)
	v_dual_add_f32 v20, v20, v64 :: v_dual_fmac_f32 v59, v35, v58
	v_add_f32_e32 v20, v65, v20
	v_fmac_f32_e32 v63, v45, v62
	s_wait_loadcnt_dscnt 0x0
	v_mul_f32_e32 v62, v33, v57
	v_mul_f32_e32 v57, v32, v57
	v_add_f32_e32 v20, v60, v20
	s_delay_alu instid0(VALU_DEP_3) | instskip(SKIP_1) | instid1(VALU_DEP_4)
	v_fma_f32 v58, v32, v56, -v62
	v_add_f32_e32 v21, v21, v63
	v_fmac_f32_e32 v57, v33, v56
	s_delay_alu instid0(VALU_DEP_2) | instskip(NEXT) | instid1(VALU_DEP_1)
	v_dual_add_f32 v20, v58, v20 :: v_dual_add_f32 v21, v61, v21
	v_add_f32_e32 v21, v59, v21
	s_delay_alu instid0(VALU_DEP_1)
	v_add_f32_e32 v21, v57, v21
.LBB297_23:                             ;   in Loop: Header=BB297_26 Depth=2
	s_or_b32 exec_lo, exec_lo, s49
	s_wait_loadcnt_dscnt 0x303
	v_mul_f32_e32 v56, v45, v55
	v_mul_f32_e32 v55, v44, v55
	s_wait_loadcnt_dscnt 0x101
	v_dual_mul_f32 v57, v41, v53 :: v_dual_mul_f32 v58, v35, v51
	v_mul_f32_e32 v53, v40, v53
	v_fma_f32 v56, v44, v54, -v56
	v_fmac_f32_e32 v55, v45, v54
	s_delay_alu instid0(VALU_DEP_4) | instskip(SKIP_4) | instid1(VALU_DEP_2)
	v_fma_f32 v57, v40, v52, -v57
	s_wait_loadcnt_dscnt 0x0
	v_mul_f32_e32 v54, v33, v49
	v_dual_mul_f32 v49, v32, v49 :: v_dual_add_f32 v22, v22, v56
	v_mul_f32_e32 v51, v34, v51
	v_fmac_f32_e32 v49, v33, v48
	s_delay_alu instid0(VALU_DEP_3) | instskip(SKIP_4) | instid1(VALU_DEP_3)
	v_add_f32_e32 v22, v57, v22
	v_fmac_f32_e32 v53, v41, v52
	v_fma_f32 v52, v34, v50, -v58
	v_fmac_f32_e32 v51, v35, v50
	v_fma_f32 v50, v32, v48, -v54
	v_dual_add_f32 v22, v52, v22 :: v_dual_add_f32 v23, v23, v55
	s_delay_alu instid0(VALU_DEP_1) | instskip(NEXT) | instid1(VALU_DEP_1)
	v_dual_add_f32 v22, v50, v22 :: v_dual_add_f32 v23, v53, v23
	v_add_f32_e32 v23, v51, v23
	s_delay_alu instid0(VALU_DEP_1)
	v_add_f32_e32 v23, v49, v23
.LBB297_24:                             ;   in Loop: Header=BB297_26 Depth=2
	s_or_b32 exec_lo, exec_lo, s48
	s_wait_loadcnt_dscnt 0x101
	v_mul_f32_e32 v50, v35, v39
	v_mul_f32_e32 v48, v45, v47
	;; [unrolled: 1-line block ×3, first 2 shown]
	s_delay_alu instid0(VALU_DEP_3) | instskip(SKIP_1) | instid1(VALU_DEP_1)
	v_fma_f32 v34, v34, v38, -v50
	v_mul_f32_e32 v47, v44, v47
	v_fmac_f32_e32 v47, v45, v46
	s_wait_loadcnt_dscnt 0x0
	v_mul_f32_e32 v45, v33, v37
	v_mul_f32_e32 v37, v32, v37
	v_fma_f32 v44, v44, v46, -v48
	v_mul_f32_e32 v49, v41, v43
	v_mul_f32_e32 v43, v40, v43
	v_add_f32_e32 v25, v25, v47
	v_fma_f32 v32, v32, v36, -v45
	v_add_f32_e32 v24, v24, v44
	v_fma_f32 v40, v40, v42, -v49
	v_fmac_f32_e32 v43, v41, v42
	v_fmac_f32_e32 v37, v33, v36
	s_delay_alu instid0(VALU_DEP_3) | instskip(NEXT) | instid1(VALU_DEP_1)
	v_dual_add_f32 v24, v40, v24 :: v_dual_fmac_f32 v39, v35, v38
	v_dual_add_f32 v25, v43, v25 :: v_dual_add_f32 v24, v34, v24
	s_delay_alu instid0(VALU_DEP_1) | instskip(NEXT) | instid1(VALU_DEP_1)
	v_dual_add_f32 v25, v39, v25 :: v_dual_add_f32 v24, v32, v24
	v_add_f32_e32 v25, v37, v25
.LBB297_25:                             ;   in Loop: Header=BB297_26 Depth=2
	s_wait_alu 0xfffe
	s_or_b32 exec_lo, exec_lo, s7
	v_add_co_u32 v30, vcc_lo, v30, s34
	s_wait_alu 0xfffd
	v_add_co_ci_u32_e64 v31, null, s35, v31, vcc_lo
	v_add_co_u32 v77, vcc_lo, v77, s36
	v_add_nc_u32_e32 v76, 16, v76
	s_wait_alu 0xfffd
	v_add_co_ci_u32_e64 v78, null, s37, v78, vcc_lo
	v_add_co_u32 v79, vcc_lo, v79, s36
	s_wait_alu 0xfffd
	v_add_co_ci_u32_e64 v80, null, s37, v80, vcc_lo
	v_add_co_u32 v81, vcc_lo, v81, s36
	s_wait_alu 0xfffd
	v_add_co_ci_u32_e64 v82, null, s37, v82, vcc_lo
	v_cmp_le_i32_e32 vcc_lo, s43, v76
	v_add_co_u32 v83, s7, v83, s36
	s_wait_alu 0xf1ff
	v_add_co_ci_u32_e64 v84, null, s37, v84, s7
	s_or_b32 s47, vcc_lo, s47
	s_delay_alu instid0(SALU_CYCLE_1)
	s_and_not1_b32 exec_lo, exec_lo, s47
	s_cbranch_execz .LBB297_31
.LBB297_26:                             ;   Parent Loop BB297_5 Depth=1
                                        ; =>  This Inner Loop Header: Depth=2
	s_and_saveexec_b32 s7, s1
	s_cbranch_execz .LBB297_25
; %bb.27:                               ;   in Loop: Header=BB297_26 Depth=2
	v_add_co_u32 v32, vcc_lo, v30, s38
	s_wait_alu 0xfffd
	v_add_co_ci_u32_e64 v33, null, s39, v31, vcc_lo
	s_delay_alu instid0(VALU_DEP_2) | instskip(SKIP_1) | instid1(VALU_DEP_2)
	v_add_co_u32 v34, vcc_lo, v32, s38
	s_wait_alu 0xfffd
	v_add_co_ci_u32_e64 v35, null, s39, v33, vcc_lo
	s_delay_alu instid0(VALU_DEP_2) | instskip(SKIP_1) | instid1(VALU_DEP_2)
	v_add_co_u32 v36, vcc_lo, v34, s38
	s_wait_alu 0xfffd
	v_add_co_ci_u32_e64 v37, null, s39, v35, vcc_lo
	v_add_co_u32 v70, vcc_lo, v79, v4
	s_wait_alu 0xfffd
	v_add_co_ci_u32_e64 v71, null, v80, v5, vcc_lo
	v_add_co_u32 v68, vcc_lo, v83, v4
	s_wait_alu 0xfffd
	v_add_co_ci_u32_e64 v69, null, v84, v5, vcc_lo
	v_add_co_u32 v66, vcc_lo, v81, v4
	s_wait_alu 0xfffd
	v_add_co_ci_u32_e64 v67, null, v82, v5, vcc_lo
	v_add_co_u32 v64, vcc_lo, v77, v4
	s_wait_alu 0xfffd
	v_add_co_ci_u32_e64 v65, null, v78, v5, vcc_lo
	s_clause 0x3
	flat_load_b64 v[44:45], v[30:31]
	flat_load_b64 v[40:41], v[32:33]
	;; [unrolled: 1-line block ×8, first 2 shown]
	s_and_saveexec_b32 s48, s3
	s_cbranch_execz .LBB297_24
; %bb.28:                               ;   in Loop: Header=BB297_26 Depth=2
	flat_load_b64 v[54:55], v[70:71] offset:512
	flat_load_b64 v[52:53], v[68:69] offset:512
	flat_load_b64 v[50:51], v[66:67] offset:512
	flat_load_b64 v[48:49], v[64:65] offset:512
	s_and_saveexec_b32 s49, s4
	s_cbranch_execz .LBB297_23
; %bb.29:                               ;   in Loop: Header=BB297_26 Depth=2
	flat_load_b64 v[62:63], v[70:71] offset:1024
	flat_load_b64 v[60:61], v[68:69] offset:1024
	flat_load_b64 v[58:59], v[66:67] offset:1024
	flat_load_b64 v[56:57], v[64:65] offset:1024
	;; [unrolled: 7-line block ×3, first 2 shown]
	s_wait_loadcnt_dscnt 0x101
	v_dual_mul_f32 v86, v41, v69 :: v_dual_mul_f32 v87, v35, v67
	v_mul_f32_e32 v69, v40, v69
	s_delay_alu instid0(VALU_DEP_2) | instskip(SKIP_2) | instid1(VALU_DEP_4)
	v_fma_f32 v86, v40, v68, -v86
	v_mul_f32_e32 v85, v45, v71
	v_mul_f32_e32 v71, v44, v71
	v_fmac_f32_e32 v69, v41, v68
	v_fma_f32 v68, v34, v66, -v87
	s_delay_alu instid0(VALU_DEP_4) | instskip(NEXT) | instid1(VALU_DEP_4)
	v_fma_f32 v85, v44, v70, -v85
	v_fmac_f32_e32 v71, v45, v70
	s_wait_loadcnt_dscnt 0x0
	v_mul_f32_e32 v70, v33, v65
	v_mul_f32_e32 v65, v32, v65
	s_delay_alu instid0(VALU_DEP_3) | instskip(NEXT) | instid1(VALU_DEP_1)
	v_dual_add_f32 v18, v18, v85 :: v_dual_add_f32 v19, v19, v71
	v_dual_fmac_f32 v65, v33, v64 :: v_dual_add_f32 v18, v86, v18
	v_mul_f32_e32 v67, v34, v67
	s_delay_alu instid0(VALU_DEP_2) | instskip(NEXT) | instid1(VALU_DEP_2)
	v_dual_add_f32 v19, v69, v19 :: v_dual_add_f32 v18, v68, v18
	v_fmac_f32_e32 v67, v35, v66
	v_fma_f32 v66, v32, v64, -v70
	s_delay_alu instid0(VALU_DEP_1) | instskip(NEXT) | instid1(VALU_DEP_1)
	v_dual_add_f32 v19, v67, v19 :: v_dual_add_f32 v18, v66, v18
	v_add_f32_e32 v19, v65, v19
	s_branch .LBB297_22
.LBB297_31:                             ;   in Loop: Header=BB297_5 Depth=1
	s_or_b32 exec_lo, exec_lo, s47
.LBB297_32:                             ;   in Loop: Header=BB297_5 Depth=1
	s_delay_alu instid0(SALU_CYCLE_1) | instskip(NEXT) | instid1(SALU_CYCLE_1)
	s_or_b32 exec_lo, exec_lo, s46
	s_and_not1_b32 vcc_lo, exec_lo, s44
	s_wait_alu 0xfffe
	s_cbranch_vccnz .LBB297_50
; %bb.33:                               ;   in Loop: Header=BB297_5 Depth=1
	v_cmp_gt_i32_e32 vcc_lo, s9, v76
	v_dual_mov_b32 v30, 0 :: v_dual_mov_b32 v31, 0
	v_or_b32_e32 v38, 1, v76
	v_dual_mov_b32 v32, 0 :: v_dual_mov_b32 v33, 0
	v_dual_mov_b32 v34, 0 :: v_dual_mov_b32 v35, 0
	;; [unrolled: 1-line block ×3, first 2 shown]
	s_and_saveexec_b32 s46, vcc_lo
	s_cbranch_execz .LBB297_41
; %bb.34:                               ;   in Loop: Header=BB297_5 Depth=1
	v_mad_co_u64_u32 v[30:31], null, s28, v76, 0
	v_dual_mov_b32 v37, 0 :: v_dual_mov_b32 v36, 0
	v_dual_mov_b32 v35, 0 :: v_dual_mov_b32 v34, 0
	v_mov_b32_e32 v33, 0
	s_mov_b32 s47, exec_lo
	s_delay_alu instid0(VALU_DEP_4) | instskip(SKIP_1) | instid1(VALU_DEP_2)
	v_mad_co_u64_u32 v[31:32], null, s29, v76, v[31:32]
	v_mov_b32_e32 v32, 0
	v_lshlrev_b64_e32 v[30:31], 3, v[30:31]
	s_delay_alu instid0(VALU_DEP_1) | instskip(SKIP_1) | instid1(VALU_DEP_2)
	v_add_co_u32 v30, s7, v28, v30
	s_wait_alu 0xf1ff
	v_add_co_ci_u32_e64 v31, null, v29, v31, s7
	flat_load_b64 v[30:31], v[30:31]
	v_cmpx_gt_i32_e64 s9, v38
	s_cbranch_execz .LBB297_40
; %bb.35:                               ;   in Loop: Header=BB297_5 Depth=1
	v_mad_co_u64_u32 v[32:33], null, s28, v38, 0
	v_or_b32_e32 v39, 2, v76
	v_dual_mov_b32 v37, 0 :: v_dual_mov_b32 v36, 0
	v_mov_b32_e32 v35, 0
	s_mov_b32 s48, exec_lo
	s_delay_alu instid0(VALU_DEP_4) | instskip(SKIP_1) | instid1(VALU_DEP_2)
	v_mad_co_u64_u32 v[33:34], null, s29, v38, v[33:34]
	v_mov_b32_e32 v34, 0
	v_lshlrev_b64_e32 v[32:33], 3, v[32:33]
	s_delay_alu instid0(VALU_DEP_1) | instskip(SKIP_1) | instid1(VALU_DEP_2)
	v_add_co_u32 v32, s7, v28, v32
	s_wait_alu 0xf1ff
	v_add_co_ci_u32_e64 v33, null, v29, v33, s7
	flat_load_b64 v[32:33], v[32:33]
	v_cmpx_gt_i32_e64 s9, v39
	s_cbranch_execz .LBB297_39
; %bb.36:                               ;   in Loop: Header=BB297_5 Depth=1
	v_mad_co_u64_u32 v[34:35], null, s28, v39, 0
	v_mov_b32_e32 v37, 0
	s_mov_b32 s49, exec_lo
	s_delay_alu instid0(VALU_DEP_2) | instskip(SKIP_2) | instid1(VALU_DEP_3)
	v_mad_co_u64_u32 v[35:36], null, s29, v39, v[35:36]
	v_or_b32_e32 v39, 3, v76
	v_mov_b32_e32 v36, 0
	v_lshlrev_b64_e32 v[34:35], 3, v[34:35]
	s_delay_alu instid0(VALU_DEP_1) | instskip(SKIP_1) | instid1(VALU_DEP_2)
	v_add_co_u32 v34, s7, v28, v34
	s_wait_alu 0xf1ff
	v_add_co_ci_u32_e64 v35, null, v29, v35, s7
	flat_load_b64 v[34:35], v[34:35]
	v_cmpx_gt_i32_e64 s9, v39
	s_cbranch_execz .LBB297_38
; %bb.37:                               ;   in Loop: Header=BB297_5 Depth=1
	v_mad_co_u64_u32 v[36:37], null, s28, v39, 0
	s_delay_alu instid0(VALU_DEP_1) | instskip(NEXT) | instid1(VALU_DEP_1)
	v_mad_co_u64_u32 v[39:40], null, s29, v39, v[37:38]
	v_mov_b32_e32 v37, v39
	s_delay_alu instid0(VALU_DEP_1) | instskip(NEXT) | instid1(VALU_DEP_1)
	v_lshlrev_b64_e32 v[36:37], 3, v[36:37]
	v_add_co_u32 v28, s7, v28, v36
	s_wait_alu 0xf1ff
	s_delay_alu instid0(VALU_DEP_2)
	v_add_co_ci_u32_e64 v29, null, v29, v37, s7
	flat_load_b64 v[36:37], v[28:29]
.LBB297_38:                             ;   in Loop: Header=BB297_5 Depth=1
	s_or_b32 exec_lo, exec_lo, s49
.LBB297_39:                             ;   in Loop: Header=BB297_5 Depth=1
	s_delay_alu instid0(SALU_CYCLE_1)
	s_or_b32 exec_lo, exec_lo, s48
.LBB297_40:                             ;   in Loop: Header=BB297_5 Depth=1
	s_delay_alu instid0(SALU_CYCLE_1)
	s_or_b32 exec_lo, exec_lo, s47
.LBB297_41:                             ;   in Loop: Header=BB297_5 Depth=1
	s_delay_alu instid0(SALU_CYCLE_1)
	s_or_b32 exec_lo, exec_lo, s46
	s_and_saveexec_b32 s46, s1
	s_cbranch_execz .LBB297_49
; %bb.42:                               ;   in Loop: Header=BB297_5 Depth=1
	v_or_b32_e32 v47, 2, v76
	v_mad_co_u64_u32 v[28:29], null, s30, v76, 0
	v_mad_co_u64_u32 v[39:40], null, s30, v38, 0
	s_delay_alu instid0(VALU_DEP_3) | instskip(SKIP_4) | instid1(VALU_DEP_4)
	v_mad_co_u64_u32 v[41:42], null, s30, v47, 0
	v_cmp_gt_i32_e64 s7, s9, v38
	v_or_b32_e32 v48, 3, v76
	s_wait_loadcnt_dscnt 0x0
	v_mad_co_u64_u32 v[43:44], null, s31, v76, v[29:30]
	v_dual_mov_b32 v29, v42 :: v_dual_cndmask_b32 v42, 0, v28
	v_mad_co_u64_u32 v[44:45], null, s31, v38, v[40:41]
	s_wait_alu 0xf1ff
	v_cndmask_b32_e64 v28, 0, v39, s7
	s_delay_alu instid0(VALU_DEP_3) | instskip(SKIP_4) | instid1(VALU_DEP_4)
	v_mad_co_u64_u32 v[38:39], null, s31, v47, v[29:30]
	v_cndmask_b32_e32 v43, 0, v43, vcc_lo
	v_mad_co_u64_u32 v[45:46], null, s30, v48, 0
	v_cndmask_b32_e64 v29, 0, v44, s7
	v_cmp_gt_i32_e32 vcc_lo, s9, v47
	v_lshlrev_b64_e32 v[39:40], 3, v[42:43]
	s_delay_alu instid0(VALU_DEP_3) | instskip(SKIP_3) | instid1(VALU_DEP_4)
	v_lshlrev_b64_e32 v[28:29], 3, v[28:29]
	v_mov_b32_e32 v43, v46
	s_wait_alu 0xfffd
	v_cndmask_b32_e32 v41, 0, v41, vcc_lo
	v_add_co_u32 v39, s7, v26, v39
	s_wait_alu 0xf1ff
	v_add_co_ci_u32_e64 v40, null, v27, v40, s7
	v_cndmask_b32_e32 v42, 0, v38, vcc_lo
	s_delay_alu instid0(VALU_DEP_3)
	v_add_co_u32 v60, vcc_lo, v39, v4
	v_mad_co_u64_u32 v[38:39], null, s31, v48, v[43:44]
	s_wait_alu 0xfffd
	v_add_co_ci_u32_e64 v61, null, v40, v5, vcc_lo
	v_cmp_gt_i32_e32 vcc_lo, s9, v48
	v_add_co_u32 v43, s7, v26, v28
	s_wait_alu 0xf1ff
	v_add_co_ci_u32_e64 v44, null, v27, v29, s7
	s_wait_alu 0xfffd
	v_dual_cndmask_b32 v39, 0, v45 :: v_dual_cndmask_b32 v40, 0, v38
	v_lshlrev_b64_e32 v[28:29], 3, v[41:42]
	v_add_co_u32 v62, vcc_lo, v43, v4
	s_wait_alu 0xfffd
	v_add_co_ci_u32_e64 v63, null, v44, v5, vcc_lo
	v_lshlrev_b64_e32 v[38:39], 3, v[39:40]
	s_delay_alu instid0(VALU_DEP_4) | instskip(SKIP_2) | instid1(VALU_DEP_3)
	v_add_co_u32 v28, vcc_lo, v26, v28
	s_wait_alu 0xfffd
	v_add_co_ci_u32_e64 v29, null, v27, v29, vcc_lo
	v_add_co_u32 v26, vcc_lo, v26, v38
	s_wait_alu 0xfffd
	v_add_co_ci_u32_e64 v27, null, v27, v39, vcc_lo
	;; [unrolled: 3-line block ×4, first 2 shown]
	s_clause 0x3
	flat_load_b64 v[40:41], v[60:61]
	flat_load_b64 v[38:39], v[62:63]
	;; [unrolled: 1-line block ×4, first 2 shown]
	s_and_saveexec_b32 s7, s3
	s_cbranch_execz .LBB297_48
; %bb.43:                               ;   in Loop: Header=BB297_5 Depth=1
	s_clause 0x3
	flat_load_b64 v[48:49], v[60:61] offset:512
	flat_load_b64 v[46:47], v[62:63] offset:512
	flat_load_b64 v[44:45], v[64:65] offset:512
	flat_load_b64 v[42:43], v[58:59] offset:512
	s_and_saveexec_b32 s47, s4
	s_cbranch_execz .LBB297_47
; %bb.44:                               ;   in Loop: Header=BB297_5 Depth=1
	s_clause 0x3
	flat_load_b64 v[56:57], v[60:61] offset:1024
	flat_load_b64 v[54:55], v[62:63] offset:1024
	flat_load_b64 v[52:53], v[64:65] offset:1024
	flat_load_b64 v[50:51], v[58:59] offset:1024
	;; [unrolled: 8-line block ×3, first 2 shown]
	s_wait_loadcnt_dscnt 0x202
	v_dual_mul_f32 v66, v31, v61 :: v_dual_mul_f32 v67, v33, v63
	v_mul_f32_e32 v61, v30, v61
	s_wait_loadcnt_dscnt 0x101
	v_dual_mul_f32 v63, v32, v63 :: v_dual_mul_f32 v68, v35, v65
	s_delay_alu instid0(VALU_DEP_3)
	v_fma_f32 v66, v30, v60, -v66
	v_fma_f32 v67, v32, v62, -v67
	s_wait_loadcnt_dscnt 0x0
	v_dual_fmac_f32 v61, v31, v60 :: v_dual_mul_f32 v60, v37, v59
	v_fmac_f32_e32 v63, v33, v62
	v_add_f32_e32 v18, v18, v66
	v_mul_f32_e32 v65, v34, v65
	v_mul_f32_e32 v59, v36, v59
	v_fma_f32 v60, v36, v58, -v60
	s_delay_alu instid0(VALU_DEP_4) | instskip(SKIP_3) | instid1(VALU_DEP_2)
	v_add_f32_e32 v18, v67, v18
	v_add_f32_e32 v19, v19, v61
	v_fma_f32 v61, v34, v64, -v68
	v_fmac_f32_e32 v59, v37, v58
	v_dual_add_f32 v18, v61, v18 :: v_dual_fmac_f32 v65, v35, v64
	s_delay_alu instid0(VALU_DEP_1) | instskip(NEXT) | instid1(VALU_DEP_1)
	v_dual_add_f32 v19, v63, v19 :: v_dual_add_f32 v18, v60, v18
	v_add_f32_e32 v19, v65, v19
	s_delay_alu instid0(VALU_DEP_1)
	v_add_f32_e32 v19, v59, v19
.LBB297_46:                             ;   in Loop: Header=BB297_5 Depth=1
	s_or_b32 exec_lo, exec_lo, s48
	s_wait_loadcnt_dscnt 0x202
	v_dual_mul_f32 v58, v31, v57 :: v_dual_mul_f32 v59, v33, v55
	v_mul_f32_e32 v57, v30, v57
	s_wait_loadcnt_dscnt 0x101
	v_dual_mul_f32 v55, v32, v55 :: v_dual_mul_f32 v60, v35, v53
	s_delay_alu instid0(VALU_DEP_3)
	v_fma_f32 v58, v30, v56, -v58
	v_mul_f32_e32 v53, v34, v53
	v_fmac_f32_e32 v57, v31, v56
	v_fma_f32 v59, v32, v54, -v59
	s_wait_loadcnt_dscnt 0x0
	v_mul_f32_e32 v56, v37, v51
	v_add_f32_e32 v20, v20, v58
	v_fmac_f32_e32 v55, v33, v54
	v_fma_f32 v54, v34, v52, -v60
	v_mul_f32_e32 v51, v36, v51
	v_fmac_f32_e32 v53, v35, v52
	v_dual_add_f32 v20, v59, v20 :: v_dual_add_f32 v21, v21, v57
	v_fma_f32 v52, v36, v50, -v56
	s_delay_alu instid0(VALU_DEP_2) | instskip(NEXT) | instid1(VALU_DEP_1)
	v_dual_fmac_f32 v51, v37, v50 :: v_dual_add_f32 v20, v54, v20
	v_dual_add_f32 v21, v55, v21 :: v_dual_add_f32 v20, v52, v20
	s_delay_alu instid0(VALU_DEP_1) | instskip(NEXT) | instid1(VALU_DEP_1)
	v_add_f32_e32 v21, v53, v21
	v_add_f32_e32 v21, v51, v21
.LBB297_47:                             ;   in Loop: Header=BB297_5 Depth=1
	s_or_b32 exec_lo, exec_lo, s47
	s_wait_loadcnt_dscnt 0x202
	v_dual_mul_f32 v50, v31, v49 :: v_dual_mul_f32 v51, v33, v47
	v_mul_f32_e32 v49, v30, v49
	s_wait_loadcnt_dscnt 0x101
	v_dual_mul_f32 v47, v32, v47 :: v_dual_mul_f32 v52, v35, v45
	s_delay_alu instid0(VALU_DEP_3)
	v_fma_f32 v50, v30, v48, -v50
	v_fma_f32 v51, v32, v46, -v51
	s_wait_loadcnt_dscnt 0x0
	v_dual_fmac_f32 v49, v31, v48 :: v_dual_mul_f32 v48, v37, v43
	v_fmac_f32_e32 v47, v33, v46
	v_add_f32_e32 v22, v22, v50
	v_mul_f32_e32 v45, v34, v45
	v_fma_f32 v46, v34, v44, -v52
	s_delay_alu instid0(VALU_DEP_3) | instskip(SKIP_1) | instid1(VALU_DEP_2)
	v_dual_mul_f32 v43, v36, v43 :: v_dual_add_f32 v22, v51, v22
	v_add_f32_e32 v23, v23, v49
	v_fmac_f32_e32 v43, v37, v42
	s_delay_alu instid0(VALU_DEP_3) | instskip(NEXT) | instid1(VALU_DEP_3)
	v_dual_add_f32 v22, v46, v22 :: v_dual_fmac_f32 v45, v35, v44
	v_add_f32_e32 v23, v47, v23
	v_fma_f32 v44, v36, v42, -v48
	s_delay_alu instid0(VALU_DEP_1) | instskip(NEXT) | instid1(VALU_DEP_1)
	v_dual_add_f32 v22, v44, v22 :: v_dual_add_f32 v23, v45, v23
	v_add_f32_e32 v23, v43, v23
.LBB297_48:                             ;   in Loop: Header=BB297_5 Depth=1
	s_wait_alu 0xfffe
	s_or_b32 exec_lo, exec_lo, s7
	s_wait_loadcnt_dscnt 0x202
	v_dual_mul_f32 v42, v31, v41 :: v_dual_mul_f32 v43, v33, v39
	v_mul_f32_e32 v41, v30, v41
	s_wait_loadcnt_dscnt 0x101
	v_dual_mul_f32 v39, v32, v39 :: v_dual_mul_f32 v44, v35, v29
	s_delay_alu instid0(VALU_DEP_3) | instskip(SKIP_1) | instid1(VALU_DEP_2)
	v_fma_f32 v30, v30, v40, -v42
	v_fma_f32 v32, v32, v38, -v43
	v_dual_add_f32 v24, v24, v30 :: v_dual_mul_f32 v29, v34, v29
	v_fmac_f32_e32 v41, v31, v40
	v_fma_f32 v30, v34, v28, -v44
	s_wait_loadcnt_dscnt 0x0
	s_delay_alu instid0(VALU_DEP_3) | instskip(NEXT) | instid1(VALU_DEP_3)
	v_dual_add_f32 v24, v32, v24 :: v_dual_mul_f32 v31, v37, v27
	v_add_f32_e32 v25, v25, v41
	v_fmac_f32_e32 v29, v35, v28
	s_delay_alu instid0(VALU_DEP_3) | instskip(NEXT) | instid1(VALU_DEP_4)
	v_dual_mul_f32 v27, v36, v27 :: v_dual_add_f32 v24, v30, v24
	v_fma_f32 v28, v36, v26, -v31
	v_fmac_f32_e32 v39, v33, v38
	s_delay_alu instid0(VALU_DEP_2) | instskip(NEXT) | instid1(VALU_DEP_2)
	v_dual_fmac_f32 v27, v37, v26 :: v_dual_add_f32 v24, v28, v24
	v_add_f32_e32 v25, v39, v25
	s_delay_alu instid0(VALU_DEP_1) | instskip(NEXT) | instid1(VALU_DEP_1)
	v_add_f32_e32 v25, v29, v25
	v_add_f32_e32 v25, v27, v25
.LBB297_49:                             ;   in Loop: Header=BB297_5 Depth=1
	s_or_b32 exec_lo, exec_lo, s46
.LBB297_50:                             ;   in Loop: Header=BB297_5 Depth=1
	ds_store_2addr_stride64_b64 v73, v[24:25], v[22:23] offset1:1
	ds_store_2addr_stride64_b64 v73, v[20:21], v[18:19] offset0:2 offset1:3
	s_wait_storecnt 0x0
	s_wait_loadcnt_dscnt 0x0
	s_barrier_signal -1
	s_barrier_wait -1
	global_inv scope:SCOPE_SE
	s_and_saveexec_b32 s7, s0
	s_cbranch_execz .LBB297_3
; %bb.51:                               ;   in Loop: Header=BB297_5 Depth=1
	ds_load_2addr_stride64_b64 v[18:21], v74 offset1:4
	ds_load_2addr_stride64_b64 v[22:25], v74 offset0:8 offset1:12
	s_wait_dscnt 0x1
	v_dual_add_f32 v18, v18, v20 :: v_dual_add_f32 v19, v19, v21
	s_wait_dscnt 0x0
	s_delay_alu instid0(VALU_DEP_1) | instskip(NEXT) | instid1(VALU_DEP_1)
	v_dual_add_f32 v18, v18, v22 :: v_dual_add_f32 v19, v19, v23
	v_dual_add_f32 v20, v18, v24 :: v_dual_add_f32 v21, v19, v25
	ds_store_b64 v74, v[20:21]
	s_and_b32 exec_lo, exec_lo, s2
	s_cbranch_execz .LBB297_3
; %bb.52:                               ;   in Loop: Header=BB297_5 Depth=1
	v_mul_f32_e32 v19, s10, v21
	v_mul_f32_e32 v18, s11, v21
	s_and_not1_b32 vcc_lo, exec_lo, s42
	s_delay_alu instid0(VALU_DEP_2) | instskip(NEXT) | instid1(VALU_DEP_2)
	v_fmac_f32_e32 v19, s11, v20
	v_fma_f32 v18, v20, s10, -v18
	s_wait_alu 0xfffe
	s_cbranch_vccnz .LBB297_2
; %bb.53:                               ;   in Loop: Header=BB297_5 Depth=1
	v_add_co_u32 v20, vcc_lo, v0, v16
	s_wait_alu 0xfffd
	v_add_co_ci_u32_e64 v21, null, v75, v17, vcc_lo
	flat_load_b64 v[20:21], v[20:21]
	s_wait_loadcnt_dscnt 0x0
	v_mul_f32_e32 v22, s27, v21
	v_mul_f32_e32 v21, s26, v21
	s_delay_alu instid0(VALU_DEP_1) | instskip(NEXT) | instid1(VALU_DEP_3)
	v_fmac_f32_e32 v21, s27, v20
	v_fma_f32 v22, s26, v20, -v22
	s_delay_alu instid0(VALU_DEP_1)
	v_dual_add_f32 v19, v19, v21 :: v_dual_add_f32 v18, v18, v22
	s_branch .LBB297_2
.LBB297_54:
	s_endpgm
	.section	.rodata,"a",@progbits
	.p2align	6, 0x0
	.amdhsa_kernel _ZL20rocblas_gemvn_kernelILi64ELi4ElPK19rocblas_complex_numIfES1_KPS1_EviiT3_lPKT2_lT1_lS9_lSA_lS6_lPT4_lSA_li
		.amdhsa_group_segment_fixed_size 8192
		.amdhsa_private_segment_fixed_size 0
		.amdhsa_kernarg_size 400
		.amdhsa_user_sgpr_count 2
		.amdhsa_user_sgpr_dispatch_ptr 0
		.amdhsa_user_sgpr_queue_ptr 0
		.amdhsa_user_sgpr_kernarg_segment_ptr 1
		.amdhsa_user_sgpr_dispatch_id 0
		.amdhsa_user_sgpr_private_segment_size 0
		.amdhsa_wavefront_size32 1
		.amdhsa_uses_dynamic_stack 0
		.amdhsa_enable_private_segment 0
		.amdhsa_system_sgpr_workgroup_id_x 1
		.amdhsa_system_sgpr_workgroup_id_y 0
		.amdhsa_system_sgpr_workgroup_id_z 1
		.amdhsa_system_sgpr_workgroup_info 0
		.amdhsa_system_vgpr_workitem_id 1
		.amdhsa_next_free_vgpr 88
		.amdhsa_next_free_sgpr 51
		.amdhsa_reserve_vcc 1
		.amdhsa_float_round_mode_32 0
		.amdhsa_float_round_mode_16_64 0
		.amdhsa_float_denorm_mode_32 3
		.amdhsa_float_denorm_mode_16_64 3
		.amdhsa_fp16_overflow 0
		.amdhsa_workgroup_processor_mode 1
		.amdhsa_memory_ordered 1
		.amdhsa_forward_progress 1
		.amdhsa_inst_pref_size 35
		.amdhsa_round_robin_scheduling 0
		.amdhsa_exception_fp_ieee_invalid_op 0
		.amdhsa_exception_fp_denorm_src 0
		.amdhsa_exception_fp_ieee_div_zero 0
		.amdhsa_exception_fp_ieee_overflow 0
		.amdhsa_exception_fp_ieee_underflow 0
		.amdhsa_exception_fp_ieee_inexact 0
		.amdhsa_exception_int_div_zero 0
	.end_amdhsa_kernel
	.section	.text._ZL20rocblas_gemvn_kernelILi64ELi4ElPK19rocblas_complex_numIfES1_KPS1_EviiT3_lPKT2_lT1_lS9_lSA_lS6_lPT4_lSA_li,"axG",@progbits,_ZL20rocblas_gemvn_kernelILi64ELi4ElPK19rocblas_complex_numIfES1_KPS1_EviiT3_lPKT2_lT1_lS9_lSA_lS6_lPT4_lSA_li,comdat
.Lfunc_end297:
	.size	_ZL20rocblas_gemvn_kernelILi64ELi4ElPK19rocblas_complex_numIfES1_KPS1_EviiT3_lPKT2_lT1_lS9_lSA_lS6_lPT4_lSA_li, .Lfunc_end297-_ZL20rocblas_gemvn_kernelILi64ELi4ElPK19rocblas_complex_numIfES1_KPS1_EviiT3_lPKT2_lT1_lS9_lSA_lS6_lPT4_lSA_li
                                        ; -- End function
	.set _ZL20rocblas_gemvn_kernelILi64ELi4ElPK19rocblas_complex_numIfES1_KPS1_EviiT3_lPKT2_lT1_lS9_lSA_lS6_lPT4_lSA_li.num_vgpr, 88
	.set _ZL20rocblas_gemvn_kernelILi64ELi4ElPK19rocblas_complex_numIfES1_KPS1_EviiT3_lPKT2_lT1_lS9_lSA_lS6_lPT4_lSA_li.num_agpr, 0
	.set _ZL20rocblas_gemvn_kernelILi64ELi4ElPK19rocblas_complex_numIfES1_KPS1_EviiT3_lPKT2_lT1_lS9_lSA_lS6_lPT4_lSA_li.numbered_sgpr, 51
	.set _ZL20rocblas_gemvn_kernelILi64ELi4ElPK19rocblas_complex_numIfES1_KPS1_EviiT3_lPKT2_lT1_lS9_lSA_lS6_lPT4_lSA_li.num_named_barrier, 0
	.set _ZL20rocblas_gemvn_kernelILi64ELi4ElPK19rocblas_complex_numIfES1_KPS1_EviiT3_lPKT2_lT1_lS9_lSA_lS6_lPT4_lSA_li.private_seg_size, 0
	.set _ZL20rocblas_gemvn_kernelILi64ELi4ElPK19rocblas_complex_numIfES1_KPS1_EviiT3_lPKT2_lT1_lS9_lSA_lS6_lPT4_lSA_li.uses_vcc, 1
	.set _ZL20rocblas_gemvn_kernelILi64ELi4ElPK19rocblas_complex_numIfES1_KPS1_EviiT3_lPKT2_lT1_lS9_lSA_lS6_lPT4_lSA_li.uses_flat_scratch, 1
	.set _ZL20rocblas_gemvn_kernelILi64ELi4ElPK19rocblas_complex_numIfES1_KPS1_EviiT3_lPKT2_lT1_lS9_lSA_lS6_lPT4_lSA_li.has_dyn_sized_stack, 0
	.set _ZL20rocblas_gemvn_kernelILi64ELi4ElPK19rocblas_complex_numIfES1_KPS1_EviiT3_lPKT2_lT1_lS9_lSA_lS6_lPT4_lSA_li.has_recursion, 0
	.set _ZL20rocblas_gemvn_kernelILi64ELi4ElPK19rocblas_complex_numIfES1_KPS1_EviiT3_lPKT2_lT1_lS9_lSA_lS6_lPT4_lSA_li.has_indirect_call, 0
	.section	.AMDGPU.csdata,"",@progbits
; Kernel info:
; codeLenInByte = 4360
; TotalNumSgprs: 53
; NumVgprs: 88
; ScratchSize: 0
; MemoryBound: 0
; FloatMode: 240
; IeeeMode: 1
; LDSByteSize: 8192 bytes/workgroup (compile time only)
; SGPRBlocks: 0
; VGPRBlocks: 10
; NumSGPRsForWavesPerEU: 53
; NumVGPRsForWavesPerEU: 88
; Occupancy: 16
; WaveLimiterHint : 1
; COMPUTE_PGM_RSRC2:SCRATCH_EN: 0
; COMPUTE_PGM_RSRC2:USER_SGPR: 2
; COMPUTE_PGM_RSRC2:TRAP_HANDLER: 0
; COMPUTE_PGM_RSRC2:TGID_X_EN: 1
; COMPUTE_PGM_RSRC2:TGID_Y_EN: 0
; COMPUTE_PGM_RSRC2:TGID_Z_EN: 1
; COMPUTE_PGM_RSRC2:TIDIG_COMP_CNT: 1
	.section	.text._ZL20rocblas_gemvn_kernelILi32ELi16EiPK19rocblas_complex_numIfES3_KPS1_EviiT3_lPKT2_lT1_lS9_lSA_lS6_lPT4_lSA_li,"axG",@progbits,_ZL20rocblas_gemvn_kernelILi32ELi16EiPK19rocblas_complex_numIfES3_KPS1_EviiT3_lPKT2_lT1_lS9_lSA_lS6_lPT4_lSA_li,comdat
	.globl	_ZL20rocblas_gemvn_kernelILi32ELi16EiPK19rocblas_complex_numIfES3_KPS1_EviiT3_lPKT2_lT1_lS9_lSA_lS6_lPT4_lSA_li ; -- Begin function _ZL20rocblas_gemvn_kernelILi32ELi16EiPK19rocblas_complex_numIfES3_KPS1_EviiT3_lPKT2_lT1_lS9_lSA_lS6_lPT4_lSA_li
	.p2align	8
	.type	_ZL20rocblas_gemvn_kernelILi32ELi16EiPK19rocblas_complex_numIfES3_KPS1_EviiT3_lPKT2_lT1_lS9_lSA_lS6_lPT4_lSA_li,@function
_ZL20rocblas_gemvn_kernelILi32ELi16EiPK19rocblas_complex_numIfES3_KPS1_EviiT3_lPKT2_lT1_lS9_lSA_lS6_lPT4_lSA_li: ; @_ZL20rocblas_gemvn_kernelILi32ELi16EiPK19rocblas_complex_numIfES3_KPS1_EviiT3_lPKT2_lT1_lS9_lSA_lS6_lPT4_lSA_li
; %bb.0:
	s_clause 0x1
	s_load_b64 s[2:3], s[0:1], 0x9c
	s_load_b32 s33, s[0:1], 0x88
	s_lshr_b32 s28, ttmp7, 16
	s_wait_kmcnt 0x0
	s_lshr_b32 s4, s2, 16
	s_and_b32 s2, s2, 0xffff
	s_and_b32 s3, s3, 0xffff
	s_mul_i32 s2, s4, s2
	s_delay_alu instid0(SALU_CYCLE_1) | instskip(NEXT) | instid1(SALU_CYCLE_1)
	s_mul_i32 s2, s2, s3
	s_cmp_lg_u32 s2, 0x200
	s_cselect_b32 s2, -1, 0
	s_cmp_ge_u32 s28, s33
	s_cselect_b32 s3, -1, 0
	s_delay_alu instid0(SALU_CYCLE_1) | instskip(NEXT) | instid1(SALU_CYCLE_1)
	s_or_b32 s2, s2, s3
	s_and_b32 vcc_lo, exec_lo, s2
	s_cbranch_vccnz .LBB298_53
; %bb.1:
	s_clause 0x2
	s_load_b32 s6, s[0:1], 0x78
	s_load_b64 s[30:31], s[0:1], 0x0
	s_load_b256 s[8:15], s[0:1], 0x8
	v_and_b32_e32 v5, 0x3ff, v0
	v_bfe_u32 v4, v0, 10, 10
	s_lshl_b32 s36, ttmp9, 7
	s_clause 0x3
	s_load_b32 s35, s[0:1], 0x28
	s_load_b128 s[24:27], s[0:1], 0x38
	s_load_b32 s34, s[0:1], 0x48
	s_load_b256 s[16:23], s[0:1], 0x58
	v_mov_b32_e32 v1, 0
	s_mov_b32 s29, 0
	v_lshl_add_u32 v9, v4, 5, v5
	v_lshlrev_b32_e32 v62, 2, v4
	s_delay_alu instid0(VALU_DEP_2) | instskip(SKIP_2) | instid1(VALU_DEP_2)
	v_add_nc_u32_e32 v0, s36, v9
	v_or_b32_e32 v12, s36, v9
	s_wait_kmcnt 0x0
	v_mad_co_u64_u32 v[6:7], null, s6, v0, 0
	s_ashr_i32 s3, s6, 31
	s_ashr_i32 s7, s31, 31
	;; [unrolled: 1-line block ×3, first 2 shown]
	s_wait_alu 0xfffe
	s_lshr_b32 s7, s7, 26
	s_mov_b32 s4, s30
	s_wait_alu 0xfffe
	s_add_co_i32 s37, s31, s7
	v_dual_mov_b32 v2, v7 :: v_dual_add_nc_u32 v61, s36, v5
	v_lshlrev_b32_e32 v10, 3, v5
	s_wait_alu 0xfffe
	s_and_not1_b32 s37, s37, 63
	v_mul_lo_u32 v13, v4, s34
	v_add_nc_u32_e32 v3, 32, v61
	v_add_nc_u32_e32 v8, 64, v61
	;; [unrolled: 1-line block ×3, first 2 shown]
	v_lshl_add_u32 v63, v4, 8, v10
	v_cmp_gt_i32_e64 s0, s30, v61
	v_cmp_gt_i32_e64 s1, s30, v3
	v_mad_co_u64_u32 v[2:3], null, s3, v0, v[2:3]
	v_cmp_gt_i32_e64 s2, s30, v8
	v_mul_lo_u32 v8, s6, v12
	v_cmp_gt_i32_e64 s3, s30, v11
	v_mul_lo_u32 v11, v4, s35
	v_cmp_gt_i32_e64 s6, s30, v12
	v_or_b32_e32 v12, 3, v62
	v_mov_b32_e32 v7, v2
	v_mul_lo_u32 v2, s35, v62
	v_cmp_gt_i64_e32 vcc_lo, s[4:5], v[0:1]
	v_lshl_add_u32 v0, v4, 10, v10
	v_or_b32_e32 v10, 2, v62
	s_wait_alu 0xfffe
	s_sub_co_i32 s5, s31, s37
	v_lshl_add_u32 v65, v11, 2, v5
	s_wait_alu 0xfffe
	s_cmp_gt_i32 s5, 0
	v_cmp_gt_u32_e64 s5, 0x80, v9
	v_ashrrev_i32_e32 v9, 31, v8
	v_add3_u32 v64, v2, s35, v5
	v_mad_co_u64_u32 v[2:3], null, s35, v10, v[5:6]
	v_mad_co_u64_u32 v[3:4], null, s35, v12, v[5:6]
	;; [unrolled: 1-line block ×3, first 2 shown]
	v_mul_lo_u32 v66, s34, v10
	v_mul_lo_u32 v67, s34, v12
	v_lshlrev_b64_e32 v[5:6], 3, v[6:7]
	v_lshlrev_b64_e32 v[7:8], 3, v[8:9]
	v_cmp_gt_i32_e64 s4, s37, v62
	v_lshlrev_b32_e32 v68, 2, v13
	s_cselect_b32 s38, -1, 0
	s_and_b32 s30, s5, vcc_lo
	s_lshl_b32 s39, s35, 6
	s_lshl_b32 s40, s34, 6
	s_lshl_b64 s[14:15], s[14:15], 3
	s_lshl_b64 s[26:27], s[26:27], 3
	;; [unrolled: 1-line block ×3, first 2 shown]
	s_branch .LBB298_5
.LBB298_2:                              ;   in Loop: Header=BB298_5 Depth=1
	v_add_co_u32 v11, vcc_lo, v69, v7
	s_wait_alu 0xfffd
	v_add_co_ci_u32_e64 v12, null, v70, v8, vcc_lo
	flat_store_b64 v[11:12], v[9:10]
.LBB298_3:                              ;   in Loop: Header=BB298_5 Depth=1
	s_wait_alu 0xfffe
	s_or_b32 exec_lo, exec_lo, s7
.LBB298_4:                              ;   in Loop: Header=BB298_5 Depth=1
	s_add_co_i32 s28, s28, 0x10000
	s_delay_alu instid0(SALU_CYCLE_1)
	s_cmp_lt_u32 s28, s33
	s_cbranch_scc0 .LBB298_53
.LBB298_5:                              ; =>This Loop Header: Depth=1
                                        ;     Child Loop BB298_25 Depth 2
	s_mul_u64 s[42:43], s[10:11], s[28:29]
	s_wait_alu 0xfffe
	s_lshl_b64 s[42:43], s[42:43], 3
	s_wait_alu 0xfffe
	s_add_nc_u64 s[42:43], s[8:9], s[42:43]
	global_load_b64 v[9:10], v1, s[42:43]
	s_mul_u64 s[42:43], s[18:19], s[28:29]
	s_wait_alu 0xfffe
	s_lshl_b64 s[42:43], s[42:43], 3
	s_wait_alu 0xfffe
	s_add_nc_u64 s[42:43], s[16:17], s[42:43]
	global_load_b64 v[11:12], v1, s[42:43]
	s_wait_loadcnt 0x1
	v_readfirstlane_b32 s43, v9
	v_readfirstlane_b32 s44, v10
	s_wait_alu 0xfffe
	s_cmp_neq_f32 s43, 0
	s_wait_loadcnt 0x0
	v_readfirstlane_b32 s41, v11
	s_cselect_b32 s7, -1, 0
	s_cmp_neq_f32 s44, 0
	s_cselect_b32 s42, -1, 0
	s_wait_alu 0xfffe
	s_or_b32 s7, s7, s42
	v_readfirstlane_b32 s42, v12
	s_wait_alu 0xfffe
	s_and_b32 vcc_lo, exec_lo, s7
	s_mov_b32 s7, -1
	s_wait_alu 0xfffe
	s_cbranch_vccnz .LBB298_7
; %bb.6:                                ;   in Loop: Header=BB298_5 Depth=1
	s_cmp_neq_f32 s41, 1.0
	s_cselect_b32 s7, -1, 0
	s_cmp_neq_f32 s42, 0
	s_cselect_b32 s45, -1, 0
	s_wait_alu 0xfffe
	s_or_b32 s7, s7, s45
.LBB298_7:                              ;   in Loop: Header=BB298_5 Depth=1
	s_wait_alu 0xfffe
	s_and_not1_b32 vcc_lo, exec_lo, s7
	s_wait_alu 0xfffe
	s_cbranch_vccnz .LBB298_4
; %bb.8:                                ;   in Loop: Header=BB298_5 Depth=1
	s_or_b32 s7, s43, s44
	v_mov_b32_e32 v19, 0
	s_wait_alu 0xfffe
	s_bitset0_b32 s7, 31
	v_dual_mov_b32 v20, 0 :: v_dual_mov_b32 v17, 0
	s_wait_alu 0xfffe
	s_cmp_lg_u32 s7, 0
	v_mov_b32_e32 v18, 0
	s_cselect_b32 s45, -1, 0
	s_cmp_eq_u32 s7, 0
	s_cselect_b32 s7, -1, 0
	s_wait_alu 0xfffe
	s_and_b32 vcc_lo, exec_lo, s7
	s_wait_alu 0xfffe
	s_cbranch_vccnz .LBB298_10
; %bb.9:                                ;   in Loop: Header=BB298_5 Depth=1
	s_lshl_b64 s[46:47], s[28:29], 3
	s_wait_alu 0xfffe
	s_add_nc_u64 s[46:47], s[12:13], s[46:47]
	global_load_b64 v[9:10], v1, s[46:47]
	s_wait_loadcnt 0x0
	v_add_co_u32 v17, vcc_lo, v9, s14
	s_wait_alu 0xfffd
	v_add_co_ci_u32_e64 v18, null, s15, v10, vcc_lo
.LBB298_10:                             ;   in Loop: Header=BB298_5 Depth=1
	s_and_not1_b32 vcc_lo, exec_lo, s45
	s_wait_alu 0xfffe
	s_cbranch_vccnz .LBB298_12
; %bb.11:                               ;   in Loop: Header=BB298_5 Depth=1
	s_lshl_b64 s[46:47], s[28:29], 3
	s_wait_alu 0xfffe
	s_add_nc_u64 s[46:47], s[24:25], s[46:47]
	global_load_b64 v[9:10], v1, s[46:47]
	s_wait_loadcnt 0x0
	v_add_co_u32 v19, vcc_lo, v9, s26
	s_wait_alu 0xfffd
	v_add_co_ci_u32_e64 v20, null, s27, v10, vcc_lo
.LBB298_12:                             ;   in Loop: Header=BB298_5 Depth=1
	s_lshl_b64 s[46:47], s[28:29], 3
	s_wait_alu 0xfffe
	s_add_nc_u64 s[46:47], s[20:21], s[46:47]
	global_load_b64 v[9:10], v1, s[46:47]
	s_wait_loadcnt 0x0
	v_add_co_u32 v69, vcc_lo, v9, s22
	s_wait_alu 0xfffd
	v_add_co_ci_u32_e64 v70, null, s23, v10, vcc_lo
	s_and_not1_b32 vcc_lo, exec_lo, s7
	s_mov_b32 s7, -1
	s_wait_alu 0xfffe
	s_cbranch_vccnz .LBB298_18
; %bb.13:                               ;   in Loop: Header=BB298_5 Depth=1
	s_and_saveexec_b32 s7, s30
	s_cbranch_execz .LBB298_17
; %bb.14:                               ;   in Loop: Header=BB298_5 Depth=1
	s_cmp_neq_f32 s41, 0
	v_dual_mov_b32 v9, 0 :: v_dual_mov_b32 v10, 0
	s_cselect_b32 s45, -1, 0
	s_cmp_neq_f32 s42, 0
	s_cselect_b32 s46, -1, 0
	s_wait_alu 0xfffe
	s_or_b32 s45, s45, s46
	s_wait_alu 0xfffe
	s_and_not1_b32 vcc_lo, exec_lo, s45
	s_wait_alu 0xfffe
	s_cbranch_vccnz .LBB298_16
; %bb.15:                               ;   in Loop: Header=BB298_5 Depth=1
	v_add_co_u32 v9, vcc_lo, v69, v5
	s_wait_alu 0xfffd
	v_add_co_ci_u32_e64 v10, null, v70, v6, vcc_lo
	flat_load_b64 v[11:12], v[9:10]
	s_wait_loadcnt_dscnt 0x0
	v_mul_f32_e32 v10, s41, v12
	s_delay_alu instid0(VALU_DEP_1) | instskip(NEXT) | instid1(VALU_DEP_1)
	v_dual_mul_f32 v9, s42, v12 :: v_dual_fmac_f32 v10, s42, v11
	v_fma_f32 v9, s41, v11, -v9
.LBB298_16:                             ;   in Loop: Header=BB298_5 Depth=1
	v_add_co_u32 v11, vcc_lo, v69, v5
	s_wait_alu 0xfffd
	v_add_co_ci_u32_e64 v12, null, v70, v6, vcc_lo
	flat_store_b64 v[11:12], v[9:10]
.LBB298_17:                             ;   in Loop: Header=BB298_5 Depth=1
	s_wait_alu 0xfffe
	s_or_b32 exec_lo, exec_lo, s7
	s_mov_b32 s7, 0
.LBB298_18:                             ;   in Loop: Header=BB298_5 Depth=1
	s_wait_alu 0xfffe
	s_and_not1_b32 vcc_lo, exec_lo, s7
	s_wait_alu 0xfffe
	s_cbranch_vccnz .LBB298_4
; %bb.19:                               ;   in Loop: Header=BB298_5 Depth=1
	v_dual_mov_b32 v10, 0 :: v_dual_mov_b32 v71, v62
	v_dual_mov_b32 v9, 0 :: v_dual_mov_b32 v12, 0
	;; [unrolled: 1-line block ×4, first 2 shown]
	v_mov_b32_e32 v15, 0
	s_and_saveexec_b32 s7, s4
	s_cbranch_execz .LBB298_31
; %bb.20:                               ;   in Loop: Header=BB298_5 Depth=1
	v_dual_mov_b32 v10, 0 :: v_dual_mov_b32 v73, v3
	v_dual_mov_b32 v72, v65 :: v_dual_mov_b32 v75, v64
	;; [unrolled: 1-line block ×3, first 2 shown]
	s_delay_alu instid0(VALU_DEP_3)
	v_dual_mov_b32 v9, v10 :: v_dual_mov_b32 v12, v10
	v_dual_mov_b32 v11, v10 :: v_dual_mov_b32 v14, v10
	;; [unrolled: 1-line block ×3, first 2 shown]
	v_mov_b32_e32 v15, v10
	s_mov_b32 s45, 0
	s_mov_b32 s46, 0
	s_branch .LBB298_25
.LBB298_21:                             ;   in Loop: Header=BB298_25 Depth=2
	s_or_b32 exec_lo, exec_lo, s50
	s_wait_loadcnt_dscnt 0x303
	v_mul_f32_e32 v53, v34, v52
	v_mul_f32_e32 v52, v33, v52
	s_wait_loadcnt_dscnt 0x101
	v_dual_mul_f32 v54, v30, v50 :: v_dual_mul_f32 v55, v24, v48
	v_mul_f32_e32 v50, v29, v50
	v_fma_f32 v53, v33, v51, -v53
	v_fmac_f32_e32 v52, v34, v51
	s_delay_alu instid0(VALU_DEP_4) | instskip(SKIP_4) | instid1(VALU_DEP_2)
	v_fma_f32 v54, v29, v49, -v54
	s_wait_loadcnt_dscnt 0x0
	v_mul_f32_e32 v51, v22, v46
	v_dual_mul_f32 v46, v21, v46 :: v_dual_add_f32 v11, v11, v53
	v_mul_f32_e32 v48, v23, v48
	v_fmac_f32_e32 v46, v22, v45
	s_delay_alu instid0(VALU_DEP_3) | instskip(SKIP_4) | instid1(VALU_DEP_3)
	v_add_f32_e32 v11, v54, v11
	v_fmac_f32_e32 v50, v30, v49
	v_fma_f32 v49, v23, v47, -v55
	v_fmac_f32_e32 v48, v24, v47
	v_fma_f32 v47, v21, v45, -v51
	v_dual_add_f32 v11, v49, v11 :: v_dual_add_f32 v12, v12, v52
	s_delay_alu instid0(VALU_DEP_1) | instskip(NEXT) | instid1(VALU_DEP_1)
	v_dual_add_f32 v11, v47, v11 :: v_dual_add_f32 v12, v50, v12
	v_add_f32_e32 v12, v48, v12
	s_delay_alu instid0(VALU_DEP_1)
	v_add_f32_e32 v12, v46, v12
.LBB298_22:                             ;   in Loop: Header=BB298_25 Depth=2
	s_or_b32 exec_lo, exec_lo, s49
	s_wait_loadcnt_dscnt 0x303
	v_mul_f32_e32 v45, v34, v44
	s_wait_loadcnt_dscnt 0x101
	v_dual_mul_f32 v46, v30, v42 :: v_dual_mul_f32 v47, v24, v40
	v_mul_f32_e32 v42, v29, v42
	v_mul_f32_e32 v44, v33, v44
	v_fma_f32 v45, v33, v43, -v45
	v_mul_f32_e32 v40, v23, v40
	v_fma_f32 v46, v29, v41, -v46
	v_fmac_f32_e32 v42, v30, v41
	v_fma_f32 v41, v23, v39, -v47
	s_delay_alu instid0(VALU_DEP_4) | instskip(NEXT) | instid1(VALU_DEP_1)
	v_dual_add_f32 v13, v13, v45 :: v_dual_fmac_f32 v40, v24, v39
	v_add_f32_e32 v13, v46, v13
	v_fmac_f32_e32 v44, v34, v43
	s_wait_loadcnt_dscnt 0x0
	v_mul_f32_e32 v43, v22, v38
	v_mul_f32_e32 v38, v21, v38
	v_add_f32_e32 v13, v41, v13
	s_delay_alu instid0(VALU_DEP_3) | instskip(SKIP_1) | instid1(VALU_DEP_4)
	v_fma_f32 v39, v21, v37, -v43
	v_add_f32_e32 v14, v14, v44
	v_fmac_f32_e32 v38, v22, v37
	s_delay_alu instid0(VALU_DEP_2) | instskip(NEXT) | instid1(VALU_DEP_1)
	v_dual_add_f32 v13, v39, v13 :: v_dual_add_f32 v14, v42, v14
	v_add_f32_e32 v14, v40, v14
	s_delay_alu instid0(VALU_DEP_1)
	v_add_f32_e32 v14, v38, v14
.LBB298_23:                             ;   in Loop: Header=BB298_25 Depth=2
	s_or_b32 exec_lo, exec_lo, s48
	s_wait_loadcnt_dscnt 0x303
	v_mul_f32_e32 v37, v34, v36
	v_mul_f32_e32 v36, v33, v36
	s_wait_loadcnt_dscnt 0x101
	s_delay_alu instid0(VALU_DEP_1)
	v_dual_mul_f32 v39, v24, v28 :: v_dual_fmac_f32 v36, v34, v35
	s_wait_loadcnt_dscnt 0x0
	v_mul_f32_e32 v34, v22, v26
	v_mul_f32_e32 v26, v21, v26
	v_fma_f32 v33, v33, v35, -v37
	v_add_f32_e32 v16, v16, v36
	s_delay_alu instid0(VALU_DEP_4) | instskip(SKIP_1) | instid1(VALU_DEP_4)
	v_fma_f32 v21, v21, v25, -v34
	v_mul_f32_e32 v28, v23, v28
	v_dual_add_f32 v15, v15, v33 :: v_dual_mul_f32 v38, v30, v32
	v_fma_f32 v23, v23, v27, -v39
	v_mul_f32_e32 v32, v29, v32
	v_fmac_f32_e32 v26, v22, v25
	s_delay_alu instid0(VALU_DEP_4) | instskip(NEXT) | instid1(VALU_DEP_1)
	v_fma_f32 v29, v29, v31, -v38
	v_add_f32_e32 v15, v29, v15
	s_delay_alu instid0(VALU_DEP_1) | instskip(SKIP_1) | instid1(VALU_DEP_2)
	v_add_f32_e32 v15, v23, v15
	v_fmac_f32_e32 v32, v30, v31
	v_add_f32_e32 v15, v21, v15
	v_fmac_f32_e32 v28, v24, v27
	s_delay_alu instid0(VALU_DEP_3) | instskip(NEXT) | instid1(VALU_DEP_1)
	v_add_f32_e32 v16, v32, v16
	v_add_f32_e32 v16, v28, v16
	s_delay_alu instid0(VALU_DEP_1)
	v_add_f32_e32 v16, v26, v16
.LBB298_24:                             ;   in Loop: Header=BB298_25 Depth=2
	s_wait_alu 0xfffe
	s_or_b32 exec_lo, exec_lo, s47
	v_add_nc_u32_e32 v71, 64, v71
	v_add_nc_u32_e32 v75, s39, v75
	;; [unrolled: 1-line block ×5, first 2 shown]
	v_cmp_le_i32_e32 vcc_lo, s37, v71
	s_add_co_i32 s46, s46, s40
	s_or_b32 s45, vcc_lo, s45
	s_wait_alu 0xfffe
	s_and_not1_b32 exec_lo, exec_lo, s45
	s_cbranch_execz .LBB298_30
.LBB298_25:                             ;   Parent Loop BB298_5 Depth=1
                                        ; =>  This Inner Loop Header: Depth=2
	s_and_saveexec_b32 s47, s0
	s_cbranch_execz .LBB298_24
; %bb.26:                               ;   in Loop: Header=BB298_25 Depth=2
	s_wait_alu 0xfffe
	v_add_nc_u32_e32 v21, s46, v68
	v_add_nc_u32_e32 v23, s46, v4
	;; [unrolled: 1-line block ×5, first 2 shown]
	v_ashrrev_i32_e32 v22, 31, v21
	v_ashrrev_i32_e32 v24, 31, v23
	;; [unrolled: 1-line block ×3, first 2 shown]
	v_add_nc_u32_e32 v31, s36, v75
	v_ashrrev_i32_e32 v28, 31, v27
	v_lshlrev_b64_e32 v[21:22], 3, v[21:22]
	v_lshlrev_b64_e32 v[23:24], 3, v[23:24]
	v_ashrrev_i32_e32 v30, 31, v29
	v_lshlrev_b64_e32 v[25:26], 3, v[25:26]
	v_ashrrev_i32_e32 v32, 31, v31
	v_lshlrev_b64_e32 v[27:28], 3, v[27:28]
	v_add_co_u32 v21, vcc_lo, v19, v21
	v_add_nc_u32_e32 v33, s36, v74
	s_wait_alu 0xfffd
	v_add_co_ci_u32_e64 v22, null, v20, v22, vcc_lo
	v_add_co_u32 v23, vcc_lo, v19, v23
	v_lshlrev_b64_e32 v[29:30], 3, v[29:30]
	v_add_nc_u32_e32 v35, s36, v73
	s_wait_alu 0xfffd
	v_add_co_ci_u32_e64 v24, null, v20, v24, vcc_lo
	v_add_co_u32 v25, vcc_lo, v19, v25
	v_lshlrev_b64_e32 v[31:32], 3, v[31:32]
	v_ashrrev_i32_e32 v34, 31, v33
	s_wait_alu 0xfffd
	v_add_co_ci_u32_e64 v26, null, v20, v26, vcc_lo
	v_add_co_u32 v27, vcc_lo, v19, v27
	v_ashrrev_i32_e32 v36, 31, v35
	s_wait_alu 0xfffd
	v_add_co_ci_u32_e64 v28, null, v20, v28, vcc_lo
	v_add_co_u32 v59, vcc_lo, v17, v29
	s_wait_alu 0xfffd
	v_add_co_ci_u32_e64 v60, null, v18, v30, vcc_lo
	v_lshlrev_b64_e32 v[29:30], 3, v[33:34]
	v_add_co_u32 v57, vcc_lo, v17, v31
	s_wait_alu 0xfffd
	v_add_co_ci_u32_e64 v58, null, v18, v32, vcc_lo
	v_lshlrev_b64_e32 v[31:32], 3, v[35:36]
	s_delay_alu instid0(VALU_DEP_4) | instskip(SKIP_2) | instid1(VALU_DEP_3)
	v_add_co_u32 v55, vcc_lo, v17, v29
	s_wait_alu 0xfffd
	v_add_co_ci_u32_e64 v56, null, v18, v30, vcc_lo
	v_add_co_u32 v53, vcc_lo, v17, v31
	s_wait_alu 0xfffd
	v_add_co_ci_u32_e64 v54, null, v18, v32, vcc_lo
	s_clause 0x3
	flat_load_b64 v[33:34], v[21:22]
	flat_load_b64 v[29:30], v[23:24]
	;; [unrolled: 1-line block ×4, first 2 shown]
	s_clause 0x3
	flat_load_b64 v[35:36], v[59:60]
	flat_load_b64 v[31:32], v[57:58]
	;; [unrolled: 1-line block ×4, first 2 shown]
	s_and_saveexec_b32 s48, s1
	s_cbranch_execz .LBB298_23
; %bb.27:                               ;   in Loop: Header=BB298_25 Depth=2
	s_clause 0x3
	flat_load_b64 v[43:44], v[59:60] offset:256
	flat_load_b64 v[41:42], v[57:58] offset:256
	flat_load_b64 v[39:40], v[55:56] offset:256
	flat_load_b64 v[37:38], v[53:54] offset:256
	s_and_saveexec_b32 s49, s2
	s_cbranch_execz .LBB298_22
; %bb.28:                               ;   in Loop: Header=BB298_25 Depth=2
	s_clause 0x3
	flat_load_b64 v[51:52], v[59:60] offset:512
	flat_load_b64 v[49:50], v[57:58] offset:512
	flat_load_b64 v[47:48], v[55:56] offset:512
	flat_load_b64 v[45:46], v[53:54] offset:512
	;; [unrolled: 8-line block ×3, first 2 shown]
	s_wait_loadcnt_dscnt 0x101
	v_dual_mul_f32 v77, v30, v58 :: v_dual_mul_f32 v78, v24, v56
	v_mul_f32_e32 v58, v29, v58
	s_delay_alu instid0(VALU_DEP_2) | instskip(SKIP_2) | instid1(VALU_DEP_4)
	v_fma_f32 v77, v29, v57, -v77
	v_mul_f32_e32 v76, v34, v60
	v_mul_f32_e32 v60, v33, v60
	v_fmac_f32_e32 v58, v30, v57
	v_fma_f32 v57, v23, v55, -v78
	s_delay_alu instid0(VALU_DEP_4) | instskip(NEXT) | instid1(VALU_DEP_4)
	v_fma_f32 v76, v33, v59, -v76
	v_fmac_f32_e32 v60, v34, v59
	s_wait_loadcnt_dscnt 0x0
	v_mul_f32_e32 v59, v22, v54
	v_mul_f32_e32 v54, v21, v54
	v_add_f32_e32 v9, v9, v76
	v_add_f32_e32 v10, v10, v60
	s_delay_alu instid0(VALU_DEP_3) | instskip(NEXT) | instid1(VALU_DEP_3)
	v_fmac_f32_e32 v54, v22, v53
	v_dual_add_f32 v9, v77, v9 :: v_dual_mul_f32 v56, v23, v56
	s_delay_alu instid0(VALU_DEP_1) | instskip(NEXT) | instid1(VALU_DEP_2)
	v_dual_add_f32 v10, v58, v10 :: v_dual_add_f32 v9, v57, v9
	v_fmac_f32_e32 v56, v24, v55
	v_fma_f32 v55, v21, v53, -v59
	s_delay_alu instid0(VALU_DEP_1) | instskip(NEXT) | instid1(VALU_DEP_1)
	v_dual_add_f32 v10, v56, v10 :: v_dual_add_f32 v9, v55, v9
	v_add_f32_e32 v10, v54, v10
	s_branch .LBB298_21
.LBB298_30:                             ;   in Loop: Header=BB298_5 Depth=1
	s_or_b32 exec_lo, exec_lo, s45
.LBB298_31:                             ;   in Loop: Header=BB298_5 Depth=1
	s_wait_alu 0xfffe
	s_or_b32 exec_lo, exec_lo, s7
	s_delay_alu instid0(SALU_CYCLE_1)
	s_and_not1_b32 vcc_lo, exec_lo, s38
	s_wait_alu 0xfffe
	s_cbranch_vccnz .LBB298_49
; %bb.32:                               ;   in Loop: Header=BB298_5 Depth=1
	v_cmp_gt_i32_e32 vcc_lo, s31, v71
	v_dual_mov_b32 v21, 0 :: v_dual_mov_b32 v22, 0
	v_or_b32_e32 v29, 1, v71
	v_dual_mov_b32 v23, 0 :: v_dual_mov_b32 v24, 0
	v_dual_mov_b32 v25, 0 :: v_dual_mov_b32 v26, 0
	;; [unrolled: 1-line block ×3, first 2 shown]
	s_and_saveexec_b32 s45, vcc_lo
	s_cbranch_execz .LBB298_40
; %bb.33:                               ;   in Loop: Header=BB298_5 Depth=1
	v_mul_lo_u32 v21, v71, s34
	v_dual_mov_b32 v28, 0 :: v_dual_mov_b32 v27, 0
	v_dual_mov_b32 v26, 0 :: v_dual_mov_b32 v25, 0
	;; [unrolled: 1-line block ×3, first 2 shown]
	s_mov_b32 s46, exec_lo
	s_delay_alu instid0(VALU_DEP_4) | instskip(NEXT) | instid1(VALU_DEP_1)
	v_ashrrev_i32_e32 v22, 31, v21
	v_lshlrev_b64_e32 v[21:22], 3, v[21:22]
	s_delay_alu instid0(VALU_DEP_1) | instskip(SKIP_1) | instid1(VALU_DEP_2)
	v_add_co_u32 v21, s7, v19, v21
	s_wait_alu 0xf1ff
	v_add_co_ci_u32_e64 v22, null, v20, v22, s7
	flat_load_b64 v[21:22], v[21:22]
	v_cmpx_gt_i32_e64 s31, v29
	s_cbranch_execz .LBB298_39
; %bb.34:                               ;   in Loop: Header=BB298_5 Depth=1
	v_mul_lo_u32 v23, v29, s34
	v_or_b32_e32 v30, 2, v71
	v_dual_mov_b32 v28, 0 :: v_dual_mov_b32 v27, 0
	v_dual_mov_b32 v26, 0 :: v_dual_mov_b32 v25, 0
	s_mov_b32 s47, exec_lo
	s_delay_alu instid0(VALU_DEP_4) | instskip(NEXT) | instid1(VALU_DEP_1)
	v_ashrrev_i32_e32 v24, 31, v23
	v_lshlrev_b64_e32 v[23:24], 3, v[23:24]
	s_delay_alu instid0(VALU_DEP_1) | instskip(SKIP_1) | instid1(VALU_DEP_2)
	v_add_co_u32 v23, s7, v19, v23
	s_wait_alu 0xf1ff
	v_add_co_ci_u32_e64 v24, null, v20, v24, s7
	flat_load_b64 v[23:24], v[23:24]
	v_cmpx_gt_i32_e64 s31, v30
	s_cbranch_execz .LBB298_38
; %bb.35:                               ;   in Loop: Header=BB298_5 Depth=1
	v_mul_lo_u32 v25, v30, s34
	v_or_b32_e32 v30, 3, v71
	v_dual_mov_b32 v28, 0 :: v_dual_mov_b32 v27, 0
	s_mov_b32 s48, exec_lo
	s_delay_alu instid0(VALU_DEP_3) | instskip(NEXT) | instid1(VALU_DEP_1)
	v_ashrrev_i32_e32 v26, 31, v25
	v_lshlrev_b64_e32 v[25:26], 3, v[25:26]
	s_delay_alu instid0(VALU_DEP_1) | instskip(SKIP_1) | instid1(VALU_DEP_2)
	v_add_co_u32 v25, s7, v19, v25
	s_wait_alu 0xf1ff
	v_add_co_ci_u32_e64 v26, null, v20, v26, s7
	flat_load_b64 v[25:26], v[25:26]
	v_cmpx_gt_i32_e64 s31, v30
	s_cbranch_execz .LBB298_37
; %bb.36:                               ;   in Loop: Header=BB298_5 Depth=1
	v_mul_lo_u32 v27, v30, s34
	s_delay_alu instid0(VALU_DEP_1) | instskip(NEXT) | instid1(VALU_DEP_1)
	v_ashrrev_i32_e32 v28, 31, v27
	v_lshlrev_b64_e32 v[27:28], 3, v[27:28]
	s_delay_alu instid0(VALU_DEP_1) | instskip(SKIP_1) | instid1(VALU_DEP_2)
	v_add_co_u32 v19, s7, v19, v27
	s_wait_alu 0xf1ff
	v_add_co_ci_u32_e64 v20, null, v20, v28, s7
	flat_load_b64 v[27:28], v[19:20]
.LBB298_37:                             ;   in Loop: Header=BB298_5 Depth=1
	s_or_b32 exec_lo, exec_lo, s48
.LBB298_38:                             ;   in Loop: Header=BB298_5 Depth=1
	s_wait_alu 0xfffe
	s_or_b32 exec_lo, exec_lo, s47
.LBB298_39:                             ;   in Loop: Header=BB298_5 Depth=1
	s_wait_alu 0xfffe
	s_or_b32 exec_lo, exec_lo, s46
.LBB298_40:                             ;   in Loop: Header=BB298_5 Depth=1
	s_wait_alu 0xfffe
	s_or_b32 exec_lo, exec_lo, s45
	s_and_saveexec_b32 s7, s0
	s_cbranch_execz .LBB298_48
; %bb.41:                               ;   in Loop: Header=BB298_5 Depth=1
	v_mul_lo_u32 v20, v71, s35
	v_or_b32_e32 v19, 2, v71
	v_mul_lo_u32 v31, v29, s35
	v_or_b32_e32 v30, 3, v71
	s_delay_alu instid0(VALU_DEP_3) | instskip(NEXT) | instid1(VALU_DEP_2)
	v_mul_lo_u32 v32, v19, s35
	v_mul_lo_u32 v33, v30, s35
	v_cndmask_b32_e32 v20, 0, v20, vcc_lo
	v_cmp_gt_i32_e32 vcc_lo, s31, v29
	s_wait_alu 0xfffd
	v_cndmask_b32_e32 v29, 0, v31, vcc_lo
	v_cmp_gt_i32_e32 vcc_lo, s31, v19
	v_add_nc_u32_e32 v19, v20, v61
	s_delay_alu instid0(VALU_DEP_3)
	v_add_nc_u32_e32 v29, v29, v61
	s_wait_alu 0xfffd
	v_cndmask_b32_e32 v31, 0, v32, vcc_lo
	v_cmp_gt_i32_e32 vcc_lo, s31, v30
	v_ashrrev_i32_e32 v20, 31, v19
	s_wait_alu 0xfffd
	v_cndmask_b32_e32 v30, 0, v33, vcc_lo
	v_add_nc_u32_e32 v31, v31, v61
	s_delay_alu instid0(VALU_DEP_3) | instskip(NEXT) | instid1(VALU_DEP_3)
	v_lshlrev_b64_e32 v[19:20], 3, v[19:20]
	v_add_nc_u32_e32 v33, v30, v61
	v_ashrrev_i32_e32 v30, 31, v29
	s_delay_alu instid0(VALU_DEP_4) | instskip(NEXT) | instid1(VALU_DEP_4)
	v_ashrrev_i32_e32 v32, 31, v31
	v_add_co_u32 v55, vcc_lo, v17, v19
	s_delay_alu instid0(VALU_DEP_4) | instskip(NEXT) | instid1(VALU_DEP_4)
	v_ashrrev_i32_e32 v34, 31, v33
	v_lshlrev_b64_e32 v[29:30], 3, v[29:30]
	s_delay_alu instid0(VALU_DEP_4) | instskip(SKIP_3) | instid1(VALU_DEP_4)
	v_lshlrev_b64_e32 v[31:32], 3, v[31:32]
	s_wait_alu 0xfffd
	v_add_co_ci_u32_e64 v56, null, v18, v20, vcc_lo
	v_lshlrev_b64_e32 v[33:34], 3, v[33:34]
	v_add_co_u32 v53, vcc_lo, v17, v29
	s_wait_alu 0xfffd
	v_add_co_ci_u32_e64 v54, null, v18, v30, vcc_lo
	v_add_co_u32 v51, vcc_lo, v17, v31
	s_wait_alu 0xfffd
	v_add_co_ci_u32_e64 v52, null, v18, v32, vcc_lo
	;; [unrolled: 3-line block ×3, first 2 shown]
	s_clause 0x3
	flat_load_b64 v[31:32], v[55:56]
	flat_load_b64 v[29:30], v[53:54]
	;; [unrolled: 1-line block ×4, first 2 shown]
	s_and_saveexec_b32 s45, s1
	s_cbranch_execz .LBB298_47
; %bb.42:                               ;   in Loop: Header=BB298_5 Depth=1
	s_clause 0x3
	flat_load_b64 v[39:40], v[55:56] offset:256
	flat_load_b64 v[37:38], v[53:54] offset:256
	flat_load_b64 v[35:36], v[51:52] offset:256
	flat_load_b64 v[33:34], v[49:50] offset:256
	s_and_saveexec_b32 s46, s2
	s_cbranch_execz .LBB298_46
; %bb.43:                               ;   in Loop: Header=BB298_5 Depth=1
	s_clause 0x3
	flat_load_b64 v[47:48], v[55:56] offset:512
	flat_load_b64 v[45:46], v[53:54] offset:512
	flat_load_b64 v[43:44], v[51:52] offset:512
	flat_load_b64 v[41:42], v[49:50] offset:512
	;; [unrolled: 8-line block ×3, first 2 shown]
	s_wait_loadcnt_dscnt 0x202
	v_dual_mul_f32 v57, v22, v56 :: v_dual_mul_f32 v58, v24, v54
	v_mul_f32_e32 v56, v21, v56
	s_wait_loadcnt_dscnt 0x101
	v_dual_mul_f32 v54, v23, v54 :: v_dual_mul_f32 v59, v26, v52
	s_delay_alu instid0(VALU_DEP_3)
	v_fma_f32 v57, v21, v55, -v57
	v_fma_f32 v58, v23, v53, -v58
	s_wait_loadcnt_dscnt 0x0
	v_dual_fmac_f32 v56, v22, v55 :: v_dual_mul_f32 v55, v28, v50
	v_fmac_f32_e32 v54, v24, v53
	v_add_f32_e32 v9, v9, v57
	v_mul_f32_e32 v52, v25, v52
	v_fma_f32 v53, v25, v51, -v59
	s_delay_alu instid0(VALU_DEP_3) | instskip(SKIP_1) | instid1(VALU_DEP_2)
	v_dual_mul_f32 v50, v27, v50 :: v_dual_add_f32 v9, v58, v9
	v_add_f32_e32 v10, v10, v56
	v_fmac_f32_e32 v50, v28, v49
	s_delay_alu instid0(VALU_DEP_3) | instskip(NEXT) | instid1(VALU_DEP_3)
	v_dual_add_f32 v9, v53, v9 :: v_dual_fmac_f32 v52, v26, v51
	v_add_f32_e32 v10, v54, v10
	v_fma_f32 v51, v27, v49, -v55
	s_delay_alu instid0(VALU_DEP_1) | instskip(NEXT) | instid1(VALU_DEP_1)
	v_dual_add_f32 v9, v51, v9 :: v_dual_add_f32 v10, v52, v10
	v_add_f32_e32 v10, v50, v10
.LBB298_45:                             ;   in Loop: Header=BB298_5 Depth=1
	s_wait_alu 0xfffe
	s_or_b32 exec_lo, exec_lo, s47
	s_wait_loadcnt_dscnt 0x202
	v_dual_mul_f32 v49, v22, v48 :: v_dual_mul_f32 v50, v24, v46
	v_mul_f32_e32 v48, v21, v48
	s_wait_loadcnt_dscnt 0x101
	v_dual_mul_f32 v46, v23, v46 :: v_dual_mul_f32 v51, v26, v44
	s_delay_alu instid0(VALU_DEP_3)
	v_fma_f32 v49, v21, v47, -v49
	v_mul_f32_e32 v44, v25, v44
	v_fmac_f32_e32 v48, v22, v47
	v_fma_f32 v50, v23, v45, -v50
	s_wait_loadcnt_dscnt 0x0
	v_mul_f32_e32 v47, v28, v42
	v_add_f32_e32 v11, v11, v49
	v_fmac_f32_e32 v46, v24, v45
	v_fma_f32 v45, v25, v43, -v51
	v_mul_f32_e32 v42, v27, v42
	v_fmac_f32_e32 v44, v26, v43
	v_dual_add_f32 v11, v50, v11 :: v_dual_add_f32 v12, v12, v48
	v_fma_f32 v43, v27, v41, -v47
	s_delay_alu instid0(VALU_DEP_2) | instskip(NEXT) | instid1(VALU_DEP_1)
	v_dual_fmac_f32 v42, v28, v41 :: v_dual_add_f32 v11, v45, v11
	v_dual_add_f32 v12, v46, v12 :: v_dual_add_f32 v11, v43, v11
	s_delay_alu instid0(VALU_DEP_1) | instskip(NEXT) | instid1(VALU_DEP_1)
	v_add_f32_e32 v12, v44, v12
	v_add_f32_e32 v12, v42, v12
.LBB298_46:                             ;   in Loop: Header=BB298_5 Depth=1
	s_wait_alu 0xfffe
	s_or_b32 exec_lo, exec_lo, s46
	s_wait_loadcnt_dscnt 0x202
	v_dual_mul_f32 v41, v22, v40 :: v_dual_mul_f32 v42, v24, v38
	v_mul_f32_e32 v40, v21, v40
	s_wait_loadcnt_dscnt 0x101
	v_dual_mul_f32 v38, v23, v38 :: v_dual_mul_f32 v43, v26, v36
	s_delay_alu instid0(VALU_DEP_3)
	v_fma_f32 v41, v21, v39, -v41
	v_fma_f32 v42, v23, v37, -v42
	s_wait_loadcnt_dscnt 0x0
	v_dual_fmac_f32 v40, v22, v39 :: v_dual_mul_f32 v39, v28, v34
	v_fmac_f32_e32 v38, v24, v37
	v_add_f32_e32 v13, v13, v41
	v_mul_f32_e32 v36, v25, v36
	v_fma_f32 v37, v25, v35, -v43
	s_delay_alu instid0(VALU_DEP_3) | instskip(SKIP_1) | instid1(VALU_DEP_2)
	v_dual_mul_f32 v34, v27, v34 :: v_dual_add_f32 v13, v42, v13
	v_add_f32_e32 v14, v14, v40
	v_fmac_f32_e32 v34, v28, v33
	s_delay_alu instid0(VALU_DEP_3) | instskip(NEXT) | instid1(VALU_DEP_3)
	v_dual_add_f32 v13, v37, v13 :: v_dual_fmac_f32 v36, v26, v35
	v_add_f32_e32 v14, v38, v14
	v_fma_f32 v35, v27, v33, -v39
	s_delay_alu instid0(VALU_DEP_1) | instskip(NEXT) | instid1(VALU_DEP_1)
	v_dual_add_f32 v13, v35, v13 :: v_dual_add_f32 v14, v36, v14
	v_add_f32_e32 v14, v34, v14
.LBB298_47:                             ;   in Loop: Header=BB298_5 Depth=1
	s_wait_alu 0xfffe
	s_or_b32 exec_lo, exec_lo, s45
	s_wait_loadcnt_dscnt 0x202
	v_dual_mul_f32 v33, v22, v32 :: v_dual_mul_f32 v34, v24, v30
	v_mul_f32_e32 v32, v21, v32
	s_wait_loadcnt_dscnt 0x101
	v_dual_mul_f32 v30, v23, v30 :: v_dual_mul_f32 v35, v26, v20
	s_delay_alu instid0(VALU_DEP_3) | instskip(SKIP_1) | instid1(VALU_DEP_2)
	v_fma_f32 v21, v21, v31, -v33
	v_fma_f32 v23, v23, v29, -v34
	v_dual_add_f32 v15, v15, v21 :: v_dual_mul_f32 v20, v25, v20
	v_fmac_f32_e32 v32, v22, v31
	v_fma_f32 v21, v25, v19, -v35
	s_wait_loadcnt_dscnt 0x0
	s_delay_alu instid0(VALU_DEP_3) | instskip(NEXT) | instid1(VALU_DEP_3)
	v_dual_add_f32 v15, v23, v15 :: v_dual_mul_f32 v22, v28, v18
	v_add_f32_e32 v16, v16, v32
	v_fmac_f32_e32 v20, v26, v19
	s_delay_alu instid0(VALU_DEP_3) | instskip(NEXT) | instid1(VALU_DEP_4)
	v_dual_mul_f32 v18, v27, v18 :: v_dual_add_f32 v15, v21, v15
	v_fma_f32 v19, v27, v17, -v22
	v_fmac_f32_e32 v30, v24, v29
	s_delay_alu instid0(VALU_DEP_2) | instskip(NEXT) | instid1(VALU_DEP_2)
	v_dual_fmac_f32 v18, v28, v17 :: v_dual_add_f32 v15, v19, v15
	v_add_f32_e32 v16, v30, v16
	s_delay_alu instid0(VALU_DEP_1) | instskip(NEXT) | instid1(VALU_DEP_1)
	v_add_f32_e32 v16, v20, v16
	v_add_f32_e32 v16, v18, v16
.LBB298_48:                             ;   in Loop: Header=BB298_5 Depth=1
	s_wait_alu 0xfffe
	s_or_b32 exec_lo, exec_lo, s7
.LBB298_49:                             ;   in Loop: Header=BB298_5 Depth=1
	ds_store_2addr_b64 v0, v[15:16], v[13:14] offset1:32
	ds_store_2addr_b64 v0, v[11:12], v[9:10] offset0:64 offset1:96
	s_wait_storecnt 0x0
	s_wait_loadcnt_dscnt 0x0
	s_barrier_signal -1
	s_barrier_wait -1
	global_inv scope:SCOPE_SE
	s_and_saveexec_b32 s7, s5
	s_cbranch_execz .LBB298_3
; %bb.50:                               ;   in Loop: Header=BB298_5 Depth=1
	ds_load_2addr_stride64_b64 v[9:12], v63 offset1:2
	ds_load_2addr_stride64_b64 v[13:16], v63 offset0:4 offset1:6
	ds_load_2addr_stride64_b64 v[17:20], v63 offset0:8 offset1:10
	s_wait_dscnt 0x2
	v_dual_add_f32 v21, v9, v11 :: v_dual_add_f32 v22, v10, v12
	ds_load_2addr_stride64_b64 v[9:12], v63 offset0:12 offset1:14
	s_wait_dscnt 0x2
	v_dual_add_f32 v13, v21, v13 :: v_dual_add_f32 v14, v22, v14
	s_delay_alu instid0(VALU_DEP_1) | instskip(SKIP_3) | instid1(VALU_DEP_1)
	v_dual_add_f32 v21, v13, v15 :: v_dual_add_f32 v22, v14, v16
	ds_load_2addr_stride64_b64 v[13:16], v63 offset0:16 offset1:18
	s_wait_dscnt 0x2
	v_dual_add_f32 v17, v21, v17 :: v_dual_add_f32 v18, v22, v18
	v_dual_add_f32 v21, v17, v19 :: v_dual_add_f32 v22, v18, v20
	ds_load_2addr_stride64_b64 v[17:20], v63 offset0:20 offset1:22
	s_wait_dscnt 0x2
	v_dual_add_f32 v9, v21, v9 :: v_dual_add_f32 v10, v22, v10
	s_delay_alu instid0(VALU_DEP_1) | instskip(SKIP_3) | instid1(VALU_DEP_1)
	v_dual_add_f32 v21, v9, v11 :: v_dual_add_f32 v22, v10, v12
	ds_load_2addr_stride64_b64 v[9:12], v63 offset0:24 offset1:26
	s_wait_dscnt 0x2
	v_dual_add_f32 v13, v21, v13 :: v_dual_add_f32 v14, v22, v14
	v_dual_add_f32 v21, v13, v15 :: v_dual_add_f32 v22, v14, v16
	ds_load_2addr_stride64_b64 v[13:16], v63 offset0:28 offset1:30
	s_wait_dscnt 0x2
	v_dual_add_f32 v17, v21, v17 :: v_dual_add_f32 v18, v22, v18
	s_delay_alu instid0(VALU_DEP_1) | instskip(SKIP_1) | instid1(VALU_DEP_1)
	v_dual_add_f32 v17, v17, v19 :: v_dual_add_f32 v18, v18, v20
	s_wait_dscnt 0x1
	v_dual_add_f32 v9, v17, v9 :: v_dual_add_f32 v10, v18, v10
	s_delay_alu instid0(VALU_DEP_1) | instskip(SKIP_1) | instid1(VALU_DEP_1)
	v_dual_add_f32 v9, v9, v11 :: v_dual_add_f32 v10, v10, v12
	s_wait_dscnt 0x0
	v_dual_add_f32 v9, v9, v13 :: v_dual_add_f32 v10, v10, v14
	s_delay_alu instid0(VALU_DEP_1)
	v_dual_add_f32 v11, v9, v15 :: v_dual_add_f32 v12, v10, v16
	ds_store_b64 v63, v[11:12]
	s_and_b32 exec_lo, exec_lo, s6
	s_cbranch_execz .LBB298_3
; %bb.51:                               ;   in Loop: Header=BB298_5 Depth=1
	s_cmp_neq_f32 s41, 0
	v_mul_f32_e32 v10, s43, v12
	v_mul_f32_e32 v9, s44, v12
	s_cselect_b32 s45, -1, 0
	s_cmp_neq_f32 s42, 0
	s_delay_alu instid0(VALU_DEP_2) | instskip(NEXT) | instid1(VALU_DEP_2)
	v_fmac_f32_e32 v10, s44, v11
	v_fma_f32 v9, v11, s43, -v9
	s_cselect_b32 s46, -1, 0
	s_wait_alu 0xfffe
	s_or_b32 s45, s45, s46
	s_wait_alu 0xfffe
	s_and_not1_b32 vcc_lo, exec_lo, s45
	s_wait_alu 0xfffe
	s_cbranch_vccnz .LBB298_2
; %bb.52:                               ;   in Loop: Header=BB298_5 Depth=1
	v_add_co_u32 v11, vcc_lo, v69, v7
	s_wait_alu 0xfffd
	v_add_co_ci_u32_e64 v12, null, v70, v8, vcc_lo
	flat_load_b64 v[11:12], v[11:12]
	s_wait_loadcnt_dscnt 0x0
	v_mul_f32_e32 v13, s42, v12
	v_mul_f32_e32 v12, s41, v12
	s_delay_alu instid0(VALU_DEP_1) | instskip(NEXT) | instid1(VALU_DEP_3)
	v_fmac_f32_e32 v12, s42, v11
	v_fma_f32 v13, s41, v11, -v13
	s_delay_alu instid0(VALU_DEP_1)
	v_dual_add_f32 v10, v10, v12 :: v_dual_add_f32 v9, v9, v13
	s_branch .LBB298_2
.LBB298_53:
	s_endpgm
	.section	.rodata,"a",@progbits
	.p2align	6, 0x0
	.amdhsa_kernel _ZL20rocblas_gemvn_kernelILi32ELi16EiPK19rocblas_complex_numIfES3_KPS1_EviiT3_lPKT2_lT1_lS9_lSA_lS6_lPT4_lSA_li
		.amdhsa_group_segment_fixed_size 16384
		.amdhsa_private_segment_fixed_size 0
		.amdhsa_kernarg_size 400
		.amdhsa_user_sgpr_count 2
		.amdhsa_user_sgpr_dispatch_ptr 0
		.amdhsa_user_sgpr_queue_ptr 0
		.amdhsa_user_sgpr_kernarg_segment_ptr 1
		.amdhsa_user_sgpr_dispatch_id 0
		.amdhsa_user_sgpr_private_segment_size 0
		.amdhsa_wavefront_size32 1
		.amdhsa_uses_dynamic_stack 0
		.amdhsa_enable_private_segment 0
		.amdhsa_system_sgpr_workgroup_id_x 1
		.amdhsa_system_sgpr_workgroup_id_y 0
		.amdhsa_system_sgpr_workgroup_id_z 1
		.amdhsa_system_sgpr_workgroup_info 0
		.amdhsa_system_vgpr_workitem_id 1
		.amdhsa_next_free_vgpr 79
		.amdhsa_next_free_sgpr 51
		.amdhsa_reserve_vcc 1
		.amdhsa_float_round_mode_32 0
		.amdhsa_float_round_mode_16_64 0
		.amdhsa_float_denorm_mode_32 3
		.amdhsa_float_denorm_mode_16_64 3
		.amdhsa_fp16_overflow 0
		.amdhsa_workgroup_processor_mode 1
		.amdhsa_memory_ordered 1
		.amdhsa_forward_progress 1
		.amdhsa_inst_pref_size 35
		.amdhsa_round_robin_scheduling 0
		.amdhsa_exception_fp_ieee_invalid_op 0
		.amdhsa_exception_fp_denorm_src 0
		.amdhsa_exception_fp_ieee_div_zero 0
		.amdhsa_exception_fp_ieee_overflow 0
		.amdhsa_exception_fp_ieee_underflow 0
		.amdhsa_exception_fp_ieee_inexact 0
		.amdhsa_exception_int_div_zero 0
	.end_amdhsa_kernel
	.section	.text._ZL20rocblas_gemvn_kernelILi32ELi16EiPK19rocblas_complex_numIfES3_KPS1_EviiT3_lPKT2_lT1_lS9_lSA_lS6_lPT4_lSA_li,"axG",@progbits,_ZL20rocblas_gemvn_kernelILi32ELi16EiPK19rocblas_complex_numIfES3_KPS1_EviiT3_lPKT2_lT1_lS9_lSA_lS6_lPT4_lSA_li,comdat
.Lfunc_end298:
	.size	_ZL20rocblas_gemvn_kernelILi32ELi16EiPK19rocblas_complex_numIfES3_KPS1_EviiT3_lPKT2_lT1_lS9_lSA_lS6_lPT4_lSA_li, .Lfunc_end298-_ZL20rocblas_gemvn_kernelILi32ELi16EiPK19rocblas_complex_numIfES3_KPS1_EviiT3_lPKT2_lT1_lS9_lSA_lS6_lPT4_lSA_li
                                        ; -- End function
	.set _ZL20rocblas_gemvn_kernelILi32ELi16EiPK19rocblas_complex_numIfES3_KPS1_EviiT3_lPKT2_lT1_lS9_lSA_lS6_lPT4_lSA_li.num_vgpr, 79
	.set _ZL20rocblas_gemvn_kernelILi32ELi16EiPK19rocblas_complex_numIfES3_KPS1_EviiT3_lPKT2_lT1_lS9_lSA_lS6_lPT4_lSA_li.num_agpr, 0
	.set _ZL20rocblas_gemvn_kernelILi32ELi16EiPK19rocblas_complex_numIfES3_KPS1_EviiT3_lPKT2_lT1_lS9_lSA_lS6_lPT4_lSA_li.numbered_sgpr, 51
	.set _ZL20rocblas_gemvn_kernelILi32ELi16EiPK19rocblas_complex_numIfES3_KPS1_EviiT3_lPKT2_lT1_lS9_lSA_lS6_lPT4_lSA_li.num_named_barrier, 0
	.set _ZL20rocblas_gemvn_kernelILi32ELi16EiPK19rocblas_complex_numIfES3_KPS1_EviiT3_lPKT2_lT1_lS9_lSA_lS6_lPT4_lSA_li.private_seg_size, 0
	.set _ZL20rocblas_gemvn_kernelILi32ELi16EiPK19rocblas_complex_numIfES3_KPS1_EviiT3_lPKT2_lT1_lS9_lSA_lS6_lPT4_lSA_li.uses_vcc, 1
	.set _ZL20rocblas_gemvn_kernelILi32ELi16EiPK19rocblas_complex_numIfES3_KPS1_EviiT3_lPKT2_lT1_lS9_lSA_lS6_lPT4_lSA_li.uses_flat_scratch, 1
	.set _ZL20rocblas_gemvn_kernelILi32ELi16EiPK19rocblas_complex_numIfES3_KPS1_EviiT3_lPKT2_lT1_lS9_lSA_lS6_lPT4_lSA_li.has_dyn_sized_stack, 0
	.set _ZL20rocblas_gemvn_kernelILi32ELi16EiPK19rocblas_complex_numIfES3_KPS1_EviiT3_lPKT2_lT1_lS9_lSA_lS6_lPT4_lSA_li.has_recursion, 0
	.set _ZL20rocblas_gemvn_kernelILi32ELi16EiPK19rocblas_complex_numIfES3_KPS1_EviiT3_lPKT2_lT1_lS9_lSA_lS6_lPT4_lSA_li.has_indirect_call, 0
	.section	.AMDGPU.csdata,"",@progbits
; Kernel info:
; codeLenInByte = 4440
; TotalNumSgprs: 53
; NumVgprs: 79
; ScratchSize: 0
; MemoryBound: 0
; FloatMode: 240
; IeeeMode: 1
; LDSByteSize: 16384 bytes/workgroup (compile time only)
; SGPRBlocks: 0
; VGPRBlocks: 9
; NumSGPRsForWavesPerEU: 53
; NumVGPRsForWavesPerEU: 79
; Occupancy: 16
; WaveLimiterHint : 1
; COMPUTE_PGM_RSRC2:SCRATCH_EN: 0
; COMPUTE_PGM_RSRC2:USER_SGPR: 2
; COMPUTE_PGM_RSRC2:TRAP_HANDLER: 0
; COMPUTE_PGM_RSRC2:TGID_X_EN: 1
; COMPUTE_PGM_RSRC2:TGID_Y_EN: 0
; COMPUTE_PGM_RSRC2:TGID_Z_EN: 1
; COMPUTE_PGM_RSRC2:TIDIG_COMP_CNT: 1
	.section	.text._ZL20rocblas_gemvn_kernelILi32ELi16ElPK19rocblas_complex_numIfES3_KPS1_EviiT3_lPKT2_lT1_lS9_lSA_lS6_lPT4_lSA_li,"axG",@progbits,_ZL20rocblas_gemvn_kernelILi32ELi16ElPK19rocblas_complex_numIfES3_KPS1_EviiT3_lPKT2_lT1_lS9_lSA_lS6_lPT4_lSA_li,comdat
	.globl	_ZL20rocblas_gemvn_kernelILi32ELi16ElPK19rocblas_complex_numIfES3_KPS1_EviiT3_lPKT2_lT1_lS9_lSA_lS6_lPT4_lSA_li ; -- Begin function _ZL20rocblas_gemvn_kernelILi32ELi16ElPK19rocblas_complex_numIfES3_KPS1_EviiT3_lPKT2_lT1_lS9_lSA_lS6_lPT4_lSA_li
	.p2align	8
	.type	_ZL20rocblas_gemvn_kernelILi32ELi16ElPK19rocblas_complex_numIfES3_KPS1_EviiT3_lPKT2_lT1_lS9_lSA_lS6_lPT4_lSA_li,@function
_ZL20rocblas_gemvn_kernelILi32ELi16ElPK19rocblas_complex_numIfES3_KPS1_EviiT3_lPKT2_lT1_lS9_lSA_lS6_lPT4_lSA_li: ; @_ZL20rocblas_gemvn_kernelILi32ELi16ElPK19rocblas_complex_numIfES3_KPS1_EviiT3_lPKT2_lT1_lS9_lSA_lS6_lPT4_lSA_li
; %bb.0:
	s_clause 0x1
	s_load_b64 s[2:3], s[0:1], 0x9c
	s_load_b32 s33, s[0:1], 0x88
	s_lshr_b32 s28, ttmp7, 16
	s_wait_kmcnt 0x0
	s_lshr_b32 s4, s2, 16
	s_and_b32 s2, s2, 0xffff
	s_and_b32 s3, s3, 0xffff
	s_mul_i32 s2, s4, s2
	s_delay_alu instid0(SALU_CYCLE_1) | instskip(NEXT) | instid1(SALU_CYCLE_1)
	s_mul_i32 s2, s2, s3
	s_cmp_lg_u32 s2, 0x200
	s_cselect_b32 s2, -1, 0
	s_cmp_ge_u32 s28, s33
	s_cselect_b32 s3, -1, 0
	s_delay_alu instid0(SALU_CYCLE_1) | instskip(NEXT) | instid1(SALU_CYCLE_1)
	s_or_b32 s2, s2, s3
	s_and_b32 vcc_lo, exec_lo, s2
	s_cbranch_vccnz .LBB299_53
; %bb.1:
	s_clause 0x2
	s_load_b64 s[38:39], s[0:1], 0x78
	s_load_b64 s[30:31], s[0:1], 0x0
	s_load_b256 s[8:15], s[0:1], 0x8
	v_dual_mov_b32 v1, 0 :: v_dual_and_b32 v2, 0x3ff, v0
	v_bfe_u32 v13, v0, 10, 10
	s_lshl_b32 s7, ttmp9, 7
	s_clause 0x3
	s_load_b64 s[34:35], s[0:1], 0x28
	s_load_b128 s[24:27], s[0:1], 0x38
	s_load_b64 s[36:37], s[0:1], 0x48
	s_load_b256 s[16:23], s[0:1], 0x58
	v_add_nc_u32_e32 v4, s7, v2
	s_mov_b32 s29, 0
	v_lshl_add_u32 v6, v13, 5, v2
	s_delay_alu instid0(VALU_DEP_2) | instskip(NEXT) | instid1(VALU_DEP_2)
	v_add_nc_u32_e32 v3, 64, v4
	v_add_nc_u32_e32 v0, s7, v6
	s_wait_kmcnt 0x0
	s_delay_alu instid0(VALU_DEP_1)
	v_mad_co_u64_u32 v[14:15], null, s38, v0, 0
	v_lshlrev_b32_e32 v7, 3, v2
	v_add_nc_u32_e32 v2, 32, v4
	s_ashr_i32 s2, s31, 31
	s_ashr_i32 s5, s30, 31
	s_lshr_b32 s3, s2, 26
	v_cmp_gt_i32_e64 s2, s30, v3
	v_cmp_gt_i32_e64 s1, s30, v2
	v_mov_b32_e32 v2, v15
	s_add_co_i32 s44, s31, s3
	s_mov_b32 s4, s30
	s_and_not1_b32 s44, s44, 63
	v_cmp_gt_i64_e32 vcc_lo, s[4:5], v[0:1]
	v_mad_co_u64_u32 v[2:3], null, s39, v0, v[2:3]
	s_sub_co_i32 s6, s31, s44
	v_lshl_add_u32 v0, v13, 10, v7
	s_wait_alu 0xfffe
	s_cmp_gt_i32 s6, 0
	v_cmp_gt_u32_e64 s5, 0x80, v6
	v_lshl_add_u32 v73, v13, 8, v7
	s_cselect_b32 s45, -1, 0
	v_dual_mov_b32 v15, v2 :: v_dual_add_nc_u32 v8, 0x60, v4
	v_mad_co_u64_u32 v[2:3], null, s36, v13, 0
	v_ashrrev_i32_e32 v5, 31, v4
	v_cmp_gt_i32_e64 s0, s30, v4
	s_delay_alu instid0(VALU_DEP_4)
	v_cmp_gt_i32_e64 s3, s30, v8
	v_or_b32_e32 v8, s7, v6
	s_ashr_i32 s7, s7, 31
	v_lshlrev_b64_e32 v[14:15], 3, v[14:15]
	s_wait_alu 0xfffe
	s_mul_i32 s7, s38, s7
	s_lshl_b64 s[40:41], s[34:35], 9
	v_cmp_gt_i32_e64 s6, s30, v8
	v_mul_lo_u32 v20, s39, v8
	v_mad_co_u64_u32 v[16:17], null, s38, v8, 0
	v_mad_co_u64_u32 v[8:9], null, s37, v13, v[3:4]
	v_lshlrev_b32_e32 v72, 2, v13
	v_mad_co_u64_u32 v[9:10], null, s34, v13, 0
	v_lshlrev_b64_e32 v[4:5], 3, v[4:5]
	s_wait_alu 0xfffe
	v_add3_u32 v17, v17, s7, v20
	s_and_b32 s30, s5, vcc_lo
	v_mov_b32_e32 v3, v8
	v_or_b32_e32 v21, 3, v72
	v_or_b32_e32 v22, 2, v72
	v_mad_co_u64_u32 v[18:19], null, s34, v72, s[34:35]
	v_mov_b32_e32 v8, v10
	s_delay_alu instid0(VALU_DEP_4) | instskip(NEXT) | instid1(VALU_DEP_4)
	v_mad_co_u64_u32 v[6:7], null, s34, v21, 0
	v_mad_co_u64_u32 v[11:12], null, s34, v22, 0
	v_lshlrev_b64_e32 v[2:3], 5, v[2:3]
	v_mov_b32_e32 v10, v19
	v_lshlrev_b64_e32 v[16:17], 3, v[16:17]
	v_cmp_gt_i32_e64 s4, s44, v72
	v_mad_co_u64_u32 v[20:21], null, s35, v21, v[7:8]
	v_mov_b32_e32 v7, v12
	v_mad_co_u64_u32 v[12:13], null, s35, v13, v[8:9]
	s_lshl_b64 s[38:39], s[36:37], 9
	s_lshl_b64 s[42:43], s[36:37], 3
	v_mad_co_u64_u32 v[21:22], null, s35, v22, v[7:8]
	v_mad_co_u64_u32 v[22:23], null, s35, v72, v[10:11]
	v_dual_mov_b32 v7, v20 :: v_dual_mov_b32 v10, v12
	s_lshl_b64 s[14:15], s[14:15], 3
	s_lshl_b64 s[26:27], s[26:27], 3
	s_delay_alu instid0(VALU_DEP_3) | instskip(NEXT) | instid1(VALU_DEP_2)
	v_mov_b32_e32 v12, v21
	v_lshlrev_b64_e32 v[6:7], 3, v[6:7]
	s_delay_alu instid0(VALU_DEP_4) | instskip(SKIP_3) | instid1(VALU_DEP_3)
	v_mov_b32_e32 v19, v22
	v_lshlrev_b64_e32 v[8:9], 5, v[9:10]
	s_lshl_b64 s[22:23], s[22:23], 3
	v_lshlrev_b64_e32 v[10:11], 3, v[11:12]
	v_lshlrev_b64_e32 v[12:13], 3, v[18:19]
	s_branch .LBB299_5
.LBB299_2:                              ;   in Loop: Header=BB299_5 Depth=1
	v_add_co_u32 v20, vcc_lo, v74, v16
	s_wait_alu 0xfffd
	v_add_co_ci_u32_e64 v21, null, v75, v17, vcc_lo
	flat_store_b64 v[20:21], v[18:19]
.LBB299_3:                              ;   in Loop: Header=BB299_5 Depth=1
	s_wait_alu 0xfffe
	s_or_b32 exec_lo, exec_lo, s7
.LBB299_4:                              ;   in Loop: Header=BB299_5 Depth=1
	s_add_co_i32 s28, s28, 0x10000
	s_delay_alu instid0(SALU_CYCLE_1)
	s_cmp_lt_u32 s28, s33
	s_cbranch_scc0 .LBB299_53
.LBB299_5:                              ; =>This Loop Header: Depth=1
                                        ;     Child Loop BB299_25 Depth 2
	s_mul_u64 s[46:47], s[10:11], s[28:29]
	s_wait_alu 0xfffe
	s_lshl_b64 s[46:47], s[46:47], 3
	s_wait_alu 0xfffe
	s_add_nc_u64 s[46:47], s[8:9], s[46:47]
	global_load_b64 v[18:19], v1, s[46:47]
	s_mul_u64 s[46:47], s[18:19], s[28:29]
	s_wait_alu 0xfffe
	s_lshl_b64 s[46:47], s[46:47], 3
	s_wait_alu 0xfffe
	s_add_nc_u64 s[46:47], s[16:17], s[46:47]
	global_load_b64 v[20:21], v1, s[46:47]
	s_wait_loadcnt 0x1
	v_readfirstlane_b32 s48, v18
	v_readfirstlane_b32 s49, v19
	s_cmp_neq_f32 s48, 0
	s_wait_loadcnt 0x0
	v_readfirstlane_b32 s46, v20
	s_cselect_b32 s7, -1, 0
	s_cmp_neq_f32 s49, 0
	s_cselect_b32 s47, -1, 0
	s_wait_alu 0xfffe
	s_or_b32 s7, s7, s47
	v_readfirstlane_b32 s47, v21
	s_wait_alu 0xfffe
	s_and_b32 vcc_lo, exec_lo, s7
	s_mov_b32 s7, -1
	s_wait_alu 0xfffe
	s_cbranch_vccnz .LBB299_7
; %bb.6:                                ;   in Loop: Header=BB299_5 Depth=1
	s_cmp_neq_f32 s46, 1.0
	s_cselect_b32 s7, -1, 0
	s_cmp_neq_f32 s47, 0
	s_cselect_b32 s50, -1, 0
	s_wait_alu 0xfffe
	s_or_b32 s7, s7, s50
.LBB299_7:                              ;   in Loop: Header=BB299_5 Depth=1
	s_wait_alu 0xfffe
	s_and_not1_b32 vcc_lo, exec_lo, s7
	s_wait_alu 0xfffe
	s_cbranch_vccnz .LBB299_4
; %bb.8:                                ;   in Loop: Header=BB299_5 Depth=1
	s_or_b32 s7, s48, s49
	v_mov_b32_e32 v28, 0
	s_wait_alu 0xfffe
	s_bitset0_b32 s7, 31
	v_dual_mov_b32 v29, 0 :: v_dual_mov_b32 v26, 0
	s_wait_alu 0xfffe
	s_cmp_lg_u32 s7, 0
	v_mov_b32_e32 v27, 0
	s_cselect_b32 s50, -1, 0
	s_cmp_eq_u32 s7, 0
	s_cselect_b32 s7, -1, 0
	s_wait_alu 0xfffe
	s_and_b32 vcc_lo, exec_lo, s7
	s_wait_alu 0xfffe
	s_cbranch_vccnz .LBB299_10
; %bb.9:                                ;   in Loop: Header=BB299_5 Depth=1
	s_lshl_b64 s[52:53], s[28:29], 3
	s_delay_alu instid0(SALU_CYCLE_1)
	s_add_nc_u64 s[52:53], s[12:13], s[52:53]
	global_load_b64 v[18:19], v1, s[52:53]
	s_wait_loadcnt 0x0
	v_add_co_u32 v26, vcc_lo, v18, s14
	s_wait_alu 0xfffd
	v_add_co_ci_u32_e64 v27, null, s15, v19, vcc_lo
.LBB299_10:                             ;   in Loop: Header=BB299_5 Depth=1
	s_and_not1_b32 vcc_lo, exec_lo, s50
	s_wait_alu 0xfffe
	s_cbranch_vccnz .LBB299_12
; %bb.11:                               ;   in Loop: Header=BB299_5 Depth=1
	s_lshl_b64 s[50:51], s[28:29], 3
	s_delay_alu instid0(SALU_CYCLE_1)
	s_add_nc_u64 s[50:51], s[24:25], s[50:51]
	global_load_b64 v[18:19], v1, s[50:51]
	s_wait_loadcnt 0x0
	v_add_co_u32 v28, vcc_lo, v18, s26
	s_wait_alu 0xfffd
	v_add_co_ci_u32_e64 v29, null, s27, v19, vcc_lo
.LBB299_12:                             ;   in Loop: Header=BB299_5 Depth=1
	s_lshl_b64 s[50:51], s[28:29], 3
	s_delay_alu instid0(SALU_CYCLE_1)
	s_add_nc_u64 s[50:51], s[20:21], s[50:51]
	global_load_b64 v[18:19], v1, s[50:51]
	s_wait_loadcnt 0x0
	v_add_co_u32 v74, vcc_lo, v18, s22
	s_wait_alu 0xfffd
	v_add_co_ci_u32_e64 v75, null, s23, v19, vcc_lo
	s_and_not1_b32 vcc_lo, exec_lo, s7
	s_mov_b32 s7, -1
	s_wait_alu 0xfffe
	s_cbranch_vccnz .LBB299_18
; %bb.13:                               ;   in Loop: Header=BB299_5 Depth=1
	s_and_saveexec_b32 s7, s30
	s_cbranch_execz .LBB299_17
; %bb.14:                               ;   in Loop: Header=BB299_5 Depth=1
	s_cmp_neq_f32 s46, 0
	v_dual_mov_b32 v18, 0 :: v_dual_mov_b32 v19, 0
	s_cselect_b32 s50, -1, 0
	s_cmp_neq_f32 s47, 0
	s_cselect_b32 s51, -1, 0
	s_delay_alu instid0(SALU_CYCLE_1) | instskip(NEXT) | instid1(SALU_CYCLE_1)
	s_or_b32 s50, s50, s51
	s_and_not1_b32 vcc_lo, exec_lo, s50
	s_wait_alu 0xfffe
	s_cbranch_vccnz .LBB299_16
; %bb.15:                               ;   in Loop: Header=BB299_5 Depth=1
	v_add_co_u32 v18, vcc_lo, v74, v14
	s_wait_alu 0xfffd
	v_add_co_ci_u32_e64 v19, null, v75, v15, vcc_lo
	flat_load_b64 v[20:21], v[18:19]
	s_wait_loadcnt_dscnt 0x0
	v_mul_f32_e32 v19, s46, v21
	s_delay_alu instid0(VALU_DEP_1) | instskip(NEXT) | instid1(VALU_DEP_1)
	v_dual_mul_f32 v18, s47, v21 :: v_dual_fmac_f32 v19, s47, v20
	v_fma_f32 v18, s46, v20, -v18
.LBB299_16:                             ;   in Loop: Header=BB299_5 Depth=1
	v_add_co_u32 v20, vcc_lo, v74, v14
	s_wait_alu 0xfffd
	v_add_co_ci_u32_e64 v21, null, v75, v15, vcc_lo
	flat_store_b64 v[20:21], v[18:19]
.LBB299_17:                             ;   in Loop: Header=BB299_5 Depth=1
	s_wait_alu 0xfffe
	s_or_b32 exec_lo, exec_lo, s7
	s_mov_b32 s7, 0
.LBB299_18:                             ;   in Loop: Header=BB299_5 Depth=1
	s_wait_alu 0xfffe
	s_and_not1_b32 vcc_lo, exec_lo, s7
	s_wait_alu 0xfffe
	s_cbranch_vccnz .LBB299_4
; %bb.19:                               ;   in Loop: Header=BB299_5 Depth=1
	v_dual_mov_b32 v19, 0 :: v_dual_mov_b32 v76, v72
	v_dual_mov_b32 v18, 0 :: v_dual_mov_b32 v21, 0
	;; [unrolled: 1-line block ×4, first 2 shown]
	v_mov_b32_e32 v24, 0
	s_and_saveexec_b32 s50, s4
	s_cbranch_execz .LBB299_31
; %bb.20:                               ;   in Loop: Header=BB299_5 Depth=1
	v_add_co_u32 v30, vcc_lo, v28, v2
	s_wait_alu 0xfffd
	v_add_co_ci_u32_e64 v31, null, v29, v3, vcc_lo
	v_add_co_u32 v77, vcc_lo, v26, v6
	s_wait_alu 0xfffd
	v_add_co_ci_u32_e64 v78, null, v27, v7, vcc_lo
	v_add_co_u32 v79, vcc_lo, v26, v8
	v_dual_mov_b32 v19, 0 :: v_dual_mov_b32 v76, v72
	s_wait_alu 0xfffd
	v_add_co_ci_u32_e64 v80, null, v27, v9, vcc_lo
	v_add_co_u32 v81, vcc_lo, v26, v10
	s_wait_alu 0xfffd
	v_add_co_ci_u32_e64 v82, null, v27, v11, vcc_lo
	v_add_co_u32 v83, vcc_lo, v26, v12
	s_wait_alu 0xfffd
	v_add_co_ci_u32_e64 v84, null, v27, v13, vcc_lo
	v_dual_mov_b32 v18, v19 :: v_dual_mov_b32 v21, v19
	v_dual_mov_b32 v20, v19 :: v_dual_mov_b32 v23, v19
	;; [unrolled: 1-line block ×3, first 2 shown]
	v_mov_b32_e32 v24, v19
	s_mov_b32 s51, 0
	s_branch .LBB299_25
.LBB299_21:                             ;   in Loop: Header=BB299_25 Depth=2
	s_or_b32 exec_lo, exec_lo, s54
	s_wait_loadcnt_dscnt 0x303
	v_mul_f32_e32 v64, v45, v63
	s_wait_loadcnt_dscnt 0x101
	v_dual_mul_f32 v65, v41, v61 :: v_dual_mul_f32 v66, v35, v59
	v_mul_f32_e32 v61, v40, v61
	v_mul_f32_e32 v63, v44, v63
	v_fma_f32 v64, v44, v62, -v64
	v_mul_f32_e32 v59, v34, v59
	v_fma_f32 v65, v40, v60, -v65
	v_fmac_f32_e32 v61, v41, v60
	v_fma_f32 v60, v34, v58, -v66
	s_delay_alu instid0(VALU_DEP_4) | instskip(NEXT) | instid1(VALU_DEP_1)
	v_dual_add_f32 v20, v20, v64 :: v_dual_fmac_f32 v59, v35, v58
	v_add_f32_e32 v20, v65, v20
	v_fmac_f32_e32 v63, v45, v62
	s_wait_loadcnt_dscnt 0x0
	v_mul_f32_e32 v62, v33, v57
	v_mul_f32_e32 v57, v32, v57
	v_add_f32_e32 v20, v60, v20
	s_delay_alu instid0(VALU_DEP_3) | instskip(SKIP_1) | instid1(VALU_DEP_4)
	v_fma_f32 v58, v32, v56, -v62
	v_add_f32_e32 v21, v21, v63
	v_fmac_f32_e32 v57, v33, v56
	s_delay_alu instid0(VALU_DEP_2) | instskip(NEXT) | instid1(VALU_DEP_1)
	v_dual_add_f32 v20, v58, v20 :: v_dual_add_f32 v21, v61, v21
	v_add_f32_e32 v21, v59, v21
	s_delay_alu instid0(VALU_DEP_1)
	v_add_f32_e32 v21, v57, v21
.LBB299_22:                             ;   in Loop: Header=BB299_25 Depth=2
	s_or_b32 exec_lo, exec_lo, s53
	s_wait_loadcnt_dscnt 0x303
	v_mul_f32_e32 v56, v45, v55
	v_mul_f32_e32 v55, v44, v55
	s_wait_loadcnt_dscnt 0x101
	v_dual_mul_f32 v57, v41, v53 :: v_dual_mul_f32 v58, v35, v51
	v_mul_f32_e32 v53, v40, v53
	v_fma_f32 v56, v44, v54, -v56
	v_fmac_f32_e32 v55, v45, v54
	s_delay_alu instid0(VALU_DEP_4) | instskip(SKIP_4) | instid1(VALU_DEP_2)
	v_fma_f32 v57, v40, v52, -v57
	s_wait_loadcnt_dscnt 0x0
	v_mul_f32_e32 v54, v33, v49
	v_dual_mul_f32 v49, v32, v49 :: v_dual_add_f32 v22, v22, v56
	v_mul_f32_e32 v51, v34, v51
	v_fmac_f32_e32 v49, v33, v48
	s_delay_alu instid0(VALU_DEP_3) | instskip(SKIP_4) | instid1(VALU_DEP_3)
	v_add_f32_e32 v22, v57, v22
	v_fmac_f32_e32 v53, v41, v52
	v_fma_f32 v52, v34, v50, -v58
	v_fmac_f32_e32 v51, v35, v50
	v_fma_f32 v50, v32, v48, -v54
	v_dual_add_f32 v22, v52, v22 :: v_dual_add_f32 v23, v23, v55
	s_delay_alu instid0(VALU_DEP_1) | instskip(NEXT) | instid1(VALU_DEP_1)
	v_dual_add_f32 v22, v50, v22 :: v_dual_add_f32 v23, v53, v23
	v_add_f32_e32 v23, v51, v23
	s_delay_alu instid0(VALU_DEP_1)
	v_add_f32_e32 v23, v49, v23
.LBB299_23:                             ;   in Loop: Header=BB299_25 Depth=2
	s_or_b32 exec_lo, exec_lo, s52
	s_wait_loadcnt_dscnt 0x101
	v_mul_f32_e32 v50, v35, v39
	v_mul_f32_e32 v48, v45, v47
	;; [unrolled: 1-line block ×3, first 2 shown]
	s_delay_alu instid0(VALU_DEP_3) | instskip(SKIP_1) | instid1(VALU_DEP_1)
	v_fma_f32 v34, v34, v38, -v50
	v_mul_f32_e32 v47, v44, v47
	v_fmac_f32_e32 v47, v45, v46
	s_wait_loadcnt_dscnt 0x0
	v_mul_f32_e32 v45, v33, v37
	v_mul_f32_e32 v37, v32, v37
	v_fma_f32 v44, v44, v46, -v48
	v_mul_f32_e32 v49, v41, v43
	v_mul_f32_e32 v43, v40, v43
	v_add_f32_e32 v25, v25, v47
	v_fma_f32 v32, v32, v36, -v45
	v_add_f32_e32 v24, v24, v44
	v_fma_f32 v40, v40, v42, -v49
	v_fmac_f32_e32 v43, v41, v42
	v_fmac_f32_e32 v37, v33, v36
	s_delay_alu instid0(VALU_DEP_3) | instskip(NEXT) | instid1(VALU_DEP_1)
	v_dual_add_f32 v24, v40, v24 :: v_dual_fmac_f32 v39, v35, v38
	v_dual_add_f32 v25, v43, v25 :: v_dual_add_f32 v24, v34, v24
	s_delay_alu instid0(VALU_DEP_1) | instskip(NEXT) | instid1(VALU_DEP_1)
	v_dual_add_f32 v25, v39, v25 :: v_dual_add_f32 v24, v32, v24
	v_add_f32_e32 v25, v37, v25
.LBB299_24:                             ;   in Loop: Header=BB299_25 Depth=2
	s_wait_alu 0xfffe
	s_or_b32 exec_lo, exec_lo, s7
	v_add_co_u32 v30, vcc_lo, v30, s38
	s_wait_alu 0xfffd
	v_add_co_ci_u32_e64 v31, null, s39, v31, vcc_lo
	v_add_co_u32 v77, vcc_lo, v77, s40
	v_add_nc_u32_e32 v76, 64, v76
	s_wait_alu 0xfffd
	v_add_co_ci_u32_e64 v78, null, s41, v78, vcc_lo
	v_add_co_u32 v79, vcc_lo, v79, s40
	s_wait_alu 0xfffd
	v_add_co_ci_u32_e64 v80, null, s41, v80, vcc_lo
	v_add_co_u32 v81, vcc_lo, v81, s40
	s_wait_alu 0xfffd
	v_add_co_ci_u32_e64 v82, null, s41, v82, vcc_lo
	v_cmp_le_i32_e32 vcc_lo, s44, v76
	v_add_co_u32 v83, s7, v83, s40
	s_wait_alu 0xf1ff
	v_add_co_ci_u32_e64 v84, null, s41, v84, s7
	s_or_b32 s51, vcc_lo, s51
	s_delay_alu instid0(SALU_CYCLE_1)
	s_and_not1_b32 exec_lo, exec_lo, s51
	s_cbranch_execz .LBB299_30
.LBB299_25:                             ;   Parent Loop BB299_5 Depth=1
                                        ; =>  This Inner Loop Header: Depth=2
	s_and_saveexec_b32 s7, s0
	s_cbranch_execz .LBB299_24
; %bb.26:                               ;   in Loop: Header=BB299_25 Depth=2
	v_add_co_u32 v32, vcc_lo, v30, s42
	s_wait_alu 0xfffd
	v_add_co_ci_u32_e64 v33, null, s43, v31, vcc_lo
	s_delay_alu instid0(VALU_DEP_2) | instskip(SKIP_1) | instid1(VALU_DEP_2)
	v_add_co_u32 v34, vcc_lo, v32, s42
	s_wait_alu 0xfffd
	v_add_co_ci_u32_e64 v35, null, s43, v33, vcc_lo
	s_delay_alu instid0(VALU_DEP_2) | instskip(SKIP_1) | instid1(VALU_DEP_2)
	v_add_co_u32 v36, vcc_lo, v34, s42
	s_wait_alu 0xfffd
	v_add_co_ci_u32_e64 v37, null, s43, v35, vcc_lo
	v_add_co_u32 v70, vcc_lo, v79, v4
	s_wait_alu 0xfffd
	v_add_co_ci_u32_e64 v71, null, v80, v5, vcc_lo
	;; [unrolled: 3-line block ×5, first 2 shown]
	s_clause 0x3
	flat_load_b64 v[44:45], v[30:31]
	flat_load_b64 v[40:41], v[32:33]
	;; [unrolled: 1-line block ×8, first 2 shown]
	s_and_saveexec_b32 s52, s1
	s_cbranch_execz .LBB299_23
; %bb.27:                               ;   in Loop: Header=BB299_25 Depth=2
	flat_load_b64 v[54:55], v[70:71] offset:256
	flat_load_b64 v[52:53], v[68:69] offset:256
	flat_load_b64 v[50:51], v[66:67] offset:256
	flat_load_b64 v[48:49], v[64:65] offset:256
	s_and_saveexec_b32 s53, s2
	s_cbranch_execz .LBB299_22
; %bb.28:                               ;   in Loop: Header=BB299_25 Depth=2
	flat_load_b64 v[62:63], v[70:71] offset:512
	flat_load_b64 v[60:61], v[68:69] offset:512
	flat_load_b64 v[58:59], v[66:67] offset:512
	flat_load_b64 v[56:57], v[64:65] offset:512
	;; [unrolled: 7-line block ×3, first 2 shown]
	s_wait_loadcnt_dscnt 0x101
	v_dual_mul_f32 v86, v41, v69 :: v_dual_mul_f32 v87, v35, v67
	v_mul_f32_e32 v69, v40, v69
	s_delay_alu instid0(VALU_DEP_2) | instskip(SKIP_2) | instid1(VALU_DEP_4)
	v_fma_f32 v86, v40, v68, -v86
	v_mul_f32_e32 v85, v45, v71
	v_mul_f32_e32 v71, v44, v71
	v_fmac_f32_e32 v69, v41, v68
	v_fma_f32 v68, v34, v66, -v87
	s_delay_alu instid0(VALU_DEP_4) | instskip(NEXT) | instid1(VALU_DEP_4)
	v_fma_f32 v85, v44, v70, -v85
	v_fmac_f32_e32 v71, v45, v70
	s_wait_loadcnt_dscnt 0x0
	v_mul_f32_e32 v70, v33, v65
	v_mul_f32_e32 v65, v32, v65
	s_delay_alu instid0(VALU_DEP_3) | instskip(NEXT) | instid1(VALU_DEP_1)
	v_dual_add_f32 v18, v18, v85 :: v_dual_add_f32 v19, v19, v71
	v_dual_fmac_f32 v65, v33, v64 :: v_dual_add_f32 v18, v86, v18
	v_mul_f32_e32 v67, v34, v67
	s_delay_alu instid0(VALU_DEP_2) | instskip(NEXT) | instid1(VALU_DEP_2)
	v_dual_add_f32 v19, v69, v19 :: v_dual_add_f32 v18, v68, v18
	v_fmac_f32_e32 v67, v35, v66
	v_fma_f32 v66, v32, v64, -v70
	s_delay_alu instid0(VALU_DEP_1) | instskip(NEXT) | instid1(VALU_DEP_1)
	v_dual_add_f32 v19, v67, v19 :: v_dual_add_f32 v18, v66, v18
	v_add_f32_e32 v19, v65, v19
	s_branch .LBB299_21
.LBB299_30:                             ;   in Loop: Header=BB299_5 Depth=1
	s_or_b32 exec_lo, exec_lo, s51
.LBB299_31:                             ;   in Loop: Header=BB299_5 Depth=1
	s_delay_alu instid0(SALU_CYCLE_1) | instskip(NEXT) | instid1(SALU_CYCLE_1)
	s_or_b32 exec_lo, exec_lo, s50
	s_and_not1_b32 vcc_lo, exec_lo, s45
	s_wait_alu 0xfffe
	s_cbranch_vccnz .LBB299_49
; %bb.32:                               ;   in Loop: Header=BB299_5 Depth=1
	v_cmp_gt_i32_e32 vcc_lo, s31, v76
	v_dual_mov_b32 v30, 0 :: v_dual_mov_b32 v31, 0
	v_or_b32_e32 v38, 1, v76
	v_dual_mov_b32 v32, 0 :: v_dual_mov_b32 v33, 0
	v_dual_mov_b32 v34, 0 :: v_dual_mov_b32 v35, 0
	;; [unrolled: 1-line block ×3, first 2 shown]
	s_and_saveexec_b32 s50, vcc_lo
	s_cbranch_execz .LBB299_40
; %bb.33:                               ;   in Loop: Header=BB299_5 Depth=1
	v_mad_co_u64_u32 v[30:31], null, s36, v76, 0
	v_dual_mov_b32 v37, 0 :: v_dual_mov_b32 v36, 0
	v_dual_mov_b32 v35, 0 :: v_dual_mov_b32 v34, 0
	v_mov_b32_e32 v33, 0
	s_mov_b32 s51, exec_lo
	s_delay_alu instid0(VALU_DEP_4) | instskip(SKIP_1) | instid1(VALU_DEP_2)
	v_mad_co_u64_u32 v[31:32], null, s37, v76, v[31:32]
	v_mov_b32_e32 v32, 0
	v_lshlrev_b64_e32 v[30:31], 3, v[30:31]
	s_delay_alu instid0(VALU_DEP_1) | instskip(SKIP_1) | instid1(VALU_DEP_2)
	v_add_co_u32 v30, s7, v28, v30
	s_wait_alu 0xf1ff
	v_add_co_ci_u32_e64 v31, null, v29, v31, s7
	flat_load_b64 v[30:31], v[30:31]
	v_cmpx_gt_i32_e64 s31, v38
	s_cbranch_execz .LBB299_39
; %bb.34:                               ;   in Loop: Header=BB299_5 Depth=1
	v_mad_co_u64_u32 v[32:33], null, s36, v38, 0
	v_or_b32_e32 v39, 2, v76
	v_dual_mov_b32 v37, 0 :: v_dual_mov_b32 v36, 0
	v_mov_b32_e32 v35, 0
	s_mov_b32 s52, exec_lo
	s_delay_alu instid0(VALU_DEP_4) | instskip(SKIP_1) | instid1(VALU_DEP_2)
	v_mad_co_u64_u32 v[33:34], null, s37, v38, v[33:34]
	v_mov_b32_e32 v34, 0
	v_lshlrev_b64_e32 v[32:33], 3, v[32:33]
	s_delay_alu instid0(VALU_DEP_1) | instskip(SKIP_1) | instid1(VALU_DEP_2)
	v_add_co_u32 v32, s7, v28, v32
	s_wait_alu 0xf1ff
	v_add_co_ci_u32_e64 v33, null, v29, v33, s7
	flat_load_b64 v[32:33], v[32:33]
	v_cmpx_gt_i32_e64 s31, v39
	s_cbranch_execz .LBB299_38
; %bb.35:                               ;   in Loop: Header=BB299_5 Depth=1
	v_mad_co_u64_u32 v[34:35], null, s36, v39, 0
	v_mov_b32_e32 v37, 0
	s_mov_b32 s53, exec_lo
	s_delay_alu instid0(VALU_DEP_2) | instskip(SKIP_2) | instid1(VALU_DEP_3)
	v_mad_co_u64_u32 v[35:36], null, s37, v39, v[35:36]
	v_or_b32_e32 v39, 3, v76
	v_mov_b32_e32 v36, 0
	v_lshlrev_b64_e32 v[34:35], 3, v[34:35]
	s_delay_alu instid0(VALU_DEP_1) | instskip(SKIP_1) | instid1(VALU_DEP_2)
	v_add_co_u32 v34, s7, v28, v34
	s_wait_alu 0xf1ff
	v_add_co_ci_u32_e64 v35, null, v29, v35, s7
	flat_load_b64 v[34:35], v[34:35]
	v_cmpx_gt_i32_e64 s31, v39
	s_cbranch_execz .LBB299_37
; %bb.36:                               ;   in Loop: Header=BB299_5 Depth=1
	v_mad_co_u64_u32 v[36:37], null, s36, v39, 0
	s_delay_alu instid0(VALU_DEP_1) | instskip(NEXT) | instid1(VALU_DEP_1)
	v_mad_co_u64_u32 v[39:40], null, s37, v39, v[37:38]
	v_mov_b32_e32 v37, v39
	s_delay_alu instid0(VALU_DEP_1) | instskip(NEXT) | instid1(VALU_DEP_1)
	v_lshlrev_b64_e32 v[36:37], 3, v[36:37]
	v_add_co_u32 v28, s7, v28, v36
	s_wait_alu 0xf1ff
	s_delay_alu instid0(VALU_DEP_2)
	v_add_co_ci_u32_e64 v29, null, v29, v37, s7
	flat_load_b64 v[36:37], v[28:29]
.LBB299_37:                             ;   in Loop: Header=BB299_5 Depth=1
	s_or_b32 exec_lo, exec_lo, s53
.LBB299_38:                             ;   in Loop: Header=BB299_5 Depth=1
	s_delay_alu instid0(SALU_CYCLE_1)
	s_or_b32 exec_lo, exec_lo, s52
.LBB299_39:                             ;   in Loop: Header=BB299_5 Depth=1
	s_delay_alu instid0(SALU_CYCLE_1)
	s_or_b32 exec_lo, exec_lo, s51
.LBB299_40:                             ;   in Loop: Header=BB299_5 Depth=1
	s_delay_alu instid0(SALU_CYCLE_1)
	s_or_b32 exec_lo, exec_lo, s50
	s_and_saveexec_b32 s50, s0
	s_cbranch_execz .LBB299_48
; %bb.41:                               ;   in Loop: Header=BB299_5 Depth=1
	v_or_b32_e32 v47, 2, v76
	v_mad_co_u64_u32 v[28:29], null, s34, v76, 0
	v_mad_co_u64_u32 v[39:40], null, s34, v38, 0
	s_delay_alu instid0(VALU_DEP_3) | instskip(SKIP_4) | instid1(VALU_DEP_4)
	v_mad_co_u64_u32 v[41:42], null, s34, v47, 0
	v_cmp_gt_i32_e64 s7, s31, v38
	v_or_b32_e32 v48, 3, v76
	s_wait_loadcnt_dscnt 0x0
	v_mad_co_u64_u32 v[43:44], null, s35, v76, v[29:30]
	v_dual_mov_b32 v29, v42 :: v_dual_cndmask_b32 v42, 0, v28
	v_mad_co_u64_u32 v[44:45], null, s35, v38, v[40:41]
	s_wait_alu 0xf1ff
	v_cndmask_b32_e64 v28, 0, v39, s7
	s_delay_alu instid0(VALU_DEP_3) | instskip(SKIP_4) | instid1(VALU_DEP_4)
	v_mad_co_u64_u32 v[38:39], null, s35, v47, v[29:30]
	v_cndmask_b32_e32 v43, 0, v43, vcc_lo
	v_mad_co_u64_u32 v[45:46], null, s34, v48, 0
	v_cndmask_b32_e64 v29, 0, v44, s7
	v_cmp_gt_i32_e32 vcc_lo, s31, v47
	v_lshlrev_b64_e32 v[39:40], 3, v[42:43]
	s_delay_alu instid0(VALU_DEP_3) | instskip(SKIP_3) | instid1(VALU_DEP_4)
	v_lshlrev_b64_e32 v[28:29], 3, v[28:29]
	v_mov_b32_e32 v43, v46
	s_wait_alu 0xfffd
	v_cndmask_b32_e32 v41, 0, v41, vcc_lo
	v_add_co_u32 v39, s7, v26, v39
	s_wait_alu 0xf1ff
	v_add_co_ci_u32_e64 v40, null, v27, v40, s7
	v_cndmask_b32_e32 v42, 0, v38, vcc_lo
	s_delay_alu instid0(VALU_DEP_3)
	v_add_co_u32 v60, vcc_lo, v39, v4
	v_mad_co_u64_u32 v[38:39], null, s35, v48, v[43:44]
	s_wait_alu 0xfffd
	v_add_co_ci_u32_e64 v61, null, v40, v5, vcc_lo
	v_cmp_gt_i32_e32 vcc_lo, s31, v48
	v_add_co_u32 v43, s7, v26, v28
	s_wait_alu 0xf1ff
	v_add_co_ci_u32_e64 v44, null, v27, v29, s7
	s_wait_alu 0xfffd
	v_dual_cndmask_b32 v39, 0, v45 :: v_dual_cndmask_b32 v40, 0, v38
	v_lshlrev_b64_e32 v[28:29], 3, v[41:42]
	v_add_co_u32 v62, vcc_lo, v43, v4
	s_wait_alu 0xfffd
	v_add_co_ci_u32_e64 v63, null, v44, v5, vcc_lo
	v_lshlrev_b64_e32 v[38:39], 3, v[39:40]
	s_delay_alu instid0(VALU_DEP_4) | instskip(SKIP_2) | instid1(VALU_DEP_3)
	v_add_co_u32 v28, vcc_lo, v26, v28
	s_wait_alu 0xfffd
	v_add_co_ci_u32_e64 v29, null, v27, v29, vcc_lo
	v_add_co_u32 v26, vcc_lo, v26, v38
	s_wait_alu 0xfffd
	v_add_co_ci_u32_e64 v27, null, v27, v39, vcc_lo
	;; [unrolled: 3-line block ×4, first 2 shown]
	s_clause 0x3
	flat_load_b64 v[40:41], v[60:61]
	flat_load_b64 v[38:39], v[62:63]
	;; [unrolled: 1-line block ×4, first 2 shown]
	s_and_saveexec_b32 s7, s1
	s_cbranch_execz .LBB299_47
; %bb.42:                               ;   in Loop: Header=BB299_5 Depth=1
	s_clause 0x3
	flat_load_b64 v[48:49], v[60:61] offset:256
	flat_load_b64 v[46:47], v[62:63] offset:256
	flat_load_b64 v[44:45], v[64:65] offset:256
	flat_load_b64 v[42:43], v[58:59] offset:256
	s_and_saveexec_b32 s51, s2
	s_cbranch_execz .LBB299_46
; %bb.43:                               ;   in Loop: Header=BB299_5 Depth=1
	s_clause 0x3
	flat_load_b64 v[56:57], v[60:61] offset:512
	flat_load_b64 v[54:55], v[62:63] offset:512
	flat_load_b64 v[52:53], v[64:65] offset:512
	flat_load_b64 v[50:51], v[58:59] offset:512
	;; [unrolled: 8-line block ×3, first 2 shown]
	s_wait_loadcnt_dscnt 0x202
	v_dual_mul_f32 v66, v31, v61 :: v_dual_mul_f32 v67, v33, v63
	v_mul_f32_e32 v61, v30, v61
	s_wait_loadcnt_dscnt 0x101
	v_dual_mul_f32 v63, v32, v63 :: v_dual_mul_f32 v68, v35, v65
	s_delay_alu instid0(VALU_DEP_3)
	v_fma_f32 v66, v30, v60, -v66
	v_fma_f32 v67, v32, v62, -v67
	s_wait_loadcnt_dscnt 0x0
	v_dual_fmac_f32 v61, v31, v60 :: v_dual_mul_f32 v60, v37, v59
	v_fmac_f32_e32 v63, v33, v62
	v_add_f32_e32 v18, v18, v66
	v_mul_f32_e32 v65, v34, v65
	v_mul_f32_e32 v59, v36, v59
	v_fma_f32 v60, v36, v58, -v60
	s_delay_alu instid0(VALU_DEP_4) | instskip(SKIP_3) | instid1(VALU_DEP_2)
	v_add_f32_e32 v18, v67, v18
	v_add_f32_e32 v19, v19, v61
	v_fma_f32 v61, v34, v64, -v68
	v_fmac_f32_e32 v59, v37, v58
	v_dual_add_f32 v18, v61, v18 :: v_dual_fmac_f32 v65, v35, v64
	s_delay_alu instid0(VALU_DEP_1) | instskip(NEXT) | instid1(VALU_DEP_1)
	v_dual_add_f32 v19, v63, v19 :: v_dual_add_f32 v18, v60, v18
	v_add_f32_e32 v19, v65, v19
	s_delay_alu instid0(VALU_DEP_1)
	v_add_f32_e32 v19, v59, v19
.LBB299_45:                             ;   in Loop: Header=BB299_5 Depth=1
	s_or_b32 exec_lo, exec_lo, s52
	s_wait_loadcnt_dscnt 0x202
	v_dual_mul_f32 v58, v31, v57 :: v_dual_mul_f32 v59, v33, v55
	v_mul_f32_e32 v57, v30, v57
	s_wait_loadcnt_dscnt 0x101
	v_dual_mul_f32 v55, v32, v55 :: v_dual_mul_f32 v60, v35, v53
	s_delay_alu instid0(VALU_DEP_3)
	v_fma_f32 v58, v30, v56, -v58
	v_mul_f32_e32 v53, v34, v53
	v_fmac_f32_e32 v57, v31, v56
	v_fma_f32 v59, v32, v54, -v59
	s_wait_loadcnt_dscnt 0x0
	v_mul_f32_e32 v56, v37, v51
	v_add_f32_e32 v20, v20, v58
	v_fmac_f32_e32 v55, v33, v54
	v_fma_f32 v54, v34, v52, -v60
	v_mul_f32_e32 v51, v36, v51
	v_fmac_f32_e32 v53, v35, v52
	v_dual_add_f32 v20, v59, v20 :: v_dual_add_f32 v21, v21, v57
	v_fma_f32 v52, v36, v50, -v56
	s_delay_alu instid0(VALU_DEP_2) | instskip(NEXT) | instid1(VALU_DEP_1)
	v_dual_fmac_f32 v51, v37, v50 :: v_dual_add_f32 v20, v54, v20
	v_dual_add_f32 v21, v55, v21 :: v_dual_add_f32 v20, v52, v20
	s_delay_alu instid0(VALU_DEP_1) | instskip(NEXT) | instid1(VALU_DEP_1)
	v_add_f32_e32 v21, v53, v21
	v_add_f32_e32 v21, v51, v21
.LBB299_46:                             ;   in Loop: Header=BB299_5 Depth=1
	s_or_b32 exec_lo, exec_lo, s51
	s_wait_loadcnt_dscnt 0x202
	v_dual_mul_f32 v50, v31, v49 :: v_dual_mul_f32 v51, v33, v47
	v_mul_f32_e32 v49, v30, v49
	s_wait_loadcnt_dscnt 0x101
	v_dual_mul_f32 v47, v32, v47 :: v_dual_mul_f32 v52, v35, v45
	s_delay_alu instid0(VALU_DEP_3)
	v_fma_f32 v50, v30, v48, -v50
	v_fma_f32 v51, v32, v46, -v51
	s_wait_loadcnt_dscnt 0x0
	v_dual_fmac_f32 v49, v31, v48 :: v_dual_mul_f32 v48, v37, v43
	v_fmac_f32_e32 v47, v33, v46
	v_add_f32_e32 v22, v22, v50
	v_mul_f32_e32 v45, v34, v45
	v_fma_f32 v46, v34, v44, -v52
	s_delay_alu instid0(VALU_DEP_3) | instskip(SKIP_1) | instid1(VALU_DEP_2)
	v_dual_mul_f32 v43, v36, v43 :: v_dual_add_f32 v22, v51, v22
	v_add_f32_e32 v23, v23, v49
	v_fmac_f32_e32 v43, v37, v42
	s_delay_alu instid0(VALU_DEP_3) | instskip(NEXT) | instid1(VALU_DEP_3)
	v_dual_add_f32 v22, v46, v22 :: v_dual_fmac_f32 v45, v35, v44
	v_add_f32_e32 v23, v47, v23
	v_fma_f32 v44, v36, v42, -v48
	s_delay_alu instid0(VALU_DEP_1) | instskip(NEXT) | instid1(VALU_DEP_1)
	v_dual_add_f32 v22, v44, v22 :: v_dual_add_f32 v23, v45, v23
	v_add_f32_e32 v23, v43, v23
.LBB299_47:                             ;   in Loop: Header=BB299_5 Depth=1
	s_wait_alu 0xfffe
	s_or_b32 exec_lo, exec_lo, s7
	s_wait_loadcnt_dscnt 0x202
	v_dual_mul_f32 v42, v31, v41 :: v_dual_mul_f32 v43, v33, v39
	v_mul_f32_e32 v41, v30, v41
	s_wait_loadcnt_dscnt 0x101
	v_dual_mul_f32 v39, v32, v39 :: v_dual_mul_f32 v44, v35, v29
	s_delay_alu instid0(VALU_DEP_3) | instskip(SKIP_1) | instid1(VALU_DEP_2)
	v_fma_f32 v30, v30, v40, -v42
	v_fma_f32 v32, v32, v38, -v43
	v_dual_add_f32 v24, v24, v30 :: v_dual_mul_f32 v29, v34, v29
	v_fmac_f32_e32 v41, v31, v40
	v_fma_f32 v30, v34, v28, -v44
	s_wait_loadcnt_dscnt 0x0
	s_delay_alu instid0(VALU_DEP_3) | instskip(NEXT) | instid1(VALU_DEP_3)
	v_dual_add_f32 v24, v32, v24 :: v_dual_mul_f32 v31, v37, v27
	v_add_f32_e32 v25, v25, v41
	v_fmac_f32_e32 v29, v35, v28
	s_delay_alu instid0(VALU_DEP_3) | instskip(NEXT) | instid1(VALU_DEP_4)
	v_dual_mul_f32 v27, v36, v27 :: v_dual_add_f32 v24, v30, v24
	v_fma_f32 v28, v36, v26, -v31
	v_fmac_f32_e32 v39, v33, v38
	s_delay_alu instid0(VALU_DEP_2) | instskip(NEXT) | instid1(VALU_DEP_2)
	v_dual_fmac_f32 v27, v37, v26 :: v_dual_add_f32 v24, v28, v24
	v_add_f32_e32 v25, v39, v25
	s_delay_alu instid0(VALU_DEP_1) | instskip(NEXT) | instid1(VALU_DEP_1)
	v_add_f32_e32 v25, v29, v25
	v_add_f32_e32 v25, v27, v25
.LBB299_48:                             ;   in Loop: Header=BB299_5 Depth=1
	s_or_b32 exec_lo, exec_lo, s50
.LBB299_49:                             ;   in Loop: Header=BB299_5 Depth=1
	ds_store_2addr_b64 v0, v[24:25], v[22:23] offset1:32
	ds_store_2addr_b64 v0, v[20:21], v[18:19] offset0:64 offset1:96
	s_wait_storecnt 0x0
	s_wait_loadcnt_dscnt 0x0
	s_barrier_signal -1
	s_barrier_wait -1
	global_inv scope:SCOPE_SE
	s_and_saveexec_b32 s7, s5
	s_cbranch_execz .LBB299_3
; %bb.50:                               ;   in Loop: Header=BB299_5 Depth=1
	ds_load_2addr_stride64_b64 v[18:21], v73 offset1:2
	ds_load_2addr_stride64_b64 v[22:25], v73 offset0:4 offset1:6
	ds_load_2addr_stride64_b64 v[26:29], v73 offset0:8 offset1:10
	s_wait_dscnt 0x2
	v_dual_add_f32 v30, v18, v20 :: v_dual_add_f32 v31, v19, v21
	ds_load_2addr_stride64_b64 v[18:21], v73 offset0:12 offset1:14
	s_wait_dscnt 0x2
	v_dual_add_f32 v22, v30, v22 :: v_dual_add_f32 v23, v31, v23
	s_delay_alu instid0(VALU_DEP_1) | instskip(SKIP_3) | instid1(VALU_DEP_1)
	v_dual_add_f32 v30, v22, v24 :: v_dual_add_f32 v31, v23, v25
	ds_load_2addr_stride64_b64 v[22:25], v73 offset0:16 offset1:18
	s_wait_dscnt 0x2
	v_dual_add_f32 v26, v30, v26 :: v_dual_add_f32 v27, v31, v27
	v_dual_add_f32 v30, v26, v28 :: v_dual_add_f32 v31, v27, v29
	ds_load_2addr_stride64_b64 v[26:29], v73 offset0:20 offset1:22
	s_wait_dscnt 0x2
	v_dual_add_f32 v18, v30, v18 :: v_dual_add_f32 v19, v31, v19
	s_delay_alu instid0(VALU_DEP_1) | instskip(SKIP_3) | instid1(VALU_DEP_1)
	v_dual_add_f32 v30, v18, v20 :: v_dual_add_f32 v31, v19, v21
	ds_load_2addr_stride64_b64 v[18:21], v73 offset0:24 offset1:26
	s_wait_dscnt 0x2
	v_dual_add_f32 v22, v30, v22 :: v_dual_add_f32 v23, v31, v23
	v_dual_add_f32 v30, v22, v24 :: v_dual_add_f32 v31, v23, v25
	ds_load_2addr_stride64_b64 v[22:25], v73 offset0:28 offset1:30
	s_wait_dscnt 0x2
	v_dual_add_f32 v26, v30, v26 :: v_dual_add_f32 v27, v31, v27
	s_delay_alu instid0(VALU_DEP_1) | instskip(SKIP_1) | instid1(VALU_DEP_1)
	v_dual_add_f32 v26, v26, v28 :: v_dual_add_f32 v27, v27, v29
	s_wait_dscnt 0x1
	v_dual_add_f32 v18, v26, v18 :: v_dual_add_f32 v19, v27, v19
	s_delay_alu instid0(VALU_DEP_1) | instskip(SKIP_1) | instid1(VALU_DEP_1)
	v_dual_add_f32 v18, v18, v20 :: v_dual_add_f32 v19, v19, v21
	s_wait_dscnt 0x0
	v_dual_add_f32 v18, v18, v22 :: v_dual_add_f32 v19, v19, v23
	s_delay_alu instid0(VALU_DEP_1)
	v_dual_add_f32 v20, v18, v24 :: v_dual_add_f32 v21, v19, v25
	ds_store_b64 v73, v[20:21]
	s_and_b32 exec_lo, exec_lo, s6
	s_cbranch_execz .LBB299_3
; %bb.51:                               ;   in Loop: Header=BB299_5 Depth=1
	s_cmp_neq_f32 s46, 0
	v_mul_f32_e32 v19, s48, v21
	v_mul_f32_e32 v18, s49, v21
	s_cselect_b32 s50, -1, 0
	s_cmp_neq_f32 s47, 0
	s_delay_alu instid0(VALU_DEP_2) | instskip(NEXT) | instid1(VALU_DEP_2)
	v_fmac_f32_e32 v19, s49, v20
	v_fma_f32 v18, v20, s48, -v18
	s_cselect_b32 s51, -1, 0
	s_delay_alu instid0(SALU_CYCLE_1) | instskip(NEXT) | instid1(SALU_CYCLE_1)
	s_or_b32 s50, s50, s51
	s_and_not1_b32 vcc_lo, exec_lo, s50
	s_wait_alu 0xfffe
	s_cbranch_vccnz .LBB299_2
; %bb.52:                               ;   in Loop: Header=BB299_5 Depth=1
	v_add_co_u32 v20, vcc_lo, v74, v16
	s_wait_alu 0xfffd
	v_add_co_ci_u32_e64 v21, null, v75, v17, vcc_lo
	flat_load_b64 v[20:21], v[20:21]
	s_wait_loadcnt_dscnt 0x0
	v_mul_f32_e32 v22, s47, v21
	v_mul_f32_e32 v21, s46, v21
	s_delay_alu instid0(VALU_DEP_1) | instskip(NEXT) | instid1(VALU_DEP_3)
	v_fmac_f32_e32 v21, s47, v20
	v_fma_f32 v22, s46, v20, -v22
	s_delay_alu instid0(VALU_DEP_1)
	v_dual_add_f32 v19, v19, v21 :: v_dual_add_f32 v18, v18, v22
	s_branch .LBB299_2
.LBB299_53:
	s_endpgm
	.section	.rodata,"a",@progbits
	.p2align	6, 0x0
	.amdhsa_kernel _ZL20rocblas_gemvn_kernelILi32ELi16ElPK19rocblas_complex_numIfES3_KPS1_EviiT3_lPKT2_lT1_lS9_lSA_lS6_lPT4_lSA_li
		.amdhsa_group_segment_fixed_size 16384
		.amdhsa_private_segment_fixed_size 0
		.amdhsa_kernarg_size 400
		.amdhsa_user_sgpr_count 2
		.amdhsa_user_sgpr_dispatch_ptr 0
		.amdhsa_user_sgpr_queue_ptr 0
		.amdhsa_user_sgpr_kernarg_segment_ptr 1
		.amdhsa_user_sgpr_dispatch_id 0
		.amdhsa_user_sgpr_private_segment_size 0
		.amdhsa_wavefront_size32 1
		.amdhsa_uses_dynamic_stack 0
		.amdhsa_enable_private_segment 0
		.amdhsa_system_sgpr_workgroup_id_x 1
		.amdhsa_system_sgpr_workgroup_id_y 0
		.amdhsa_system_sgpr_workgroup_id_z 1
		.amdhsa_system_sgpr_workgroup_info 0
		.amdhsa_system_vgpr_workitem_id 1
		.amdhsa_next_free_vgpr 88
		.amdhsa_next_free_sgpr 55
		.amdhsa_reserve_vcc 1
		.amdhsa_float_round_mode_32 0
		.amdhsa_float_round_mode_16_64 0
		.amdhsa_float_denorm_mode_32 3
		.amdhsa_float_denorm_mode_16_64 3
		.amdhsa_fp16_overflow 0
		.amdhsa_workgroup_processor_mode 1
		.amdhsa_memory_ordered 1
		.amdhsa_forward_progress 1
		.amdhsa_inst_pref_size 37
		.amdhsa_round_robin_scheduling 0
		.amdhsa_exception_fp_ieee_invalid_op 0
		.amdhsa_exception_fp_denorm_src 0
		.amdhsa_exception_fp_ieee_div_zero 0
		.amdhsa_exception_fp_ieee_overflow 0
		.amdhsa_exception_fp_ieee_underflow 0
		.amdhsa_exception_fp_ieee_inexact 0
		.amdhsa_exception_int_div_zero 0
	.end_amdhsa_kernel
	.section	.text._ZL20rocblas_gemvn_kernelILi32ELi16ElPK19rocblas_complex_numIfES3_KPS1_EviiT3_lPKT2_lT1_lS9_lSA_lS6_lPT4_lSA_li,"axG",@progbits,_ZL20rocblas_gemvn_kernelILi32ELi16ElPK19rocblas_complex_numIfES3_KPS1_EviiT3_lPKT2_lT1_lS9_lSA_lS6_lPT4_lSA_li,comdat
.Lfunc_end299:
	.size	_ZL20rocblas_gemvn_kernelILi32ELi16ElPK19rocblas_complex_numIfES3_KPS1_EviiT3_lPKT2_lT1_lS9_lSA_lS6_lPT4_lSA_li, .Lfunc_end299-_ZL20rocblas_gemvn_kernelILi32ELi16ElPK19rocblas_complex_numIfES3_KPS1_EviiT3_lPKT2_lT1_lS9_lSA_lS6_lPT4_lSA_li
                                        ; -- End function
	.set _ZL20rocblas_gemvn_kernelILi32ELi16ElPK19rocblas_complex_numIfES3_KPS1_EviiT3_lPKT2_lT1_lS9_lSA_lS6_lPT4_lSA_li.num_vgpr, 88
	.set _ZL20rocblas_gemvn_kernelILi32ELi16ElPK19rocblas_complex_numIfES3_KPS1_EviiT3_lPKT2_lT1_lS9_lSA_lS6_lPT4_lSA_li.num_agpr, 0
	.set _ZL20rocblas_gemvn_kernelILi32ELi16ElPK19rocblas_complex_numIfES3_KPS1_EviiT3_lPKT2_lT1_lS9_lSA_lS6_lPT4_lSA_li.numbered_sgpr, 55
	.set _ZL20rocblas_gemvn_kernelILi32ELi16ElPK19rocblas_complex_numIfES3_KPS1_EviiT3_lPKT2_lT1_lS9_lSA_lS6_lPT4_lSA_li.num_named_barrier, 0
	.set _ZL20rocblas_gemvn_kernelILi32ELi16ElPK19rocblas_complex_numIfES3_KPS1_EviiT3_lPKT2_lT1_lS9_lSA_lS6_lPT4_lSA_li.private_seg_size, 0
	.set _ZL20rocblas_gemvn_kernelILi32ELi16ElPK19rocblas_complex_numIfES3_KPS1_EviiT3_lPKT2_lT1_lS9_lSA_lS6_lPT4_lSA_li.uses_vcc, 1
	.set _ZL20rocblas_gemvn_kernelILi32ELi16ElPK19rocblas_complex_numIfES3_KPS1_EviiT3_lPKT2_lT1_lS9_lSA_lS6_lPT4_lSA_li.uses_flat_scratch, 1
	.set _ZL20rocblas_gemvn_kernelILi32ELi16ElPK19rocblas_complex_numIfES3_KPS1_EviiT3_lPKT2_lT1_lS9_lSA_lS6_lPT4_lSA_li.has_dyn_sized_stack, 0
	.set _ZL20rocblas_gemvn_kernelILi32ELi16ElPK19rocblas_complex_numIfES3_KPS1_EviiT3_lPKT2_lT1_lS9_lSA_lS6_lPT4_lSA_li.has_recursion, 0
	.set _ZL20rocblas_gemvn_kernelILi32ELi16ElPK19rocblas_complex_numIfES3_KPS1_EviiT3_lPKT2_lT1_lS9_lSA_lS6_lPT4_lSA_li.has_indirect_call, 0
	.section	.AMDGPU.csdata,"",@progbits
; Kernel info:
; codeLenInByte = 4648
; TotalNumSgprs: 57
; NumVgprs: 88
; ScratchSize: 0
; MemoryBound: 0
; FloatMode: 240
; IeeeMode: 1
; LDSByteSize: 16384 bytes/workgroup (compile time only)
; SGPRBlocks: 0
; VGPRBlocks: 10
; NumSGPRsForWavesPerEU: 57
; NumVGPRsForWavesPerEU: 88
; Occupancy: 16
; WaveLimiterHint : 1
; COMPUTE_PGM_RSRC2:SCRATCH_EN: 0
; COMPUTE_PGM_RSRC2:USER_SGPR: 2
; COMPUTE_PGM_RSRC2:TRAP_HANDLER: 0
; COMPUTE_PGM_RSRC2:TGID_X_EN: 1
; COMPUTE_PGM_RSRC2:TGID_Y_EN: 0
; COMPUTE_PGM_RSRC2:TGID_Z_EN: 1
; COMPUTE_PGM_RSRC2:TIDIG_COMP_CNT: 1
	.section	.text._ZL20rocblas_gemvn_kernelILi32ELi16EiPK19rocblas_complex_numIfES1_KPS1_EviiT3_lPKT2_lT1_lS9_lSA_lS6_lPT4_lSA_li,"axG",@progbits,_ZL20rocblas_gemvn_kernelILi32ELi16EiPK19rocblas_complex_numIfES1_KPS1_EviiT3_lPKT2_lT1_lS9_lSA_lS6_lPT4_lSA_li,comdat
	.globl	_ZL20rocblas_gemvn_kernelILi32ELi16EiPK19rocblas_complex_numIfES1_KPS1_EviiT3_lPKT2_lT1_lS9_lSA_lS6_lPT4_lSA_li ; -- Begin function _ZL20rocblas_gemvn_kernelILi32ELi16EiPK19rocblas_complex_numIfES1_KPS1_EviiT3_lPKT2_lT1_lS9_lSA_lS6_lPT4_lSA_li
	.p2align	8
	.type	_ZL20rocblas_gemvn_kernelILi32ELi16EiPK19rocblas_complex_numIfES1_KPS1_EviiT3_lPKT2_lT1_lS9_lSA_lS6_lPT4_lSA_li,@function
_ZL20rocblas_gemvn_kernelILi32ELi16EiPK19rocblas_complex_numIfES1_KPS1_EviiT3_lPKT2_lT1_lS9_lSA_lS6_lPT4_lSA_li: ; @_ZL20rocblas_gemvn_kernelILi32ELi16EiPK19rocblas_complex_numIfES1_KPS1_EviiT3_lPKT2_lT1_lS9_lSA_lS6_lPT4_lSA_li
; %bb.0:
	s_clause 0x1
	s_load_b64 s[2:3], s[0:1], 0x9c
	s_load_b32 s29, s[0:1], 0x88
	s_lshr_b32 s24, ttmp7, 16
	s_wait_kmcnt 0x0
	s_lshr_b32 s4, s2, 16
	s_and_b32 s2, s2, 0xffff
	s_and_b32 s3, s3, 0xffff
	s_mul_i32 s2, s4, s2
	s_delay_alu instid0(SALU_CYCLE_1) | instskip(NEXT) | instid1(SALU_CYCLE_1)
	s_mul_i32 s2, s2, s3
	s_cmp_lg_u32 s2, 0x200
	s_cselect_b32 s2, -1, 0
	s_cmp_ge_u32 s24, s29
	s_cselect_b32 s3, -1, 0
	s_delay_alu instid0(SALU_CYCLE_1) | instskip(NEXT) | instid1(SALU_CYCLE_1)
	s_or_b32 s2, s2, s3
	s_and_b32 vcc_lo, exec_lo, s2
	s_cbranch_vccnz .LBB300_54
; %bb.1:
	s_clause 0x7
	s_load_b32 s4, s[0:1], 0x78
	s_load_b128 s[8:11], s[0:1], 0x0
	s_load_b64 s[26:27], s[0:1], 0x58
	s_load_b32 s30, s[0:1], 0x28
	s_load_b128 s[12:15], s[0:1], 0x38
	s_load_b32 s28, s[0:1], 0x48
	s_load_b128 s[16:19], s[0:1], 0x18
	s_load_b128 s[20:23], s[0:1], 0x68
	v_and_b32_e32 v5, 0x3ff, v0
	v_bfe_u32 v4, v0, 10, 10
	v_mov_b32_e32 v1, 0
	s_mov_b32 s25, 0
	s_delay_alu instid0(VALU_DEP_3) | instskip(NEXT) | instid1(VALU_DEP_3)
	v_lshlrev_b32_e32 v0, 3, v5
	v_lshlrev_b32_e32 v61, 2, v4
	v_lshl_add_u32 v2, v4, 5, v5
	s_delay_alu instid0(VALU_DEP_3)
	v_lshl_add_u32 v62, v4, 10, v0
	v_lshl_add_u32 v63, v4, 8, v0
	s_wait_kmcnt 0x0
	s_ashr_i32 s6, s4, 31
	s_cmp_neq_f32 s10, 0
	s_mov_b32 s2, s8
	v_mul_lo_u32 v0, s30, v61
	v_mul_lo_u32 v12, v4, s30
	s_cselect_b32 s0, -1, 0
	s_cmp_neq_f32 s11, 0
	v_or_b32_e32 v10, 2, v61
	v_or_b32_e32 v11, 3, v61
	s_cselect_b32 s1, -1, 0
	s_delay_alu instid0(VALU_DEP_4)
	v_add3_u32 v64, v0, s30, v5
	s_or_b32 s7, s0, s1
	s_cmp_neq_f32 s26, 1.0
	v_cmp_gt_u32_e64 s0, 0x80, v2
	v_mul_lo_u32 v66, s28, v10
	v_mul_lo_u32 v67, s28, v11
	s_cselect_b32 s37, -1, 0
	s_cmp_neq_f32 s27, 0
	s_cselect_b32 s40, -1, 0
	s_or_b32 s1, s10, s11
	s_delay_alu instid0(SALU_CYCLE_1) | instskip(NEXT) | instid1(SALU_CYCLE_1)
	s_bitset0_b32 s1, 31
	s_cmp_lg_u32 s1, 0
	s_cselect_b32 s31, -1, 0
	s_cmp_eq_u32 s1, 0
	s_cselect_b32 s33, -1, 0
	s_lshl_b32 s34, ttmp9, 7
	s_ashr_i32 s3, s8, 31
	v_add_nc_u32_e32 v0, s34, v2
	v_or_b32_e32 v2, s34, v2
	s_cmp_neq_f32 s26, 0
	s_delay_alu instid0(VALU_DEP_2) | instskip(SKIP_1) | instid1(VALU_DEP_3)
	v_mad_co_u64_u32 v[6:7], null, s4, v0, 0
	v_cmp_gt_i64_e32 vcc_lo, s[2:3], v[0:1]
	v_cmp_gt_i32_e64 s2, s8, v2
	v_mul_lo_u32 v8, s4, v2
	s_cselect_b32 s1, -1, 0
	s_ashr_i32 s5, s9, 31
	s_or_b32 s35, s1, s40
	v_dual_mov_b32 v2, v7 :: v_dual_add_nc_u32 v65, s34, v5
	s_wait_alu 0xfffe
	s_lshr_b32 s3, s5, 26
	s_wait_alu 0xfffe
	s_add_co_i32 s36, s9, s3
	v_add_nc_u32_e32 v3, 32, v65
	v_add_nc_u32_e32 v13, 0x60, v65
	;; [unrolled: 1-line block ×3, first 2 shown]
	s_and_not1_b32 s36, s36, 63
	v_cmp_gt_i32_e64 s1, s8, v65
	v_cmp_gt_i32_e64 s3, s8, v3
	v_mad_co_u64_u32 v[2:3], null, s6, v0, v[2:3]
	v_cmp_gt_i32_e64 s5, s8, v13
	v_mul_lo_u32 v13, v4, s28
	v_cmp_gt_i32_e64 s4, s8, v9
	v_ashrrev_i32_e32 v9, 31, v8
	s_sub_co_i32 s8, s9, s36
	v_lshl_add_u32 v0, v12, 2, v5
	v_mov_b32_e32 v7, v2
	v_mad_co_u64_u32 v[2:3], null, s30, v10, v[5:6]
	v_mad_co_u64_u32 v[3:4], null, s30, v11, v[5:6]
	;; [unrolled: 1-line block ×3, first 2 shown]
	s_wait_alu 0xfffe
	s_cmp_gt_i32 s8, 0
	v_lshlrev_b64_e32 v[5:6], 3, v[6:7]
	v_lshlrev_b64_e32 v[7:8], 3, v[8:9]
	v_cmp_gt_i32_e64 s6, s36, v61
	v_lshlrev_b32_e32 v68, 2, v13
	s_cselect_b32 s8, -1, 0
	s_or_b32 s7, s7, s37
	s_and_b32 s37, s0, vcc_lo
	s_lshl_b32 s38, s30, 6
	s_lshl_b32 s39, s28, 6
	s_wait_alu 0xfffe
	s_or_b32 s40, s7, s40
	s_lshl_b64 s[18:19], s[18:19], 3
	s_lshl_b64 s[14:15], s[14:15], 3
	s_lshl_b64 s[22:23], s[22:23], 3
	s_branch .LBB300_5
.LBB300_2:                              ;   in Loop: Header=BB300_5 Depth=1
	v_add_co_u32 v11, vcc_lo, v69, v7
	s_wait_alu 0xfffd
	v_add_co_ci_u32_e64 v12, null, v70, v8, vcc_lo
	flat_store_b64 v[11:12], v[9:10]
.LBB300_3:                              ;   in Loop: Header=BB300_5 Depth=1
	s_wait_alu 0xfffe
	s_or_b32 exec_lo, exec_lo, s7
.LBB300_4:                              ;   in Loop: Header=BB300_5 Depth=1
	s_add_co_i32 s24, s24, 0x10000
	s_delay_alu instid0(SALU_CYCLE_1)
	s_cmp_lt_u32 s24, s29
	s_cbranch_scc0 .LBB300_54
.LBB300_5:                              ; =>This Loop Header: Depth=1
                                        ;     Child Loop BB300_26 Depth 2
	s_and_not1_b32 vcc_lo, exec_lo, s40
	s_wait_alu 0xfffe
	s_cbranch_vccnz .LBB300_4
; %bb.6:                                ;   in Loop: Header=BB300_5 Depth=1
	s_and_not1_b32 vcc_lo, exec_lo, s33
	s_wait_alu 0xfffe
	s_cbranch_vccnz .LBB300_8
; %bb.7:                                ;   in Loop: Header=BB300_5 Depth=1
	s_mov_b32 s7, 0
	s_branch .LBB300_9
.LBB300_8:                              ;   in Loop: Header=BB300_5 Depth=1
	s_mov_b32 s7, -1
.LBB300_9:                              ;   in Loop: Header=BB300_5 Depth=1
	v_mov_b32_e32 v19, 0
	v_dual_mov_b32 v20, 0 :: v_dual_mov_b32 v17, 0
	v_mov_b32_e32 v18, 0
	s_wait_alu 0xfffe
	s_and_not1_b32 vcc_lo, exec_lo, s7
	s_wait_alu 0xfffe
	s_cbranch_vccnz .LBB300_11
; %bb.10:                               ;   in Loop: Header=BB300_5 Depth=1
	s_lshl_b64 s[42:43], s[24:25], 3
	s_wait_alu 0xfffe
	s_add_nc_u64 s[42:43], s[16:17], s[42:43]
	global_load_b64 v[9:10], v1, s[42:43]
	s_wait_loadcnt 0x0
	v_add_co_u32 v17, vcc_lo, v9, s18
	s_wait_alu 0xfffd
	v_add_co_ci_u32_e64 v18, null, s19, v10, vcc_lo
.LBB300_11:                             ;   in Loop: Header=BB300_5 Depth=1
	s_and_not1_b32 vcc_lo, exec_lo, s31
	s_wait_alu 0xfffe
	s_cbranch_vccnz .LBB300_13
; %bb.12:                               ;   in Loop: Header=BB300_5 Depth=1
	s_lshl_b64 s[42:43], s[24:25], 3
	s_wait_alu 0xfffe
	s_add_nc_u64 s[42:43], s[12:13], s[42:43]
	global_load_b64 v[9:10], v1, s[42:43]
	s_wait_loadcnt 0x0
	v_add_co_u32 v19, vcc_lo, v9, s14
	s_wait_alu 0xfffd
	v_add_co_ci_u32_e64 v20, null, s15, v10, vcc_lo
.LBB300_13:                             ;   in Loop: Header=BB300_5 Depth=1
	s_lshl_b64 s[42:43], s[24:25], 3
	s_mov_b32 s7, -1
	s_wait_alu 0xfffe
	s_add_nc_u64 s[42:43], s[20:21], s[42:43]
	global_load_b64 v[9:10], v1, s[42:43]
	s_wait_loadcnt 0x0
	v_add_co_u32 v69, vcc_lo, v9, s22
	s_wait_alu 0xfffd
	v_add_co_ci_u32_e64 v70, null, s23, v10, vcc_lo
	s_and_not1_b32 vcc_lo, exec_lo, s33
	s_wait_alu 0xfffe
	s_cbranch_vccnz .LBB300_19
; %bb.14:                               ;   in Loop: Header=BB300_5 Depth=1
	s_and_saveexec_b32 s7, s37
	s_cbranch_execz .LBB300_18
; %bb.15:                               ;   in Loop: Header=BB300_5 Depth=1
	v_dual_mov_b32 v9, 0 :: v_dual_mov_b32 v10, 0
	s_and_not1_b32 vcc_lo, exec_lo, s35
	s_wait_alu 0xfffe
	s_cbranch_vccnz .LBB300_17
; %bb.16:                               ;   in Loop: Header=BB300_5 Depth=1
	v_add_co_u32 v9, vcc_lo, v69, v5
	s_wait_alu 0xfffd
	v_add_co_ci_u32_e64 v10, null, v70, v6, vcc_lo
	flat_load_b64 v[11:12], v[9:10]
	s_wait_loadcnt_dscnt 0x0
	v_mul_f32_e32 v10, s26, v12
	s_delay_alu instid0(VALU_DEP_1) | instskip(NEXT) | instid1(VALU_DEP_1)
	v_dual_mul_f32 v9, s27, v12 :: v_dual_fmac_f32 v10, s27, v11
	v_fma_f32 v9, s26, v11, -v9
.LBB300_17:                             ;   in Loop: Header=BB300_5 Depth=1
	v_add_co_u32 v11, vcc_lo, v69, v5
	s_wait_alu 0xfffd
	v_add_co_ci_u32_e64 v12, null, v70, v6, vcc_lo
	flat_store_b64 v[11:12], v[9:10]
.LBB300_18:                             ;   in Loop: Header=BB300_5 Depth=1
	s_wait_alu 0xfffe
	s_or_b32 exec_lo, exec_lo, s7
	s_mov_b32 s7, 0
.LBB300_19:                             ;   in Loop: Header=BB300_5 Depth=1
	s_wait_alu 0xfffe
	s_and_not1_b32 vcc_lo, exec_lo, s7
	s_wait_alu 0xfffe
	s_cbranch_vccnz .LBB300_4
; %bb.20:                               ;   in Loop: Header=BB300_5 Depth=1
	v_dual_mov_b32 v10, 0 :: v_dual_mov_b32 v71, v61
	v_dual_mov_b32 v9, 0 :: v_dual_mov_b32 v12, 0
	;; [unrolled: 1-line block ×4, first 2 shown]
	v_mov_b32_e32 v15, 0
	s_and_saveexec_b32 s7, s6
	s_cbranch_execz .LBB300_32
; %bb.21:                               ;   in Loop: Header=BB300_5 Depth=1
	v_dual_mov_b32 v10, 0 :: v_dual_mov_b32 v73, v3
	v_dual_mov_b32 v72, v0 :: v_dual_mov_b32 v75, v64
	;; [unrolled: 1-line block ×3, first 2 shown]
	s_delay_alu instid0(VALU_DEP_3)
	v_dual_mov_b32 v9, v10 :: v_dual_mov_b32 v12, v10
	v_dual_mov_b32 v11, v10 :: v_dual_mov_b32 v14, v10
	;; [unrolled: 1-line block ×3, first 2 shown]
	v_mov_b32_e32 v15, v10
	s_mov_b32 s41, 0
	s_mov_b32 s42, 0
	s_branch .LBB300_26
.LBB300_22:                             ;   in Loop: Header=BB300_26 Depth=2
	s_or_b32 exec_lo, exec_lo, s46
	s_wait_loadcnt_dscnt 0x303
	v_mul_f32_e32 v53, v34, v52
	v_mul_f32_e32 v52, v33, v52
	s_wait_loadcnt_dscnt 0x101
	v_dual_mul_f32 v54, v30, v50 :: v_dual_mul_f32 v55, v24, v48
	v_mul_f32_e32 v50, v29, v50
	v_fma_f32 v53, v33, v51, -v53
	v_fmac_f32_e32 v52, v34, v51
	s_delay_alu instid0(VALU_DEP_4) | instskip(SKIP_4) | instid1(VALU_DEP_2)
	v_fma_f32 v54, v29, v49, -v54
	s_wait_loadcnt_dscnt 0x0
	v_mul_f32_e32 v51, v22, v46
	v_dual_mul_f32 v46, v21, v46 :: v_dual_add_f32 v11, v11, v53
	v_mul_f32_e32 v48, v23, v48
	v_fmac_f32_e32 v46, v22, v45
	s_delay_alu instid0(VALU_DEP_3) | instskip(SKIP_4) | instid1(VALU_DEP_3)
	v_add_f32_e32 v11, v54, v11
	v_fmac_f32_e32 v50, v30, v49
	v_fma_f32 v49, v23, v47, -v55
	v_fmac_f32_e32 v48, v24, v47
	v_fma_f32 v47, v21, v45, -v51
	v_dual_add_f32 v11, v49, v11 :: v_dual_add_f32 v12, v12, v52
	s_delay_alu instid0(VALU_DEP_1) | instskip(NEXT) | instid1(VALU_DEP_1)
	v_dual_add_f32 v11, v47, v11 :: v_dual_add_f32 v12, v50, v12
	v_add_f32_e32 v12, v48, v12
	s_delay_alu instid0(VALU_DEP_1)
	v_add_f32_e32 v12, v46, v12
.LBB300_23:                             ;   in Loop: Header=BB300_26 Depth=2
	s_or_b32 exec_lo, exec_lo, s45
	s_wait_loadcnt_dscnt 0x303
	v_mul_f32_e32 v45, v34, v44
	s_wait_loadcnt_dscnt 0x101
	v_dual_mul_f32 v46, v30, v42 :: v_dual_mul_f32 v47, v24, v40
	v_mul_f32_e32 v42, v29, v42
	v_mul_f32_e32 v44, v33, v44
	v_fma_f32 v45, v33, v43, -v45
	v_mul_f32_e32 v40, v23, v40
	v_fma_f32 v46, v29, v41, -v46
	v_fmac_f32_e32 v42, v30, v41
	v_fma_f32 v41, v23, v39, -v47
	s_delay_alu instid0(VALU_DEP_4) | instskip(NEXT) | instid1(VALU_DEP_1)
	v_dual_add_f32 v13, v13, v45 :: v_dual_fmac_f32 v40, v24, v39
	v_add_f32_e32 v13, v46, v13
	v_fmac_f32_e32 v44, v34, v43
	s_wait_loadcnt_dscnt 0x0
	v_mul_f32_e32 v43, v22, v38
	v_mul_f32_e32 v38, v21, v38
	v_add_f32_e32 v13, v41, v13
	s_delay_alu instid0(VALU_DEP_3) | instskip(SKIP_1) | instid1(VALU_DEP_4)
	v_fma_f32 v39, v21, v37, -v43
	v_add_f32_e32 v14, v14, v44
	v_fmac_f32_e32 v38, v22, v37
	s_delay_alu instid0(VALU_DEP_2) | instskip(NEXT) | instid1(VALU_DEP_1)
	v_dual_add_f32 v13, v39, v13 :: v_dual_add_f32 v14, v42, v14
	v_add_f32_e32 v14, v40, v14
	s_delay_alu instid0(VALU_DEP_1)
	v_add_f32_e32 v14, v38, v14
.LBB300_24:                             ;   in Loop: Header=BB300_26 Depth=2
	s_or_b32 exec_lo, exec_lo, s44
	s_wait_loadcnt_dscnt 0x303
	v_mul_f32_e32 v37, v34, v36
	v_mul_f32_e32 v36, v33, v36
	s_wait_loadcnt_dscnt 0x101
	s_delay_alu instid0(VALU_DEP_1)
	v_dual_mul_f32 v39, v24, v28 :: v_dual_fmac_f32 v36, v34, v35
	s_wait_loadcnt_dscnt 0x0
	v_mul_f32_e32 v34, v22, v26
	v_mul_f32_e32 v26, v21, v26
	v_fma_f32 v33, v33, v35, -v37
	v_add_f32_e32 v16, v16, v36
	s_delay_alu instid0(VALU_DEP_4) | instskip(SKIP_1) | instid1(VALU_DEP_4)
	v_fma_f32 v21, v21, v25, -v34
	v_mul_f32_e32 v28, v23, v28
	v_dual_add_f32 v15, v15, v33 :: v_dual_mul_f32 v38, v30, v32
	v_fma_f32 v23, v23, v27, -v39
	v_mul_f32_e32 v32, v29, v32
	v_fmac_f32_e32 v26, v22, v25
	s_delay_alu instid0(VALU_DEP_4) | instskip(NEXT) | instid1(VALU_DEP_1)
	v_fma_f32 v29, v29, v31, -v38
	v_add_f32_e32 v15, v29, v15
	s_delay_alu instid0(VALU_DEP_1) | instskip(SKIP_1) | instid1(VALU_DEP_2)
	v_add_f32_e32 v15, v23, v15
	v_fmac_f32_e32 v32, v30, v31
	v_add_f32_e32 v15, v21, v15
	v_fmac_f32_e32 v28, v24, v27
	s_delay_alu instid0(VALU_DEP_3) | instskip(NEXT) | instid1(VALU_DEP_1)
	v_add_f32_e32 v16, v32, v16
	v_add_f32_e32 v16, v28, v16
	s_delay_alu instid0(VALU_DEP_1)
	v_add_f32_e32 v16, v26, v16
.LBB300_25:                             ;   in Loop: Header=BB300_26 Depth=2
	s_wait_alu 0xfffe
	s_or_b32 exec_lo, exec_lo, s43
	v_add_nc_u32_e32 v71, 64, v71
	v_add_nc_u32_e32 v75, s38, v75
	;; [unrolled: 1-line block ×5, first 2 shown]
	v_cmp_le_i32_e32 vcc_lo, s36, v71
	s_add_co_i32 s42, s42, s39
	s_or_b32 s41, vcc_lo, s41
	s_delay_alu instid0(SALU_CYCLE_1)
	s_and_not1_b32 exec_lo, exec_lo, s41
	s_cbranch_execz .LBB300_31
.LBB300_26:                             ;   Parent Loop BB300_5 Depth=1
                                        ; =>  This Inner Loop Header: Depth=2
	s_and_saveexec_b32 s43, s1
	s_cbranch_execz .LBB300_25
; %bb.27:                               ;   in Loop: Header=BB300_26 Depth=2
	s_wait_alu 0xfffe
	v_add_nc_u32_e32 v21, s42, v68
	v_add_nc_u32_e32 v23, s42, v4
	;; [unrolled: 1-line block ×5, first 2 shown]
	v_ashrrev_i32_e32 v22, 31, v21
	v_ashrrev_i32_e32 v24, 31, v23
	;; [unrolled: 1-line block ×3, first 2 shown]
	v_add_nc_u32_e32 v31, s34, v75
	v_ashrrev_i32_e32 v28, 31, v27
	v_lshlrev_b64_e32 v[21:22], 3, v[21:22]
	v_lshlrev_b64_e32 v[23:24], 3, v[23:24]
	v_ashrrev_i32_e32 v30, 31, v29
	v_lshlrev_b64_e32 v[25:26], 3, v[25:26]
	v_ashrrev_i32_e32 v32, 31, v31
	v_lshlrev_b64_e32 v[27:28], 3, v[27:28]
	v_add_co_u32 v21, vcc_lo, v19, v21
	v_add_nc_u32_e32 v33, s34, v74
	s_wait_alu 0xfffd
	v_add_co_ci_u32_e64 v22, null, v20, v22, vcc_lo
	v_add_co_u32 v23, vcc_lo, v19, v23
	v_lshlrev_b64_e32 v[29:30], 3, v[29:30]
	v_add_nc_u32_e32 v35, s34, v73
	s_wait_alu 0xfffd
	v_add_co_ci_u32_e64 v24, null, v20, v24, vcc_lo
	v_add_co_u32 v25, vcc_lo, v19, v25
	v_lshlrev_b64_e32 v[31:32], 3, v[31:32]
	v_ashrrev_i32_e32 v34, 31, v33
	s_wait_alu 0xfffd
	v_add_co_ci_u32_e64 v26, null, v20, v26, vcc_lo
	v_add_co_u32 v27, vcc_lo, v19, v27
	v_ashrrev_i32_e32 v36, 31, v35
	s_wait_alu 0xfffd
	v_add_co_ci_u32_e64 v28, null, v20, v28, vcc_lo
	v_add_co_u32 v59, vcc_lo, v17, v29
	s_wait_alu 0xfffd
	v_add_co_ci_u32_e64 v60, null, v18, v30, vcc_lo
	v_lshlrev_b64_e32 v[29:30], 3, v[33:34]
	v_add_co_u32 v57, vcc_lo, v17, v31
	s_wait_alu 0xfffd
	v_add_co_ci_u32_e64 v58, null, v18, v32, vcc_lo
	v_lshlrev_b64_e32 v[31:32], 3, v[35:36]
	s_delay_alu instid0(VALU_DEP_4) | instskip(SKIP_2) | instid1(VALU_DEP_3)
	v_add_co_u32 v55, vcc_lo, v17, v29
	s_wait_alu 0xfffd
	v_add_co_ci_u32_e64 v56, null, v18, v30, vcc_lo
	v_add_co_u32 v53, vcc_lo, v17, v31
	s_wait_alu 0xfffd
	v_add_co_ci_u32_e64 v54, null, v18, v32, vcc_lo
	s_clause 0x3
	flat_load_b64 v[33:34], v[21:22]
	flat_load_b64 v[29:30], v[23:24]
	;; [unrolled: 1-line block ×4, first 2 shown]
	s_clause 0x3
	flat_load_b64 v[35:36], v[59:60]
	flat_load_b64 v[31:32], v[57:58]
	flat_load_b64 v[27:28], v[55:56]
	flat_load_b64 v[25:26], v[53:54]
	s_and_saveexec_b32 s44, s3
	s_cbranch_execz .LBB300_24
; %bb.28:                               ;   in Loop: Header=BB300_26 Depth=2
	s_clause 0x3
	flat_load_b64 v[43:44], v[59:60] offset:256
	flat_load_b64 v[41:42], v[57:58] offset:256
	flat_load_b64 v[39:40], v[55:56] offset:256
	flat_load_b64 v[37:38], v[53:54] offset:256
	s_and_saveexec_b32 s45, s4
	s_cbranch_execz .LBB300_23
; %bb.29:                               ;   in Loop: Header=BB300_26 Depth=2
	s_clause 0x3
	flat_load_b64 v[51:52], v[59:60] offset:512
	flat_load_b64 v[49:50], v[57:58] offset:512
	flat_load_b64 v[47:48], v[55:56] offset:512
	flat_load_b64 v[45:46], v[53:54] offset:512
	;; [unrolled: 8-line block ×3, first 2 shown]
	s_wait_loadcnt_dscnt 0x101
	v_dual_mul_f32 v77, v30, v58 :: v_dual_mul_f32 v78, v24, v56
	v_mul_f32_e32 v58, v29, v58
	s_delay_alu instid0(VALU_DEP_2) | instskip(SKIP_2) | instid1(VALU_DEP_4)
	v_fma_f32 v77, v29, v57, -v77
	v_mul_f32_e32 v76, v34, v60
	v_mul_f32_e32 v60, v33, v60
	v_fmac_f32_e32 v58, v30, v57
	v_fma_f32 v57, v23, v55, -v78
	s_delay_alu instid0(VALU_DEP_4) | instskip(NEXT) | instid1(VALU_DEP_4)
	v_fma_f32 v76, v33, v59, -v76
	v_fmac_f32_e32 v60, v34, v59
	s_wait_loadcnt_dscnt 0x0
	v_mul_f32_e32 v59, v22, v54
	v_mul_f32_e32 v54, v21, v54
	v_add_f32_e32 v9, v9, v76
	v_add_f32_e32 v10, v10, v60
	s_delay_alu instid0(VALU_DEP_3) | instskip(NEXT) | instid1(VALU_DEP_3)
	v_fmac_f32_e32 v54, v22, v53
	v_dual_add_f32 v9, v77, v9 :: v_dual_mul_f32 v56, v23, v56
	s_delay_alu instid0(VALU_DEP_1) | instskip(NEXT) | instid1(VALU_DEP_2)
	v_dual_add_f32 v10, v58, v10 :: v_dual_add_f32 v9, v57, v9
	v_fmac_f32_e32 v56, v24, v55
	v_fma_f32 v55, v21, v53, -v59
	s_delay_alu instid0(VALU_DEP_1) | instskip(NEXT) | instid1(VALU_DEP_1)
	v_dual_add_f32 v10, v56, v10 :: v_dual_add_f32 v9, v55, v9
	v_add_f32_e32 v10, v54, v10
	s_branch .LBB300_22
.LBB300_31:                             ;   in Loop: Header=BB300_5 Depth=1
	s_or_b32 exec_lo, exec_lo, s41
.LBB300_32:                             ;   in Loop: Header=BB300_5 Depth=1
	s_wait_alu 0xfffe
	s_or_b32 exec_lo, exec_lo, s7
	s_delay_alu instid0(SALU_CYCLE_1)
	s_and_not1_b32 vcc_lo, exec_lo, s8
	s_wait_alu 0xfffe
	s_cbranch_vccnz .LBB300_50
; %bb.33:                               ;   in Loop: Header=BB300_5 Depth=1
	v_cmp_gt_i32_e32 vcc_lo, s9, v71
	v_dual_mov_b32 v21, 0 :: v_dual_mov_b32 v22, 0
	v_or_b32_e32 v29, 1, v71
	v_dual_mov_b32 v23, 0 :: v_dual_mov_b32 v24, 0
	v_dual_mov_b32 v25, 0 :: v_dual_mov_b32 v26, 0
	;; [unrolled: 1-line block ×3, first 2 shown]
	s_and_saveexec_b32 s41, vcc_lo
	s_cbranch_execz .LBB300_41
; %bb.34:                               ;   in Loop: Header=BB300_5 Depth=1
	v_mul_lo_u32 v21, v71, s28
	v_dual_mov_b32 v28, 0 :: v_dual_mov_b32 v27, 0
	v_dual_mov_b32 v26, 0 :: v_dual_mov_b32 v25, 0
	;; [unrolled: 1-line block ×3, first 2 shown]
	s_mov_b32 s42, exec_lo
	s_delay_alu instid0(VALU_DEP_4) | instskip(NEXT) | instid1(VALU_DEP_1)
	v_ashrrev_i32_e32 v22, 31, v21
	v_lshlrev_b64_e32 v[21:22], 3, v[21:22]
	s_delay_alu instid0(VALU_DEP_1) | instskip(SKIP_1) | instid1(VALU_DEP_2)
	v_add_co_u32 v21, s7, v19, v21
	s_wait_alu 0xf1ff
	v_add_co_ci_u32_e64 v22, null, v20, v22, s7
	flat_load_b64 v[21:22], v[21:22]
	v_cmpx_gt_i32_e64 s9, v29
	s_cbranch_execz .LBB300_40
; %bb.35:                               ;   in Loop: Header=BB300_5 Depth=1
	v_mul_lo_u32 v23, v29, s28
	v_or_b32_e32 v30, 2, v71
	v_dual_mov_b32 v28, 0 :: v_dual_mov_b32 v27, 0
	v_dual_mov_b32 v26, 0 :: v_dual_mov_b32 v25, 0
	s_mov_b32 s43, exec_lo
	s_delay_alu instid0(VALU_DEP_4) | instskip(NEXT) | instid1(VALU_DEP_1)
	v_ashrrev_i32_e32 v24, 31, v23
	v_lshlrev_b64_e32 v[23:24], 3, v[23:24]
	s_delay_alu instid0(VALU_DEP_1) | instskip(SKIP_1) | instid1(VALU_DEP_2)
	v_add_co_u32 v23, s7, v19, v23
	s_wait_alu 0xf1ff
	v_add_co_ci_u32_e64 v24, null, v20, v24, s7
	flat_load_b64 v[23:24], v[23:24]
	v_cmpx_gt_i32_e64 s9, v30
	s_cbranch_execz .LBB300_39
; %bb.36:                               ;   in Loop: Header=BB300_5 Depth=1
	v_mul_lo_u32 v25, v30, s28
	v_or_b32_e32 v30, 3, v71
	v_dual_mov_b32 v28, 0 :: v_dual_mov_b32 v27, 0
	s_mov_b32 s44, exec_lo
	s_delay_alu instid0(VALU_DEP_3) | instskip(NEXT) | instid1(VALU_DEP_1)
	v_ashrrev_i32_e32 v26, 31, v25
	v_lshlrev_b64_e32 v[25:26], 3, v[25:26]
	s_delay_alu instid0(VALU_DEP_1) | instskip(SKIP_1) | instid1(VALU_DEP_2)
	v_add_co_u32 v25, s7, v19, v25
	s_wait_alu 0xf1ff
	v_add_co_ci_u32_e64 v26, null, v20, v26, s7
	flat_load_b64 v[25:26], v[25:26]
	v_cmpx_gt_i32_e64 s9, v30
	s_cbranch_execz .LBB300_38
; %bb.37:                               ;   in Loop: Header=BB300_5 Depth=1
	v_mul_lo_u32 v27, v30, s28
	s_delay_alu instid0(VALU_DEP_1) | instskip(NEXT) | instid1(VALU_DEP_1)
	v_ashrrev_i32_e32 v28, 31, v27
	v_lshlrev_b64_e32 v[27:28], 3, v[27:28]
	s_delay_alu instid0(VALU_DEP_1) | instskip(SKIP_1) | instid1(VALU_DEP_2)
	v_add_co_u32 v19, s7, v19, v27
	s_wait_alu 0xf1ff
	v_add_co_ci_u32_e64 v20, null, v20, v28, s7
	flat_load_b64 v[27:28], v[19:20]
.LBB300_38:                             ;   in Loop: Header=BB300_5 Depth=1
	s_or_b32 exec_lo, exec_lo, s44
.LBB300_39:                             ;   in Loop: Header=BB300_5 Depth=1
	s_wait_alu 0xfffe
	s_or_b32 exec_lo, exec_lo, s43
.LBB300_40:                             ;   in Loop: Header=BB300_5 Depth=1
	s_wait_alu 0xfffe
	s_or_b32 exec_lo, exec_lo, s42
.LBB300_41:                             ;   in Loop: Header=BB300_5 Depth=1
	s_delay_alu instid0(SALU_CYCLE_1)
	s_or_b32 exec_lo, exec_lo, s41
	s_and_saveexec_b32 s7, s1
	s_cbranch_execz .LBB300_49
; %bb.42:                               ;   in Loop: Header=BB300_5 Depth=1
	v_mul_lo_u32 v20, v71, s30
	v_or_b32_e32 v19, 2, v71
	v_mul_lo_u32 v31, v29, s30
	v_or_b32_e32 v30, 3, v71
	s_delay_alu instid0(VALU_DEP_3) | instskip(NEXT) | instid1(VALU_DEP_2)
	v_mul_lo_u32 v32, v19, s30
	v_mul_lo_u32 v33, v30, s30
	v_cndmask_b32_e32 v20, 0, v20, vcc_lo
	v_cmp_gt_i32_e32 vcc_lo, s9, v29
	s_wait_alu 0xfffd
	v_cndmask_b32_e32 v29, 0, v31, vcc_lo
	v_cmp_gt_i32_e32 vcc_lo, s9, v19
	v_add_nc_u32_e32 v19, v20, v65
	s_delay_alu instid0(VALU_DEP_3)
	v_add_nc_u32_e32 v29, v29, v65
	s_wait_alu 0xfffd
	v_cndmask_b32_e32 v31, 0, v32, vcc_lo
	v_cmp_gt_i32_e32 vcc_lo, s9, v30
	v_ashrrev_i32_e32 v20, 31, v19
	s_wait_alu 0xfffd
	v_cndmask_b32_e32 v30, 0, v33, vcc_lo
	v_add_nc_u32_e32 v31, v31, v65
	s_delay_alu instid0(VALU_DEP_3) | instskip(NEXT) | instid1(VALU_DEP_3)
	v_lshlrev_b64_e32 v[19:20], 3, v[19:20]
	v_add_nc_u32_e32 v33, v30, v65
	v_ashrrev_i32_e32 v30, 31, v29
	s_delay_alu instid0(VALU_DEP_4) | instskip(NEXT) | instid1(VALU_DEP_4)
	v_ashrrev_i32_e32 v32, 31, v31
	v_add_co_u32 v55, vcc_lo, v17, v19
	s_delay_alu instid0(VALU_DEP_4) | instskip(NEXT) | instid1(VALU_DEP_4)
	v_ashrrev_i32_e32 v34, 31, v33
	v_lshlrev_b64_e32 v[29:30], 3, v[29:30]
	s_delay_alu instid0(VALU_DEP_4) | instskip(SKIP_3) | instid1(VALU_DEP_4)
	v_lshlrev_b64_e32 v[31:32], 3, v[31:32]
	s_wait_alu 0xfffd
	v_add_co_ci_u32_e64 v56, null, v18, v20, vcc_lo
	v_lshlrev_b64_e32 v[33:34], 3, v[33:34]
	v_add_co_u32 v53, vcc_lo, v17, v29
	s_wait_alu 0xfffd
	v_add_co_ci_u32_e64 v54, null, v18, v30, vcc_lo
	v_add_co_u32 v51, vcc_lo, v17, v31
	s_wait_alu 0xfffd
	v_add_co_ci_u32_e64 v52, null, v18, v32, vcc_lo
	;; [unrolled: 3-line block ×3, first 2 shown]
	s_clause 0x3
	flat_load_b64 v[31:32], v[55:56]
	flat_load_b64 v[29:30], v[53:54]
	;; [unrolled: 1-line block ×4, first 2 shown]
	s_and_saveexec_b32 s41, s3
	s_cbranch_execz .LBB300_48
; %bb.43:                               ;   in Loop: Header=BB300_5 Depth=1
	s_clause 0x3
	flat_load_b64 v[39:40], v[55:56] offset:256
	flat_load_b64 v[37:38], v[53:54] offset:256
	flat_load_b64 v[35:36], v[51:52] offset:256
	flat_load_b64 v[33:34], v[49:50] offset:256
	s_and_saveexec_b32 s42, s4
	s_cbranch_execz .LBB300_47
; %bb.44:                               ;   in Loop: Header=BB300_5 Depth=1
	s_clause 0x3
	flat_load_b64 v[47:48], v[55:56] offset:512
	flat_load_b64 v[45:46], v[53:54] offset:512
	flat_load_b64 v[43:44], v[51:52] offset:512
	flat_load_b64 v[41:42], v[49:50] offset:512
	;; [unrolled: 8-line block ×3, first 2 shown]
	s_wait_loadcnt_dscnt 0x202
	v_dual_mul_f32 v57, v22, v56 :: v_dual_mul_f32 v58, v24, v54
	v_mul_f32_e32 v56, v21, v56
	s_wait_loadcnt_dscnt 0x101
	v_dual_mul_f32 v54, v23, v54 :: v_dual_mul_f32 v59, v26, v52
	s_delay_alu instid0(VALU_DEP_3)
	v_fma_f32 v57, v21, v55, -v57
	v_fma_f32 v58, v23, v53, -v58
	s_wait_loadcnt_dscnt 0x0
	v_dual_fmac_f32 v56, v22, v55 :: v_dual_mul_f32 v55, v28, v50
	v_fmac_f32_e32 v54, v24, v53
	v_add_f32_e32 v9, v9, v57
	v_mul_f32_e32 v52, v25, v52
	v_fma_f32 v53, v25, v51, -v59
	s_delay_alu instid0(VALU_DEP_3) | instskip(SKIP_1) | instid1(VALU_DEP_2)
	v_dual_mul_f32 v50, v27, v50 :: v_dual_add_f32 v9, v58, v9
	v_add_f32_e32 v10, v10, v56
	v_fmac_f32_e32 v50, v28, v49
	s_delay_alu instid0(VALU_DEP_3) | instskip(NEXT) | instid1(VALU_DEP_3)
	v_dual_add_f32 v9, v53, v9 :: v_dual_fmac_f32 v52, v26, v51
	v_add_f32_e32 v10, v54, v10
	v_fma_f32 v51, v27, v49, -v55
	s_delay_alu instid0(VALU_DEP_1) | instskip(NEXT) | instid1(VALU_DEP_1)
	v_dual_add_f32 v9, v51, v9 :: v_dual_add_f32 v10, v52, v10
	v_add_f32_e32 v10, v50, v10
.LBB300_46:                             ;   in Loop: Header=BB300_5 Depth=1
	s_wait_alu 0xfffe
	s_or_b32 exec_lo, exec_lo, s43
	s_wait_loadcnt_dscnt 0x202
	v_dual_mul_f32 v49, v22, v48 :: v_dual_mul_f32 v50, v24, v46
	v_mul_f32_e32 v48, v21, v48
	s_wait_loadcnt_dscnt 0x101
	v_dual_mul_f32 v46, v23, v46 :: v_dual_mul_f32 v51, v26, v44
	s_delay_alu instid0(VALU_DEP_3)
	v_fma_f32 v49, v21, v47, -v49
	v_mul_f32_e32 v44, v25, v44
	v_fmac_f32_e32 v48, v22, v47
	v_fma_f32 v50, v23, v45, -v50
	s_wait_loadcnt_dscnt 0x0
	v_mul_f32_e32 v47, v28, v42
	v_add_f32_e32 v11, v11, v49
	v_fmac_f32_e32 v46, v24, v45
	v_fma_f32 v45, v25, v43, -v51
	v_mul_f32_e32 v42, v27, v42
	v_fmac_f32_e32 v44, v26, v43
	v_dual_add_f32 v11, v50, v11 :: v_dual_add_f32 v12, v12, v48
	v_fma_f32 v43, v27, v41, -v47
	s_delay_alu instid0(VALU_DEP_2) | instskip(NEXT) | instid1(VALU_DEP_1)
	v_dual_fmac_f32 v42, v28, v41 :: v_dual_add_f32 v11, v45, v11
	v_dual_add_f32 v12, v46, v12 :: v_dual_add_f32 v11, v43, v11
	s_delay_alu instid0(VALU_DEP_1) | instskip(NEXT) | instid1(VALU_DEP_1)
	v_add_f32_e32 v12, v44, v12
	v_add_f32_e32 v12, v42, v12
.LBB300_47:                             ;   in Loop: Header=BB300_5 Depth=1
	s_wait_alu 0xfffe
	s_or_b32 exec_lo, exec_lo, s42
	s_wait_loadcnt_dscnt 0x202
	v_dual_mul_f32 v41, v22, v40 :: v_dual_mul_f32 v42, v24, v38
	v_mul_f32_e32 v40, v21, v40
	s_wait_loadcnt_dscnt 0x101
	v_dual_mul_f32 v38, v23, v38 :: v_dual_mul_f32 v43, v26, v36
	s_delay_alu instid0(VALU_DEP_3)
	v_fma_f32 v41, v21, v39, -v41
	v_fma_f32 v42, v23, v37, -v42
	s_wait_loadcnt_dscnt 0x0
	v_dual_fmac_f32 v40, v22, v39 :: v_dual_mul_f32 v39, v28, v34
	v_fmac_f32_e32 v38, v24, v37
	v_add_f32_e32 v13, v13, v41
	v_mul_f32_e32 v36, v25, v36
	v_fma_f32 v37, v25, v35, -v43
	s_delay_alu instid0(VALU_DEP_3) | instskip(SKIP_1) | instid1(VALU_DEP_2)
	v_dual_mul_f32 v34, v27, v34 :: v_dual_add_f32 v13, v42, v13
	v_add_f32_e32 v14, v14, v40
	v_fmac_f32_e32 v34, v28, v33
	s_delay_alu instid0(VALU_DEP_3) | instskip(NEXT) | instid1(VALU_DEP_3)
	v_dual_add_f32 v13, v37, v13 :: v_dual_fmac_f32 v36, v26, v35
	v_add_f32_e32 v14, v38, v14
	v_fma_f32 v35, v27, v33, -v39
	s_delay_alu instid0(VALU_DEP_1) | instskip(NEXT) | instid1(VALU_DEP_1)
	v_dual_add_f32 v13, v35, v13 :: v_dual_add_f32 v14, v36, v14
	v_add_f32_e32 v14, v34, v14
.LBB300_48:                             ;   in Loop: Header=BB300_5 Depth=1
	s_or_b32 exec_lo, exec_lo, s41
	s_wait_loadcnt_dscnt 0x202
	v_dual_mul_f32 v33, v22, v32 :: v_dual_mul_f32 v34, v24, v30
	v_mul_f32_e32 v32, v21, v32
	s_wait_loadcnt_dscnt 0x101
	v_dual_mul_f32 v30, v23, v30 :: v_dual_mul_f32 v35, v26, v20
	s_delay_alu instid0(VALU_DEP_3) | instskip(SKIP_1) | instid1(VALU_DEP_2)
	v_fma_f32 v21, v21, v31, -v33
	v_fma_f32 v23, v23, v29, -v34
	v_dual_add_f32 v15, v15, v21 :: v_dual_mul_f32 v20, v25, v20
	v_fmac_f32_e32 v32, v22, v31
	v_fma_f32 v21, v25, v19, -v35
	s_wait_loadcnt_dscnt 0x0
	s_delay_alu instid0(VALU_DEP_3) | instskip(NEXT) | instid1(VALU_DEP_3)
	v_dual_add_f32 v15, v23, v15 :: v_dual_mul_f32 v22, v28, v18
	v_add_f32_e32 v16, v16, v32
	v_fmac_f32_e32 v20, v26, v19
	s_delay_alu instid0(VALU_DEP_3) | instskip(NEXT) | instid1(VALU_DEP_4)
	v_dual_mul_f32 v18, v27, v18 :: v_dual_add_f32 v15, v21, v15
	v_fma_f32 v19, v27, v17, -v22
	v_fmac_f32_e32 v30, v24, v29
	s_delay_alu instid0(VALU_DEP_2) | instskip(NEXT) | instid1(VALU_DEP_2)
	v_dual_fmac_f32 v18, v28, v17 :: v_dual_add_f32 v15, v19, v15
	v_add_f32_e32 v16, v30, v16
	s_delay_alu instid0(VALU_DEP_1) | instskip(NEXT) | instid1(VALU_DEP_1)
	v_add_f32_e32 v16, v20, v16
	v_add_f32_e32 v16, v18, v16
.LBB300_49:                             ;   in Loop: Header=BB300_5 Depth=1
	s_wait_alu 0xfffe
	s_or_b32 exec_lo, exec_lo, s7
.LBB300_50:                             ;   in Loop: Header=BB300_5 Depth=1
	ds_store_2addr_b64 v62, v[15:16], v[13:14] offset1:32
	ds_store_2addr_b64 v62, v[11:12], v[9:10] offset0:64 offset1:96
	s_wait_storecnt 0x0
	s_wait_loadcnt_dscnt 0x0
	s_barrier_signal -1
	s_barrier_wait -1
	global_inv scope:SCOPE_SE
	s_and_saveexec_b32 s7, s0
	s_cbranch_execz .LBB300_3
; %bb.51:                               ;   in Loop: Header=BB300_5 Depth=1
	ds_load_2addr_stride64_b64 v[9:12], v63 offset1:2
	ds_load_2addr_stride64_b64 v[13:16], v63 offset0:4 offset1:6
	ds_load_2addr_stride64_b64 v[17:20], v63 offset0:8 offset1:10
	s_wait_dscnt 0x2
	v_dual_add_f32 v21, v9, v11 :: v_dual_add_f32 v22, v10, v12
	ds_load_2addr_stride64_b64 v[9:12], v63 offset0:12 offset1:14
	s_wait_dscnt 0x2
	v_dual_add_f32 v13, v21, v13 :: v_dual_add_f32 v14, v22, v14
	s_delay_alu instid0(VALU_DEP_1) | instskip(SKIP_3) | instid1(VALU_DEP_1)
	v_dual_add_f32 v21, v13, v15 :: v_dual_add_f32 v22, v14, v16
	ds_load_2addr_stride64_b64 v[13:16], v63 offset0:16 offset1:18
	s_wait_dscnt 0x2
	v_dual_add_f32 v17, v21, v17 :: v_dual_add_f32 v18, v22, v18
	v_dual_add_f32 v21, v17, v19 :: v_dual_add_f32 v22, v18, v20
	ds_load_2addr_stride64_b64 v[17:20], v63 offset0:20 offset1:22
	s_wait_dscnt 0x2
	v_dual_add_f32 v9, v21, v9 :: v_dual_add_f32 v10, v22, v10
	s_delay_alu instid0(VALU_DEP_1) | instskip(SKIP_3) | instid1(VALU_DEP_1)
	v_dual_add_f32 v21, v9, v11 :: v_dual_add_f32 v22, v10, v12
	ds_load_2addr_stride64_b64 v[9:12], v63 offset0:24 offset1:26
	s_wait_dscnt 0x2
	v_dual_add_f32 v13, v21, v13 :: v_dual_add_f32 v14, v22, v14
	v_dual_add_f32 v21, v13, v15 :: v_dual_add_f32 v22, v14, v16
	ds_load_2addr_stride64_b64 v[13:16], v63 offset0:28 offset1:30
	s_wait_dscnt 0x2
	v_dual_add_f32 v17, v21, v17 :: v_dual_add_f32 v18, v22, v18
	s_delay_alu instid0(VALU_DEP_1) | instskip(SKIP_1) | instid1(VALU_DEP_1)
	v_dual_add_f32 v17, v17, v19 :: v_dual_add_f32 v18, v18, v20
	s_wait_dscnt 0x1
	v_dual_add_f32 v9, v17, v9 :: v_dual_add_f32 v10, v18, v10
	s_delay_alu instid0(VALU_DEP_1) | instskip(SKIP_1) | instid1(VALU_DEP_1)
	v_dual_add_f32 v9, v9, v11 :: v_dual_add_f32 v10, v10, v12
	s_wait_dscnt 0x0
	v_dual_add_f32 v9, v9, v13 :: v_dual_add_f32 v10, v10, v14
	s_delay_alu instid0(VALU_DEP_1)
	v_dual_add_f32 v11, v9, v15 :: v_dual_add_f32 v12, v10, v16
	ds_store_b64 v63, v[11:12]
	s_and_b32 exec_lo, exec_lo, s2
	s_cbranch_execz .LBB300_3
; %bb.52:                               ;   in Loop: Header=BB300_5 Depth=1
	v_mul_f32_e32 v10, s10, v12
	v_mul_f32_e32 v9, s11, v12
	s_and_not1_b32 vcc_lo, exec_lo, s35
	s_delay_alu instid0(VALU_DEP_2) | instskip(NEXT) | instid1(VALU_DEP_2)
	v_fmac_f32_e32 v10, s11, v11
	v_fma_f32 v9, v11, s10, -v9
	s_wait_alu 0xfffe
	s_cbranch_vccnz .LBB300_2
; %bb.53:                               ;   in Loop: Header=BB300_5 Depth=1
	v_add_co_u32 v11, vcc_lo, v69, v7
	s_wait_alu 0xfffd
	v_add_co_ci_u32_e64 v12, null, v70, v8, vcc_lo
	flat_load_b64 v[11:12], v[11:12]
	s_wait_loadcnt_dscnt 0x0
	v_mul_f32_e32 v13, s27, v12
	v_mul_f32_e32 v12, s26, v12
	s_delay_alu instid0(VALU_DEP_1) | instskip(NEXT) | instid1(VALU_DEP_3)
	v_fmac_f32_e32 v12, s27, v11
	v_fma_f32 v13, s26, v11, -v13
	s_delay_alu instid0(VALU_DEP_1)
	v_dual_add_f32 v10, v10, v12 :: v_dual_add_f32 v9, v9, v13
	s_branch .LBB300_2
.LBB300_54:
	s_endpgm
	.section	.rodata,"a",@progbits
	.p2align	6, 0x0
	.amdhsa_kernel _ZL20rocblas_gemvn_kernelILi32ELi16EiPK19rocblas_complex_numIfES1_KPS1_EviiT3_lPKT2_lT1_lS9_lSA_lS6_lPT4_lSA_li
		.amdhsa_group_segment_fixed_size 16384
		.amdhsa_private_segment_fixed_size 0
		.amdhsa_kernarg_size 400
		.amdhsa_user_sgpr_count 2
		.amdhsa_user_sgpr_dispatch_ptr 0
		.amdhsa_user_sgpr_queue_ptr 0
		.amdhsa_user_sgpr_kernarg_segment_ptr 1
		.amdhsa_user_sgpr_dispatch_id 0
		.amdhsa_user_sgpr_private_segment_size 0
		.amdhsa_wavefront_size32 1
		.amdhsa_uses_dynamic_stack 0
		.amdhsa_enable_private_segment 0
		.amdhsa_system_sgpr_workgroup_id_x 1
		.amdhsa_system_sgpr_workgroup_id_y 0
		.amdhsa_system_sgpr_workgroup_id_z 1
		.amdhsa_system_sgpr_workgroup_info 0
		.amdhsa_system_vgpr_workitem_id 1
		.amdhsa_next_free_vgpr 79
		.amdhsa_next_free_sgpr 47
		.amdhsa_reserve_vcc 1
		.amdhsa_float_round_mode_32 0
		.amdhsa_float_round_mode_16_64 0
		.amdhsa_float_denorm_mode_32 3
		.amdhsa_float_denorm_mode_16_64 3
		.amdhsa_fp16_overflow 0
		.amdhsa_workgroup_processor_mode 1
		.amdhsa_memory_ordered 1
		.amdhsa_forward_progress 1
		.amdhsa_inst_pref_size 34
		.amdhsa_round_robin_scheduling 0
		.amdhsa_exception_fp_ieee_invalid_op 0
		.amdhsa_exception_fp_denorm_src 0
		.amdhsa_exception_fp_ieee_div_zero 0
		.amdhsa_exception_fp_ieee_overflow 0
		.amdhsa_exception_fp_ieee_underflow 0
		.amdhsa_exception_fp_ieee_inexact 0
		.amdhsa_exception_int_div_zero 0
	.end_amdhsa_kernel
	.section	.text._ZL20rocblas_gemvn_kernelILi32ELi16EiPK19rocblas_complex_numIfES1_KPS1_EviiT3_lPKT2_lT1_lS9_lSA_lS6_lPT4_lSA_li,"axG",@progbits,_ZL20rocblas_gemvn_kernelILi32ELi16EiPK19rocblas_complex_numIfES1_KPS1_EviiT3_lPKT2_lT1_lS9_lSA_lS6_lPT4_lSA_li,comdat
.Lfunc_end300:
	.size	_ZL20rocblas_gemvn_kernelILi32ELi16EiPK19rocblas_complex_numIfES1_KPS1_EviiT3_lPKT2_lT1_lS9_lSA_lS6_lPT4_lSA_li, .Lfunc_end300-_ZL20rocblas_gemvn_kernelILi32ELi16EiPK19rocblas_complex_numIfES1_KPS1_EviiT3_lPKT2_lT1_lS9_lSA_lS6_lPT4_lSA_li
                                        ; -- End function
	.set _ZL20rocblas_gemvn_kernelILi32ELi16EiPK19rocblas_complex_numIfES1_KPS1_EviiT3_lPKT2_lT1_lS9_lSA_lS6_lPT4_lSA_li.num_vgpr, 79
	.set _ZL20rocblas_gemvn_kernelILi32ELi16EiPK19rocblas_complex_numIfES1_KPS1_EviiT3_lPKT2_lT1_lS9_lSA_lS6_lPT4_lSA_li.num_agpr, 0
	.set _ZL20rocblas_gemvn_kernelILi32ELi16EiPK19rocblas_complex_numIfES1_KPS1_EviiT3_lPKT2_lT1_lS9_lSA_lS6_lPT4_lSA_li.numbered_sgpr, 47
	.set _ZL20rocblas_gemvn_kernelILi32ELi16EiPK19rocblas_complex_numIfES1_KPS1_EviiT3_lPKT2_lT1_lS9_lSA_lS6_lPT4_lSA_li.num_named_barrier, 0
	.set _ZL20rocblas_gemvn_kernelILi32ELi16EiPK19rocblas_complex_numIfES1_KPS1_EviiT3_lPKT2_lT1_lS9_lSA_lS6_lPT4_lSA_li.private_seg_size, 0
	.set _ZL20rocblas_gemvn_kernelILi32ELi16EiPK19rocblas_complex_numIfES1_KPS1_EviiT3_lPKT2_lT1_lS9_lSA_lS6_lPT4_lSA_li.uses_vcc, 1
	.set _ZL20rocblas_gemvn_kernelILi32ELi16EiPK19rocblas_complex_numIfES1_KPS1_EviiT3_lPKT2_lT1_lS9_lSA_lS6_lPT4_lSA_li.uses_flat_scratch, 1
	.set _ZL20rocblas_gemvn_kernelILi32ELi16EiPK19rocblas_complex_numIfES1_KPS1_EviiT3_lPKT2_lT1_lS9_lSA_lS6_lPT4_lSA_li.has_dyn_sized_stack, 0
	.set _ZL20rocblas_gemvn_kernelILi32ELi16EiPK19rocblas_complex_numIfES1_KPS1_EviiT3_lPKT2_lT1_lS9_lSA_lS6_lPT4_lSA_li.has_recursion, 0
	.set _ZL20rocblas_gemvn_kernelILi32ELi16EiPK19rocblas_complex_numIfES1_KPS1_EviiT3_lPKT2_lT1_lS9_lSA_lS6_lPT4_lSA_li.has_indirect_call, 0
	.section	.AMDGPU.csdata,"",@progbits
; Kernel info:
; codeLenInByte = 4304
; TotalNumSgprs: 49
; NumVgprs: 79
; ScratchSize: 0
; MemoryBound: 0
; FloatMode: 240
; IeeeMode: 1
; LDSByteSize: 16384 bytes/workgroup (compile time only)
; SGPRBlocks: 0
; VGPRBlocks: 9
; NumSGPRsForWavesPerEU: 49
; NumVGPRsForWavesPerEU: 79
; Occupancy: 16
; WaveLimiterHint : 1
; COMPUTE_PGM_RSRC2:SCRATCH_EN: 0
; COMPUTE_PGM_RSRC2:USER_SGPR: 2
; COMPUTE_PGM_RSRC2:TRAP_HANDLER: 0
; COMPUTE_PGM_RSRC2:TGID_X_EN: 1
; COMPUTE_PGM_RSRC2:TGID_Y_EN: 0
; COMPUTE_PGM_RSRC2:TGID_Z_EN: 1
; COMPUTE_PGM_RSRC2:TIDIG_COMP_CNT: 1
	.section	.text._ZL20rocblas_gemvn_kernelILi32ELi16ElPK19rocblas_complex_numIfES1_KPS1_EviiT3_lPKT2_lT1_lS9_lSA_lS6_lPT4_lSA_li,"axG",@progbits,_ZL20rocblas_gemvn_kernelILi32ELi16ElPK19rocblas_complex_numIfES1_KPS1_EviiT3_lPKT2_lT1_lS9_lSA_lS6_lPT4_lSA_li,comdat
	.globl	_ZL20rocblas_gemvn_kernelILi32ELi16ElPK19rocblas_complex_numIfES1_KPS1_EviiT3_lPKT2_lT1_lS9_lSA_lS6_lPT4_lSA_li ; -- Begin function _ZL20rocblas_gemvn_kernelILi32ELi16ElPK19rocblas_complex_numIfES1_KPS1_EviiT3_lPKT2_lT1_lS9_lSA_lS6_lPT4_lSA_li
	.p2align	8
	.type	_ZL20rocblas_gemvn_kernelILi32ELi16ElPK19rocblas_complex_numIfES1_KPS1_EviiT3_lPKT2_lT1_lS9_lSA_lS6_lPT4_lSA_li,@function
_ZL20rocblas_gemvn_kernelILi32ELi16ElPK19rocblas_complex_numIfES1_KPS1_EviiT3_lPKT2_lT1_lS9_lSA_lS6_lPT4_lSA_li: ; @_ZL20rocblas_gemvn_kernelILi32ELi16ElPK19rocblas_complex_numIfES1_KPS1_EviiT3_lPKT2_lT1_lS9_lSA_lS6_lPT4_lSA_li
; %bb.0:
	s_clause 0x1
	s_load_b64 s[2:3], s[0:1], 0x9c
	s_load_b32 s33, s[0:1], 0x88
	s_lshr_b32 s24, ttmp7, 16
	s_wait_kmcnt 0x0
	s_lshr_b32 s4, s2, 16
	s_and_b32 s2, s2, 0xffff
	s_and_b32 s3, s3, 0xffff
	s_mul_i32 s2, s4, s2
	s_delay_alu instid0(SALU_CYCLE_1) | instskip(NEXT) | instid1(SALU_CYCLE_1)
	s_mul_i32 s2, s2, s3
	s_cmp_lg_u32 s2, 0x200
	s_cselect_b32 s2, -1, 0
	s_cmp_ge_u32 s24, s33
	s_cselect_b32 s3, -1, 0
	s_delay_alu instid0(SALU_CYCLE_1) | instskip(NEXT) | instid1(SALU_CYCLE_1)
	s_or_b32 s2, s2, s3
	s_and_b32 vcc_lo, exec_lo, s2
	s_cbranch_vccnz .LBB301_54
; %bb.1:
	s_clause 0x7
	s_load_b128 s[8:11], s[0:1], 0x0
	s_load_b64 s[26:27], s[0:1], 0x58
	s_load_b64 s[28:29], s[0:1], 0x48
	s_load_b128 s[12:15], s[0:1], 0x18
	s_load_b64 s[30:31], s[0:1], 0x28
	s_load_b128 s[16:19], s[0:1], 0x38
	;; [unrolled: 2-line block ×3, first 2 shown]
	v_dual_mov_b32 v1, 0 :: v_dual_and_b32 v4, 0x3ff, v0
	v_bfe_u32 v13, v0, 10, 10
	s_mov_b32 s25, 0
	s_delay_alu instid0(VALU_DEP_2) | instskip(NEXT) | instid1(VALU_DEP_2)
	v_lshlrev_b32_e32 v0, 3, v4
	v_lshl_add_u32 v5, v13, 5, v4
	s_delay_alu instid0(VALU_DEP_2)
	v_lshl_add_u32 v73, v13, 10, v0
	v_lshl_add_u32 v74, v13, 8, v0
	s_wait_kmcnt 0x0
	s_cmp_neq_f32 s10, 0
	s_mov_b32 s2, s8
	v_mad_co_u64_u32 v[2:3], null, s28, v13, 0
	s_cselect_b32 s0, -1, 0
	s_cmp_neq_f32 s11, 0
	s_cselect_b32 s1, -1, 0
	s_delay_alu instid0(SALU_CYCLE_1)
	s_or_b32 s34, s0, s1
	s_cmp_neq_f32 s26, 1.0
	v_cmp_gt_u32_e64 s0, 0x80, v5
	s_cselect_b32 s35, -1, 0
	s_cmp_neq_f32 s27, 0
	s_cselect_b32 s45, -1, 0
	s_or_b32 s1, s10, s11
	s_delay_alu instid0(SALU_CYCLE_1) | instskip(NEXT) | instid1(SALU_CYCLE_1)
	s_bitset0_b32 s1, 31
	s_cmp_lg_u32 s1, 0
	s_cselect_b32 s40, -1, 0
	s_cmp_eq_u32 s1, 0
	s_cselect_b32 s41, -1, 0
	s_lshl_b32 s5, ttmp9, 7
	s_ashr_i32 s3, s8, 31
	v_add_nc_u32_e32 v0, s5, v5
	s_cmp_neq_f32 s26, 0
	v_add_nc_u32_e32 v4, s5, v4
	v_or_b32_e32 v6, s5, v5
	s_delay_alu instid0(VALU_DEP_3)
	v_mad_co_u64_u32 v[14:15], null, s6, v0, 0
	s_cselect_b32 s1, -1, 0
	s_ashr_i32 s4, s9, 31
	v_cmp_gt_i64_e32 vcc_lo, s[2:3], v[0:1]
	s_wait_alu 0xfffe
	s_lshr_b32 s3, s4, 26
	v_add_nc_u32_e32 v7, 32, v4
	s_wait_alu 0xfffe
	s_add_co_i32 s43, s9, s3
	v_add_nc_u32_e32 v8, 64, v4
	s_and_not1_b32 s43, s43, 63
	v_add_nc_u32_e32 v9, 0x60, v4
	v_cmp_gt_i32_e64 s2, s8, v6
	v_mul_lo_u32 v10, s7, v6
	v_mad_co_u64_u32 v[16:17], null, s6, v6, 0
	v_mov_b32_e32 v6, v15
	s_sub_co_i32 s4, s9, s43
	s_or_b32 s42, s1, s45
	s_wait_alu 0xfffe
	s_cmp_gt_i32 s4, 0
	v_cmp_gt_i32_e64 s3, s8, v7
	v_mad_co_u64_u32 v[6:7], null, s7, v0, v[6:7]
	v_cmp_gt_i32_e64 s4, s8, v8
	s_cselect_b32 s44, -1, 0
	s_ashr_i32 s7, s5, 31
	v_cmp_gt_i32_e64 s5, s8, v9
	v_mad_co_u64_u32 v[8:9], null, s29, v13, v[3:4]
	v_dual_mov_b32 v15, v6 :: v_dual_lshlrev_b32 v72, 2, v13
	s_wait_alu 0xfffe
	s_mul_i32 s7, s6, s7
	s_lshl_b64 s[36:37], s[30:31], 9
	s_wait_alu 0xfffe
	v_add3_u32 v17, v17, s7, v10
	v_mad_co_u64_u32 v[9:10], null, s30, v13, 0
	v_mov_b32_e32 v3, v8
	v_or_b32_e32 v20, 3, v72
	v_or_b32_e32 v22, 2, v72
	v_mad_co_u64_u32 v[18:19], null, s30, v72, s[30:31]
	s_delay_alu instid0(VALU_DEP_4) | instskip(NEXT) | instid1(VALU_DEP_4)
	v_lshlrev_b64_e32 v[2:3], 5, v[2:3]
	v_mad_co_u64_u32 v[6:7], null, s30, v20, 0
	s_delay_alu instid0(VALU_DEP_4)
	v_mad_co_u64_u32 v[11:12], null, s30, v22, 0
	v_lshlrev_b64_e32 v[14:15], 3, v[14:15]
	v_mov_b32_e32 v8, v19
	v_lshlrev_b64_e32 v[16:17], 3, v[16:17]
	v_cmp_gt_i32_e64 s6, s43, v72
	v_dual_mov_b32 v0, v7 :: v_dual_mov_b32 v7, v10
	s_or_b32 s7, s34, s35
	s_lshl_b64 s[34:35], s[28:29], 9
	s_lshl_b64 s[38:39], s[28:29], 3
	s_delay_alu instid0(VALU_DEP_1)
	v_mad_co_u64_u32 v[20:21], null, s31, v20, v[0:1]
	v_mov_b32_e32 v0, v12
	v_mad_co_u64_u32 v[12:13], null, s31, v13, v[7:8]
	s_wait_alu 0xfffe
	s_or_b32 s45, s7, s45
	s_lshl_b64 s[14:15], s[14:15], 3
	v_mad_co_u64_u32 v[21:22], null, s31, v22, v[0:1]
	v_mad_co_u64_u32 v[22:23], null, s31, v72, v[8:9]
	v_mov_b32_e32 v7, v20
	v_ashrrev_i32_e32 v5, 31, v4
	v_mov_b32_e32 v10, v12
	v_cmp_gt_i32_e64 s1, s8, v4
	v_mov_b32_e32 v12, v21
	v_lshlrev_b64_e32 v[6:7], 3, v[6:7]
	v_mov_b32_e32 v19, v22
	v_lshlrev_b64_e32 v[4:5], 3, v[4:5]
	v_lshlrev_b64_e32 v[8:9], 5, v[9:10]
	v_lshlrev_b64_e32 v[10:11], 3, v[11:12]
	s_and_b32 s8, s0, vcc_lo
	v_lshlrev_b64_e32 v[12:13], 3, v[18:19]
	s_lshl_b64 s[18:19], s[18:19], 3
	s_lshl_b64 s[22:23], s[22:23], 3
	s_branch .LBB301_5
.LBB301_2:                              ;   in Loop: Header=BB301_5 Depth=1
	v_add_co_u32 v20, vcc_lo, v0, v16
	s_wait_alu 0xfffd
	v_add_co_ci_u32_e64 v21, null, v75, v17, vcc_lo
	flat_store_b64 v[20:21], v[18:19]
.LBB301_3:                              ;   in Loop: Header=BB301_5 Depth=1
	s_wait_alu 0xfffe
	s_or_b32 exec_lo, exec_lo, s7
.LBB301_4:                              ;   in Loop: Header=BB301_5 Depth=1
	s_add_co_i32 s24, s24, 0x10000
	s_delay_alu instid0(SALU_CYCLE_1)
	s_cmp_lt_u32 s24, s33
	s_cbranch_scc0 .LBB301_54
.LBB301_5:                              ; =>This Loop Header: Depth=1
                                        ;     Child Loop BB301_26 Depth 2
	s_and_not1_b32 vcc_lo, exec_lo, s45
	s_wait_alu 0xfffe
	s_cbranch_vccnz .LBB301_4
; %bb.6:                                ;   in Loop: Header=BB301_5 Depth=1
	s_and_not1_b32 vcc_lo, exec_lo, s41
	s_wait_alu 0xfffe
	s_cbranch_vccnz .LBB301_8
; %bb.7:                                ;   in Loop: Header=BB301_5 Depth=1
	s_mov_b32 s7, 0
	s_branch .LBB301_9
.LBB301_8:                              ;   in Loop: Header=BB301_5 Depth=1
	s_mov_b32 s7, -1
.LBB301_9:                              ;   in Loop: Header=BB301_5 Depth=1
	v_mov_b32_e32 v28, 0
	v_dual_mov_b32 v29, 0 :: v_dual_mov_b32 v26, 0
	v_mov_b32_e32 v27, 0
	s_wait_alu 0xfffe
	s_and_not1_b32 vcc_lo, exec_lo, s7
	s_wait_alu 0xfffe
	s_cbranch_vccnz .LBB301_11
; %bb.10:                               ;   in Loop: Header=BB301_5 Depth=1
	s_lshl_b64 s[46:47], s[24:25], 3
	s_delay_alu instid0(SALU_CYCLE_1)
	s_add_nc_u64 s[46:47], s[12:13], s[46:47]
	global_load_b64 v[18:19], v1, s[46:47]
	s_wait_loadcnt 0x0
	v_add_co_u32 v26, vcc_lo, v18, s14
	s_wait_alu 0xfffd
	v_add_co_ci_u32_e64 v27, null, s15, v19, vcc_lo
.LBB301_11:                             ;   in Loop: Header=BB301_5 Depth=1
	s_and_not1_b32 vcc_lo, exec_lo, s40
	s_wait_alu 0xfffe
	s_cbranch_vccnz .LBB301_13
; %bb.12:                               ;   in Loop: Header=BB301_5 Depth=1
	s_lshl_b64 s[46:47], s[24:25], 3
	s_delay_alu instid0(SALU_CYCLE_1)
	s_add_nc_u64 s[46:47], s[16:17], s[46:47]
	global_load_b64 v[18:19], v1, s[46:47]
	s_wait_loadcnt 0x0
	v_add_co_u32 v28, vcc_lo, v18, s18
	s_wait_alu 0xfffd
	v_add_co_ci_u32_e64 v29, null, s19, v19, vcc_lo
.LBB301_13:                             ;   in Loop: Header=BB301_5 Depth=1
	s_lshl_b64 s[46:47], s[24:25], 3
	s_mov_b32 s7, -1
	s_add_nc_u64 s[46:47], s[20:21], s[46:47]
	global_load_b64 v[18:19], v1, s[46:47]
	s_wait_loadcnt 0x0
	v_add_co_u32 v0, vcc_lo, v18, s22
	s_wait_alu 0xfffd
	v_add_co_ci_u32_e64 v75, null, s23, v19, vcc_lo
	s_and_not1_b32 vcc_lo, exec_lo, s41
	s_wait_alu 0xfffe
	s_cbranch_vccnz .LBB301_19
; %bb.14:                               ;   in Loop: Header=BB301_5 Depth=1
	s_and_saveexec_b32 s7, s8
	s_cbranch_execz .LBB301_18
; %bb.15:                               ;   in Loop: Header=BB301_5 Depth=1
	v_dual_mov_b32 v18, 0 :: v_dual_mov_b32 v19, 0
	s_and_not1_b32 vcc_lo, exec_lo, s42
	s_wait_alu 0xfffe
	s_cbranch_vccnz .LBB301_17
; %bb.16:                               ;   in Loop: Header=BB301_5 Depth=1
	v_add_co_u32 v18, vcc_lo, v0, v14
	s_wait_alu 0xfffd
	v_add_co_ci_u32_e64 v19, null, v75, v15, vcc_lo
	flat_load_b64 v[20:21], v[18:19]
	s_wait_loadcnt_dscnt 0x0
	v_mul_f32_e32 v19, s26, v21
	s_delay_alu instid0(VALU_DEP_1) | instskip(NEXT) | instid1(VALU_DEP_1)
	v_dual_mul_f32 v18, s27, v21 :: v_dual_fmac_f32 v19, s27, v20
	v_fma_f32 v18, s26, v20, -v18
.LBB301_17:                             ;   in Loop: Header=BB301_5 Depth=1
	v_add_co_u32 v20, vcc_lo, v0, v14
	s_wait_alu 0xfffd
	v_add_co_ci_u32_e64 v21, null, v75, v15, vcc_lo
	flat_store_b64 v[20:21], v[18:19]
.LBB301_18:                             ;   in Loop: Header=BB301_5 Depth=1
	s_wait_alu 0xfffe
	s_or_b32 exec_lo, exec_lo, s7
	s_mov_b32 s7, 0
.LBB301_19:                             ;   in Loop: Header=BB301_5 Depth=1
	s_wait_alu 0xfffe
	s_and_not1_b32 vcc_lo, exec_lo, s7
	s_wait_alu 0xfffe
	s_cbranch_vccnz .LBB301_4
; %bb.20:                               ;   in Loop: Header=BB301_5 Depth=1
	v_dual_mov_b32 v19, 0 :: v_dual_mov_b32 v76, v72
	v_dual_mov_b32 v18, 0 :: v_dual_mov_b32 v21, 0
	;; [unrolled: 1-line block ×4, first 2 shown]
	v_mov_b32_e32 v24, 0
	s_and_saveexec_b32 s46, s6
	s_cbranch_execz .LBB301_32
; %bb.21:                               ;   in Loop: Header=BB301_5 Depth=1
	v_add_co_u32 v30, vcc_lo, v28, v2
	s_wait_alu 0xfffd
	v_add_co_ci_u32_e64 v31, null, v29, v3, vcc_lo
	v_add_co_u32 v77, vcc_lo, v26, v6
	s_wait_alu 0xfffd
	v_add_co_ci_u32_e64 v78, null, v27, v7, vcc_lo
	v_add_co_u32 v79, vcc_lo, v26, v8
	v_dual_mov_b32 v19, 0 :: v_dual_mov_b32 v76, v72
	s_wait_alu 0xfffd
	v_add_co_ci_u32_e64 v80, null, v27, v9, vcc_lo
	v_add_co_u32 v81, vcc_lo, v26, v10
	s_wait_alu 0xfffd
	v_add_co_ci_u32_e64 v82, null, v27, v11, vcc_lo
	v_add_co_u32 v83, vcc_lo, v26, v12
	s_wait_alu 0xfffd
	v_add_co_ci_u32_e64 v84, null, v27, v13, vcc_lo
	v_dual_mov_b32 v18, v19 :: v_dual_mov_b32 v21, v19
	v_dual_mov_b32 v20, v19 :: v_dual_mov_b32 v23, v19
	;; [unrolled: 1-line block ×3, first 2 shown]
	v_mov_b32_e32 v24, v19
	s_mov_b32 s47, 0
	s_branch .LBB301_26
.LBB301_22:                             ;   in Loop: Header=BB301_26 Depth=2
	s_or_b32 exec_lo, exec_lo, s50
	s_wait_loadcnt_dscnt 0x303
	v_mul_f32_e32 v64, v45, v63
	s_wait_loadcnt_dscnt 0x101
	v_dual_mul_f32 v65, v41, v61 :: v_dual_mul_f32 v66, v35, v59
	v_mul_f32_e32 v61, v40, v61
	v_mul_f32_e32 v63, v44, v63
	v_fma_f32 v64, v44, v62, -v64
	v_mul_f32_e32 v59, v34, v59
	v_fma_f32 v65, v40, v60, -v65
	v_fmac_f32_e32 v61, v41, v60
	v_fma_f32 v60, v34, v58, -v66
	s_delay_alu instid0(VALU_DEP_4) | instskip(NEXT) | instid1(VALU_DEP_1)
	v_dual_add_f32 v20, v20, v64 :: v_dual_fmac_f32 v59, v35, v58
	v_add_f32_e32 v20, v65, v20
	v_fmac_f32_e32 v63, v45, v62
	s_wait_loadcnt_dscnt 0x0
	v_mul_f32_e32 v62, v33, v57
	v_mul_f32_e32 v57, v32, v57
	v_add_f32_e32 v20, v60, v20
	s_delay_alu instid0(VALU_DEP_3) | instskip(SKIP_1) | instid1(VALU_DEP_4)
	v_fma_f32 v58, v32, v56, -v62
	v_add_f32_e32 v21, v21, v63
	v_fmac_f32_e32 v57, v33, v56
	s_delay_alu instid0(VALU_DEP_2) | instskip(NEXT) | instid1(VALU_DEP_1)
	v_dual_add_f32 v20, v58, v20 :: v_dual_add_f32 v21, v61, v21
	v_add_f32_e32 v21, v59, v21
	s_delay_alu instid0(VALU_DEP_1)
	v_add_f32_e32 v21, v57, v21
.LBB301_23:                             ;   in Loop: Header=BB301_26 Depth=2
	s_or_b32 exec_lo, exec_lo, s49
	s_wait_loadcnt_dscnt 0x303
	v_mul_f32_e32 v56, v45, v55
	v_mul_f32_e32 v55, v44, v55
	s_wait_loadcnt_dscnt 0x101
	v_dual_mul_f32 v57, v41, v53 :: v_dual_mul_f32 v58, v35, v51
	v_mul_f32_e32 v53, v40, v53
	v_fma_f32 v56, v44, v54, -v56
	v_fmac_f32_e32 v55, v45, v54
	s_delay_alu instid0(VALU_DEP_4) | instskip(SKIP_4) | instid1(VALU_DEP_2)
	v_fma_f32 v57, v40, v52, -v57
	s_wait_loadcnt_dscnt 0x0
	v_mul_f32_e32 v54, v33, v49
	v_dual_mul_f32 v49, v32, v49 :: v_dual_add_f32 v22, v22, v56
	v_mul_f32_e32 v51, v34, v51
	v_fmac_f32_e32 v49, v33, v48
	s_delay_alu instid0(VALU_DEP_3) | instskip(SKIP_4) | instid1(VALU_DEP_3)
	v_add_f32_e32 v22, v57, v22
	v_fmac_f32_e32 v53, v41, v52
	v_fma_f32 v52, v34, v50, -v58
	v_fmac_f32_e32 v51, v35, v50
	v_fma_f32 v50, v32, v48, -v54
	v_dual_add_f32 v22, v52, v22 :: v_dual_add_f32 v23, v23, v55
	s_delay_alu instid0(VALU_DEP_1) | instskip(NEXT) | instid1(VALU_DEP_1)
	v_dual_add_f32 v22, v50, v22 :: v_dual_add_f32 v23, v53, v23
	v_add_f32_e32 v23, v51, v23
	s_delay_alu instid0(VALU_DEP_1)
	v_add_f32_e32 v23, v49, v23
.LBB301_24:                             ;   in Loop: Header=BB301_26 Depth=2
	s_or_b32 exec_lo, exec_lo, s48
	s_wait_loadcnt_dscnt 0x101
	v_mul_f32_e32 v50, v35, v39
	v_mul_f32_e32 v48, v45, v47
	;; [unrolled: 1-line block ×3, first 2 shown]
	s_delay_alu instid0(VALU_DEP_3) | instskip(SKIP_1) | instid1(VALU_DEP_1)
	v_fma_f32 v34, v34, v38, -v50
	v_mul_f32_e32 v47, v44, v47
	v_fmac_f32_e32 v47, v45, v46
	s_wait_loadcnt_dscnt 0x0
	v_mul_f32_e32 v45, v33, v37
	v_mul_f32_e32 v37, v32, v37
	v_fma_f32 v44, v44, v46, -v48
	v_mul_f32_e32 v49, v41, v43
	v_mul_f32_e32 v43, v40, v43
	v_add_f32_e32 v25, v25, v47
	v_fma_f32 v32, v32, v36, -v45
	v_add_f32_e32 v24, v24, v44
	v_fma_f32 v40, v40, v42, -v49
	v_fmac_f32_e32 v43, v41, v42
	v_fmac_f32_e32 v37, v33, v36
	s_delay_alu instid0(VALU_DEP_3) | instskip(NEXT) | instid1(VALU_DEP_1)
	v_dual_add_f32 v24, v40, v24 :: v_dual_fmac_f32 v39, v35, v38
	v_dual_add_f32 v25, v43, v25 :: v_dual_add_f32 v24, v34, v24
	s_delay_alu instid0(VALU_DEP_1) | instskip(NEXT) | instid1(VALU_DEP_1)
	v_dual_add_f32 v25, v39, v25 :: v_dual_add_f32 v24, v32, v24
	v_add_f32_e32 v25, v37, v25
.LBB301_25:                             ;   in Loop: Header=BB301_26 Depth=2
	s_wait_alu 0xfffe
	s_or_b32 exec_lo, exec_lo, s7
	v_add_co_u32 v30, vcc_lo, v30, s34
	s_wait_alu 0xfffd
	v_add_co_ci_u32_e64 v31, null, s35, v31, vcc_lo
	v_add_co_u32 v77, vcc_lo, v77, s36
	v_add_nc_u32_e32 v76, 64, v76
	s_wait_alu 0xfffd
	v_add_co_ci_u32_e64 v78, null, s37, v78, vcc_lo
	v_add_co_u32 v79, vcc_lo, v79, s36
	s_wait_alu 0xfffd
	v_add_co_ci_u32_e64 v80, null, s37, v80, vcc_lo
	v_add_co_u32 v81, vcc_lo, v81, s36
	s_wait_alu 0xfffd
	v_add_co_ci_u32_e64 v82, null, s37, v82, vcc_lo
	v_cmp_le_i32_e32 vcc_lo, s43, v76
	v_add_co_u32 v83, s7, v83, s36
	s_wait_alu 0xf1ff
	v_add_co_ci_u32_e64 v84, null, s37, v84, s7
	s_or_b32 s47, vcc_lo, s47
	s_delay_alu instid0(SALU_CYCLE_1)
	s_and_not1_b32 exec_lo, exec_lo, s47
	s_cbranch_execz .LBB301_31
.LBB301_26:                             ;   Parent Loop BB301_5 Depth=1
                                        ; =>  This Inner Loop Header: Depth=2
	s_and_saveexec_b32 s7, s1
	s_cbranch_execz .LBB301_25
; %bb.27:                               ;   in Loop: Header=BB301_26 Depth=2
	v_add_co_u32 v32, vcc_lo, v30, s38
	s_wait_alu 0xfffd
	v_add_co_ci_u32_e64 v33, null, s39, v31, vcc_lo
	s_delay_alu instid0(VALU_DEP_2) | instskip(SKIP_1) | instid1(VALU_DEP_2)
	v_add_co_u32 v34, vcc_lo, v32, s38
	s_wait_alu 0xfffd
	v_add_co_ci_u32_e64 v35, null, s39, v33, vcc_lo
	s_delay_alu instid0(VALU_DEP_2) | instskip(SKIP_1) | instid1(VALU_DEP_2)
	v_add_co_u32 v36, vcc_lo, v34, s38
	s_wait_alu 0xfffd
	v_add_co_ci_u32_e64 v37, null, s39, v35, vcc_lo
	v_add_co_u32 v70, vcc_lo, v79, v4
	s_wait_alu 0xfffd
	v_add_co_ci_u32_e64 v71, null, v80, v5, vcc_lo
	;; [unrolled: 3-line block ×5, first 2 shown]
	s_clause 0x3
	flat_load_b64 v[44:45], v[30:31]
	flat_load_b64 v[40:41], v[32:33]
	;; [unrolled: 1-line block ×8, first 2 shown]
	s_and_saveexec_b32 s48, s3
	s_cbranch_execz .LBB301_24
; %bb.28:                               ;   in Loop: Header=BB301_26 Depth=2
	flat_load_b64 v[54:55], v[70:71] offset:256
	flat_load_b64 v[52:53], v[68:69] offset:256
	flat_load_b64 v[50:51], v[66:67] offset:256
	flat_load_b64 v[48:49], v[64:65] offset:256
	s_and_saveexec_b32 s49, s4
	s_cbranch_execz .LBB301_23
; %bb.29:                               ;   in Loop: Header=BB301_26 Depth=2
	flat_load_b64 v[62:63], v[70:71] offset:512
	flat_load_b64 v[60:61], v[68:69] offset:512
	flat_load_b64 v[58:59], v[66:67] offset:512
	flat_load_b64 v[56:57], v[64:65] offset:512
	;; [unrolled: 7-line block ×3, first 2 shown]
	s_wait_loadcnt_dscnt 0x101
	v_dual_mul_f32 v86, v41, v69 :: v_dual_mul_f32 v87, v35, v67
	v_mul_f32_e32 v69, v40, v69
	s_delay_alu instid0(VALU_DEP_2) | instskip(SKIP_2) | instid1(VALU_DEP_4)
	v_fma_f32 v86, v40, v68, -v86
	v_mul_f32_e32 v85, v45, v71
	v_mul_f32_e32 v71, v44, v71
	v_fmac_f32_e32 v69, v41, v68
	v_fma_f32 v68, v34, v66, -v87
	s_delay_alu instid0(VALU_DEP_4) | instskip(NEXT) | instid1(VALU_DEP_4)
	v_fma_f32 v85, v44, v70, -v85
	v_fmac_f32_e32 v71, v45, v70
	s_wait_loadcnt_dscnt 0x0
	v_mul_f32_e32 v70, v33, v65
	v_mul_f32_e32 v65, v32, v65
	s_delay_alu instid0(VALU_DEP_3) | instskip(NEXT) | instid1(VALU_DEP_1)
	v_dual_add_f32 v18, v18, v85 :: v_dual_add_f32 v19, v19, v71
	v_dual_fmac_f32 v65, v33, v64 :: v_dual_add_f32 v18, v86, v18
	v_mul_f32_e32 v67, v34, v67
	s_delay_alu instid0(VALU_DEP_2) | instskip(NEXT) | instid1(VALU_DEP_2)
	v_dual_add_f32 v19, v69, v19 :: v_dual_add_f32 v18, v68, v18
	v_fmac_f32_e32 v67, v35, v66
	v_fma_f32 v66, v32, v64, -v70
	s_delay_alu instid0(VALU_DEP_1) | instskip(NEXT) | instid1(VALU_DEP_1)
	v_dual_add_f32 v19, v67, v19 :: v_dual_add_f32 v18, v66, v18
	v_add_f32_e32 v19, v65, v19
	s_branch .LBB301_22
.LBB301_31:                             ;   in Loop: Header=BB301_5 Depth=1
	s_or_b32 exec_lo, exec_lo, s47
.LBB301_32:                             ;   in Loop: Header=BB301_5 Depth=1
	s_delay_alu instid0(SALU_CYCLE_1) | instskip(NEXT) | instid1(SALU_CYCLE_1)
	s_or_b32 exec_lo, exec_lo, s46
	s_and_not1_b32 vcc_lo, exec_lo, s44
	s_wait_alu 0xfffe
	s_cbranch_vccnz .LBB301_50
; %bb.33:                               ;   in Loop: Header=BB301_5 Depth=1
	v_cmp_gt_i32_e32 vcc_lo, s9, v76
	v_dual_mov_b32 v30, 0 :: v_dual_mov_b32 v31, 0
	v_or_b32_e32 v38, 1, v76
	v_dual_mov_b32 v32, 0 :: v_dual_mov_b32 v33, 0
	v_dual_mov_b32 v34, 0 :: v_dual_mov_b32 v35, 0
	;; [unrolled: 1-line block ×3, first 2 shown]
	s_and_saveexec_b32 s46, vcc_lo
	s_cbranch_execz .LBB301_41
; %bb.34:                               ;   in Loop: Header=BB301_5 Depth=1
	v_mad_co_u64_u32 v[30:31], null, s28, v76, 0
	v_dual_mov_b32 v37, 0 :: v_dual_mov_b32 v36, 0
	v_dual_mov_b32 v35, 0 :: v_dual_mov_b32 v34, 0
	v_mov_b32_e32 v33, 0
	s_mov_b32 s47, exec_lo
	s_delay_alu instid0(VALU_DEP_4) | instskip(SKIP_1) | instid1(VALU_DEP_2)
	v_mad_co_u64_u32 v[31:32], null, s29, v76, v[31:32]
	v_mov_b32_e32 v32, 0
	v_lshlrev_b64_e32 v[30:31], 3, v[30:31]
	s_delay_alu instid0(VALU_DEP_1) | instskip(SKIP_1) | instid1(VALU_DEP_2)
	v_add_co_u32 v30, s7, v28, v30
	s_wait_alu 0xf1ff
	v_add_co_ci_u32_e64 v31, null, v29, v31, s7
	flat_load_b64 v[30:31], v[30:31]
	v_cmpx_gt_i32_e64 s9, v38
	s_cbranch_execz .LBB301_40
; %bb.35:                               ;   in Loop: Header=BB301_5 Depth=1
	v_mad_co_u64_u32 v[32:33], null, s28, v38, 0
	v_or_b32_e32 v39, 2, v76
	v_dual_mov_b32 v37, 0 :: v_dual_mov_b32 v36, 0
	v_mov_b32_e32 v35, 0
	s_mov_b32 s48, exec_lo
	s_delay_alu instid0(VALU_DEP_4) | instskip(SKIP_1) | instid1(VALU_DEP_2)
	v_mad_co_u64_u32 v[33:34], null, s29, v38, v[33:34]
	v_mov_b32_e32 v34, 0
	v_lshlrev_b64_e32 v[32:33], 3, v[32:33]
	s_delay_alu instid0(VALU_DEP_1) | instskip(SKIP_1) | instid1(VALU_DEP_2)
	v_add_co_u32 v32, s7, v28, v32
	s_wait_alu 0xf1ff
	v_add_co_ci_u32_e64 v33, null, v29, v33, s7
	flat_load_b64 v[32:33], v[32:33]
	v_cmpx_gt_i32_e64 s9, v39
	s_cbranch_execz .LBB301_39
; %bb.36:                               ;   in Loop: Header=BB301_5 Depth=1
	v_mad_co_u64_u32 v[34:35], null, s28, v39, 0
	v_mov_b32_e32 v37, 0
	s_mov_b32 s49, exec_lo
	s_delay_alu instid0(VALU_DEP_2) | instskip(SKIP_2) | instid1(VALU_DEP_3)
	v_mad_co_u64_u32 v[35:36], null, s29, v39, v[35:36]
	v_or_b32_e32 v39, 3, v76
	v_mov_b32_e32 v36, 0
	v_lshlrev_b64_e32 v[34:35], 3, v[34:35]
	s_delay_alu instid0(VALU_DEP_1) | instskip(SKIP_1) | instid1(VALU_DEP_2)
	v_add_co_u32 v34, s7, v28, v34
	s_wait_alu 0xf1ff
	v_add_co_ci_u32_e64 v35, null, v29, v35, s7
	flat_load_b64 v[34:35], v[34:35]
	v_cmpx_gt_i32_e64 s9, v39
	s_cbranch_execz .LBB301_38
; %bb.37:                               ;   in Loop: Header=BB301_5 Depth=1
	v_mad_co_u64_u32 v[36:37], null, s28, v39, 0
	s_delay_alu instid0(VALU_DEP_1) | instskip(NEXT) | instid1(VALU_DEP_1)
	v_mad_co_u64_u32 v[39:40], null, s29, v39, v[37:38]
	v_mov_b32_e32 v37, v39
	s_delay_alu instid0(VALU_DEP_1) | instskip(NEXT) | instid1(VALU_DEP_1)
	v_lshlrev_b64_e32 v[36:37], 3, v[36:37]
	v_add_co_u32 v28, s7, v28, v36
	s_wait_alu 0xf1ff
	s_delay_alu instid0(VALU_DEP_2)
	v_add_co_ci_u32_e64 v29, null, v29, v37, s7
	flat_load_b64 v[36:37], v[28:29]
.LBB301_38:                             ;   in Loop: Header=BB301_5 Depth=1
	s_or_b32 exec_lo, exec_lo, s49
.LBB301_39:                             ;   in Loop: Header=BB301_5 Depth=1
	s_delay_alu instid0(SALU_CYCLE_1)
	s_or_b32 exec_lo, exec_lo, s48
.LBB301_40:                             ;   in Loop: Header=BB301_5 Depth=1
	s_delay_alu instid0(SALU_CYCLE_1)
	s_or_b32 exec_lo, exec_lo, s47
.LBB301_41:                             ;   in Loop: Header=BB301_5 Depth=1
	s_delay_alu instid0(SALU_CYCLE_1)
	s_or_b32 exec_lo, exec_lo, s46
	s_and_saveexec_b32 s46, s1
	s_cbranch_execz .LBB301_49
; %bb.42:                               ;   in Loop: Header=BB301_5 Depth=1
	v_or_b32_e32 v47, 2, v76
	v_mad_co_u64_u32 v[28:29], null, s30, v76, 0
	v_mad_co_u64_u32 v[39:40], null, s30, v38, 0
	s_delay_alu instid0(VALU_DEP_3) | instskip(SKIP_4) | instid1(VALU_DEP_4)
	v_mad_co_u64_u32 v[41:42], null, s30, v47, 0
	v_cmp_gt_i32_e64 s7, s9, v38
	v_or_b32_e32 v48, 3, v76
	s_wait_loadcnt_dscnt 0x0
	v_mad_co_u64_u32 v[43:44], null, s31, v76, v[29:30]
	v_dual_mov_b32 v29, v42 :: v_dual_cndmask_b32 v42, 0, v28
	v_mad_co_u64_u32 v[44:45], null, s31, v38, v[40:41]
	s_wait_alu 0xf1ff
	v_cndmask_b32_e64 v28, 0, v39, s7
	s_delay_alu instid0(VALU_DEP_3) | instskip(SKIP_4) | instid1(VALU_DEP_4)
	v_mad_co_u64_u32 v[38:39], null, s31, v47, v[29:30]
	v_cndmask_b32_e32 v43, 0, v43, vcc_lo
	v_mad_co_u64_u32 v[45:46], null, s30, v48, 0
	v_cndmask_b32_e64 v29, 0, v44, s7
	v_cmp_gt_i32_e32 vcc_lo, s9, v47
	v_lshlrev_b64_e32 v[39:40], 3, v[42:43]
	s_delay_alu instid0(VALU_DEP_3) | instskip(SKIP_3) | instid1(VALU_DEP_4)
	v_lshlrev_b64_e32 v[28:29], 3, v[28:29]
	v_mov_b32_e32 v43, v46
	s_wait_alu 0xfffd
	v_cndmask_b32_e32 v41, 0, v41, vcc_lo
	v_add_co_u32 v39, s7, v26, v39
	s_wait_alu 0xf1ff
	v_add_co_ci_u32_e64 v40, null, v27, v40, s7
	v_cndmask_b32_e32 v42, 0, v38, vcc_lo
	s_delay_alu instid0(VALU_DEP_3)
	v_add_co_u32 v60, vcc_lo, v39, v4
	v_mad_co_u64_u32 v[38:39], null, s31, v48, v[43:44]
	s_wait_alu 0xfffd
	v_add_co_ci_u32_e64 v61, null, v40, v5, vcc_lo
	v_cmp_gt_i32_e32 vcc_lo, s9, v48
	v_add_co_u32 v43, s7, v26, v28
	s_wait_alu 0xf1ff
	v_add_co_ci_u32_e64 v44, null, v27, v29, s7
	s_wait_alu 0xfffd
	v_dual_cndmask_b32 v39, 0, v45 :: v_dual_cndmask_b32 v40, 0, v38
	v_lshlrev_b64_e32 v[28:29], 3, v[41:42]
	v_add_co_u32 v62, vcc_lo, v43, v4
	s_wait_alu 0xfffd
	v_add_co_ci_u32_e64 v63, null, v44, v5, vcc_lo
	v_lshlrev_b64_e32 v[38:39], 3, v[39:40]
	s_delay_alu instid0(VALU_DEP_4) | instskip(SKIP_2) | instid1(VALU_DEP_3)
	v_add_co_u32 v28, vcc_lo, v26, v28
	s_wait_alu 0xfffd
	v_add_co_ci_u32_e64 v29, null, v27, v29, vcc_lo
	v_add_co_u32 v26, vcc_lo, v26, v38
	s_wait_alu 0xfffd
	v_add_co_ci_u32_e64 v27, null, v27, v39, vcc_lo
	;; [unrolled: 3-line block ×4, first 2 shown]
	s_clause 0x3
	flat_load_b64 v[40:41], v[60:61]
	flat_load_b64 v[38:39], v[62:63]
	;; [unrolled: 1-line block ×4, first 2 shown]
	s_and_saveexec_b32 s7, s3
	s_cbranch_execz .LBB301_48
; %bb.43:                               ;   in Loop: Header=BB301_5 Depth=1
	s_clause 0x3
	flat_load_b64 v[48:49], v[60:61] offset:256
	flat_load_b64 v[46:47], v[62:63] offset:256
	flat_load_b64 v[44:45], v[64:65] offset:256
	flat_load_b64 v[42:43], v[58:59] offset:256
	s_and_saveexec_b32 s47, s4
	s_cbranch_execz .LBB301_47
; %bb.44:                               ;   in Loop: Header=BB301_5 Depth=1
	s_clause 0x3
	flat_load_b64 v[56:57], v[60:61] offset:512
	flat_load_b64 v[54:55], v[62:63] offset:512
	flat_load_b64 v[52:53], v[64:65] offset:512
	flat_load_b64 v[50:51], v[58:59] offset:512
	;; [unrolled: 8-line block ×3, first 2 shown]
	s_wait_loadcnt_dscnt 0x202
	v_dual_mul_f32 v66, v31, v61 :: v_dual_mul_f32 v67, v33, v63
	v_mul_f32_e32 v61, v30, v61
	s_wait_loadcnt_dscnt 0x101
	v_dual_mul_f32 v63, v32, v63 :: v_dual_mul_f32 v68, v35, v65
	s_delay_alu instid0(VALU_DEP_3)
	v_fma_f32 v66, v30, v60, -v66
	v_fma_f32 v67, v32, v62, -v67
	s_wait_loadcnt_dscnt 0x0
	v_dual_fmac_f32 v61, v31, v60 :: v_dual_mul_f32 v60, v37, v59
	v_fmac_f32_e32 v63, v33, v62
	v_add_f32_e32 v18, v18, v66
	v_mul_f32_e32 v65, v34, v65
	v_mul_f32_e32 v59, v36, v59
	v_fma_f32 v60, v36, v58, -v60
	s_delay_alu instid0(VALU_DEP_4) | instskip(SKIP_3) | instid1(VALU_DEP_2)
	v_add_f32_e32 v18, v67, v18
	v_add_f32_e32 v19, v19, v61
	v_fma_f32 v61, v34, v64, -v68
	v_fmac_f32_e32 v59, v37, v58
	v_dual_add_f32 v18, v61, v18 :: v_dual_fmac_f32 v65, v35, v64
	s_delay_alu instid0(VALU_DEP_1) | instskip(NEXT) | instid1(VALU_DEP_1)
	v_dual_add_f32 v19, v63, v19 :: v_dual_add_f32 v18, v60, v18
	v_add_f32_e32 v19, v65, v19
	s_delay_alu instid0(VALU_DEP_1)
	v_add_f32_e32 v19, v59, v19
.LBB301_46:                             ;   in Loop: Header=BB301_5 Depth=1
	s_or_b32 exec_lo, exec_lo, s48
	s_wait_loadcnt_dscnt 0x202
	v_dual_mul_f32 v58, v31, v57 :: v_dual_mul_f32 v59, v33, v55
	v_mul_f32_e32 v57, v30, v57
	s_wait_loadcnt_dscnt 0x101
	v_dual_mul_f32 v55, v32, v55 :: v_dual_mul_f32 v60, v35, v53
	s_delay_alu instid0(VALU_DEP_3)
	v_fma_f32 v58, v30, v56, -v58
	v_mul_f32_e32 v53, v34, v53
	v_fmac_f32_e32 v57, v31, v56
	v_fma_f32 v59, v32, v54, -v59
	s_wait_loadcnt_dscnt 0x0
	v_mul_f32_e32 v56, v37, v51
	v_add_f32_e32 v20, v20, v58
	v_fmac_f32_e32 v55, v33, v54
	v_fma_f32 v54, v34, v52, -v60
	v_mul_f32_e32 v51, v36, v51
	v_fmac_f32_e32 v53, v35, v52
	v_dual_add_f32 v20, v59, v20 :: v_dual_add_f32 v21, v21, v57
	v_fma_f32 v52, v36, v50, -v56
	s_delay_alu instid0(VALU_DEP_2) | instskip(NEXT) | instid1(VALU_DEP_1)
	v_dual_fmac_f32 v51, v37, v50 :: v_dual_add_f32 v20, v54, v20
	v_dual_add_f32 v21, v55, v21 :: v_dual_add_f32 v20, v52, v20
	s_delay_alu instid0(VALU_DEP_1) | instskip(NEXT) | instid1(VALU_DEP_1)
	v_add_f32_e32 v21, v53, v21
	v_add_f32_e32 v21, v51, v21
.LBB301_47:                             ;   in Loop: Header=BB301_5 Depth=1
	s_or_b32 exec_lo, exec_lo, s47
	s_wait_loadcnt_dscnt 0x202
	v_dual_mul_f32 v50, v31, v49 :: v_dual_mul_f32 v51, v33, v47
	v_mul_f32_e32 v49, v30, v49
	s_wait_loadcnt_dscnt 0x101
	v_dual_mul_f32 v47, v32, v47 :: v_dual_mul_f32 v52, v35, v45
	s_delay_alu instid0(VALU_DEP_3)
	v_fma_f32 v50, v30, v48, -v50
	v_fma_f32 v51, v32, v46, -v51
	s_wait_loadcnt_dscnt 0x0
	v_dual_fmac_f32 v49, v31, v48 :: v_dual_mul_f32 v48, v37, v43
	v_fmac_f32_e32 v47, v33, v46
	v_add_f32_e32 v22, v22, v50
	v_mul_f32_e32 v45, v34, v45
	v_fma_f32 v46, v34, v44, -v52
	s_delay_alu instid0(VALU_DEP_3) | instskip(SKIP_1) | instid1(VALU_DEP_2)
	v_dual_mul_f32 v43, v36, v43 :: v_dual_add_f32 v22, v51, v22
	v_add_f32_e32 v23, v23, v49
	v_fmac_f32_e32 v43, v37, v42
	s_delay_alu instid0(VALU_DEP_3) | instskip(NEXT) | instid1(VALU_DEP_3)
	v_dual_add_f32 v22, v46, v22 :: v_dual_fmac_f32 v45, v35, v44
	v_add_f32_e32 v23, v47, v23
	v_fma_f32 v44, v36, v42, -v48
	s_delay_alu instid0(VALU_DEP_1) | instskip(NEXT) | instid1(VALU_DEP_1)
	v_dual_add_f32 v22, v44, v22 :: v_dual_add_f32 v23, v45, v23
	v_add_f32_e32 v23, v43, v23
.LBB301_48:                             ;   in Loop: Header=BB301_5 Depth=1
	s_wait_alu 0xfffe
	s_or_b32 exec_lo, exec_lo, s7
	s_wait_loadcnt_dscnt 0x202
	v_dual_mul_f32 v42, v31, v41 :: v_dual_mul_f32 v43, v33, v39
	v_mul_f32_e32 v41, v30, v41
	s_wait_loadcnt_dscnt 0x101
	v_dual_mul_f32 v39, v32, v39 :: v_dual_mul_f32 v44, v35, v29
	s_delay_alu instid0(VALU_DEP_3) | instskip(SKIP_1) | instid1(VALU_DEP_2)
	v_fma_f32 v30, v30, v40, -v42
	v_fma_f32 v32, v32, v38, -v43
	v_dual_add_f32 v24, v24, v30 :: v_dual_mul_f32 v29, v34, v29
	v_fmac_f32_e32 v41, v31, v40
	v_fma_f32 v30, v34, v28, -v44
	s_wait_loadcnt_dscnt 0x0
	s_delay_alu instid0(VALU_DEP_3) | instskip(NEXT) | instid1(VALU_DEP_3)
	v_dual_add_f32 v24, v32, v24 :: v_dual_mul_f32 v31, v37, v27
	v_add_f32_e32 v25, v25, v41
	v_fmac_f32_e32 v29, v35, v28
	s_delay_alu instid0(VALU_DEP_3) | instskip(NEXT) | instid1(VALU_DEP_4)
	v_dual_mul_f32 v27, v36, v27 :: v_dual_add_f32 v24, v30, v24
	v_fma_f32 v28, v36, v26, -v31
	v_fmac_f32_e32 v39, v33, v38
	s_delay_alu instid0(VALU_DEP_2) | instskip(NEXT) | instid1(VALU_DEP_2)
	v_dual_fmac_f32 v27, v37, v26 :: v_dual_add_f32 v24, v28, v24
	v_add_f32_e32 v25, v39, v25
	s_delay_alu instid0(VALU_DEP_1) | instskip(NEXT) | instid1(VALU_DEP_1)
	v_add_f32_e32 v25, v29, v25
	v_add_f32_e32 v25, v27, v25
.LBB301_49:                             ;   in Loop: Header=BB301_5 Depth=1
	s_or_b32 exec_lo, exec_lo, s46
.LBB301_50:                             ;   in Loop: Header=BB301_5 Depth=1
	ds_store_2addr_b64 v73, v[24:25], v[22:23] offset1:32
	ds_store_2addr_b64 v73, v[20:21], v[18:19] offset0:64 offset1:96
	s_wait_storecnt 0x0
	s_wait_loadcnt_dscnt 0x0
	s_barrier_signal -1
	s_barrier_wait -1
	global_inv scope:SCOPE_SE
	s_and_saveexec_b32 s7, s0
	s_cbranch_execz .LBB301_3
; %bb.51:                               ;   in Loop: Header=BB301_5 Depth=1
	ds_load_2addr_stride64_b64 v[18:21], v74 offset1:2
	ds_load_2addr_stride64_b64 v[22:25], v74 offset0:4 offset1:6
	ds_load_2addr_stride64_b64 v[26:29], v74 offset0:8 offset1:10
	s_wait_dscnt 0x2
	v_dual_add_f32 v30, v18, v20 :: v_dual_add_f32 v31, v19, v21
	ds_load_2addr_stride64_b64 v[18:21], v74 offset0:12 offset1:14
	s_wait_dscnt 0x2
	v_dual_add_f32 v22, v30, v22 :: v_dual_add_f32 v23, v31, v23
	s_delay_alu instid0(VALU_DEP_1) | instskip(SKIP_3) | instid1(VALU_DEP_1)
	v_dual_add_f32 v30, v22, v24 :: v_dual_add_f32 v31, v23, v25
	ds_load_2addr_stride64_b64 v[22:25], v74 offset0:16 offset1:18
	s_wait_dscnt 0x2
	v_dual_add_f32 v26, v30, v26 :: v_dual_add_f32 v27, v31, v27
	v_dual_add_f32 v30, v26, v28 :: v_dual_add_f32 v31, v27, v29
	ds_load_2addr_stride64_b64 v[26:29], v74 offset0:20 offset1:22
	s_wait_dscnt 0x2
	v_dual_add_f32 v18, v30, v18 :: v_dual_add_f32 v19, v31, v19
	s_delay_alu instid0(VALU_DEP_1) | instskip(SKIP_3) | instid1(VALU_DEP_1)
	v_dual_add_f32 v30, v18, v20 :: v_dual_add_f32 v31, v19, v21
	ds_load_2addr_stride64_b64 v[18:21], v74 offset0:24 offset1:26
	s_wait_dscnt 0x2
	v_dual_add_f32 v22, v30, v22 :: v_dual_add_f32 v23, v31, v23
	v_dual_add_f32 v30, v22, v24 :: v_dual_add_f32 v31, v23, v25
	ds_load_2addr_stride64_b64 v[22:25], v74 offset0:28 offset1:30
	s_wait_dscnt 0x2
	v_dual_add_f32 v26, v30, v26 :: v_dual_add_f32 v27, v31, v27
	s_delay_alu instid0(VALU_DEP_1) | instskip(SKIP_1) | instid1(VALU_DEP_1)
	v_dual_add_f32 v26, v26, v28 :: v_dual_add_f32 v27, v27, v29
	s_wait_dscnt 0x1
	v_dual_add_f32 v18, v26, v18 :: v_dual_add_f32 v19, v27, v19
	s_delay_alu instid0(VALU_DEP_1) | instskip(SKIP_1) | instid1(VALU_DEP_1)
	v_dual_add_f32 v18, v18, v20 :: v_dual_add_f32 v19, v19, v21
	s_wait_dscnt 0x0
	v_dual_add_f32 v18, v18, v22 :: v_dual_add_f32 v19, v19, v23
	s_delay_alu instid0(VALU_DEP_1)
	v_dual_add_f32 v20, v18, v24 :: v_dual_add_f32 v21, v19, v25
	ds_store_b64 v74, v[20:21]
	s_and_b32 exec_lo, exec_lo, s2
	s_cbranch_execz .LBB301_3
; %bb.52:                               ;   in Loop: Header=BB301_5 Depth=1
	v_mul_f32_e32 v19, s10, v21
	v_mul_f32_e32 v18, s11, v21
	s_and_not1_b32 vcc_lo, exec_lo, s42
	s_delay_alu instid0(VALU_DEP_2) | instskip(NEXT) | instid1(VALU_DEP_2)
	v_fmac_f32_e32 v19, s11, v20
	v_fma_f32 v18, v20, s10, -v18
	s_wait_alu 0xfffe
	s_cbranch_vccnz .LBB301_2
; %bb.53:                               ;   in Loop: Header=BB301_5 Depth=1
	v_add_co_u32 v20, vcc_lo, v0, v16
	s_wait_alu 0xfffd
	v_add_co_ci_u32_e64 v21, null, v75, v17, vcc_lo
	flat_load_b64 v[20:21], v[20:21]
	s_wait_loadcnt_dscnt 0x0
	v_mul_f32_e32 v22, s27, v21
	v_mul_f32_e32 v21, s26, v21
	s_delay_alu instid0(VALU_DEP_1) | instskip(NEXT) | instid1(VALU_DEP_3)
	v_fmac_f32_e32 v21, s27, v20
	v_fma_f32 v22, s26, v20, -v22
	s_delay_alu instid0(VALU_DEP_1)
	v_dual_add_f32 v19, v19, v21 :: v_dual_add_f32 v18, v18, v22
	s_branch .LBB301_2
.LBB301_54:
	s_endpgm
	.section	.rodata,"a",@progbits
	.p2align	6, 0x0
	.amdhsa_kernel _ZL20rocblas_gemvn_kernelILi32ELi16ElPK19rocblas_complex_numIfES1_KPS1_EviiT3_lPKT2_lT1_lS9_lSA_lS6_lPT4_lSA_li
		.amdhsa_group_segment_fixed_size 16384
		.amdhsa_private_segment_fixed_size 0
		.amdhsa_kernarg_size 400
		.amdhsa_user_sgpr_count 2
		.amdhsa_user_sgpr_dispatch_ptr 0
		.amdhsa_user_sgpr_queue_ptr 0
		.amdhsa_user_sgpr_kernarg_segment_ptr 1
		.amdhsa_user_sgpr_dispatch_id 0
		.amdhsa_user_sgpr_private_segment_size 0
		.amdhsa_wavefront_size32 1
		.amdhsa_uses_dynamic_stack 0
		.amdhsa_enable_private_segment 0
		.amdhsa_system_sgpr_workgroup_id_x 1
		.amdhsa_system_sgpr_workgroup_id_y 0
		.amdhsa_system_sgpr_workgroup_id_z 1
		.amdhsa_system_sgpr_workgroup_info 0
		.amdhsa_system_vgpr_workitem_id 1
		.amdhsa_next_free_vgpr 88
		.amdhsa_next_free_sgpr 51
		.amdhsa_reserve_vcc 1
		.amdhsa_float_round_mode_32 0
		.amdhsa_float_round_mode_16_64 0
		.amdhsa_float_denorm_mode_32 3
		.amdhsa_float_denorm_mode_16_64 3
		.amdhsa_fp16_overflow 0
		.amdhsa_workgroup_processor_mode 1
		.amdhsa_memory_ordered 1
		.amdhsa_forward_progress 1
		.amdhsa_inst_pref_size 36
		.amdhsa_round_robin_scheduling 0
		.amdhsa_exception_fp_ieee_invalid_op 0
		.amdhsa_exception_fp_denorm_src 0
		.amdhsa_exception_fp_ieee_div_zero 0
		.amdhsa_exception_fp_ieee_overflow 0
		.amdhsa_exception_fp_ieee_underflow 0
		.amdhsa_exception_fp_ieee_inexact 0
		.amdhsa_exception_int_div_zero 0
	.end_amdhsa_kernel
	.section	.text._ZL20rocblas_gemvn_kernelILi32ELi16ElPK19rocblas_complex_numIfES1_KPS1_EviiT3_lPKT2_lT1_lS9_lSA_lS6_lPT4_lSA_li,"axG",@progbits,_ZL20rocblas_gemvn_kernelILi32ELi16ElPK19rocblas_complex_numIfES1_KPS1_EviiT3_lPKT2_lT1_lS9_lSA_lS6_lPT4_lSA_li,comdat
.Lfunc_end301:
	.size	_ZL20rocblas_gemvn_kernelILi32ELi16ElPK19rocblas_complex_numIfES1_KPS1_EviiT3_lPKT2_lT1_lS9_lSA_lS6_lPT4_lSA_li, .Lfunc_end301-_ZL20rocblas_gemvn_kernelILi32ELi16ElPK19rocblas_complex_numIfES1_KPS1_EviiT3_lPKT2_lT1_lS9_lSA_lS6_lPT4_lSA_li
                                        ; -- End function
	.set _ZL20rocblas_gemvn_kernelILi32ELi16ElPK19rocblas_complex_numIfES1_KPS1_EviiT3_lPKT2_lT1_lS9_lSA_lS6_lPT4_lSA_li.num_vgpr, 88
	.set _ZL20rocblas_gemvn_kernelILi32ELi16ElPK19rocblas_complex_numIfES1_KPS1_EviiT3_lPKT2_lT1_lS9_lSA_lS6_lPT4_lSA_li.num_agpr, 0
	.set _ZL20rocblas_gemvn_kernelILi32ELi16ElPK19rocblas_complex_numIfES1_KPS1_EviiT3_lPKT2_lT1_lS9_lSA_lS6_lPT4_lSA_li.numbered_sgpr, 51
	.set _ZL20rocblas_gemvn_kernelILi32ELi16ElPK19rocblas_complex_numIfES1_KPS1_EviiT3_lPKT2_lT1_lS9_lSA_lS6_lPT4_lSA_li.num_named_barrier, 0
	.set _ZL20rocblas_gemvn_kernelILi32ELi16ElPK19rocblas_complex_numIfES1_KPS1_EviiT3_lPKT2_lT1_lS9_lSA_lS6_lPT4_lSA_li.private_seg_size, 0
	.set _ZL20rocblas_gemvn_kernelILi32ELi16ElPK19rocblas_complex_numIfES1_KPS1_EviiT3_lPKT2_lT1_lS9_lSA_lS6_lPT4_lSA_li.uses_vcc, 1
	.set _ZL20rocblas_gemvn_kernelILi32ELi16ElPK19rocblas_complex_numIfES1_KPS1_EviiT3_lPKT2_lT1_lS9_lSA_lS6_lPT4_lSA_li.uses_flat_scratch, 1
	.set _ZL20rocblas_gemvn_kernelILi32ELi16ElPK19rocblas_complex_numIfES1_KPS1_EviiT3_lPKT2_lT1_lS9_lSA_lS6_lPT4_lSA_li.has_dyn_sized_stack, 0
	.set _ZL20rocblas_gemvn_kernelILi32ELi16ElPK19rocblas_complex_numIfES1_KPS1_EviiT3_lPKT2_lT1_lS9_lSA_lS6_lPT4_lSA_li.has_recursion, 0
	.set _ZL20rocblas_gemvn_kernelILi32ELi16ElPK19rocblas_complex_numIfES1_KPS1_EviiT3_lPKT2_lT1_lS9_lSA_lS6_lPT4_lSA_li.has_indirect_call, 0
	.section	.AMDGPU.csdata,"",@progbits
; Kernel info:
; codeLenInByte = 4536
; TotalNumSgprs: 53
; NumVgprs: 88
; ScratchSize: 0
; MemoryBound: 0
; FloatMode: 240
; IeeeMode: 1
; LDSByteSize: 16384 bytes/workgroup (compile time only)
; SGPRBlocks: 0
; VGPRBlocks: 10
; NumSGPRsForWavesPerEU: 53
; NumVGPRsForWavesPerEU: 88
; Occupancy: 16
; WaveLimiterHint : 1
; COMPUTE_PGM_RSRC2:SCRATCH_EN: 0
; COMPUTE_PGM_RSRC2:USER_SGPR: 2
; COMPUTE_PGM_RSRC2:TRAP_HANDLER: 0
; COMPUTE_PGM_RSRC2:TGID_X_EN: 1
; COMPUTE_PGM_RSRC2:TGID_Y_EN: 0
; COMPUTE_PGM_RSRC2:TGID_Z_EN: 1
; COMPUTE_PGM_RSRC2:TIDIG_COMP_CNT: 1
	.section	.text._ZL20rocblas_gemvn_kernelILi64ELi16EiPK19rocblas_complex_numIfES3_KPS1_EviiT3_lPKT2_lT1_lS9_lSA_lS6_lPT4_lSA_li,"axG",@progbits,_ZL20rocblas_gemvn_kernelILi64ELi16EiPK19rocblas_complex_numIfES3_KPS1_EviiT3_lPKT2_lT1_lS9_lSA_lS6_lPT4_lSA_li,comdat
	.globl	_ZL20rocblas_gemvn_kernelILi64ELi16EiPK19rocblas_complex_numIfES3_KPS1_EviiT3_lPKT2_lT1_lS9_lSA_lS6_lPT4_lSA_li ; -- Begin function _ZL20rocblas_gemvn_kernelILi64ELi16EiPK19rocblas_complex_numIfES3_KPS1_EviiT3_lPKT2_lT1_lS9_lSA_lS6_lPT4_lSA_li
	.p2align	8
	.type	_ZL20rocblas_gemvn_kernelILi64ELi16EiPK19rocblas_complex_numIfES3_KPS1_EviiT3_lPKT2_lT1_lS9_lSA_lS6_lPT4_lSA_li,@function
_ZL20rocblas_gemvn_kernelILi64ELi16EiPK19rocblas_complex_numIfES3_KPS1_EviiT3_lPKT2_lT1_lS9_lSA_lS6_lPT4_lSA_li: ; @_ZL20rocblas_gemvn_kernelILi64ELi16EiPK19rocblas_complex_numIfES3_KPS1_EviiT3_lPKT2_lT1_lS9_lSA_lS6_lPT4_lSA_li
; %bb.0:
	s_clause 0x1
	s_load_b64 s[2:3], s[0:1], 0x9c
	s_load_b32 s33, s[0:1], 0x88
	s_lshr_b32 s28, ttmp7, 16
	s_wait_kmcnt 0x0
	s_lshr_b32 s4, s2, 16
	s_and_b32 s2, s2, 0xffff
	s_and_b32 s3, s3, 0xffff
	s_mul_i32 s2, s4, s2
	s_delay_alu instid0(SALU_CYCLE_1) | instskip(NEXT) | instid1(SALU_CYCLE_1)
	s_mul_i32 s2, s2, s3
	s_cmp_lg_u32 s2, 0x400
	s_cselect_b32 s2, -1, 0
	s_cmp_ge_u32 s28, s33
	s_cselect_b32 s3, -1, 0
	s_delay_alu instid0(SALU_CYCLE_1) | instskip(NEXT) | instid1(SALU_CYCLE_1)
	s_or_b32 s2, s2, s3
	s_and_b32 vcc_lo, exec_lo, s2
	s_cbranch_vccnz .LBB302_53
; %bb.1:
	s_clause 0x2
	s_load_b32 s6, s[0:1], 0x78
	s_load_b64 s[30:31], s[0:1], 0x0
	s_load_b256 s[8:15], s[0:1], 0x8
	v_and_b32_e32 v5, 0x3ff, v0
	v_bfe_u32 v10, v0, 10, 10
	s_lshl_b32 s36, ttmp9, 8
	s_clause 0x3
	s_load_b32 s35, s[0:1], 0x28
	s_load_b128 s[24:27], s[0:1], 0x38
	s_load_b32 s34, s[0:1], 0x48
	s_load_b256 s[16:23], s[0:1], 0x58
	v_mov_b32_e32 v1, 0
	v_add_nc_u32_e32 v61, s36, v5
	v_lshl_add_u32 v4, v10, 6, v5
	v_lshlrev_b32_e32 v62, 2, v10
	s_delay_alu instid0(VALU_DEP_3) | instskip(NEXT) | instid1(VALU_DEP_3)
	v_add_nc_u32_e32 v2, 64, v61
	v_add_nc_u32_e32 v0, s36, v4
	;; [unrolled: 1-line block ×4, first 2 shown]
	v_or_b32_e32 v11, s36, v4
	v_or_b32_e32 v13, 3, v62
	s_wait_kmcnt 0x0
	v_mad_co_u64_u32 v[6:7], null, s6, v0, 0
	v_cmp_gt_i32_e64 s1, s30, v2
	s_ashr_i32 s7, s6, 31
	v_cmp_gt_i32_e64 s2, s30, v3
	s_ashr_i32 s29, s31, 31
	v_cmp_gt_i32_e64 s3, s30, v8
	v_mul_lo_u32 v8, s6, v11
	v_dual_mov_b32 v2, v7 :: v_dual_lshlrev_b32 v9, 3, v5
	s_lshr_b32 s29, s29, 26
	v_mul_lo_u32 v12, v10, s35
	s_ashr_i32 s5, s30, 31
	s_wait_alu 0xfffe
	v_mad_co_u64_u32 v[2:3], null, s7, v0, v[2:3]
	s_mov_b32 s4, s30
	s_add_co_i32 s37, s31, s29
	v_cmp_gt_i32_e64 s6, s30, v11
	v_or_b32_e32 v11, 2, v62
	s_wait_alu 0xfffe
	s_and_not1_b32 s37, s37, 63
	v_lshl_add_u32 v63, v10, 9, v9
	v_mov_b32_e32 v7, v2
	v_mul_lo_u32 v2, s35, v62
	v_cmp_gt_i64_e32 vcc_lo, s[4:5], v[0:1]
	v_lshl_add_u32 v0, v10, 11, v9
	v_mul_lo_u32 v10, v10, s34
	s_wait_alu 0xfffe
	s_sub_co_i32 s5, s31, s37
	v_ashrrev_i32_e32 v9, 31, v8
	s_wait_alu 0xfffe
	s_cmp_gt_i32 s5, 0
	v_cmp_gt_u32_e64 s5, 0x100, v4
	v_add3_u32 v64, v2, s35, v5
	v_mad_co_u64_u32 v[2:3], null, s35, v11, v[5:6]
	v_mad_co_u64_u32 v[3:4], null, s35, v13, v[5:6]
	v_lshl_add_u32 v65, v12, 2, v5
	v_mad_co_u64_u32 v[4:5], null, s34, v62, s[34:35]
	v_mul_lo_u32 v66, s34, v11
	v_mul_lo_u32 v67, s34, v13
	v_lshlrev_b64_e32 v[5:6], 3, v[6:7]
	v_lshlrev_b64_e32 v[7:8], 3, v[8:9]
	v_cmp_gt_i32_e64 s0, s30, v61
	v_cmp_gt_i32_e64 s4, s37, v62
	v_lshlrev_b32_e32 v68, 2, v10
	s_mov_b32 s29, 0
	s_cselect_b32 s38, -1, 0
	s_and_b32 s30, s5, vcc_lo
	s_lshl_b32 s39, s35, 6
	s_lshl_b32 s40, s34, 6
	s_lshl_b64 s[14:15], s[14:15], 3
	s_lshl_b64 s[26:27], s[26:27], 3
	;; [unrolled: 1-line block ×3, first 2 shown]
	s_branch .LBB302_5
.LBB302_2:                              ;   in Loop: Header=BB302_5 Depth=1
	v_add_co_u32 v11, vcc_lo, v69, v7
	s_wait_alu 0xfffd
	v_add_co_ci_u32_e64 v12, null, v70, v8, vcc_lo
	flat_store_b64 v[11:12], v[9:10]
.LBB302_3:                              ;   in Loop: Header=BB302_5 Depth=1
	s_wait_alu 0xfffe
	s_or_b32 exec_lo, exec_lo, s7
.LBB302_4:                              ;   in Loop: Header=BB302_5 Depth=1
	s_add_co_i32 s28, s28, 0x10000
	s_delay_alu instid0(SALU_CYCLE_1)
	s_cmp_lt_u32 s28, s33
	s_cbranch_scc0 .LBB302_53
.LBB302_5:                              ; =>This Loop Header: Depth=1
                                        ;     Child Loop BB302_25 Depth 2
	s_mul_u64 s[42:43], s[10:11], s[28:29]
	s_wait_alu 0xfffe
	s_lshl_b64 s[42:43], s[42:43], 3
	s_wait_alu 0xfffe
	s_add_nc_u64 s[42:43], s[8:9], s[42:43]
	global_load_b64 v[9:10], v1, s[42:43]
	s_mul_u64 s[42:43], s[18:19], s[28:29]
	s_wait_alu 0xfffe
	s_lshl_b64 s[42:43], s[42:43], 3
	s_wait_alu 0xfffe
	s_add_nc_u64 s[42:43], s[16:17], s[42:43]
	global_load_b64 v[11:12], v1, s[42:43]
	s_wait_loadcnt 0x1
	v_readfirstlane_b32 s43, v9
	v_readfirstlane_b32 s44, v10
	s_wait_alu 0xfffe
	s_cmp_neq_f32 s43, 0
	s_wait_loadcnt 0x0
	v_readfirstlane_b32 s41, v11
	s_cselect_b32 s7, -1, 0
	s_cmp_neq_f32 s44, 0
	s_cselect_b32 s42, -1, 0
	s_wait_alu 0xfffe
	s_or_b32 s7, s7, s42
	v_readfirstlane_b32 s42, v12
	s_wait_alu 0xfffe
	s_and_b32 vcc_lo, exec_lo, s7
	s_mov_b32 s7, -1
	s_wait_alu 0xfffe
	s_cbranch_vccnz .LBB302_7
; %bb.6:                                ;   in Loop: Header=BB302_5 Depth=1
	s_cmp_neq_f32 s41, 1.0
	s_cselect_b32 s7, -1, 0
	s_cmp_neq_f32 s42, 0
	s_cselect_b32 s45, -1, 0
	s_wait_alu 0xfffe
	s_or_b32 s7, s7, s45
.LBB302_7:                              ;   in Loop: Header=BB302_5 Depth=1
	s_wait_alu 0xfffe
	s_and_not1_b32 vcc_lo, exec_lo, s7
	s_wait_alu 0xfffe
	s_cbranch_vccnz .LBB302_4
; %bb.8:                                ;   in Loop: Header=BB302_5 Depth=1
	s_or_b32 s7, s43, s44
	v_mov_b32_e32 v19, 0
	s_wait_alu 0xfffe
	s_bitset0_b32 s7, 31
	v_dual_mov_b32 v20, 0 :: v_dual_mov_b32 v17, 0
	s_wait_alu 0xfffe
	s_cmp_lg_u32 s7, 0
	v_mov_b32_e32 v18, 0
	s_cselect_b32 s45, -1, 0
	s_cmp_eq_u32 s7, 0
	s_cselect_b32 s7, -1, 0
	s_wait_alu 0xfffe
	s_and_b32 vcc_lo, exec_lo, s7
	s_wait_alu 0xfffe
	s_cbranch_vccnz .LBB302_10
; %bb.9:                                ;   in Loop: Header=BB302_5 Depth=1
	s_lshl_b64 s[46:47], s[28:29], 3
	s_wait_alu 0xfffe
	s_add_nc_u64 s[46:47], s[12:13], s[46:47]
	global_load_b64 v[9:10], v1, s[46:47]
	s_wait_loadcnt 0x0
	v_add_co_u32 v17, vcc_lo, v9, s14
	s_wait_alu 0xfffd
	v_add_co_ci_u32_e64 v18, null, s15, v10, vcc_lo
.LBB302_10:                             ;   in Loop: Header=BB302_5 Depth=1
	s_and_not1_b32 vcc_lo, exec_lo, s45
	s_wait_alu 0xfffe
	s_cbranch_vccnz .LBB302_12
; %bb.11:                               ;   in Loop: Header=BB302_5 Depth=1
	s_lshl_b64 s[46:47], s[28:29], 3
	s_wait_alu 0xfffe
	s_add_nc_u64 s[46:47], s[24:25], s[46:47]
	global_load_b64 v[9:10], v1, s[46:47]
	s_wait_loadcnt 0x0
	v_add_co_u32 v19, vcc_lo, v9, s26
	s_wait_alu 0xfffd
	v_add_co_ci_u32_e64 v20, null, s27, v10, vcc_lo
.LBB302_12:                             ;   in Loop: Header=BB302_5 Depth=1
	s_lshl_b64 s[46:47], s[28:29], 3
	s_wait_alu 0xfffe
	s_add_nc_u64 s[46:47], s[20:21], s[46:47]
	global_load_b64 v[9:10], v1, s[46:47]
	s_wait_loadcnt 0x0
	v_add_co_u32 v69, vcc_lo, v9, s22
	s_wait_alu 0xfffd
	v_add_co_ci_u32_e64 v70, null, s23, v10, vcc_lo
	s_and_not1_b32 vcc_lo, exec_lo, s7
	s_mov_b32 s7, -1
	s_wait_alu 0xfffe
	s_cbranch_vccnz .LBB302_18
; %bb.13:                               ;   in Loop: Header=BB302_5 Depth=1
	s_and_saveexec_b32 s7, s30
	s_cbranch_execz .LBB302_17
; %bb.14:                               ;   in Loop: Header=BB302_5 Depth=1
	s_cmp_neq_f32 s41, 0
	v_dual_mov_b32 v9, 0 :: v_dual_mov_b32 v10, 0
	s_cselect_b32 s45, -1, 0
	s_cmp_neq_f32 s42, 0
	s_cselect_b32 s46, -1, 0
	s_wait_alu 0xfffe
	s_or_b32 s45, s45, s46
	s_wait_alu 0xfffe
	s_and_not1_b32 vcc_lo, exec_lo, s45
	s_wait_alu 0xfffe
	s_cbranch_vccnz .LBB302_16
; %bb.15:                               ;   in Loop: Header=BB302_5 Depth=1
	v_add_co_u32 v9, vcc_lo, v69, v5
	s_wait_alu 0xfffd
	v_add_co_ci_u32_e64 v10, null, v70, v6, vcc_lo
	flat_load_b64 v[11:12], v[9:10]
	s_wait_loadcnt_dscnt 0x0
	v_mul_f32_e32 v10, s41, v12
	s_delay_alu instid0(VALU_DEP_1) | instskip(NEXT) | instid1(VALU_DEP_1)
	v_dual_mul_f32 v9, s42, v12 :: v_dual_fmac_f32 v10, s42, v11
	v_fma_f32 v9, s41, v11, -v9
.LBB302_16:                             ;   in Loop: Header=BB302_5 Depth=1
	v_add_co_u32 v11, vcc_lo, v69, v5
	s_wait_alu 0xfffd
	v_add_co_ci_u32_e64 v12, null, v70, v6, vcc_lo
	flat_store_b64 v[11:12], v[9:10]
.LBB302_17:                             ;   in Loop: Header=BB302_5 Depth=1
	s_wait_alu 0xfffe
	s_or_b32 exec_lo, exec_lo, s7
	s_mov_b32 s7, 0
.LBB302_18:                             ;   in Loop: Header=BB302_5 Depth=1
	s_wait_alu 0xfffe
	s_and_not1_b32 vcc_lo, exec_lo, s7
	s_wait_alu 0xfffe
	s_cbranch_vccnz .LBB302_4
; %bb.19:                               ;   in Loop: Header=BB302_5 Depth=1
	v_dual_mov_b32 v10, 0 :: v_dual_mov_b32 v71, v62
	v_dual_mov_b32 v9, 0 :: v_dual_mov_b32 v12, 0
	;; [unrolled: 1-line block ×4, first 2 shown]
	v_mov_b32_e32 v15, 0
	s_and_saveexec_b32 s7, s4
	s_cbranch_execz .LBB302_31
; %bb.20:                               ;   in Loop: Header=BB302_5 Depth=1
	v_dual_mov_b32 v10, 0 :: v_dual_mov_b32 v73, v3
	v_dual_mov_b32 v72, v65 :: v_dual_mov_b32 v75, v64
	;; [unrolled: 1-line block ×3, first 2 shown]
	s_delay_alu instid0(VALU_DEP_3)
	v_dual_mov_b32 v9, v10 :: v_dual_mov_b32 v12, v10
	v_dual_mov_b32 v11, v10 :: v_dual_mov_b32 v14, v10
	;; [unrolled: 1-line block ×3, first 2 shown]
	v_mov_b32_e32 v15, v10
	s_mov_b32 s45, 0
	s_mov_b32 s46, 0
	s_branch .LBB302_25
.LBB302_21:                             ;   in Loop: Header=BB302_25 Depth=2
	s_or_b32 exec_lo, exec_lo, s50
	s_wait_loadcnt_dscnt 0x303
	v_mul_f32_e32 v53, v34, v52
	v_mul_f32_e32 v52, v33, v52
	s_wait_loadcnt_dscnt 0x101
	v_dual_mul_f32 v54, v30, v50 :: v_dual_mul_f32 v55, v24, v48
	v_mul_f32_e32 v50, v29, v50
	v_fma_f32 v53, v33, v51, -v53
	v_fmac_f32_e32 v52, v34, v51
	s_delay_alu instid0(VALU_DEP_4) | instskip(SKIP_4) | instid1(VALU_DEP_2)
	v_fma_f32 v54, v29, v49, -v54
	s_wait_loadcnt_dscnt 0x0
	v_mul_f32_e32 v51, v22, v46
	v_dual_mul_f32 v46, v21, v46 :: v_dual_add_f32 v11, v11, v53
	v_mul_f32_e32 v48, v23, v48
	v_fmac_f32_e32 v46, v22, v45
	s_delay_alu instid0(VALU_DEP_3) | instskip(SKIP_4) | instid1(VALU_DEP_3)
	v_add_f32_e32 v11, v54, v11
	v_fmac_f32_e32 v50, v30, v49
	v_fma_f32 v49, v23, v47, -v55
	v_fmac_f32_e32 v48, v24, v47
	v_fma_f32 v47, v21, v45, -v51
	v_dual_add_f32 v11, v49, v11 :: v_dual_add_f32 v12, v12, v52
	s_delay_alu instid0(VALU_DEP_1) | instskip(NEXT) | instid1(VALU_DEP_1)
	v_dual_add_f32 v11, v47, v11 :: v_dual_add_f32 v12, v50, v12
	v_add_f32_e32 v12, v48, v12
	s_delay_alu instid0(VALU_DEP_1)
	v_add_f32_e32 v12, v46, v12
.LBB302_22:                             ;   in Loop: Header=BB302_25 Depth=2
	s_or_b32 exec_lo, exec_lo, s49
	s_wait_loadcnt_dscnt 0x303
	v_mul_f32_e32 v45, v34, v44
	s_wait_loadcnt_dscnt 0x101
	v_dual_mul_f32 v46, v30, v42 :: v_dual_mul_f32 v47, v24, v40
	v_mul_f32_e32 v42, v29, v42
	v_mul_f32_e32 v44, v33, v44
	v_fma_f32 v45, v33, v43, -v45
	v_mul_f32_e32 v40, v23, v40
	v_fma_f32 v46, v29, v41, -v46
	v_fmac_f32_e32 v42, v30, v41
	v_fma_f32 v41, v23, v39, -v47
	s_delay_alu instid0(VALU_DEP_4) | instskip(NEXT) | instid1(VALU_DEP_1)
	v_dual_add_f32 v13, v13, v45 :: v_dual_fmac_f32 v40, v24, v39
	v_add_f32_e32 v13, v46, v13
	v_fmac_f32_e32 v44, v34, v43
	s_wait_loadcnt_dscnt 0x0
	v_mul_f32_e32 v43, v22, v38
	v_mul_f32_e32 v38, v21, v38
	v_add_f32_e32 v13, v41, v13
	s_delay_alu instid0(VALU_DEP_3) | instskip(SKIP_1) | instid1(VALU_DEP_4)
	v_fma_f32 v39, v21, v37, -v43
	v_add_f32_e32 v14, v14, v44
	v_fmac_f32_e32 v38, v22, v37
	s_delay_alu instid0(VALU_DEP_2) | instskip(NEXT) | instid1(VALU_DEP_1)
	v_dual_add_f32 v13, v39, v13 :: v_dual_add_f32 v14, v42, v14
	v_add_f32_e32 v14, v40, v14
	s_delay_alu instid0(VALU_DEP_1)
	v_add_f32_e32 v14, v38, v14
.LBB302_23:                             ;   in Loop: Header=BB302_25 Depth=2
	s_or_b32 exec_lo, exec_lo, s48
	s_wait_loadcnt_dscnt 0x303
	v_mul_f32_e32 v37, v34, v36
	v_mul_f32_e32 v36, v33, v36
	s_wait_loadcnt_dscnt 0x101
	s_delay_alu instid0(VALU_DEP_1)
	v_dual_mul_f32 v39, v24, v28 :: v_dual_fmac_f32 v36, v34, v35
	s_wait_loadcnt_dscnt 0x0
	v_mul_f32_e32 v34, v22, v26
	v_mul_f32_e32 v26, v21, v26
	v_fma_f32 v33, v33, v35, -v37
	v_add_f32_e32 v16, v16, v36
	s_delay_alu instid0(VALU_DEP_4) | instskip(SKIP_1) | instid1(VALU_DEP_4)
	v_fma_f32 v21, v21, v25, -v34
	v_mul_f32_e32 v28, v23, v28
	v_dual_add_f32 v15, v15, v33 :: v_dual_mul_f32 v38, v30, v32
	v_fma_f32 v23, v23, v27, -v39
	v_mul_f32_e32 v32, v29, v32
	v_fmac_f32_e32 v26, v22, v25
	s_delay_alu instid0(VALU_DEP_4) | instskip(NEXT) | instid1(VALU_DEP_1)
	v_fma_f32 v29, v29, v31, -v38
	v_add_f32_e32 v15, v29, v15
	s_delay_alu instid0(VALU_DEP_1) | instskip(SKIP_1) | instid1(VALU_DEP_2)
	v_add_f32_e32 v15, v23, v15
	v_fmac_f32_e32 v32, v30, v31
	v_add_f32_e32 v15, v21, v15
	v_fmac_f32_e32 v28, v24, v27
	s_delay_alu instid0(VALU_DEP_3) | instskip(NEXT) | instid1(VALU_DEP_1)
	v_add_f32_e32 v16, v32, v16
	v_add_f32_e32 v16, v28, v16
	s_delay_alu instid0(VALU_DEP_1)
	v_add_f32_e32 v16, v26, v16
.LBB302_24:                             ;   in Loop: Header=BB302_25 Depth=2
	s_wait_alu 0xfffe
	s_or_b32 exec_lo, exec_lo, s47
	v_add_nc_u32_e32 v71, 64, v71
	v_add_nc_u32_e32 v75, s39, v75
	;; [unrolled: 1-line block ×5, first 2 shown]
	v_cmp_le_i32_e32 vcc_lo, s37, v71
	s_add_co_i32 s46, s46, s40
	s_or_b32 s45, vcc_lo, s45
	s_wait_alu 0xfffe
	s_and_not1_b32 exec_lo, exec_lo, s45
	s_cbranch_execz .LBB302_30
.LBB302_25:                             ;   Parent Loop BB302_5 Depth=1
                                        ; =>  This Inner Loop Header: Depth=2
	s_and_saveexec_b32 s47, s0
	s_cbranch_execz .LBB302_24
; %bb.26:                               ;   in Loop: Header=BB302_25 Depth=2
	s_wait_alu 0xfffe
	v_add_nc_u32_e32 v21, s46, v68
	v_add_nc_u32_e32 v23, s46, v4
	v_add_nc_u32_e32 v25, s46, v66
	v_add_nc_u32_e32 v27, s46, v67
	v_add_nc_u32_e32 v29, s36, v72
	v_ashrrev_i32_e32 v22, 31, v21
	v_ashrrev_i32_e32 v24, 31, v23
	;; [unrolled: 1-line block ×3, first 2 shown]
	v_add_nc_u32_e32 v31, s36, v75
	v_ashrrev_i32_e32 v28, 31, v27
	v_lshlrev_b64_e32 v[21:22], 3, v[21:22]
	v_lshlrev_b64_e32 v[23:24], 3, v[23:24]
	v_ashrrev_i32_e32 v30, 31, v29
	v_lshlrev_b64_e32 v[25:26], 3, v[25:26]
	v_ashrrev_i32_e32 v32, 31, v31
	v_lshlrev_b64_e32 v[27:28], 3, v[27:28]
	v_add_co_u32 v21, vcc_lo, v19, v21
	v_add_nc_u32_e32 v33, s36, v74
	s_wait_alu 0xfffd
	v_add_co_ci_u32_e64 v22, null, v20, v22, vcc_lo
	v_add_co_u32 v23, vcc_lo, v19, v23
	v_lshlrev_b64_e32 v[29:30], 3, v[29:30]
	v_add_nc_u32_e32 v35, s36, v73
	s_wait_alu 0xfffd
	v_add_co_ci_u32_e64 v24, null, v20, v24, vcc_lo
	v_add_co_u32 v25, vcc_lo, v19, v25
	v_lshlrev_b64_e32 v[31:32], 3, v[31:32]
	v_ashrrev_i32_e32 v34, 31, v33
	s_wait_alu 0xfffd
	v_add_co_ci_u32_e64 v26, null, v20, v26, vcc_lo
	v_add_co_u32 v27, vcc_lo, v19, v27
	v_ashrrev_i32_e32 v36, 31, v35
	s_wait_alu 0xfffd
	v_add_co_ci_u32_e64 v28, null, v20, v28, vcc_lo
	v_add_co_u32 v59, vcc_lo, v17, v29
	s_wait_alu 0xfffd
	v_add_co_ci_u32_e64 v60, null, v18, v30, vcc_lo
	v_lshlrev_b64_e32 v[29:30], 3, v[33:34]
	v_add_co_u32 v57, vcc_lo, v17, v31
	s_wait_alu 0xfffd
	v_add_co_ci_u32_e64 v58, null, v18, v32, vcc_lo
	v_lshlrev_b64_e32 v[31:32], 3, v[35:36]
	s_delay_alu instid0(VALU_DEP_4) | instskip(SKIP_2) | instid1(VALU_DEP_3)
	v_add_co_u32 v55, vcc_lo, v17, v29
	s_wait_alu 0xfffd
	v_add_co_ci_u32_e64 v56, null, v18, v30, vcc_lo
	v_add_co_u32 v53, vcc_lo, v17, v31
	s_wait_alu 0xfffd
	v_add_co_ci_u32_e64 v54, null, v18, v32, vcc_lo
	s_clause 0x3
	flat_load_b64 v[33:34], v[21:22]
	flat_load_b64 v[29:30], v[23:24]
	;; [unrolled: 1-line block ×4, first 2 shown]
	s_clause 0x3
	flat_load_b64 v[35:36], v[59:60]
	flat_load_b64 v[31:32], v[57:58]
	;; [unrolled: 1-line block ×4, first 2 shown]
	s_and_saveexec_b32 s48, s1
	s_cbranch_execz .LBB302_23
; %bb.27:                               ;   in Loop: Header=BB302_25 Depth=2
	s_clause 0x3
	flat_load_b64 v[43:44], v[59:60] offset:512
	flat_load_b64 v[41:42], v[57:58] offset:512
	flat_load_b64 v[39:40], v[55:56] offset:512
	flat_load_b64 v[37:38], v[53:54] offset:512
	s_and_saveexec_b32 s49, s2
	s_cbranch_execz .LBB302_22
; %bb.28:                               ;   in Loop: Header=BB302_25 Depth=2
	s_clause 0x3
	flat_load_b64 v[51:52], v[59:60] offset:1024
	flat_load_b64 v[49:50], v[57:58] offset:1024
	flat_load_b64 v[47:48], v[55:56] offset:1024
	flat_load_b64 v[45:46], v[53:54] offset:1024
	;; [unrolled: 8-line block ×3, first 2 shown]
	s_wait_loadcnt_dscnt 0x101
	v_dual_mul_f32 v77, v30, v58 :: v_dual_mul_f32 v78, v24, v56
	v_mul_f32_e32 v58, v29, v58
	s_delay_alu instid0(VALU_DEP_2) | instskip(SKIP_2) | instid1(VALU_DEP_4)
	v_fma_f32 v77, v29, v57, -v77
	v_mul_f32_e32 v76, v34, v60
	v_mul_f32_e32 v60, v33, v60
	v_fmac_f32_e32 v58, v30, v57
	v_fma_f32 v57, v23, v55, -v78
	s_delay_alu instid0(VALU_DEP_4) | instskip(NEXT) | instid1(VALU_DEP_4)
	v_fma_f32 v76, v33, v59, -v76
	v_fmac_f32_e32 v60, v34, v59
	s_wait_loadcnt_dscnt 0x0
	v_mul_f32_e32 v59, v22, v54
	v_mul_f32_e32 v54, v21, v54
	v_add_f32_e32 v9, v9, v76
	v_add_f32_e32 v10, v10, v60
	s_delay_alu instid0(VALU_DEP_3) | instskip(NEXT) | instid1(VALU_DEP_3)
	v_fmac_f32_e32 v54, v22, v53
	v_dual_add_f32 v9, v77, v9 :: v_dual_mul_f32 v56, v23, v56
	s_delay_alu instid0(VALU_DEP_1) | instskip(NEXT) | instid1(VALU_DEP_2)
	v_dual_add_f32 v10, v58, v10 :: v_dual_add_f32 v9, v57, v9
	v_fmac_f32_e32 v56, v24, v55
	v_fma_f32 v55, v21, v53, -v59
	s_delay_alu instid0(VALU_DEP_1) | instskip(NEXT) | instid1(VALU_DEP_1)
	v_dual_add_f32 v10, v56, v10 :: v_dual_add_f32 v9, v55, v9
	v_add_f32_e32 v10, v54, v10
	s_branch .LBB302_21
.LBB302_30:                             ;   in Loop: Header=BB302_5 Depth=1
	s_or_b32 exec_lo, exec_lo, s45
.LBB302_31:                             ;   in Loop: Header=BB302_5 Depth=1
	s_wait_alu 0xfffe
	s_or_b32 exec_lo, exec_lo, s7
	s_delay_alu instid0(SALU_CYCLE_1)
	s_and_not1_b32 vcc_lo, exec_lo, s38
	s_wait_alu 0xfffe
	s_cbranch_vccnz .LBB302_49
; %bb.32:                               ;   in Loop: Header=BB302_5 Depth=1
	v_cmp_gt_i32_e32 vcc_lo, s31, v71
	v_dual_mov_b32 v21, 0 :: v_dual_mov_b32 v22, 0
	v_or_b32_e32 v29, 1, v71
	v_dual_mov_b32 v23, 0 :: v_dual_mov_b32 v24, 0
	v_dual_mov_b32 v25, 0 :: v_dual_mov_b32 v26, 0
	;; [unrolled: 1-line block ×3, first 2 shown]
	s_and_saveexec_b32 s45, vcc_lo
	s_cbranch_execz .LBB302_40
; %bb.33:                               ;   in Loop: Header=BB302_5 Depth=1
	v_mul_lo_u32 v21, v71, s34
	v_dual_mov_b32 v28, 0 :: v_dual_mov_b32 v27, 0
	v_dual_mov_b32 v26, 0 :: v_dual_mov_b32 v25, 0
	;; [unrolled: 1-line block ×3, first 2 shown]
	s_mov_b32 s46, exec_lo
	s_delay_alu instid0(VALU_DEP_4) | instskip(NEXT) | instid1(VALU_DEP_1)
	v_ashrrev_i32_e32 v22, 31, v21
	v_lshlrev_b64_e32 v[21:22], 3, v[21:22]
	s_delay_alu instid0(VALU_DEP_1) | instskip(SKIP_1) | instid1(VALU_DEP_2)
	v_add_co_u32 v21, s7, v19, v21
	s_wait_alu 0xf1ff
	v_add_co_ci_u32_e64 v22, null, v20, v22, s7
	flat_load_b64 v[21:22], v[21:22]
	v_cmpx_gt_i32_e64 s31, v29
	s_cbranch_execz .LBB302_39
; %bb.34:                               ;   in Loop: Header=BB302_5 Depth=1
	v_mul_lo_u32 v23, v29, s34
	v_or_b32_e32 v30, 2, v71
	v_dual_mov_b32 v28, 0 :: v_dual_mov_b32 v27, 0
	v_dual_mov_b32 v26, 0 :: v_dual_mov_b32 v25, 0
	s_mov_b32 s47, exec_lo
	s_delay_alu instid0(VALU_DEP_4) | instskip(NEXT) | instid1(VALU_DEP_1)
	v_ashrrev_i32_e32 v24, 31, v23
	v_lshlrev_b64_e32 v[23:24], 3, v[23:24]
	s_delay_alu instid0(VALU_DEP_1) | instskip(SKIP_1) | instid1(VALU_DEP_2)
	v_add_co_u32 v23, s7, v19, v23
	s_wait_alu 0xf1ff
	v_add_co_ci_u32_e64 v24, null, v20, v24, s7
	flat_load_b64 v[23:24], v[23:24]
	v_cmpx_gt_i32_e64 s31, v30
	s_cbranch_execz .LBB302_38
; %bb.35:                               ;   in Loop: Header=BB302_5 Depth=1
	v_mul_lo_u32 v25, v30, s34
	v_or_b32_e32 v30, 3, v71
	v_dual_mov_b32 v28, 0 :: v_dual_mov_b32 v27, 0
	s_mov_b32 s48, exec_lo
	s_delay_alu instid0(VALU_DEP_3) | instskip(NEXT) | instid1(VALU_DEP_1)
	v_ashrrev_i32_e32 v26, 31, v25
	v_lshlrev_b64_e32 v[25:26], 3, v[25:26]
	s_delay_alu instid0(VALU_DEP_1) | instskip(SKIP_1) | instid1(VALU_DEP_2)
	v_add_co_u32 v25, s7, v19, v25
	s_wait_alu 0xf1ff
	v_add_co_ci_u32_e64 v26, null, v20, v26, s7
	flat_load_b64 v[25:26], v[25:26]
	v_cmpx_gt_i32_e64 s31, v30
	s_cbranch_execz .LBB302_37
; %bb.36:                               ;   in Loop: Header=BB302_5 Depth=1
	v_mul_lo_u32 v27, v30, s34
	s_delay_alu instid0(VALU_DEP_1) | instskip(NEXT) | instid1(VALU_DEP_1)
	v_ashrrev_i32_e32 v28, 31, v27
	v_lshlrev_b64_e32 v[27:28], 3, v[27:28]
	s_delay_alu instid0(VALU_DEP_1) | instskip(SKIP_1) | instid1(VALU_DEP_2)
	v_add_co_u32 v19, s7, v19, v27
	s_wait_alu 0xf1ff
	v_add_co_ci_u32_e64 v20, null, v20, v28, s7
	flat_load_b64 v[27:28], v[19:20]
.LBB302_37:                             ;   in Loop: Header=BB302_5 Depth=1
	s_or_b32 exec_lo, exec_lo, s48
.LBB302_38:                             ;   in Loop: Header=BB302_5 Depth=1
	s_wait_alu 0xfffe
	s_or_b32 exec_lo, exec_lo, s47
.LBB302_39:                             ;   in Loop: Header=BB302_5 Depth=1
	s_wait_alu 0xfffe
	s_or_b32 exec_lo, exec_lo, s46
.LBB302_40:                             ;   in Loop: Header=BB302_5 Depth=1
	s_wait_alu 0xfffe
	s_or_b32 exec_lo, exec_lo, s45
	s_and_saveexec_b32 s7, s0
	s_cbranch_execz .LBB302_48
; %bb.41:                               ;   in Loop: Header=BB302_5 Depth=1
	v_mul_lo_u32 v20, v71, s35
	v_or_b32_e32 v19, 2, v71
	v_mul_lo_u32 v31, v29, s35
	v_or_b32_e32 v30, 3, v71
	s_delay_alu instid0(VALU_DEP_3) | instskip(NEXT) | instid1(VALU_DEP_2)
	v_mul_lo_u32 v32, v19, s35
	v_mul_lo_u32 v33, v30, s35
	v_cndmask_b32_e32 v20, 0, v20, vcc_lo
	v_cmp_gt_i32_e32 vcc_lo, s31, v29
	s_wait_alu 0xfffd
	v_cndmask_b32_e32 v29, 0, v31, vcc_lo
	v_cmp_gt_i32_e32 vcc_lo, s31, v19
	v_add_nc_u32_e32 v19, v20, v61
	s_delay_alu instid0(VALU_DEP_3)
	v_add_nc_u32_e32 v29, v29, v61
	s_wait_alu 0xfffd
	v_cndmask_b32_e32 v31, 0, v32, vcc_lo
	v_cmp_gt_i32_e32 vcc_lo, s31, v30
	v_ashrrev_i32_e32 v20, 31, v19
	s_wait_alu 0xfffd
	v_cndmask_b32_e32 v30, 0, v33, vcc_lo
	v_add_nc_u32_e32 v31, v31, v61
	s_delay_alu instid0(VALU_DEP_3) | instskip(NEXT) | instid1(VALU_DEP_3)
	v_lshlrev_b64_e32 v[19:20], 3, v[19:20]
	v_add_nc_u32_e32 v33, v30, v61
	v_ashrrev_i32_e32 v30, 31, v29
	s_delay_alu instid0(VALU_DEP_4) | instskip(NEXT) | instid1(VALU_DEP_4)
	v_ashrrev_i32_e32 v32, 31, v31
	v_add_co_u32 v55, vcc_lo, v17, v19
	s_delay_alu instid0(VALU_DEP_4) | instskip(NEXT) | instid1(VALU_DEP_4)
	v_ashrrev_i32_e32 v34, 31, v33
	v_lshlrev_b64_e32 v[29:30], 3, v[29:30]
	s_delay_alu instid0(VALU_DEP_4) | instskip(SKIP_3) | instid1(VALU_DEP_4)
	v_lshlrev_b64_e32 v[31:32], 3, v[31:32]
	s_wait_alu 0xfffd
	v_add_co_ci_u32_e64 v56, null, v18, v20, vcc_lo
	v_lshlrev_b64_e32 v[33:34], 3, v[33:34]
	v_add_co_u32 v53, vcc_lo, v17, v29
	s_wait_alu 0xfffd
	v_add_co_ci_u32_e64 v54, null, v18, v30, vcc_lo
	v_add_co_u32 v51, vcc_lo, v17, v31
	s_wait_alu 0xfffd
	v_add_co_ci_u32_e64 v52, null, v18, v32, vcc_lo
	;; [unrolled: 3-line block ×3, first 2 shown]
	s_clause 0x3
	flat_load_b64 v[31:32], v[55:56]
	flat_load_b64 v[29:30], v[53:54]
	;; [unrolled: 1-line block ×4, first 2 shown]
	s_and_saveexec_b32 s45, s1
	s_cbranch_execz .LBB302_47
; %bb.42:                               ;   in Loop: Header=BB302_5 Depth=1
	s_clause 0x3
	flat_load_b64 v[39:40], v[55:56] offset:512
	flat_load_b64 v[37:38], v[53:54] offset:512
	flat_load_b64 v[35:36], v[51:52] offset:512
	flat_load_b64 v[33:34], v[49:50] offset:512
	s_and_saveexec_b32 s46, s2
	s_cbranch_execz .LBB302_46
; %bb.43:                               ;   in Loop: Header=BB302_5 Depth=1
	s_clause 0x3
	flat_load_b64 v[47:48], v[55:56] offset:1024
	flat_load_b64 v[45:46], v[53:54] offset:1024
	flat_load_b64 v[43:44], v[51:52] offset:1024
	flat_load_b64 v[41:42], v[49:50] offset:1024
	;; [unrolled: 8-line block ×3, first 2 shown]
	s_wait_loadcnt_dscnt 0x202
	v_dual_mul_f32 v57, v22, v56 :: v_dual_mul_f32 v58, v24, v54
	v_mul_f32_e32 v56, v21, v56
	s_wait_loadcnt_dscnt 0x101
	v_dual_mul_f32 v54, v23, v54 :: v_dual_mul_f32 v59, v26, v52
	s_delay_alu instid0(VALU_DEP_3)
	v_fma_f32 v57, v21, v55, -v57
	v_fma_f32 v58, v23, v53, -v58
	s_wait_loadcnt_dscnt 0x0
	v_dual_fmac_f32 v56, v22, v55 :: v_dual_mul_f32 v55, v28, v50
	v_fmac_f32_e32 v54, v24, v53
	v_add_f32_e32 v9, v9, v57
	v_mul_f32_e32 v52, v25, v52
	v_fma_f32 v53, v25, v51, -v59
	s_delay_alu instid0(VALU_DEP_3) | instskip(SKIP_1) | instid1(VALU_DEP_2)
	v_dual_mul_f32 v50, v27, v50 :: v_dual_add_f32 v9, v58, v9
	v_add_f32_e32 v10, v10, v56
	v_fmac_f32_e32 v50, v28, v49
	s_delay_alu instid0(VALU_DEP_3) | instskip(NEXT) | instid1(VALU_DEP_3)
	v_dual_add_f32 v9, v53, v9 :: v_dual_fmac_f32 v52, v26, v51
	v_add_f32_e32 v10, v54, v10
	v_fma_f32 v51, v27, v49, -v55
	s_delay_alu instid0(VALU_DEP_1) | instskip(NEXT) | instid1(VALU_DEP_1)
	v_dual_add_f32 v9, v51, v9 :: v_dual_add_f32 v10, v52, v10
	v_add_f32_e32 v10, v50, v10
.LBB302_45:                             ;   in Loop: Header=BB302_5 Depth=1
	s_wait_alu 0xfffe
	s_or_b32 exec_lo, exec_lo, s47
	s_wait_loadcnt_dscnt 0x202
	v_dual_mul_f32 v49, v22, v48 :: v_dual_mul_f32 v50, v24, v46
	v_mul_f32_e32 v48, v21, v48
	s_wait_loadcnt_dscnt 0x101
	v_dual_mul_f32 v46, v23, v46 :: v_dual_mul_f32 v51, v26, v44
	s_delay_alu instid0(VALU_DEP_3)
	v_fma_f32 v49, v21, v47, -v49
	v_mul_f32_e32 v44, v25, v44
	v_fmac_f32_e32 v48, v22, v47
	v_fma_f32 v50, v23, v45, -v50
	s_wait_loadcnt_dscnt 0x0
	v_mul_f32_e32 v47, v28, v42
	v_add_f32_e32 v11, v11, v49
	v_fmac_f32_e32 v46, v24, v45
	v_fma_f32 v45, v25, v43, -v51
	v_mul_f32_e32 v42, v27, v42
	v_fmac_f32_e32 v44, v26, v43
	v_dual_add_f32 v11, v50, v11 :: v_dual_add_f32 v12, v12, v48
	v_fma_f32 v43, v27, v41, -v47
	s_delay_alu instid0(VALU_DEP_2) | instskip(NEXT) | instid1(VALU_DEP_1)
	v_dual_fmac_f32 v42, v28, v41 :: v_dual_add_f32 v11, v45, v11
	v_dual_add_f32 v12, v46, v12 :: v_dual_add_f32 v11, v43, v11
	s_delay_alu instid0(VALU_DEP_1) | instskip(NEXT) | instid1(VALU_DEP_1)
	v_add_f32_e32 v12, v44, v12
	v_add_f32_e32 v12, v42, v12
.LBB302_46:                             ;   in Loop: Header=BB302_5 Depth=1
	s_wait_alu 0xfffe
	s_or_b32 exec_lo, exec_lo, s46
	s_wait_loadcnt_dscnt 0x202
	v_dual_mul_f32 v41, v22, v40 :: v_dual_mul_f32 v42, v24, v38
	v_mul_f32_e32 v40, v21, v40
	s_wait_loadcnt_dscnt 0x101
	v_dual_mul_f32 v38, v23, v38 :: v_dual_mul_f32 v43, v26, v36
	s_delay_alu instid0(VALU_DEP_3)
	v_fma_f32 v41, v21, v39, -v41
	v_fma_f32 v42, v23, v37, -v42
	s_wait_loadcnt_dscnt 0x0
	v_dual_fmac_f32 v40, v22, v39 :: v_dual_mul_f32 v39, v28, v34
	v_fmac_f32_e32 v38, v24, v37
	v_add_f32_e32 v13, v13, v41
	v_mul_f32_e32 v36, v25, v36
	v_fma_f32 v37, v25, v35, -v43
	s_delay_alu instid0(VALU_DEP_3) | instskip(SKIP_1) | instid1(VALU_DEP_2)
	v_dual_mul_f32 v34, v27, v34 :: v_dual_add_f32 v13, v42, v13
	v_add_f32_e32 v14, v14, v40
	v_fmac_f32_e32 v34, v28, v33
	s_delay_alu instid0(VALU_DEP_3) | instskip(NEXT) | instid1(VALU_DEP_3)
	v_dual_add_f32 v13, v37, v13 :: v_dual_fmac_f32 v36, v26, v35
	v_add_f32_e32 v14, v38, v14
	v_fma_f32 v35, v27, v33, -v39
	s_delay_alu instid0(VALU_DEP_1) | instskip(NEXT) | instid1(VALU_DEP_1)
	v_dual_add_f32 v13, v35, v13 :: v_dual_add_f32 v14, v36, v14
	v_add_f32_e32 v14, v34, v14
.LBB302_47:                             ;   in Loop: Header=BB302_5 Depth=1
	s_wait_alu 0xfffe
	s_or_b32 exec_lo, exec_lo, s45
	s_wait_loadcnt_dscnt 0x202
	v_dual_mul_f32 v33, v22, v32 :: v_dual_mul_f32 v34, v24, v30
	v_mul_f32_e32 v32, v21, v32
	s_wait_loadcnt_dscnt 0x101
	v_dual_mul_f32 v30, v23, v30 :: v_dual_mul_f32 v35, v26, v20
	s_delay_alu instid0(VALU_DEP_3) | instskip(SKIP_1) | instid1(VALU_DEP_2)
	v_fma_f32 v21, v21, v31, -v33
	v_fma_f32 v23, v23, v29, -v34
	v_dual_add_f32 v15, v15, v21 :: v_dual_mul_f32 v20, v25, v20
	v_fmac_f32_e32 v32, v22, v31
	v_fma_f32 v21, v25, v19, -v35
	s_wait_loadcnt_dscnt 0x0
	s_delay_alu instid0(VALU_DEP_3) | instskip(NEXT) | instid1(VALU_DEP_3)
	v_dual_add_f32 v15, v23, v15 :: v_dual_mul_f32 v22, v28, v18
	v_add_f32_e32 v16, v16, v32
	v_fmac_f32_e32 v20, v26, v19
	s_delay_alu instid0(VALU_DEP_3) | instskip(NEXT) | instid1(VALU_DEP_4)
	v_dual_mul_f32 v18, v27, v18 :: v_dual_add_f32 v15, v21, v15
	v_fma_f32 v19, v27, v17, -v22
	v_fmac_f32_e32 v30, v24, v29
	s_delay_alu instid0(VALU_DEP_2) | instskip(NEXT) | instid1(VALU_DEP_2)
	v_dual_fmac_f32 v18, v28, v17 :: v_dual_add_f32 v15, v19, v15
	v_add_f32_e32 v16, v30, v16
	s_delay_alu instid0(VALU_DEP_1) | instskip(NEXT) | instid1(VALU_DEP_1)
	v_add_f32_e32 v16, v20, v16
	v_add_f32_e32 v16, v18, v16
.LBB302_48:                             ;   in Loop: Header=BB302_5 Depth=1
	s_wait_alu 0xfffe
	s_or_b32 exec_lo, exec_lo, s7
.LBB302_49:                             ;   in Loop: Header=BB302_5 Depth=1
	ds_store_2addr_stride64_b64 v0, v[15:16], v[13:14] offset1:1
	ds_store_2addr_stride64_b64 v0, v[11:12], v[9:10] offset0:2 offset1:3
	s_wait_storecnt 0x0
	s_wait_loadcnt_dscnt 0x0
	s_barrier_signal -1
	s_barrier_wait -1
	global_inv scope:SCOPE_SE
	s_and_saveexec_b32 s7, s5
	s_cbranch_execz .LBB302_3
; %bb.50:                               ;   in Loop: Header=BB302_5 Depth=1
	ds_load_2addr_stride64_b64 v[9:12], v63 offset1:4
	ds_load_2addr_stride64_b64 v[13:16], v63 offset0:8 offset1:12
	ds_load_2addr_stride64_b64 v[17:20], v63 offset0:16 offset1:20
	s_wait_dscnt 0x2
	v_dual_add_f32 v21, v9, v11 :: v_dual_add_f32 v22, v10, v12
	ds_load_2addr_stride64_b64 v[9:12], v63 offset0:24 offset1:28
	s_wait_dscnt 0x2
	v_dual_add_f32 v13, v21, v13 :: v_dual_add_f32 v14, v22, v14
	s_delay_alu instid0(VALU_DEP_1) | instskip(SKIP_3) | instid1(VALU_DEP_1)
	v_dual_add_f32 v21, v13, v15 :: v_dual_add_f32 v22, v14, v16
	ds_load_2addr_stride64_b64 v[13:16], v63 offset0:32 offset1:36
	s_wait_dscnt 0x2
	v_dual_add_f32 v17, v21, v17 :: v_dual_add_f32 v18, v22, v18
	v_dual_add_f32 v21, v17, v19 :: v_dual_add_f32 v22, v18, v20
	ds_load_2addr_stride64_b64 v[17:20], v63 offset0:40 offset1:44
	s_wait_dscnt 0x2
	v_dual_add_f32 v9, v21, v9 :: v_dual_add_f32 v10, v22, v10
	s_delay_alu instid0(VALU_DEP_1) | instskip(SKIP_3) | instid1(VALU_DEP_1)
	v_dual_add_f32 v21, v9, v11 :: v_dual_add_f32 v22, v10, v12
	ds_load_2addr_stride64_b64 v[9:12], v63 offset0:48 offset1:52
	s_wait_dscnt 0x2
	v_dual_add_f32 v13, v21, v13 :: v_dual_add_f32 v14, v22, v14
	v_dual_add_f32 v21, v13, v15 :: v_dual_add_f32 v22, v14, v16
	ds_load_2addr_stride64_b64 v[13:16], v63 offset0:56 offset1:60
	s_wait_dscnt 0x2
	v_dual_add_f32 v17, v21, v17 :: v_dual_add_f32 v18, v22, v18
	s_delay_alu instid0(VALU_DEP_1) | instskip(SKIP_1) | instid1(VALU_DEP_1)
	v_dual_add_f32 v17, v17, v19 :: v_dual_add_f32 v18, v18, v20
	s_wait_dscnt 0x1
	v_dual_add_f32 v9, v17, v9 :: v_dual_add_f32 v10, v18, v10
	s_delay_alu instid0(VALU_DEP_1) | instskip(SKIP_1) | instid1(VALU_DEP_1)
	v_dual_add_f32 v9, v9, v11 :: v_dual_add_f32 v10, v10, v12
	s_wait_dscnt 0x0
	v_dual_add_f32 v9, v9, v13 :: v_dual_add_f32 v10, v10, v14
	s_delay_alu instid0(VALU_DEP_1)
	v_dual_add_f32 v11, v9, v15 :: v_dual_add_f32 v12, v10, v16
	ds_store_b64 v63, v[11:12]
	s_and_b32 exec_lo, exec_lo, s6
	s_cbranch_execz .LBB302_3
; %bb.51:                               ;   in Loop: Header=BB302_5 Depth=1
	s_cmp_neq_f32 s41, 0
	v_mul_f32_e32 v10, s43, v12
	v_mul_f32_e32 v9, s44, v12
	s_cselect_b32 s45, -1, 0
	s_cmp_neq_f32 s42, 0
	s_delay_alu instid0(VALU_DEP_2) | instskip(NEXT) | instid1(VALU_DEP_2)
	v_fmac_f32_e32 v10, s44, v11
	v_fma_f32 v9, v11, s43, -v9
	s_cselect_b32 s46, -1, 0
	s_wait_alu 0xfffe
	s_or_b32 s45, s45, s46
	s_wait_alu 0xfffe
	s_and_not1_b32 vcc_lo, exec_lo, s45
	s_wait_alu 0xfffe
	s_cbranch_vccnz .LBB302_2
; %bb.52:                               ;   in Loop: Header=BB302_5 Depth=1
	v_add_co_u32 v11, vcc_lo, v69, v7
	s_wait_alu 0xfffd
	v_add_co_ci_u32_e64 v12, null, v70, v8, vcc_lo
	flat_load_b64 v[11:12], v[11:12]
	s_wait_loadcnt_dscnt 0x0
	v_mul_f32_e32 v13, s42, v12
	v_mul_f32_e32 v12, s41, v12
	s_delay_alu instid0(VALU_DEP_1) | instskip(NEXT) | instid1(VALU_DEP_3)
	v_fmac_f32_e32 v12, s42, v11
	v_fma_f32 v13, s41, v11, -v13
	s_delay_alu instid0(VALU_DEP_1)
	v_dual_add_f32 v10, v10, v12 :: v_dual_add_f32 v9, v9, v13
	s_branch .LBB302_2
.LBB302_53:
	s_endpgm
	.section	.rodata,"a",@progbits
	.p2align	6, 0x0
	.amdhsa_kernel _ZL20rocblas_gemvn_kernelILi64ELi16EiPK19rocblas_complex_numIfES3_KPS1_EviiT3_lPKT2_lT1_lS9_lSA_lS6_lPT4_lSA_li
		.amdhsa_group_segment_fixed_size 32768
		.amdhsa_private_segment_fixed_size 0
		.amdhsa_kernarg_size 400
		.amdhsa_user_sgpr_count 2
		.amdhsa_user_sgpr_dispatch_ptr 0
		.amdhsa_user_sgpr_queue_ptr 0
		.amdhsa_user_sgpr_kernarg_segment_ptr 1
		.amdhsa_user_sgpr_dispatch_id 0
		.amdhsa_user_sgpr_private_segment_size 0
		.amdhsa_wavefront_size32 1
		.amdhsa_uses_dynamic_stack 0
		.amdhsa_enable_private_segment 0
		.amdhsa_system_sgpr_workgroup_id_x 1
		.amdhsa_system_sgpr_workgroup_id_y 0
		.amdhsa_system_sgpr_workgroup_id_z 1
		.amdhsa_system_sgpr_workgroup_info 0
		.amdhsa_system_vgpr_workitem_id 1
		.amdhsa_next_free_vgpr 79
		.amdhsa_next_free_sgpr 51
		.amdhsa_reserve_vcc 1
		.amdhsa_float_round_mode_32 0
		.amdhsa_float_round_mode_16_64 0
		.amdhsa_float_denorm_mode_32 3
		.amdhsa_float_denorm_mode_16_64 3
		.amdhsa_fp16_overflow 0
		.amdhsa_workgroup_processor_mode 1
		.amdhsa_memory_ordered 1
		.amdhsa_forward_progress 1
		.amdhsa_inst_pref_size 35
		.amdhsa_round_robin_scheduling 0
		.amdhsa_exception_fp_ieee_invalid_op 0
		.amdhsa_exception_fp_denorm_src 0
		.amdhsa_exception_fp_ieee_div_zero 0
		.amdhsa_exception_fp_ieee_overflow 0
		.amdhsa_exception_fp_ieee_underflow 0
		.amdhsa_exception_fp_ieee_inexact 0
		.amdhsa_exception_int_div_zero 0
	.end_amdhsa_kernel
	.section	.text._ZL20rocblas_gemvn_kernelILi64ELi16EiPK19rocblas_complex_numIfES3_KPS1_EviiT3_lPKT2_lT1_lS9_lSA_lS6_lPT4_lSA_li,"axG",@progbits,_ZL20rocblas_gemvn_kernelILi64ELi16EiPK19rocblas_complex_numIfES3_KPS1_EviiT3_lPKT2_lT1_lS9_lSA_lS6_lPT4_lSA_li,comdat
.Lfunc_end302:
	.size	_ZL20rocblas_gemvn_kernelILi64ELi16EiPK19rocblas_complex_numIfES3_KPS1_EviiT3_lPKT2_lT1_lS9_lSA_lS6_lPT4_lSA_li, .Lfunc_end302-_ZL20rocblas_gemvn_kernelILi64ELi16EiPK19rocblas_complex_numIfES3_KPS1_EviiT3_lPKT2_lT1_lS9_lSA_lS6_lPT4_lSA_li
                                        ; -- End function
	.set _ZL20rocblas_gemvn_kernelILi64ELi16EiPK19rocblas_complex_numIfES3_KPS1_EviiT3_lPKT2_lT1_lS9_lSA_lS6_lPT4_lSA_li.num_vgpr, 79
	.set _ZL20rocblas_gemvn_kernelILi64ELi16EiPK19rocblas_complex_numIfES3_KPS1_EviiT3_lPKT2_lT1_lS9_lSA_lS6_lPT4_lSA_li.num_agpr, 0
	.set _ZL20rocblas_gemvn_kernelILi64ELi16EiPK19rocblas_complex_numIfES3_KPS1_EviiT3_lPKT2_lT1_lS9_lSA_lS6_lPT4_lSA_li.numbered_sgpr, 51
	.set _ZL20rocblas_gemvn_kernelILi64ELi16EiPK19rocblas_complex_numIfES3_KPS1_EviiT3_lPKT2_lT1_lS9_lSA_lS6_lPT4_lSA_li.num_named_barrier, 0
	.set _ZL20rocblas_gemvn_kernelILi64ELi16EiPK19rocblas_complex_numIfES3_KPS1_EviiT3_lPKT2_lT1_lS9_lSA_lS6_lPT4_lSA_li.private_seg_size, 0
	.set _ZL20rocblas_gemvn_kernelILi64ELi16EiPK19rocblas_complex_numIfES3_KPS1_EviiT3_lPKT2_lT1_lS9_lSA_lS6_lPT4_lSA_li.uses_vcc, 1
	.set _ZL20rocblas_gemvn_kernelILi64ELi16EiPK19rocblas_complex_numIfES3_KPS1_EviiT3_lPKT2_lT1_lS9_lSA_lS6_lPT4_lSA_li.uses_flat_scratch, 1
	.set _ZL20rocblas_gemvn_kernelILi64ELi16EiPK19rocblas_complex_numIfES3_KPS1_EviiT3_lPKT2_lT1_lS9_lSA_lS6_lPT4_lSA_li.has_dyn_sized_stack, 0
	.set _ZL20rocblas_gemvn_kernelILi64ELi16EiPK19rocblas_complex_numIfES3_KPS1_EviiT3_lPKT2_lT1_lS9_lSA_lS6_lPT4_lSA_li.has_recursion, 0
	.set _ZL20rocblas_gemvn_kernelILi64ELi16EiPK19rocblas_complex_numIfES3_KPS1_EviiT3_lPKT2_lT1_lS9_lSA_lS6_lPT4_lSA_li.has_indirect_call, 0
	.section	.AMDGPU.csdata,"",@progbits
; Kernel info:
; codeLenInByte = 4440
; TotalNumSgprs: 53
; NumVgprs: 79
; ScratchSize: 0
; MemoryBound: 0
; FloatMode: 240
; IeeeMode: 1
; LDSByteSize: 32768 bytes/workgroup (compile time only)
; SGPRBlocks: 0
; VGPRBlocks: 9
; NumSGPRsForWavesPerEU: 53
; NumVGPRsForWavesPerEU: 79
; Occupancy: 16
; WaveLimiterHint : 1
; COMPUTE_PGM_RSRC2:SCRATCH_EN: 0
; COMPUTE_PGM_RSRC2:USER_SGPR: 2
; COMPUTE_PGM_RSRC2:TRAP_HANDLER: 0
; COMPUTE_PGM_RSRC2:TGID_X_EN: 1
; COMPUTE_PGM_RSRC2:TGID_Y_EN: 0
; COMPUTE_PGM_RSRC2:TGID_Z_EN: 1
; COMPUTE_PGM_RSRC2:TIDIG_COMP_CNT: 1
	.section	.text._ZL20rocblas_gemvn_kernelILi64ELi16ElPK19rocblas_complex_numIfES3_KPS1_EviiT3_lPKT2_lT1_lS9_lSA_lS6_lPT4_lSA_li,"axG",@progbits,_ZL20rocblas_gemvn_kernelILi64ELi16ElPK19rocblas_complex_numIfES3_KPS1_EviiT3_lPKT2_lT1_lS9_lSA_lS6_lPT4_lSA_li,comdat
	.globl	_ZL20rocblas_gemvn_kernelILi64ELi16ElPK19rocblas_complex_numIfES3_KPS1_EviiT3_lPKT2_lT1_lS9_lSA_lS6_lPT4_lSA_li ; -- Begin function _ZL20rocblas_gemvn_kernelILi64ELi16ElPK19rocblas_complex_numIfES3_KPS1_EviiT3_lPKT2_lT1_lS9_lSA_lS6_lPT4_lSA_li
	.p2align	8
	.type	_ZL20rocblas_gemvn_kernelILi64ELi16ElPK19rocblas_complex_numIfES3_KPS1_EviiT3_lPKT2_lT1_lS9_lSA_lS6_lPT4_lSA_li,@function
_ZL20rocblas_gemvn_kernelILi64ELi16ElPK19rocblas_complex_numIfES3_KPS1_EviiT3_lPKT2_lT1_lS9_lSA_lS6_lPT4_lSA_li: ; @_ZL20rocblas_gemvn_kernelILi64ELi16ElPK19rocblas_complex_numIfES3_KPS1_EviiT3_lPKT2_lT1_lS9_lSA_lS6_lPT4_lSA_li
; %bb.0:
	s_clause 0x1
	s_load_b64 s[2:3], s[0:1], 0x9c
	s_load_b32 s33, s[0:1], 0x88
	s_lshr_b32 s28, ttmp7, 16
	s_wait_kmcnt 0x0
	s_lshr_b32 s4, s2, 16
	s_and_b32 s2, s2, 0xffff
	s_and_b32 s3, s3, 0xffff
	s_mul_i32 s2, s4, s2
	s_delay_alu instid0(SALU_CYCLE_1) | instskip(NEXT) | instid1(SALU_CYCLE_1)
	s_mul_i32 s2, s2, s3
	s_cmp_lg_u32 s2, 0x400
	s_cselect_b32 s2, -1, 0
	s_cmp_ge_u32 s28, s33
	s_cselect_b32 s3, -1, 0
	s_delay_alu instid0(SALU_CYCLE_1) | instskip(NEXT) | instid1(SALU_CYCLE_1)
	s_or_b32 s2, s2, s3
	s_and_b32 vcc_lo, exec_lo, s2
	s_cbranch_vccnz .LBB303_53
; %bb.1:
	s_clause 0x2
	s_load_b64 s[38:39], s[0:1], 0x78
	s_load_b64 s[30:31], s[0:1], 0x0
	s_load_b256 s[8:15], s[0:1], 0x8
	v_dual_mov_b32 v1, 0 :: v_dual_and_b32 v2, 0x3ff, v0
	v_bfe_u32 v13, v0, 10, 10
	s_lshl_b32 s7, ttmp9, 8
	s_clause 0x3
	s_load_b64 s[34:35], s[0:1], 0x28
	s_load_b128 s[24:27], s[0:1], 0x38
	s_load_b64 s[36:37], s[0:1], 0x48
	s_load_b256 s[16:23], s[0:1], 0x58
	v_add_nc_u32_e32 v4, s7, v2
	s_mov_b32 s29, 0
	v_lshl_add_u32 v6, v13, 6, v2
	s_delay_alu instid0(VALU_DEP_2) | instskip(NEXT) | instid1(VALU_DEP_2)
	v_add_nc_u32_e32 v3, 0x80, v4
	v_add_nc_u32_e32 v0, s7, v6
	s_wait_kmcnt 0x0
	s_delay_alu instid0(VALU_DEP_1)
	v_mad_co_u64_u32 v[14:15], null, s38, v0, 0
	v_lshlrev_b32_e32 v7, 3, v2
	v_add_nc_u32_e32 v2, 64, v4
	s_ashr_i32 s2, s31, 31
	s_ashr_i32 s5, s30, 31
	s_lshr_b32 s3, s2, 26
	v_cmp_gt_i32_e64 s2, s30, v3
	v_cmp_gt_i32_e64 s1, s30, v2
	v_mov_b32_e32 v2, v15
	s_add_co_i32 s44, s31, s3
	s_mov_b32 s4, s30
	s_and_not1_b32 s44, s44, 63
	v_cmp_gt_i64_e32 vcc_lo, s[4:5], v[0:1]
	v_mad_co_u64_u32 v[2:3], null, s39, v0, v[2:3]
	s_sub_co_i32 s6, s31, s44
	v_lshl_add_u32 v0, v13, 11, v7
	s_wait_alu 0xfffe
	s_cmp_gt_i32 s6, 0
	v_cmp_gt_u32_e64 s5, 0x100, v6
	v_lshl_add_u32 v73, v13, 9, v7
	s_cselect_b32 s45, -1, 0
	v_dual_mov_b32 v15, v2 :: v_dual_add_nc_u32 v8, 0xc0, v4
	v_mad_co_u64_u32 v[2:3], null, s36, v13, 0
	v_ashrrev_i32_e32 v5, 31, v4
	v_cmp_gt_i32_e64 s0, s30, v4
	s_delay_alu instid0(VALU_DEP_4)
	v_cmp_gt_i32_e64 s3, s30, v8
	v_or_b32_e32 v8, s7, v6
	s_ashr_i32 s7, s7, 31
	v_lshlrev_b64_e32 v[14:15], 3, v[14:15]
	s_wait_alu 0xfffe
	s_mul_i32 s7, s38, s7
	s_lshl_b64 s[40:41], s[34:35], 9
	v_cmp_gt_i32_e64 s6, s30, v8
	v_mul_lo_u32 v20, s39, v8
	v_mad_co_u64_u32 v[16:17], null, s38, v8, 0
	v_mad_co_u64_u32 v[8:9], null, s37, v13, v[3:4]
	v_lshlrev_b32_e32 v72, 2, v13
	v_mad_co_u64_u32 v[9:10], null, s34, v13, 0
	v_lshlrev_b64_e32 v[4:5], 3, v[4:5]
	s_wait_alu 0xfffe
	v_add3_u32 v17, v17, s7, v20
	s_and_b32 s30, s5, vcc_lo
	v_mov_b32_e32 v3, v8
	v_or_b32_e32 v21, 3, v72
	v_or_b32_e32 v22, 2, v72
	v_mad_co_u64_u32 v[18:19], null, s34, v72, s[34:35]
	v_mov_b32_e32 v8, v10
	s_delay_alu instid0(VALU_DEP_4) | instskip(NEXT) | instid1(VALU_DEP_4)
	v_mad_co_u64_u32 v[6:7], null, s34, v21, 0
	v_mad_co_u64_u32 v[11:12], null, s34, v22, 0
	v_lshlrev_b64_e32 v[2:3], 5, v[2:3]
	v_mov_b32_e32 v10, v19
	v_lshlrev_b64_e32 v[16:17], 3, v[16:17]
	v_cmp_gt_i32_e64 s4, s44, v72
	v_mad_co_u64_u32 v[20:21], null, s35, v21, v[7:8]
	v_mov_b32_e32 v7, v12
	v_mad_co_u64_u32 v[12:13], null, s35, v13, v[8:9]
	s_lshl_b64 s[38:39], s[36:37], 9
	s_lshl_b64 s[42:43], s[36:37], 3
	v_mad_co_u64_u32 v[21:22], null, s35, v22, v[7:8]
	v_mad_co_u64_u32 v[22:23], null, s35, v72, v[10:11]
	v_dual_mov_b32 v7, v20 :: v_dual_mov_b32 v10, v12
	s_lshl_b64 s[14:15], s[14:15], 3
	s_lshl_b64 s[26:27], s[26:27], 3
	s_delay_alu instid0(VALU_DEP_3) | instskip(NEXT) | instid1(VALU_DEP_2)
	v_mov_b32_e32 v12, v21
	v_lshlrev_b64_e32 v[6:7], 3, v[6:7]
	s_delay_alu instid0(VALU_DEP_4) | instskip(SKIP_3) | instid1(VALU_DEP_3)
	v_mov_b32_e32 v19, v22
	v_lshlrev_b64_e32 v[8:9], 5, v[9:10]
	s_lshl_b64 s[22:23], s[22:23], 3
	v_lshlrev_b64_e32 v[10:11], 3, v[11:12]
	v_lshlrev_b64_e32 v[12:13], 3, v[18:19]
	s_branch .LBB303_5
.LBB303_2:                              ;   in Loop: Header=BB303_5 Depth=1
	v_add_co_u32 v20, vcc_lo, v74, v16
	s_wait_alu 0xfffd
	v_add_co_ci_u32_e64 v21, null, v75, v17, vcc_lo
	flat_store_b64 v[20:21], v[18:19]
.LBB303_3:                              ;   in Loop: Header=BB303_5 Depth=1
	s_wait_alu 0xfffe
	s_or_b32 exec_lo, exec_lo, s7
.LBB303_4:                              ;   in Loop: Header=BB303_5 Depth=1
	s_add_co_i32 s28, s28, 0x10000
	s_delay_alu instid0(SALU_CYCLE_1)
	s_cmp_lt_u32 s28, s33
	s_cbranch_scc0 .LBB303_53
.LBB303_5:                              ; =>This Loop Header: Depth=1
                                        ;     Child Loop BB303_25 Depth 2
	s_mul_u64 s[46:47], s[10:11], s[28:29]
	s_wait_alu 0xfffe
	s_lshl_b64 s[46:47], s[46:47], 3
	s_wait_alu 0xfffe
	s_add_nc_u64 s[46:47], s[8:9], s[46:47]
	global_load_b64 v[18:19], v1, s[46:47]
	s_mul_u64 s[46:47], s[18:19], s[28:29]
	s_wait_alu 0xfffe
	s_lshl_b64 s[46:47], s[46:47], 3
	s_wait_alu 0xfffe
	s_add_nc_u64 s[46:47], s[16:17], s[46:47]
	global_load_b64 v[20:21], v1, s[46:47]
	s_wait_loadcnt 0x1
	v_readfirstlane_b32 s48, v18
	v_readfirstlane_b32 s49, v19
	s_cmp_neq_f32 s48, 0
	s_wait_loadcnt 0x0
	v_readfirstlane_b32 s46, v20
	s_cselect_b32 s7, -1, 0
	s_cmp_neq_f32 s49, 0
	s_cselect_b32 s47, -1, 0
	s_wait_alu 0xfffe
	s_or_b32 s7, s7, s47
	v_readfirstlane_b32 s47, v21
	s_wait_alu 0xfffe
	s_and_b32 vcc_lo, exec_lo, s7
	s_mov_b32 s7, -1
	s_wait_alu 0xfffe
	s_cbranch_vccnz .LBB303_7
; %bb.6:                                ;   in Loop: Header=BB303_5 Depth=1
	s_cmp_neq_f32 s46, 1.0
	s_cselect_b32 s7, -1, 0
	s_cmp_neq_f32 s47, 0
	s_cselect_b32 s50, -1, 0
	s_wait_alu 0xfffe
	s_or_b32 s7, s7, s50
.LBB303_7:                              ;   in Loop: Header=BB303_5 Depth=1
	s_wait_alu 0xfffe
	s_and_not1_b32 vcc_lo, exec_lo, s7
	s_wait_alu 0xfffe
	s_cbranch_vccnz .LBB303_4
; %bb.8:                                ;   in Loop: Header=BB303_5 Depth=1
	s_or_b32 s7, s48, s49
	v_mov_b32_e32 v28, 0
	s_wait_alu 0xfffe
	s_bitset0_b32 s7, 31
	v_dual_mov_b32 v29, 0 :: v_dual_mov_b32 v26, 0
	s_wait_alu 0xfffe
	s_cmp_lg_u32 s7, 0
	v_mov_b32_e32 v27, 0
	s_cselect_b32 s50, -1, 0
	s_cmp_eq_u32 s7, 0
	s_cselect_b32 s7, -1, 0
	s_wait_alu 0xfffe
	s_and_b32 vcc_lo, exec_lo, s7
	s_wait_alu 0xfffe
	s_cbranch_vccnz .LBB303_10
; %bb.9:                                ;   in Loop: Header=BB303_5 Depth=1
	s_lshl_b64 s[52:53], s[28:29], 3
	s_delay_alu instid0(SALU_CYCLE_1)
	s_add_nc_u64 s[52:53], s[12:13], s[52:53]
	global_load_b64 v[18:19], v1, s[52:53]
	s_wait_loadcnt 0x0
	v_add_co_u32 v26, vcc_lo, v18, s14
	s_wait_alu 0xfffd
	v_add_co_ci_u32_e64 v27, null, s15, v19, vcc_lo
.LBB303_10:                             ;   in Loop: Header=BB303_5 Depth=1
	s_and_not1_b32 vcc_lo, exec_lo, s50
	s_wait_alu 0xfffe
	s_cbranch_vccnz .LBB303_12
; %bb.11:                               ;   in Loop: Header=BB303_5 Depth=1
	s_lshl_b64 s[50:51], s[28:29], 3
	s_delay_alu instid0(SALU_CYCLE_1)
	s_add_nc_u64 s[50:51], s[24:25], s[50:51]
	global_load_b64 v[18:19], v1, s[50:51]
	s_wait_loadcnt 0x0
	v_add_co_u32 v28, vcc_lo, v18, s26
	s_wait_alu 0xfffd
	v_add_co_ci_u32_e64 v29, null, s27, v19, vcc_lo
.LBB303_12:                             ;   in Loop: Header=BB303_5 Depth=1
	s_lshl_b64 s[50:51], s[28:29], 3
	s_delay_alu instid0(SALU_CYCLE_1)
	s_add_nc_u64 s[50:51], s[20:21], s[50:51]
	global_load_b64 v[18:19], v1, s[50:51]
	s_wait_loadcnt 0x0
	v_add_co_u32 v74, vcc_lo, v18, s22
	s_wait_alu 0xfffd
	v_add_co_ci_u32_e64 v75, null, s23, v19, vcc_lo
	s_and_not1_b32 vcc_lo, exec_lo, s7
	s_mov_b32 s7, -1
	s_wait_alu 0xfffe
	s_cbranch_vccnz .LBB303_18
; %bb.13:                               ;   in Loop: Header=BB303_5 Depth=1
	s_and_saveexec_b32 s7, s30
	s_cbranch_execz .LBB303_17
; %bb.14:                               ;   in Loop: Header=BB303_5 Depth=1
	s_cmp_neq_f32 s46, 0
	v_dual_mov_b32 v18, 0 :: v_dual_mov_b32 v19, 0
	s_cselect_b32 s50, -1, 0
	s_cmp_neq_f32 s47, 0
	s_cselect_b32 s51, -1, 0
	s_delay_alu instid0(SALU_CYCLE_1) | instskip(NEXT) | instid1(SALU_CYCLE_1)
	s_or_b32 s50, s50, s51
	s_and_not1_b32 vcc_lo, exec_lo, s50
	s_wait_alu 0xfffe
	s_cbranch_vccnz .LBB303_16
; %bb.15:                               ;   in Loop: Header=BB303_5 Depth=1
	v_add_co_u32 v18, vcc_lo, v74, v14
	s_wait_alu 0xfffd
	v_add_co_ci_u32_e64 v19, null, v75, v15, vcc_lo
	flat_load_b64 v[20:21], v[18:19]
	s_wait_loadcnt_dscnt 0x0
	v_mul_f32_e32 v19, s46, v21
	s_delay_alu instid0(VALU_DEP_1) | instskip(NEXT) | instid1(VALU_DEP_1)
	v_dual_mul_f32 v18, s47, v21 :: v_dual_fmac_f32 v19, s47, v20
	v_fma_f32 v18, s46, v20, -v18
.LBB303_16:                             ;   in Loop: Header=BB303_5 Depth=1
	v_add_co_u32 v20, vcc_lo, v74, v14
	s_wait_alu 0xfffd
	v_add_co_ci_u32_e64 v21, null, v75, v15, vcc_lo
	flat_store_b64 v[20:21], v[18:19]
.LBB303_17:                             ;   in Loop: Header=BB303_5 Depth=1
	s_wait_alu 0xfffe
	s_or_b32 exec_lo, exec_lo, s7
	s_mov_b32 s7, 0
.LBB303_18:                             ;   in Loop: Header=BB303_5 Depth=1
	s_wait_alu 0xfffe
	s_and_not1_b32 vcc_lo, exec_lo, s7
	s_wait_alu 0xfffe
	s_cbranch_vccnz .LBB303_4
; %bb.19:                               ;   in Loop: Header=BB303_5 Depth=1
	v_dual_mov_b32 v19, 0 :: v_dual_mov_b32 v76, v72
	v_dual_mov_b32 v18, 0 :: v_dual_mov_b32 v21, 0
	;; [unrolled: 1-line block ×4, first 2 shown]
	v_mov_b32_e32 v24, 0
	s_and_saveexec_b32 s50, s4
	s_cbranch_execz .LBB303_31
; %bb.20:                               ;   in Loop: Header=BB303_5 Depth=1
	v_add_co_u32 v30, vcc_lo, v28, v2
	s_wait_alu 0xfffd
	v_add_co_ci_u32_e64 v31, null, v29, v3, vcc_lo
	v_add_co_u32 v77, vcc_lo, v26, v6
	s_wait_alu 0xfffd
	v_add_co_ci_u32_e64 v78, null, v27, v7, vcc_lo
	v_add_co_u32 v79, vcc_lo, v26, v8
	v_dual_mov_b32 v19, 0 :: v_dual_mov_b32 v76, v72
	s_wait_alu 0xfffd
	v_add_co_ci_u32_e64 v80, null, v27, v9, vcc_lo
	v_add_co_u32 v81, vcc_lo, v26, v10
	s_wait_alu 0xfffd
	v_add_co_ci_u32_e64 v82, null, v27, v11, vcc_lo
	v_add_co_u32 v83, vcc_lo, v26, v12
	s_wait_alu 0xfffd
	v_add_co_ci_u32_e64 v84, null, v27, v13, vcc_lo
	v_dual_mov_b32 v18, v19 :: v_dual_mov_b32 v21, v19
	v_dual_mov_b32 v20, v19 :: v_dual_mov_b32 v23, v19
	;; [unrolled: 1-line block ×3, first 2 shown]
	v_mov_b32_e32 v24, v19
	s_mov_b32 s51, 0
	s_branch .LBB303_25
.LBB303_21:                             ;   in Loop: Header=BB303_25 Depth=2
	s_or_b32 exec_lo, exec_lo, s54
	s_wait_loadcnt_dscnt 0x303
	v_mul_f32_e32 v64, v45, v63
	s_wait_loadcnt_dscnt 0x101
	v_dual_mul_f32 v65, v41, v61 :: v_dual_mul_f32 v66, v35, v59
	v_mul_f32_e32 v61, v40, v61
	v_mul_f32_e32 v63, v44, v63
	v_fma_f32 v64, v44, v62, -v64
	v_mul_f32_e32 v59, v34, v59
	v_fma_f32 v65, v40, v60, -v65
	v_fmac_f32_e32 v61, v41, v60
	v_fma_f32 v60, v34, v58, -v66
	s_delay_alu instid0(VALU_DEP_4) | instskip(NEXT) | instid1(VALU_DEP_1)
	v_dual_add_f32 v20, v20, v64 :: v_dual_fmac_f32 v59, v35, v58
	v_add_f32_e32 v20, v65, v20
	v_fmac_f32_e32 v63, v45, v62
	s_wait_loadcnt_dscnt 0x0
	v_mul_f32_e32 v62, v33, v57
	v_mul_f32_e32 v57, v32, v57
	v_add_f32_e32 v20, v60, v20
	s_delay_alu instid0(VALU_DEP_3) | instskip(SKIP_1) | instid1(VALU_DEP_4)
	v_fma_f32 v58, v32, v56, -v62
	v_add_f32_e32 v21, v21, v63
	v_fmac_f32_e32 v57, v33, v56
	s_delay_alu instid0(VALU_DEP_2) | instskip(NEXT) | instid1(VALU_DEP_1)
	v_dual_add_f32 v20, v58, v20 :: v_dual_add_f32 v21, v61, v21
	v_add_f32_e32 v21, v59, v21
	s_delay_alu instid0(VALU_DEP_1)
	v_add_f32_e32 v21, v57, v21
.LBB303_22:                             ;   in Loop: Header=BB303_25 Depth=2
	s_or_b32 exec_lo, exec_lo, s53
	s_wait_loadcnt_dscnt 0x303
	v_mul_f32_e32 v56, v45, v55
	v_mul_f32_e32 v55, v44, v55
	s_wait_loadcnt_dscnt 0x101
	v_dual_mul_f32 v57, v41, v53 :: v_dual_mul_f32 v58, v35, v51
	v_mul_f32_e32 v53, v40, v53
	v_fma_f32 v56, v44, v54, -v56
	v_fmac_f32_e32 v55, v45, v54
	s_delay_alu instid0(VALU_DEP_4) | instskip(SKIP_4) | instid1(VALU_DEP_2)
	v_fma_f32 v57, v40, v52, -v57
	s_wait_loadcnt_dscnt 0x0
	v_mul_f32_e32 v54, v33, v49
	v_dual_mul_f32 v49, v32, v49 :: v_dual_add_f32 v22, v22, v56
	v_mul_f32_e32 v51, v34, v51
	v_fmac_f32_e32 v49, v33, v48
	s_delay_alu instid0(VALU_DEP_3) | instskip(SKIP_4) | instid1(VALU_DEP_3)
	v_add_f32_e32 v22, v57, v22
	v_fmac_f32_e32 v53, v41, v52
	v_fma_f32 v52, v34, v50, -v58
	v_fmac_f32_e32 v51, v35, v50
	v_fma_f32 v50, v32, v48, -v54
	v_dual_add_f32 v22, v52, v22 :: v_dual_add_f32 v23, v23, v55
	s_delay_alu instid0(VALU_DEP_1) | instskip(NEXT) | instid1(VALU_DEP_1)
	v_dual_add_f32 v22, v50, v22 :: v_dual_add_f32 v23, v53, v23
	v_add_f32_e32 v23, v51, v23
	s_delay_alu instid0(VALU_DEP_1)
	v_add_f32_e32 v23, v49, v23
.LBB303_23:                             ;   in Loop: Header=BB303_25 Depth=2
	s_or_b32 exec_lo, exec_lo, s52
	s_wait_loadcnt_dscnt 0x101
	v_mul_f32_e32 v50, v35, v39
	v_mul_f32_e32 v48, v45, v47
	v_mul_f32_e32 v39, v34, v39
	s_delay_alu instid0(VALU_DEP_3) | instskip(SKIP_1) | instid1(VALU_DEP_1)
	v_fma_f32 v34, v34, v38, -v50
	v_mul_f32_e32 v47, v44, v47
	v_fmac_f32_e32 v47, v45, v46
	s_wait_loadcnt_dscnt 0x0
	v_mul_f32_e32 v45, v33, v37
	v_mul_f32_e32 v37, v32, v37
	v_fma_f32 v44, v44, v46, -v48
	v_mul_f32_e32 v49, v41, v43
	v_mul_f32_e32 v43, v40, v43
	v_add_f32_e32 v25, v25, v47
	v_fma_f32 v32, v32, v36, -v45
	v_add_f32_e32 v24, v24, v44
	v_fma_f32 v40, v40, v42, -v49
	v_fmac_f32_e32 v43, v41, v42
	v_fmac_f32_e32 v37, v33, v36
	s_delay_alu instid0(VALU_DEP_3) | instskip(NEXT) | instid1(VALU_DEP_1)
	v_dual_add_f32 v24, v40, v24 :: v_dual_fmac_f32 v39, v35, v38
	v_dual_add_f32 v25, v43, v25 :: v_dual_add_f32 v24, v34, v24
	s_delay_alu instid0(VALU_DEP_1) | instskip(NEXT) | instid1(VALU_DEP_1)
	v_dual_add_f32 v25, v39, v25 :: v_dual_add_f32 v24, v32, v24
	v_add_f32_e32 v25, v37, v25
.LBB303_24:                             ;   in Loop: Header=BB303_25 Depth=2
	s_wait_alu 0xfffe
	s_or_b32 exec_lo, exec_lo, s7
	v_add_co_u32 v30, vcc_lo, v30, s38
	s_wait_alu 0xfffd
	v_add_co_ci_u32_e64 v31, null, s39, v31, vcc_lo
	v_add_co_u32 v77, vcc_lo, v77, s40
	v_add_nc_u32_e32 v76, 64, v76
	s_wait_alu 0xfffd
	v_add_co_ci_u32_e64 v78, null, s41, v78, vcc_lo
	v_add_co_u32 v79, vcc_lo, v79, s40
	s_wait_alu 0xfffd
	v_add_co_ci_u32_e64 v80, null, s41, v80, vcc_lo
	v_add_co_u32 v81, vcc_lo, v81, s40
	s_wait_alu 0xfffd
	v_add_co_ci_u32_e64 v82, null, s41, v82, vcc_lo
	v_cmp_le_i32_e32 vcc_lo, s44, v76
	v_add_co_u32 v83, s7, v83, s40
	s_wait_alu 0xf1ff
	v_add_co_ci_u32_e64 v84, null, s41, v84, s7
	s_or_b32 s51, vcc_lo, s51
	s_delay_alu instid0(SALU_CYCLE_1)
	s_and_not1_b32 exec_lo, exec_lo, s51
	s_cbranch_execz .LBB303_30
.LBB303_25:                             ;   Parent Loop BB303_5 Depth=1
                                        ; =>  This Inner Loop Header: Depth=2
	s_and_saveexec_b32 s7, s0
	s_cbranch_execz .LBB303_24
; %bb.26:                               ;   in Loop: Header=BB303_25 Depth=2
	v_add_co_u32 v32, vcc_lo, v30, s42
	s_wait_alu 0xfffd
	v_add_co_ci_u32_e64 v33, null, s43, v31, vcc_lo
	s_delay_alu instid0(VALU_DEP_2) | instskip(SKIP_1) | instid1(VALU_DEP_2)
	v_add_co_u32 v34, vcc_lo, v32, s42
	s_wait_alu 0xfffd
	v_add_co_ci_u32_e64 v35, null, s43, v33, vcc_lo
	s_delay_alu instid0(VALU_DEP_2) | instskip(SKIP_1) | instid1(VALU_DEP_2)
	v_add_co_u32 v36, vcc_lo, v34, s42
	s_wait_alu 0xfffd
	v_add_co_ci_u32_e64 v37, null, s43, v35, vcc_lo
	v_add_co_u32 v70, vcc_lo, v79, v4
	s_wait_alu 0xfffd
	v_add_co_ci_u32_e64 v71, null, v80, v5, vcc_lo
	v_add_co_u32 v68, vcc_lo, v83, v4
	s_wait_alu 0xfffd
	v_add_co_ci_u32_e64 v69, null, v84, v5, vcc_lo
	v_add_co_u32 v66, vcc_lo, v81, v4
	s_wait_alu 0xfffd
	v_add_co_ci_u32_e64 v67, null, v82, v5, vcc_lo
	v_add_co_u32 v64, vcc_lo, v77, v4
	s_wait_alu 0xfffd
	v_add_co_ci_u32_e64 v65, null, v78, v5, vcc_lo
	s_clause 0x3
	flat_load_b64 v[44:45], v[30:31]
	flat_load_b64 v[40:41], v[32:33]
	;; [unrolled: 1-line block ×8, first 2 shown]
	s_and_saveexec_b32 s52, s1
	s_cbranch_execz .LBB303_23
; %bb.27:                               ;   in Loop: Header=BB303_25 Depth=2
	flat_load_b64 v[54:55], v[70:71] offset:512
	flat_load_b64 v[52:53], v[68:69] offset:512
	flat_load_b64 v[50:51], v[66:67] offset:512
	flat_load_b64 v[48:49], v[64:65] offset:512
	s_and_saveexec_b32 s53, s2
	s_cbranch_execz .LBB303_22
; %bb.28:                               ;   in Loop: Header=BB303_25 Depth=2
	flat_load_b64 v[62:63], v[70:71] offset:1024
	flat_load_b64 v[60:61], v[68:69] offset:1024
	flat_load_b64 v[58:59], v[66:67] offset:1024
	flat_load_b64 v[56:57], v[64:65] offset:1024
	;; [unrolled: 7-line block ×3, first 2 shown]
	s_wait_loadcnt_dscnt 0x101
	v_dual_mul_f32 v86, v41, v69 :: v_dual_mul_f32 v87, v35, v67
	v_mul_f32_e32 v69, v40, v69
	s_delay_alu instid0(VALU_DEP_2) | instskip(SKIP_2) | instid1(VALU_DEP_4)
	v_fma_f32 v86, v40, v68, -v86
	v_mul_f32_e32 v85, v45, v71
	v_mul_f32_e32 v71, v44, v71
	v_fmac_f32_e32 v69, v41, v68
	v_fma_f32 v68, v34, v66, -v87
	s_delay_alu instid0(VALU_DEP_4) | instskip(NEXT) | instid1(VALU_DEP_4)
	v_fma_f32 v85, v44, v70, -v85
	v_fmac_f32_e32 v71, v45, v70
	s_wait_loadcnt_dscnt 0x0
	v_mul_f32_e32 v70, v33, v65
	v_mul_f32_e32 v65, v32, v65
	s_delay_alu instid0(VALU_DEP_3) | instskip(NEXT) | instid1(VALU_DEP_1)
	v_dual_add_f32 v18, v18, v85 :: v_dual_add_f32 v19, v19, v71
	v_dual_fmac_f32 v65, v33, v64 :: v_dual_add_f32 v18, v86, v18
	v_mul_f32_e32 v67, v34, v67
	s_delay_alu instid0(VALU_DEP_2) | instskip(NEXT) | instid1(VALU_DEP_2)
	v_dual_add_f32 v19, v69, v19 :: v_dual_add_f32 v18, v68, v18
	v_fmac_f32_e32 v67, v35, v66
	v_fma_f32 v66, v32, v64, -v70
	s_delay_alu instid0(VALU_DEP_1) | instskip(NEXT) | instid1(VALU_DEP_1)
	v_dual_add_f32 v19, v67, v19 :: v_dual_add_f32 v18, v66, v18
	v_add_f32_e32 v19, v65, v19
	s_branch .LBB303_21
.LBB303_30:                             ;   in Loop: Header=BB303_5 Depth=1
	s_or_b32 exec_lo, exec_lo, s51
.LBB303_31:                             ;   in Loop: Header=BB303_5 Depth=1
	s_delay_alu instid0(SALU_CYCLE_1) | instskip(NEXT) | instid1(SALU_CYCLE_1)
	s_or_b32 exec_lo, exec_lo, s50
	s_and_not1_b32 vcc_lo, exec_lo, s45
	s_wait_alu 0xfffe
	s_cbranch_vccnz .LBB303_49
; %bb.32:                               ;   in Loop: Header=BB303_5 Depth=1
	v_cmp_gt_i32_e32 vcc_lo, s31, v76
	v_dual_mov_b32 v30, 0 :: v_dual_mov_b32 v31, 0
	v_or_b32_e32 v38, 1, v76
	v_dual_mov_b32 v32, 0 :: v_dual_mov_b32 v33, 0
	v_dual_mov_b32 v34, 0 :: v_dual_mov_b32 v35, 0
	;; [unrolled: 1-line block ×3, first 2 shown]
	s_and_saveexec_b32 s50, vcc_lo
	s_cbranch_execz .LBB303_40
; %bb.33:                               ;   in Loop: Header=BB303_5 Depth=1
	v_mad_co_u64_u32 v[30:31], null, s36, v76, 0
	v_dual_mov_b32 v37, 0 :: v_dual_mov_b32 v36, 0
	v_dual_mov_b32 v35, 0 :: v_dual_mov_b32 v34, 0
	v_mov_b32_e32 v33, 0
	s_mov_b32 s51, exec_lo
	s_delay_alu instid0(VALU_DEP_4) | instskip(SKIP_1) | instid1(VALU_DEP_2)
	v_mad_co_u64_u32 v[31:32], null, s37, v76, v[31:32]
	v_mov_b32_e32 v32, 0
	v_lshlrev_b64_e32 v[30:31], 3, v[30:31]
	s_delay_alu instid0(VALU_DEP_1) | instskip(SKIP_1) | instid1(VALU_DEP_2)
	v_add_co_u32 v30, s7, v28, v30
	s_wait_alu 0xf1ff
	v_add_co_ci_u32_e64 v31, null, v29, v31, s7
	flat_load_b64 v[30:31], v[30:31]
	v_cmpx_gt_i32_e64 s31, v38
	s_cbranch_execz .LBB303_39
; %bb.34:                               ;   in Loop: Header=BB303_5 Depth=1
	v_mad_co_u64_u32 v[32:33], null, s36, v38, 0
	v_or_b32_e32 v39, 2, v76
	v_dual_mov_b32 v37, 0 :: v_dual_mov_b32 v36, 0
	v_mov_b32_e32 v35, 0
	s_mov_b32 s52, exec_lo
	s_delay_alu instid0(VALU_DEP_4) | instskip(SKIP_1) | instid1(VALU_DEP_2)
	v_mad_co_u64_u32 v[33:34], null, s37, v38, v[33:34]
	v_mov_b32_e32 v34, 0
	v_lshlrev_b64_e32 v[32:33], 3, v[32:33]
	s_delay_alu instid0(VALU_DEP_1) | instskip(SKIP_1) | instid1(VALU_DEP_2)
	v_add_co_u32 v32, s7, v28, v32
	s_wait_alu 0xf1ff
	v_add_co_ci_u32_e64 v33, null, v29, v33, s7
	flat_load_b64 v[32:33], v[32:33]
	v_cmpx_gt_i32_e64 s31, v39
	s_cbranch_execz .LBB303_38
; %bb.35:                               ;   in Loop: Header=BB303_5 Depth=1
	v_mad_co_u64_u32 v[34:35], null, s36, v39, 0
	v_mov_b32_e32 v37, 0
	s_mov_b32 s53, exec_lo
	s_delay_alu instid0(VALU_DEP_2) | instskip(SKIP_2) | instid1(VALU_DEP_3)
	v_mad_co_u64_u32 v[35:36], null, s37, v39, v[35:36]
	v_or_b32_e32 v39, 3, v76
	v_mov_b32_e32 v36, 0
	v_lshlrev_b64_e32 v[34:35], 3, v[34:35]
	s_delay_alu instid0(VALU_DEP_1) | instskip(SKIP_1) | instid1(VALU_DEP_2)
	v_add_co_u32 v34, s7, v28, v34
	s_wait_alu 0xf1ff
	v_add_co_ci_u32_e64 v35, null, v29, v35, s7
	flat_load_b64 v[34:35], v[34:35]
	v_cmpx_gt_i32_e64 s31, v39
	s_cbranch_execz .LBB303_37
; %bb.36:                               ;   in Loop: Header=BB303_5 Depth=1
	v_mad_co_u64_u32 v[36:37], null, s36, v39, 0
	s_delay_alu instid0(VALU_DEP_1) | instskip(NEXT) | instid1(VALU_DEP_1)
	v_mad_co_u64_u32 v[39:40], null, s37, v39, v[37:38]
	v_mov_b32_e32 v37, v39
	s_delay_alu instid0(VALU_DEP_1) | instskip(NEXT) | instid1(VALU_DEP_1)
	v_lshlrev_b64_e32 v[36:37], 3, v[36:37]
	v_add_co_u32 v28, s7, v28, v36
	s_wait_alu 0xf1ff
	s_delay_alu instid0(VALU_DEP_2)
	v_add_co_ci_u32_e64 v29, null, v29, v37, s7
	flat_load_b64 v[36:37], v[28:29]
.LBB303_37:                             ;   in Loop: Header=BB303_5 Depth=1
	s_or_b32 exec_lo, exec_lo, s53
.LBB303_38:                             ;   in Loop: Header=BB303_5 Depth=1
	s_delay_alu instid0(SALU_CYCLE_1)
	s_or_b32 exec_lo, exec_lo, s52
.LBB303_39:                             ;   in Loop: Header=BB303_5 Depth=1
	s_delay_alu instid0(SALU_CYCLE_1)
	s_or_b32 exec_lo, exec_lo, s51
.LBB303_40:                             ;   in Loop: Header=BB303_5 Depth=1
	s_delay_alu instid0(SALU_CYCLE_1)
	s_or_b32 exec_lo, exec_lo, s50
	s_and_saveexec_b32 s50, s0
	s_cbranch_execz .LBB303_48
; %bb.41:                               ;   in Loop: Header=BB303_5 Depth=1
	v_or_b32_e32 v47, 2, v76
	v_mad_co_u64_u32 v[28:29], null, s34, v76, 0
	v_mad_co_u64_u32 v[39:40], null, s34, v38, 0
	s_delay_alu instid0(VALU_DEP_3) | instskip(SKIP_4) | instid1(VALU_DEP_4)
	v_mad_co_u64_u32 v[41:42], null, s34, v47, 0
	v_cmp_gt_i32_e64 s7, s31, v38
	v_or_b32_e32 v48, 3, v76
	s_wait_loadcnt_dscnt 0x0
	v_mad_co_u64_u32 v[43:44], null, s35, v76, v[29:30]
	v_dual_mov_b32 v29, v42 :: v_dual_cndmask_b32 v42, 0, v28
	v_mad_co_u64_u32 v[44:45], null, s35, v38, v[40:41]
	s_wait_alu 0xf1ff
	v_cndmask_b32_e64 v28, 0, v39, s7
	s_delay_alu instid0(VALU_DEP_3) | instskip(SKIP_4) | instid1(VALU_DEP_4)
	v_mad_co_u64_u32 v[38:39], null, s35, v47, v[29:30]
	v_cndmask_b32_e32 v43, 0, v43, vcc_lo
	v_mad_co_u64_u32 v[45:46], null, s34, v48, 0
	v_cndmask_b32_e64 v29, 0, v44, s7
	v_cmp_gt_i32_e32 vcc_lo, s31, v47
	v_lshlrev_b64_e32 v[39:40], 3, v[42:43]
	s_delay_alu instid0(VALU_DEP_3) | instskip(SKIP_3) | instid1(VALU_DEP_4)
	v_lshlrev_b64_e32 v[28:29], 3, v[28:29]
	v_mov_b32_e32 v43, v46
	s_wait_alu 0xfffd
	v_cndmask_b32_e32 v41, 0, v41, vcc_lo
	v_add_co_u32 v39, s7, v26, v39
	s_wait_alu 0xf1ff
	v_add_co_ci_u32_e64 v40, null, v27, v40, s7
	v_cndmask_b32_e32 v42, 0, v38, vcc_lo
	s_delay_alu instid0(VALU_DEP_3)
	v_add_co_u32 v60, vcc_lo, v39, v4
	v_mad_co_u64_u32 v[38:39], null, s35, v48, v[43:44]
	s_wait_alu 0xfffd
	v_add_co_ci_u32_e64 v61, null, v40, v5, vcc_lo
	v_cmp_gt_i32_e32 vcc_lo, s31, v48
	v_add_co_u32 v43, s7, v26, v28
	s_wait_alu 0xf1ff
	v_add_co_ci_u32_e64 v44, null, v27, v29, s7
	s_wait_alu 0xfffd
	v_dual_cndmask_b32 v39, 0, v45 :: v_dual_cndmask_b32 v40, 0, v38
	v_lshlrev_b64_e32 v[28:29], 3, v[41:42]
	v_add_co_u32 v62, vcc_lo, v43, v4
	s_wait_alu 0xfffd
	v_add_co_ci_u32_e64 v63, null, v44, v5, vcc_lo
	v_lshlrev_b64_e32 v[38:39], 3, v[39:40]
	s_delay_alu instid0(VALU_DEP_4) | instskip(SKIP_2) | instid1(VALU_DEP_3)
	v_add_co_u32 v28, vcc_lo, v26, v28
	s_wait_alu 0xfffd
	v_add_co_ci_u32_e64 v29, null, v27, v29, vcc_lo
	v_add_co_u32 v26, vcc_lo, v26, v38
	s_wait_alu 0xfffd
	v_add_co_ci_u32_e64 v27, null, v27, v39, vcc_lo
	;; [unrolled: 3-line block ×4, first 2 shown]
	s_clause 0x3
	flat_load_b64 v[40:41], v[60:61]
	flat_load_b64 v[38:39], v[62:63]
	flat_load_b64 v[28:29], v[64:65]
	flat_load_b64 v[26:27], v[58:59]
	s_and_saveexec_b32 s7, s1
	s_cbranch_execz .LBB303_47
; %bb.42:                               ;   in Loop: Header=BB303_5 Depth=1
	s_clause 0x3
	flat_load_b64 v[48:49], v[60:61] offset:512
	flat_load_b64 v[46:47], v[62:63] offset:512
	flat_load_b64 v[44:45], v[64:65] offset:512
	flat_load_b64 v[42:43], v[58:59] offset:512
	s_and_saveexec_b32 s51, s2
	s_cbranch_execz .LBB303_46
; %bb.43:                               ;   in Loop: Header=BB303_5 Depth=1
	s_clause 0x3
	flat_load_b64 v[56:57], v[60:61] offset:1024
	flat_load_b64 v[54:55], v[62:63] offset:1024
	flat_load_b64 v[52:53], v[64:65] offset:1024
	flat_load_b64 v[50:51], v[58:59] offset:1024
	;; [unrolled: 8-line block ×3, first 2 shown]
	s_wait_loadcnt_dscnt 0x202
	v_dual_mul_f32 v66, v31, v61 :: v_dual_mul_f32 v67, v33, v63
	v_mul_f32_e32 v61, v30, v61
	s_wait_loadcnt_dscnt 0x101
	v_dual_mul_f32 v63, v32, v63 :: v_dual_mul_f32 v68, v35, v65
	s_delay_alu instid0(VALU_DEP_3)
	v_fma_f32 v66, v30, v60, -v66
	v_fma_f32 v67, v32, v62, -v67
	s_wait_loadcnt_dscnt 0x0
	v_dual_fmac_f32 v61, v31, v60 :: v_dual_mul_f32 v60, v37, v59
	v_fmac_f32_e32 v63, v33, v62
	v_add_f32_e32 v18, v18, v66
	v_mul_f32_e32 v65, v34, v65
	v_mul_f32_e32 v59, v36, v59
	v_fma_f32 v60, v36, v58, -v60
	s_delay_alu instid0(VALU_DEP_4) | instskip(SKIP_3) | instid1(VALU_DEP_2)
	v_add_f32_e32 v18, v67, v18
	v_add_f32_e32 v19, v19, v61
	v_fma_f32 v61, v34, v64, -v68
	v_fmac_f32_e32 v59, v37, v58
	v_dual_add_f32 v18, v61, v18 :: v_dual_fmac_f32 v65, v35, v64
	s_delay_alu instid0(VALU_DEP_1) | instskip(NEXT) | instid1(VALU_DEP_1)
	v_dual_add_f32 v19, v63, v19 :: v_dual_add_f32 v18, v60, v18
	v_add_f32_e32 v19, v65, v19
	s_delay_alu instid0(VALU_DEP_1)
	v_add_f32_e32 v19, v59, v19
.LBB303_45:                             ;   in Loop: Header=BB303_5 Depth=1
	s_or_b32 exec_lo, exec_lo, s52
	s_wait_loadcnt_dscnt 0x202
	v_dual_mul_f32 v58, v31, v57 :: v_dual_mul_f32 v59, v33, v55
	v_mul_f32_e32 v57, v30, v57
	s_wait_loadcnt_dscnt 0x101
	v_dual_mul_f32 v55, v32, v55 :: v_dual_mul_f32 v60, v35, v53
	s_delay_alu instid0(VALU_DEP_3)
	v_fma_f32 v58, v30, v56, -v58
	v_mul_f32_e32 v53, v34, v53
	v_fmac_f32_e32 v57, v31, v56
	v_fma_f32 v59, v32, v54, -v59
	s_wait_loadcnt_dscnt 0x0
	v_mul_f32_e32 v56, v37, v51
	v_add_f32_e32 v20, v20, v58
	v_fmac_f32_e32 v55, v33, v54
	v_fma_f32 v54, v34, v52, -v60
	v_mul_f32_e32 v51, v36, v51
	v_fmac_f32_e32 v53, v35, v52
	v_dual_add_f32 v20, v59, v20 :: v_dual_add_f32 v21, v21, v57
	v_fma_f32 v52, v36, v50, -v56
	s_delay_alu instid0(VALU_DEP_2) | instskip(NEXT) | instid1(VALU_DEP_1)
	v_dual_fmac_f32 v51, v37, v50 :: v_dual_add_f32 v20, v54, v20
	v_dual_add_f32 v21, v55, v21 :: v_dual_add_f32 v20, v52, v20
	s_delay_alu instid0(VALU_DEP_1) | instskip(NEXT) | instid1(VALU_DEP_1)
	v_add_f32_e32 v21, v53, v21
	v_add_f32_e32 v21, v51, v21
.LBB303_46:                             ;   in Loop: Header=BB303_5 Depth=1
	s_or_b32 exec_lo, exec_lo, s51
	s_wait_loadcnt_dscnt 0x202
	v_dual_mul_f32 v50, v31, v49 :: v_dual_mul_f32 v51, v33, v47
	v_mul_f32_e32 v49, v30, v49
	s_wait_loadcnt_dscnt 0x101
	v_dual_mul_f32 v47, v32, v47 :: v_dual_mul_f32 v52, v35, v45
	s_delay_alu instid0(VALU_DEP_3)
	v_fma_f32 v50, v30, v48, -v50
	v_fma_f32 v51, v32, v46, -v51
	s_wait_loadcnt_dscnt 0x0
	v_dual_fmac_f32 v49, v31, v48 :: v_dual_mul_f32 v48, v37, v43
	v_fmac_f32_e32 v47, v33, v46
	v_add_f32_e32 v22, v22, v50
	v_mul_f32_e32 v45, v34, v45
	v_fma_f32 v46, v34, v44, -v52
	s_delay_alu instid0(VALU_DEP_3) | instskip(SKIP_1) | instid1(VALU_DEP_2)
	v_dual_mul_f32 v43, v36, v43 :: v_dual_add_f32 v22, v51, v22
	v_add_f32_e32 v23, v23, v49
	v_fmac_f32_e32 v43, v37, v42
	s_delay_alu instid0(VALU_DEP_3) | instskip(NEXT) | instid1(VALU_DEP_3)
	v_dual_add_f32 v22, v46, v22 :: v_dual_fmac_f32 v45, v35, v44
	v_add_f32_e32 v23, v47, v23
	v_fma_f32 v44, v36, v42, -v48
	s_delay_alu instid0(VALU_DEP_1) | instskip(NEXT) | instid1(VALU_DEP_1)
	v_dual_add_f32 v22, v44, v22 :: v_dual_add_f32 v23, v45, v23
	v_add_f32_e32 v23, v43, v23
.LBB303_47:                             ;   in Loop: Header=BB303_5 Depth=1
	s_wait_alu 0xfffe
	s_or_b32 exec_lo, exec_lo, s7
	s_wait_loadcnt_dscnt 0x202
	v_dual_mul_f32 v42, v31, v41 :: v_dual_mul_f32 v43, v33, v39
	v_mul_f32_e32 v41, v30, v41
	s_wait_loadcnt_dscnt 0x101
	v_dual_mul_f32 v39, v32, v39 :: v_dual_mul_f32 v44, v35, v29
	s_delay_alu instid0(VALU_DEP_3) | instskip(SKIP_1) | instid1(VALU_DEP_2)
	v_fma_f32 v30, v30, v40, -v42
	v_fma_f32 v32, v32, v38, -v43
	v_dual_add_f32 v24, v24, v30 :: v_dual_mul_f32 v29, v34, v29
	v_fmac_f32_e32 v41, v31, v40
	v_fma_f32 v30, v34, v28, -v44
	s_wait_loadcnt_dscnt 0x0
	s_delay_alu instid0(VALU_DEP_3) | instskip(NEXT) | instid1(VALU_DEP_3)
	v_dual_add_f32 v24, v32, v24 :: v_dual_mul_f32 v31, v37, v27
	v_add_f32_e32 v25, v25, v41
	v_fmac_f32_e32 v29, v35, v28
	s_delay_alu instid0(VALU_DEP_3) | instskip(NEXT) | instid1(VALU_DEP_4)
	v_dual_mul_f32 v27, v36, v27 :: v_dual_add_f32 v24, v30, v24
	v_fma_f32 v28, v36, v26, -v31
	v_fmac_f32_e32 v39, v33, v38
	s_delay_alu instid0(VALU_DEP_2) | instskip(NEXT) | instid1(VALU_DEP_2)
	v_dual_fmac_f32 v27, v37, v26 :: v_dual_add_f32 v24, v28, v24
	v_add_f32_e32 v25, v39, v25
	s_delay_alu instid0(VALU_DEP_1) | instskip(NEXT) | instid1(VALU_DEP_1)
	v_add_f32_e32 v25, v29, v25
	v_add_f32_e32 v25, v27, v25
.LBB303_48:                             ;   in Loop: Header=BB303_5 Depth=1
	s_or_b32 exec_lo, exec_lo, s50
.LBB303_49:                             ;   in Loop: Header=BB303_5 Depth=1
	ds_store_2addr_stride64_b64 v0, v[24:25], v[22:23] offset1:1
	ds_store_2addr_stride64_b64 v0, v[20:21], v[18:19] offset0:2 offset1:3
	s_wait_storecnt 0x0
	s_wait_loadcnt_dscnt 0x0
	s_barrier_signal -1
	s_barrier_wait -1
	global_inv scope:SCOPE_SE
	s_and_saveexec_b32 s7, s5
	s_cbranch_execz .LBB303_3
; %bb.50:                               ;   in Loop: Header=BB303_5 Depth=1
	ds_load_2addr_stride64_b64 v[18:21], v73 offset1:4
	ds_load_2addr_stride64_b64 v[22:25], v73 offset0:8 offset1:12
	ds_load_2addr_stride64_b64 v[26:29], v73 offset0:16 offset1:20
	s_wait_dscnt 0x2
	v_dual_add_f32 v30, v18, v20 :: v_dual_add_f32 v31, v19, v21
	ds_load_2addr_stride64_b64 v[18:21], v73 offset0:24 offset1:28
	s_wait_dscnt 0x2
	v_dual_add_f32 v22, v30, v22 :: v_dual_add_f32 v23, v31, v23
	s_delay_alu instid0(VALU_DEP_1) | instskip(SKIP_3) | instid1(VALU_DEP_1)
	v_dual_add_f32 v30, v22, v24 :: v_dual_add_f32 v31, v23, v25
	ds_load_2addr_stride64_b64 v[22:25], v73 offset0:32 offset1:36
	s_wait_dscnt 0x2
	v_dual_add_f32 v26, v30, v26 :: v_dual_add_f32 v27, v31, v27
	v_dual_add_f32 v30, v26, v28 :: v_dual_add_f32 v31, v27, v29
	ds_load_2addr_stride64_b64 v[26:29], v73 offset0:40 offset1:44
	s_wait_dscnt 0x2
	v_dual_add_f32 v18, v30, v18 :: v_dual_add_f32 v19, v31, v19
	s_delay_alu instid0(VALU_DEP_1) | instskip(SKIP_3) | instid1(VALU_DEP_1)
	v_dual_add_f32 v30, v18, v20 :: v_dual_add_f32 v31, v19, v21
	ds_load_2addr_stride64_b64 v[18:21], v73 offset0:48 offset1:52
	s_wait_dscnt 0x2
	v_dual_add_f32 v22, v30, v22 :: v_dual_add_f32 v23, v31, v23
	v_dual_add_f32 v30, v22, v24 :: v_dual_add_f32 v31, v23, v25
	ds_load_2addr_stride64_b64 v[22:25], v73 offset0:56 offset1:60
	s_wait_dscnt 0x2
	v_dual_add_f32 v26, v30, v26 :: v_dual_add_f32 v27, v31, v27
	s_delay_alu instid0(VALU_DEP_1) | instskip(SKIP_1) | instid1(VALU_DEP_1)
	v_dual_add_f32 v26, v26, v28 :: v_dual_add_f32 v27, v27, v29
	s_wait_dscnt 0x1
	v_dual_add_f32 v18, v26, v18 :: v_dual_add_f32 v19, v27, v19
	s_delay_alu instid0(VALU_DEP_1) | instskip(SKIP_1) | instid1(VALU_DEP_1)
	v_dual_add_f32 v18, v18, v20 :: v_dual_add_f32 v19, v19, v21
	s_wait_dscnt 0x0
	v_dual_add_f32 v18, v18, v22 :: v_dual_add_f32 v19, v19, v23
	s_delay_alu instid0(VALU_DEP_1)
	v_dual_add_f32 v20, v18, v24 :: v_dual_add_f32 v21, v19, v25
	ds_store_b64 v73, v[20:21]
	s_and_b32 exec_lo, exec_lo, s6
	s_cbranch_execz .LBB303_3
; %bb.51:                               ;   in Loop: Header=BB303_5 Depth=1
	s_cmp_neq_f32 s46, 0
	v_mul_f32_e32 v19, s48, v21
	v_mul_f32_e32 v18, s49, v21
	s_cselect_b32 s50, -1, 0
	s_cmp_neq_f32 s47, 0
	s_delay_alu instid0(VALU_DEP_2) | instskip(NEXT) | instid1(VALU_DEP_2)
	v_fmac_f32_e32 v19, s49, v20
	v_fma_f32 v18, v20, s48, -v18
	s_cselect_b32 s51, -1, 0
	s_delay_alu instid0(SALU_CYCLE_1) | instskip(NEXT) | instid1(SALU_CYCLE_1)
	s_or_b32 s50, s50, s51
	s_and_not1_b32 vcc_lo, exec_lo, s50
	s_wait_alu 0xfffe
	s_cbranch_vccnz .LBB303_2
; %bb.52:                               ;   in Loop: Header=BB303_5 Depth=1
	v_add_co_u32 v20, vcc_lo, v74, v16
	s_wait_alu 0xfffd
	v_add_co_ci_u32_e64 v21, null, v75, v17, vcc_lo
	flat_load_b64 v[20:21], v[20:21]
	s_wait_loadcnt_dscnt 0x0
	v_mul_f32_e32 v22, s47, v21
	v_mul_f32_e32 v21, s46, v21
	s_delay_alu instid0(VALU_DEP_1) | instskip(NEXT) | instid1(VALU_DEP_3)
	v_fmac_f32_e32 v21, s47, v20
	v_fma_f32 v22, s46, v20, -v22
	s_delay_alu instid0(VALU_DEP_1)
	v_dual_add_f32 v19, v19, v21 :: v_dual_add_f32 v18, v18, v22
	s_branch .LBB303_2
.LBB303_53:
	s_endpgm
	.section	.rodata,"a",@progbits
	.p2align	6, 0x0
	.amdhsa_kernel _ZL20rocblas_gemvn_kernelILi64ELi16ElPK19rocblas_complex_numIfES3_KPS1_EviiT3_lPKT2_lT1_lS9_lSA_lS6_lPT4_lSA_li
		.amdhsa_group_segment_fixed_size 32768
		.amdhsa_private_segment_fixed_size 0
		.amdhsa_kernarg_size 400
		.amdhsa_user_sgpr_count 2
		.amdhsa_user_sgpr_dispatch_ptr 0
		.amdhsa_user_sgpr_queue_ptr 0
		.amdhsa_user_sgpr_kernarg_segment_ptr 1
		.amdhsa_user_sgpr_dispatch_id 0
		.amdhsa_user_sgpr_private_segment_size 0
		.amdhsa_wavefront_size32 1
		.amdhsa_uses_dynamic_stack 0
		.amdhsa_enable_private_segment 0
		.amdhsa_system_sgpr_workgroup_id_x 1
		.amdhsa_system_sgpr_workgroup_id_y 0
		.amdhsa_system_sgpr_workgroup_id_z 1
		.amdhsa_system_sgpr_workgroup_info 0
		.amdhsa_system_vgpr_workitem_id 1
		.amdhsa_next_free_vgpr 88
		.amdhsa_next_free_sgpr 55
		.amdhsa_reserve_vcc 1
		.amdhsa_float_round_mode_32 0
		.amdhsa_float_round_mode_16_64 0
		.amdhsa_float_denorm_mode_32 3
		.amdhsa_float_denorm_mode_16_64 3
		.amdhsa_fp16_overflow 0
		.amdhsa_workgroup_processor_mode 1
		.amdhsa_memory_ordered 1
		.amdhsa_forward_progress 1
		.amdhsa_inst_pref_size 37
		.amdhsa_round_robin_scheduling 0
		.amdhsa_exception_fp_ieee_invalid_op 0
		.amdhsa_exception_fp_denorm_src 0
		.amdhsa_exception_fp_ieee_div_zero 0
		.amdhsa_exception_fp_ieee_overflow 0
		.amdhsa_exception_fp_ieee_underflow 0
		.amdhsa_exception_fp_ieee_inexact 0
		.amdhsa_exception_int_div_zero 0
	.end_amdhsa_kernel
	.section	.text._ZL20rocblas_gemvn_kernelILi64ELi16ElPK19rocblas_complex_numIfES3_KPS1_EviiT3_lPKT2_lT1_lS9_lSA_lS6_lPT4_lSA_li,"axG",@progbits,_ZL20rocblas_gemvn_kernelILi64ELi16ElPK19rocblas_complex_numIfES3_KPS1_EviiT3_lPKT2_lT1_lS9_lSA_lS6_lPT4_lSA_li,comdat
.Lfunc_end303:
	.size	_ZL20rocblas_gemvn_kernelILi64ELi16ElPK19rocblas_complex_numIfES3_KPS1_EviiT3_lPKT2_lT1_lS9_lSA_lS6_lPT4_lSA_li, .Lfunc_end303-_ZL20rocblas_gemvn_kernelILi64ELi16ElPK19rocblas_complex_numIfES3_KPS1_EviiT3_lPKT2_lT1_lS9_lSA_lS6_lPT4_lSA_li
                                        ; -- End function
	.set _ZL20rocblas_gemvn_kernelILi64ELi16ElPK19rocblas_complex_numIfES3_KPS1_EviiT3_lPKT2_lT1_lS9_lSA_lS6_lPT4_lSA_li.num_vgpr, 88
	.set _ZL20rocblas_gemvn_kernelILi64ELi16ElPK19rocblas_complex_numIfES3_KPS1_EviiT3_lPKT2_lT1_lS9_lSA_lS6_lPT4_lSA_li.num_agpr, 0
	.set _ZL20rocblas_gemvn_kernelILi64ELi16ElPK19rocblas_complex_numIfES3_KPS1_EviiT3_lPKT2_lT1_lS9_lSA_lS6_lPT4_lSA_li.numbered_sgpr, 55
	.set _ZL20rocblas_gemvn_kernelILi64ELi16ElPK19rocblas_complex_numIfES3_KPS1_EviiT3_lPKT2_lT1_lS9_lSA_lS6_lPT4_lSA_li.num_named_barrier, 0
	.set _ZL20rocblas_gemvn_kernelILi64ELi16ElPK19rocblas_complex_numIfES3_KPS1_EviiT3_lPKT2_lT1_lS9_lSA_lS6_lPT4_lSA_li.private_seg_size, 0
	.set _ZL20rocblas_gemvn_kernelILi64ELi16ElPK19rocblas_complex_numIfES3_KPS1_EviiT3_lPKT2_lT1_lS9_lSA_lS6_lPT4_lSA_li.uses_vcc, 1
	.set _ZL20rocblas_gemvn_kernelILi64ELi16ElPK19rocblas_complex_numIfES3_KPS1_EviiT3_lPKT2_lT1_lS9_lSA_lS6_lPT4_lSA_li.uses_flat_scratch, 1
	.set _ZL20rocblas_gemvn_kernelILi64ELi16ElPK19rocblas_complex_numIfES3_KPS1_EviiT3_lPKT2_lT1_lS9_lSA_lS6_lPT4_lSA_li.has_dyn_sized_stack, 0
	.set _ZL20rocblas_gemvn_kernelILi64ELi16ElPK19rocblas_complex_numIfES3_KPS1_EviiT3_lPKT2_lT1_lS9_lSA_lS6_lPT4_lSA_li.has_recursion, 0
	.set _ZL20rocblas_gemvn_kernelILi64ELi16ElPK19rocblas_complex_numIfES3_KPS1_EviiT3_lPKT2_lT1_lS9_lSA_lS6_lPT4_lSA_li.has_indirect_call, 0
	.section	.AMDGPU.csdata,"",@progbits
; Kernel info:
; codeLenInByte = 4652
; TotalNumSgprs: 57
; NumVgprs: 88
; ScratchSize: 0
; MemoryBound: 0
; FloatMode: 240
; IeeeMode: 1
; LDSByteSize: 32768 bytes/workgroup (compile time only)
; SGPRBlocks: 0
; VGPRBlocks: 10
; NumSGPRsForWavesPerEU: 57
; NumVGPRsForWavesPerEU: 88
; Occupancy: 16
; WaveLimiterHint : 1
; COMPUTE_PGM_RSRC2:SCRATCH_EN: 0
; COMPUTE_PGM_RSRC2:USER_SGPR: 2
; COMPUTE_PGM_RSRC2:TRAP_HANDLER: 0
; COMPUTE_PGM_RSRC2:TGID_X_EN: 1
; COMPUTE_PGM_RSRC2:TGID_Y_EN: 0
; COMPUTE_PGM_RSRC2:TGID_Z_EN: 1
; COMPUTE_PGM_RSRC2:TIDIG_COMP_CNT: 1
	.section	.text._ZL20rocblas_gemvn_kernelILi64ELi16EiPK19rocblas_complex_numIfES1_KPS1_EviiT3_lPKT2_lT1_lS9_lSA_lS6_lPT4_lSA_li,"axG",@progbits,_ZL20rocblas_gemvn_kernelILi64ELi16EiPK19rocblas_complex_numIfES1_KPS1_EviiT3_lPKT2_lT1_lS9_lSA_lS6_lPT4_lSA_li,comdat
	.globl	_ZL20rocblas_gemvn_kernelILi64ELi16EiPK19rocblas_complex_numIfES1_KPS1_EviiT3_lPKT2_lT1_lS9_lSA_lS6_lPT4_lSA_li ; -- Begin function _ZL20rocblas_gemvn_kernelILi64ELi16EiPK19rocblas_complex_numIfES1_KPS1_EviiT3_lPKT2_lT1_lS9_lSA_lS6_lPT4_lSA_li
	.p2align	8
	.type	_ZL20rocblas_gemvn_kernelILi64ELi16EiPK19rocblas_complex_numIfES1_KPS1_EviiT3_lPKT2_lT1_lS9_lSA_lS6_lPT4_lSA_li,@function
_ZL20rocblas_gemvn_kernelILi64ELi16EiPK19rocblas_complex_numIfES1_KPS1_EviiT3_lPKT2_lT1_lS9_lSA_lS6_lPT4_lSA_li: ; @_ZL20rocblas_gemvn_kernelILi64ELi16EiPK19rocblas_complex_numIfES1_KPS1_EviiT3_lPKT2_lT1_lS9_lSA_lS6_lPT4_lSA_li
; %bb.0:
	s_clause 0x1
	s_load_b64 s[2:3], s[0:1], 0x9c
	s_load_b32 s29, s[0:1], 0x88
	s_lshr_b32 s24, ttmp7, 16
	s_wait_kmcnt 0x0
	s_lshr_b32 s4, s2, 16
	s_and_b32 s2, s2, 0xffff
	s_and_b32 s3, s3, 0xffff
	s_mul_i32 s2, s4, s2
	s_delay_alu instid0(SALU_CYCLE_1) | instskip(NEXT) | instid1(SALU_CYCLE_1)
	s_mul_i32 s2, s2, s3
	s_cmp_lg_u32 s2, 0x400
	s_cselect_b32 s2, -1, 0
	s_cmp_ge_u32 s24, s29
	s_cselect_b32 s3, -1, 0
	s_delay_alu instid0(SALU_CYCLE_1) | instskip(NEXT) | instid1(SALU_CYCLE_1)
	s_or_b32 s2, s2, s3
	s_and_b32 vcc_lo, exec_lo, s2
	s_cbranch_vccnz .LBB304_54
; %bb.1:
	s_clause 0x7
	s_load_b32 s4, s[0:1], 0x78
	s_load_b128 s[8:11], s[0:1], 0x0
	s_load_b64 s[26:27], s[0:1], 0x58
	s_load_b32 s30, s[0:1], 0x28
	s_load_b128 s[12:15], s[0:1], 0x38
	s_load_b32 s28, s[0:1], 0x48
	s_load_b128 s[16:19], s[0:1], 0x18
	s_load_b128 s[20:23], s[0:1], 0x68
	v_and_b32_e32 v5, 0x3ff, v0
	v_bfe_u32 v4, v0, 10, 10
	v_mov_b32_e32 v1, 0
	s_mov_b32 s25, 0
	s_delay_alu instid0(VALU_DEP_3) | instskip(NEXT) | instid1(VALU_DEP_3)
	v_lshlrev_b32_e32 v0, 3, v5
	v_lshlrev_b32_e32 v61, 2, v4
	v_lshl_add_u32 v2, v4, 6, v5
	s_delay_alu instid0(VALU_DEP_3)
	v_lshl_add_u32 v62, v4, 11, v0
	v_lshl_add_u32 v63, v4, 9, v0
	s_wait_kmcnt 0x0
	s_ashr_i32 s6, s4, 31
	s_cmp_neq_f32 s10, 0
	s_mov_b32 s2, s8
	v_mul_lo_u32 v0, s30, v61
	v_mul_lo_u32 v12, v4, s30
	s_cselect_b32 s0, -1, 0
	s_cmp_neq_f32 s11, 0
	v_or_b32_e32 v10, 2, v61
	v_or_b32_e32 v11, 3, v61
	s_cselect_b32 s1, -1, 0
	s_delay_alu instid0(VALU_DEP_4)
	v_add3_u32 v64, v0, s30, v5
	s_or_b32 s7, s0, s1
	s_cmp_neq_f32 s26, 1.0
	v_cmp_gt_u32_e64 s0, 0x100, v2
	v_mul_lo_u32 v66, s28, v10
	v_mul_lo_u32 v67, s28, v11
	s_cselect_b32 s37, -1, 0
	s_cmp_neq_f32 s27, 0
	s_cselect_b32 s40, -1, 0
	s_or_b32 s1, s10, s11
	s_delay_alu instid0(SALU_CYCLE_1) | instskip(NEXT) | instid1(SALU_CYCLE_1)
	s_bitset0_b32 s1, 31
	s_cmp_lg_u32 s1, 0
	s_cselect_b32 s31, -1, 0
	s_cmp_eq_u32 s1, 0
	s_cselect_b32 s33, -1, 0
	s_lshl_b32 s34, ttmp9, 8
	s_ashr_i32 s3, s8, 31
	v_add_nc_u32_e32 v0, s34, v2
	v_or_b32_e32 v2, s34, v2
	s_cmp_neq_f32 s26, 0
	s_delay_alu instid0(VALU_DEP_2) | instskip(SKIP_1) | instid1(VALU_DEP_3)
	v_mad_co_u64_u32 v[6:7], null, s4, v0, 0
	v_cmp_gt_i64_e32 vcc_lo, s[2:3], v[0:1]
	v_cmp_gt_i32_e64 s2, s8, v2
	v_mul_lo_u32 v8, s4, v2
	s_cselect_b32 s1, -1, 0
	s_ashr_i32 s5, s9, 31
	s_or_b32 s35, s1, s40
	v_dual_mov_b32 v2, v7 :: v_dual_add_nc_u32 v65, s34, v5
	s_wait_alu 0xfffe
	s_lshr_b32 s3, s5, 26
	s_wait_alu 0xfffe
	s_add_co_i32 s36, s9, s3
	v_add_nc_u32_e32 v3, 64, v65
	v_add_nc_u32_e32 v13, 0xc0, v65
	;; [unrolled: 1-line block ×3, first 2 shown]
	s_and_not1_b32 s36, s36, 63
	v_cmp_gt_i32_e64 s1, s8, v65
	v_cmp_gt_i32_e64 s3, s8, v3
	v_mad_co_u64_u32 v[2:3], null, s6, v0, v[2:3]
	v_cmp_gt_i32_e64 s5, s8, v13
	v_mul_lo_u32 v13, v4, s28
	v_cmp_gt_i32_e64 s4, s8, v9
	v_ashrrev_i32_e32 v9, 31, v8
	s_sub_co_i32 s8, s9, s36
	v_lshl_add_u32 v0, v12, 2, v5
	v_mov_b32_e32 v7, v2
	v_mad_co_u64_u32 v[2:3], null, s30, v10, v[5:6]
	v_mad_co_u64_u32 v[3:4], null, s30, v11, v[5:6]
	;; [unrolled: 1-line block ×3, first 2 shown]
	s_wait_alu 0xfffe
	s_cmp_gt_i32 s8, 0
	v_lshlrev_b64_e32 v[5:6], 3, v[6:7]
	v_lshlrev_b64_e32 v[7:8], 3, v[8:9]
	v_cmp_gt_i32_e64 s6, s36, v61
	v_lshlrev_b32_e32 v68, 2, v13
	s_cselect_b32 s8, -1, 0
	s_or_b32 s7, s7, s37
	s_and_b32 s37, s0, vcc_lo
	s_lshl_b32 s38, s30, 6
	s_lshl_b32 s39, s28, 6
	s_wait_alu 0xfffe
	s_or_b32 s40, s7, s40
	s_lshl_b64 s[18:19], s[18:19], 3
	s_lshl_b64 s[14:15], s[14:15], 3
	;; [unrolled: 1-line block ×3, first 2 shown]
	s_branch .LBB304_5
.LBB304_2:                              ;   in Loop: Header=BB304_5 Depth=1
	v_add_co_u32 v11, vcc_lo, v69, v7
	s_wait_alu 0xfffd
	v_add_co_ci_u32_e64 v12, null, v70, v8, vcc_lo
	flat_store_b64 v[11:12], v[9:10]
.LBB304_3:                              ;   in Loop: Header=BB304_5 Depth=1
	s_wait_alu 0xfffe
	s_or_b32 exec_lo, exec_lo, s7
.LBB304_4:                              ;   in Loop: Header=BB304_5 Depth=1
	s_add_co_i32 s24, s24, 0x10000
	s_delay_alu instid0(SALU_CYCLE_1)
	s_cmp_lt_u32 s24, s29
	s_cbranch_scc0 .LBB304_54
.LBB304_5:                              ; =>This Loop Header: Depth=1
                                        ;     Child Loop BB304_26 Depth 2
	s_and_not1_b32 vcc_lo, exec_lo, s40
	s_wait_alu 0xfffe
	s_cbranch_vccnz .LBB304_4
; %bb.6:                                ;   in Loop: Header=BB304_5 Depth=1
	s_and_not1_b32 vcc_lo, exec_lo, s33
	s_wait_alu 0xfffe
	s_cbranch_vccnz .LBB304_8
; %bb.7:                                ;   in Loop: Header=BB304_5 Depth=1
	s_mov_b32 s7, 0
	s_branch .LBB304_9
.LBB304_8:                              ;   in Loop: Header=BB304_5 Depth=1
	s_mov_b32 s7, -1
.LBB304_9:                              ;   in Loop: Header=BB304_5 Depth=1
	v_mov_b32_e32 v19, 0
	v_dual_mov_b32 v20, 0 :: v_dual_mov_b32 v17, 0
	v_mov_b32_e32 v18, 0
	s_wait_alu 0xfffe
	s_and_not1_b32 vcc_lo, exec_lo, s7
	s_wait_alu 0xfffe
	s_cbranch_vccnz .LBB304_11
; %bb.10:                               ;   in Loop: Header=BB304_5 Depth=1
	s_lshl_b64 s[42:43], s[24:25], 3
	s_wait_alu 0xfffe
	s_add_nc_u64 s[42:43], s[16:17], s[42:43]
	global_load_b64 v[9:10], v1, s[42:43]
	s_wait_loadcnt 0x0
	v_add_co_u32 v17, vcc_lo, v9, s18
	s_wait_alu 0xfffd
	v_add_co_ci_u32_e64 v18, null, s19, v10, vcc_lo
.LBB304_11:                             ;   in Loop: Header=BB304_5 Depth=1
	s_and_not1_b32 vcc_lo, exec_lo, s31
	s_wait_alu 0xfffe
	s_cbranch_vccnz .LBB304_13
; %bb.12:                               ;   in Loop: Header=BB304_5 Depth=1
	s_lshl_b64 s[42:43], s[24:25], 3
	s_wait_alu 0xfffe
	s_add_nc_u64 s[42:43], s[12:13], s[42:43]
	global_load_b64 v[9:10], v1, s[42:43]
	s_wait_loadcnt 0x0
	v_add_co_u32 v19, vcc_lo, v9, s14
	s_wait_alu 0xfffd
	v_add_co_ci_u32_e64 v20, null, s15, v10, vcc_lo
.LBB304_13:                             ;   in Loop: Header=BB304_5 Depth=1
	s_lshl_b64 s[42:43], s[24:25], 3
	s_mov_b32 s7, -1
	s_wait_alu 0xfffe
	s_add_nc_u64 s[42:43], s[20:21], s[42:43]
	global_load_b64 v[9:10], v1, s[42:43]
	s_wait_loadcnt 0x0
	v_add_co_u32 v69, vcc_lo, v9, s22
	s_wait_alu 0xfffd
	v_add_co_ci_u32_e64 v70, null, s23, v10, vcc_lo
	s_and_not1_b32 vcc_lo, exec_lo, s33
	s_wait_alu 0xfffe
	s_cbranch_vccnz .LBB304_19
; %bb.14:                               ;   in Loop: Header=BB304_5 Depth=1
	s_and_saveexec_b32 s7, s37
	s_cbranch_execz .LBB304_18
; %bb.15:                               ;   in Loop: Header=BB304_5 Depth=1
	v_dual_mov_b32 v9, 0 :: v_dual_mov_b32 v10, 0
	s_and_not1_b32 vcc_lo, exec_lo, s35
	s_wait_alu 0xfffe
	s_cbranch_vccnz .LBB304_17
; %bb.16:                               ;   in Loop: Header=BB304_5 Depth=1
	v_add_co_u32 v9, vcc_lo, v69, v5
	s_wait_alu 0xfffd
	v_add_co_ci_u32_e64 v10, null, v70, v6, vcc_lo
	flat_load_b64 v[11:12], v[9:10]
	s_wait_loadcnt_dscnt 0x0
	v_mul_f32_e32 v10, s26, v12
	s_delay_alu instid0(VALU_DEP_1) | instskip(NEXT) | instid1(VALU_DEP_1)
	v_dual_mul_f32 v9, s27, v12 :: v_dual_fmac_f32 v10, s27, v11
	v_fma_f32 v9, s26, v11, -v9
.LBB304_17:                             ;   in Loop: Header=BB304_5 Depth=1
	v_add_co_u32 v11, vcc_lo, v69, v5
	s_wait_alu 0xfffd
	v_add_co_ci_u32_e64 v12, null, v70, v6, vcc_lo
	flat_store_b64 v[11:12], v[9:10]
.LBB304_18:                             ;   in Loop: Header=BB304_5 Depth=1
	s_wait_alu 0xfffe
	s_or_b32 exec_lo, exec_lo, s7
	s_mov_b32 s7, 0
.LBB304_19:                             ;   in Loop: Header=BB304_5 Depth=1
	s_wait_alu 0xfffe
	s_and_not1_b32 vcc_lo, exec_lo, s7
	s_wait_alu 0xfffe
	s_cbranch_vccnz .LBB304_4
; %bb.20:                               ;   in Loop: Header=BB304_5 Depth=1
	v_dual_mov_b32 v10, 0 :: v_dual_mov_b32 v71, v61
	v_dual_mov_b32 v9, 0 :: v_dual_mov_b32 v12, 0
	;; [unrolled: 1-line block ×4, first 2 shown]
	v_mov_b32_e32 v15, 0
	s_and_saveexec_b32 s7, s6
	s_cbranch_execz .LBB304_32
; %bb.21:                               ;   in Loop: Header=BB304_5 Depth=1
	v_dual_mov_b32 v10, 0 :: v_dual_mov_b32 v73, v3
	v_dual_mov_b32 v72, v0 :: v_dual_mov_b32 v75, v64
	;; [unrolled: 1-line block ×3, first 2 shown]
	s_delay_alu instid0(VALU_DEP_3)
	v_dual_mov_b32 v9, v10 :: v_dual_mov_b32 v12, v10
	v_dual_mov_b32 v11, v10 :: v_dual_mov_b32 v14, v10
	;; [unrolled: 1-line block ×3, first 2 shown]
	v_mov_b32_e32 v15, v10
	s_mov_b32 s41, 0
	s_mov_b32 s42, 0
	s_branch .LBB304_26
.LBB304_22:                             ;   in Loop: Header=BB304_26 Depth=2
	s_or_b32 exec_lo, exec_lo, s46
	s_wait_loadcnt_dscnt 0x303
	v_mul_f32_e32 v53, v34, v52
	v_mul_f32_e32 v52, v33, v52
	s_wait_loadcnt_dscnt 0x101
	v_dual_mul_f32 v54, v30, v50 :: v_dual_mul_f32 v55, v24, v48
	v_mul_f32_e32 v50, v29, v50
	v_fma_f32 v53, v33, v51, -v53
	v_fmac_f32_e32 v52, v34, v51
	s_delay_alu instid0(VALU_DEP_4) | instskip(SKIP_4) | instid1(VALU_DEP_2)
	v_fma_f32 v54, v29, v49, -v54
	s_wait_loadcnt_dscnt 0x0
	v_mul_f32_e32 v51, v22, v46
	v_dual_mul_f32 v46, v21, v46 :: v_dual_add_f32 v11, v11, v53
	v_mul_f32_e32 v48, v23, v48
	v_fmac_f32_e32 v46, v22, v45
	s_delay_alu instid0(VALU_DEP_3) | instskip(SKIP_4) | instid1(VALU_DEP_3)
	v_add_f32_e32 v11, v54, v11
	v_fmac_f32_e32 v50, v30, v49
	v_fma_f32 v49, v23, v47, -v55
	v_fmac_f32_e32 v48, v24, v47
	v_fma_f32 v47, v21, v45, -v51
	v_dual_add_f32 v11, v49, v11 :: v_dual_add_f32 v12, v12, v52
	s_delay_alu instid0(VALU_DEP_1) | instskip(NEXT) | instid1(VALU_DEP_1)
	v_dual_add_f32 v11, v47, v11 :: v_dual_add_f32 v12, v50, v12
	v_add_f32_e32 v12, v48, v12
	s_delay_alu instid0(VALU_DEP_1)
	v_add_f32_e32 v12, v46, v12
.LBB304_23:                             ;   in Loop: Header=BB304_26 Depth=2
	s_or_b32 exec_lo, exec_lo, s45
	s_wait_loadcnt_dscnt 0x303
	v_mul_f32_e32 v45, v34, v44
	s_wait_loadcnt_dscnt 0x101
	v_dual_mul_f32 v46, v30, v42 :: v_dual_mul_f32 v47, v24, v40
	v_mul_f32_e32 v42, v29, v42
	v_mul_f32_e32 v44, v33, v44
	v_fma_f32 v45, v33, v43, -v45
	v_mul_f32_e32 v40, v23, v40
	v_fma_f32 v46, v29, v41, -v46
	v_fmac_f32_e32 v42, v30, v41
	v_fma_f32 v41, v23, v39, -v47
	s_delay_alu instid0(VALU_DEP_4) | instskip(NEXT) | instid1(VALU_DEP_1)
	v_dual_add_f32 v13, v13, v45 :: v_dual_fmac_f32 v40, v24, v39
	v_add_f32_e32 v13, v46, v13
	v_fmac_f32_e32 v44, v34, v43
	s_wait_loadcnt_dscnt 0x0
	v_mul_f32_e32 v43, v22, v38
	v_mul_f32_e32 v38, v21, v38
	v_add_f32_e32 v13, v41, v13
	s_delay_alu instid0(VALU_DEP_3) | instskip(SKIP_1) | instid1(VALU_DEP_4)
	v_fma_f32 v39, v21, v37, -v43
	v_add_f32_e32 v14, v14, v44
	v_fmac_f32_e32 v38, v22, v37
	s_delay_alu instid0(VALU_DEP_2) | instskip(NEXT) | instid1(VALU_DEP_1)
	v_dual_add_f32 v13, v39, v13 :: v_dual_add_f32 v14, v42, v14
	v_add_f32_e32 v14, v40, v14
	s_delay_alu instid0(VALU_DEP_1)
	v_add_f32_e32 v14, v38, v14
.LBB304_24:                             ;   in Loop: Header=BB304_26 Depth=2
	s_or_b32 exec_lo, exec_lo, s44
	s_wait_loadcnt_dscnt 0x303
	v_mul_f32_e32 v37, v34, v36
	v_mul_f32_e32 v36, v33, v36
	s_wait_loadcnt_dscnt 0x101
	s_delay_alu instid0(VALU_DEP_1)
	v_dual_mul_f32 v39, v24, v28 :: v_dual_fmac_f32 v36, v34, v35
	s_wait_loadcnt_dscnt 0x0
	v_mul_f32_e32 v34, v22, v26
	v_mul_f32_e32 v26, v21, v26
	v_fma_f32 v33, v33, v35, -v37
	v_add_f32_e32 v16, v16, v36
	s_delay_alu instid0(VALU_DEP_4) | instskip(SKIP_1) | instid1(VALU_DEP_4)
	v_fma_f32 v21, v21, v25, -v34
	v_mul_f32_e32 v28, v23, v28
	v_dual_add_f32 v15, v15, v33 :: v_dual_mul_f32 v38, v30, v32
	v_fma_f32 v23, v23, v27, -v39
	v_mul_f32_e32 v32, v29, v32
	v_fmac_f32_e32 v26, v22, v25
	s_delay_alu instid0(VALU_DEP_4) | instskip(NEXT) | instid1(VALU_DEP_1)
	v_fma_f32 v29, v29, v31, -v38
	v_add_f32_e32 v15, v29, v15
	s_delay_alu instid0(VALU_DEP_1) | instskip(SKIP_1) | instid1(VALU_DEP_2)
	v_add_f32_e32 v15, v23, v15
	v_fmac_f32_e32 v32, v30, v31
	v_add_f32_e32 v15, v21, v15
	v_fmac_f32_e32 v28, v24, v27
	s_delay_alu instid0(VALU_DEP_3) | instskip(NEXT) | instid1(VALU_DEP_1)
	v_add_f32_e32 v16, v32, v16
	v_add_f32_e32 v16, v28, v16
	s_delay_alu instid0(VALU_DEP_1)
	v_add_f32_e32 v16, v26, v16
.LBB304_25:                             ;   in Loop: Header=BB304_26 Depth=2
	s_wait_alu 0xfffe
	s_or_b32 exec_lo, exec_lo, s43
	v_add_nc_u32_e32 v71, 64, v71
	v_add_nc_u32_e32 v75, s38, v75
	;; [unrolled: 1-line block ×5, first 2 shown]
	v_cmp_le_i32_e32 vcc_lo, s36, v71
	s_add_co_i32 s42, s42, s39
	s_or_b32 s41, vcc_lo, s41
	s_delay_alu instid0(SALU_CYCLE_1)
	s_and_not1_b32 exec_lo, exec_lo, s41
	s_cbranch_execz .LBB304_31
.LBB304_26:                             ;   Parent Loop BB304_5 Depth=1
                                        ; =>  This Inner Loop Header: Depth=2
	s_and_saveexec_b32 s43, s1
	s_cbranch_execz .LBB304_25
; %bb.27:                               ;   in Loop: Header=BB304_26 Depth=2
	s_wait_alu 0xfffe
	v_add_nc_u32_e32 v21, s42, v68
	v_add_nc_u32_e32 v23, s42, v4
	;; [unrolled: 1-line block ×5, first 2 shown]
	v_ashrrev_i32_e32 v22, 31, v21
	v_ashrrev_i32_e32 v24, 31, v23
	;; [unrolled: 1-line block ×3, first 2 shown]
	v_add_nc_u32_e32 v31, s34, v75
	v_ashrrev_i32_e32 v28, 31, v27
	v_lshlrev_b64_e32 v[21:22], 3, v[21:22]
	v_lshlrev_b64_e32 v[23:24], 3, v[23:24]
	v_ashrrev_i32_e32 v30, 31, v29
	v_lshlrev_b64_e32 v[25:26], 3, v[25:26]
	v_ashrrev_i32_e32 v32, 31, v31
	v_lshlrev_b64_e32 v[27:28], 3, v[27:28]
	v_add_co_u32 v21, vcc_lo, v19, v21
	v_add_nc_u32_e32 v33, s34, v74
	s_wait_alu 0xfffd
	v_add_co_ci_u32_e64 v22, null, v20, v22, vcc_lo
	v_add_co_u32 v23, vcc_lo, v19, v23
	v_lshlrev_b64_e32 v[29:30], 3, v[29:30]
	v_add_nc_u32_e32 v35, s34, v73
	s_wait_alu 0xfffd
	v_add_co_ci_u32_e64 v24, null, v20, v24, vcc_lo
	v_add_co_u32 v25, vcc_lo, v19, v25
	v_lshlrev_b64_e32 v[31:32], 3, v[31:32]
	v_ashrrev_i32_e32 v34, 31, v33
	s_wait_alu 0xfffd
	v_add_co_ci_u32_e64 v26, null, v20, v26, vcc_lo
	v_add_co_u32 v27, vcc_lo, v19, v27
	v_ashrrev_i32_e32 v36, 31, v35
	s_wait_alu 0xfffd
	v_add_co_ci_u32_e64 v28, null, v20, v28, vcc_lo
	v_add_co_u32 v59, vcc_lo, v17, v29
	s_wait_alu 0xfffd
	v_add_co_ci_u32_e64 v60, null, v18, v30, vcc_lo
	v_lshlrev_b64_e32 v[29:30], 3, v[33:34]
	v_add_co_u32 v57, vcc_lo, v17, v31
	s_wait_alu 0xfffd
	v_add_co_ci_u32_e64 v58, null, v18, v32, vcc_lo
	v_lshlrev_b64_e32 v[31:32], 3, v[35:36]
	s_delay_alu instid0(VALU_DEP_4) | instskip(SKIP_2) | instid1(VALU_DEP_3)
	v_add_co_u32 v55, vcc_lo, v17, v29
	s_wait_alu 0xfffd
	v_add_co_ci_u32_e64 v56, null, v18, v30, vcc_lo
	v_add_co_u32 v53, vcc_lo, v17, v31
	s_wait_alu 0xfffd
	v_add_co_ci_u32_e64 v54, null, v18, v32, vcc_lo
	s_clause 0x3
	flat_load_b64 v[33:34], v[21:22]
	flat_load_b64 v[29:30], v[23:24]
	;; [unrolled: 1-line block ×4, first 2 shown]
	s_clause 0x3
	flat_load_b64 v[35:36], v[59:60]
	flat_load_b64 v[31:32], v[57:58]
	flat_load_b64 v[27:28], v[55:56]
	flat_load_b64 v[25:26], v[53:54]
	s_and_saveexec_b32 s44, s3
	s_cbranch_execz .LBB304_24
; %bb.28:                               ;   in Loop: Header=BB304_26 Depth=2
	s_clause 0x3
	flat_load_b64 v[43:44], v[59:60] offset:512
	flat_load_b64 v[41:42], v[57:58] offset:512
	flat_load_b64 v[39:40], v[55:56] offset:512
	flat_load_b64 v[37:38], v[53:54] offset:512
	s_and_saveexec_b32 s45, s4
	s_cbranch_execz .LBB304_23
; %bb.29:                               ;   in Loop: Header=BB304_26 Depth=2
	s_clause 0x3
	flat_load_b64 v[51:52], v[59:60] offset:1024
	flat_load_b64 v[49:50], v[57:58] offset:1024
	flat_load_b64 v[47:48], v[55:56] offset:1024
	flat_load_b64 v[45:46], v[53:54] offset:1024
	;; [unrolled: 8-line block ×3, first 2 shown]
	s_wait_loadcnt_dscnt 0x101
	v_dual_mul_f32 v77, v30, v58 :: v_dual_mul_f32 v78, v24, v56
	v_mul_f32_e32 v58, v29, v58
	s_delay_alu instid0(VALU_DEP_2) | instskip(SKIP_2) | instid1(VALU_DEP_4)
	v_fma_f32 v77, v29, v57, -v77
	v_mul_f32_e32 v76, v34, v60
	v_mul_f32_e32 v60, v33, v60
	v_fmac_f32_e32 v58, v30, v57
	v_fma_f32 v57, v23, v55, -v78
	s_delay_alu instid0(VALU_DEP_4) | instskip(NEXT) | instid1(VALU_DEP_4)
	v_fma_f32 v76, v33, v59, -v76
	v_fmac_f32_e32 v60, v34, v59
	s_wait_loadcnt_dscnt 0x0
	v_mul_f32_e32 v59, v22, v54
	v_mul_f32_e32 v54, v21, v54
	v_add_f32_e32 v9, v9, v76
	v_add_f32_e32 v10, v10, v60
	s_delay_alu instid0(VALU_DEP_3) | instskip(NEXT) | instid1(VALU_DEP_3)
	v_fmac_f32_e32 v54, v22, v53
	v_dual_add_f32 v9, v77, v9 :: v_dual_mul_f32 v56, v23, v56
	s_delay_alu instid0(VALU_DEP_1) | instskip(NEXT) | instid1(VALU_DEP_2)
	v_dual_add_f32 v10, v58, v10 :: v_dual_add_f32 v9, v57, v9
	v_fmac_f32_e32 v56, v24, v55
	v_fma_f32 v55, v21, v53, -v59
	s_delay_alu instid0(VALU_DEP_1) | instskip(NEXT) | instid1(VALU_DEP_1)
	v_dual_add_f32 v10, v56, v10 :: v_dual_add_f32 v9, v55, v9
	v_add_f32_e32 v10, v54, v10
	s_branch .LBB304_22
.LBB304_31:                             ;   in Loop: Header=BB304_5 Depth=1
	s_or_b32 exec_lo, exec_lo, s41
.LBB304_32:                             ;   in Loop: Header=BB304_5 Depth=1
	s_wait_alu 0xfffe
	s_or_b32 exec_lo, exec_lo, s7
	s_delay_alu instid0(SALU_CYCLE_1)
	s_and_not1_b32 vcc_lo, exec_lo, s8
	s_wait_alu 0xfffe
	s_cbranch_vccnz .LBB304_50
; %bb.33:                               ;   in Loop: Header=BB304_5 Depth=1
	v_cmp_gt_i32_e32 vcc_lo, s9, v71
	v_dual_mov_b32 v21, 0 :: v_dual_mov_b32 v22, 0
	v_or_b32_e32 v29, 1, v71
	v_dual_mov_b32 v23, 0 :: v_dual_mov_b32 v24, 0
	v_dual_mov_b32 v25, 0 :: v_dual_mov_b32 v26, 0
	;; [unrolled: 1-line block ×3, first 2 shown]
	s_and_saveexec_b32 s41, vcc_lo
	s_cbranch_execz .LBB304_41
; %bb.34:                               ;   in Loop: Header=BB304_5 Depth=1
	v_mul_lo_u32 v21, v71, s28
	v_dual_mov_b32 v28, 0 :: v_dual_mov_b32 v27, 0
	v_dual_mov_b32 v26, 0 :: v_dual_mov_b32 v25, 0
	;; [unrolled: 1-line block ×3, first 2 shown]
	s_mov_b32 s42, exec_lo
	s_delay_alu instid0(VALU_DEP_4) | instskip(NEXT) | instid1(VALU_DEP_1)
	v_ashrrev_i32_e32 v22, 31, v21
	v_lshlrev_b64_e32 v[21:22], 3, v[21:22]
	s_delay_alu instid0(VALU_DEP_1) | instskip(SKIP_1) | instid1(VALU_DEP_2)
	v_add_co_u32 v21, s7, v19, v21
	s_wait_alu 0xf1ff
	v_add_co_ci_u32_e64 v22, null, v20, v22, s7
	flat_load_b64 v[21:22], v[21:22]
	v_cmpx_gt_i32_e64 s9, v29
	s_cbranch_execz .LBB304_40
; %bb.35:                               ;   in Loop: Header=BB304_5 Depth=1
	v_mul_lo_u32 v23, v29, s28
	v_or_b32_e32 v30, 2, v71
	v_dual_mov_b32 v28, 0 :: v_dual_mov_b32 v27, 0
	v_dual_mov_b32 v26, 0 :: v_dual_mov_b32 v25, 0
	s_mov_b32 s43, exec_lo
	s_delay_alu instid0(VALU_DEP_4) | instskip(NEXT) | instid1(VALU_DEP_1)
	v_ashrrev_i32_e32 v24, 31, v23
	v_lshlrev_b64_e32 v[23:24], 3, v[23:24]
	s_delay_alu instid0(VALU_DEP_1) | instskip(SKIP_1) | instid1(VALU_DEP_2)
	v_add_co_u32 v23, s7, v19, v23
	s_wait_alu 0xf1ff
	v_add_co_ci_u32_e64 v24, null, v20, v24, s7
	flat_load_b64 v[23:24], v[23:24]
	v_cmpx_gt_i32_e64 s9, v30
	s_cbranch_execz .LBB304_39
; %bb.36:                               ;   in Loop: Header=BB304_5 Depth=1
	v_mul_lo_u32 v25, v30, s28
	v_or_b32_e32 v30, 3, v71
	v_dual_mov_b32 v28, 0 :: v_dual_mov_b32 v27, 0
	s_mov_b32 s44, exec_lo
	s_delay_alu instid0(VALU_DEP_3) | instskip(NEXT) | instid1(VALU_DEP_1)
	v_ashrrev_i32_e32 v26, 31, v25
	v_lshlrev_b64_e32 v[25:26], 3, v[25:26]
	s_delay_alu instid0(VALU_DEP_1) | instskip(SKIP_1) | instid1(VALU_DEP_2)
	v_add_co_u32 v25, s7, v19, v25
	s_wait_alu 0xf1ff
	v_add_co_ci_u32_e64 v26, null, v20, v26, s7
	flat_load_b64 v[25:26], v[25:26]
	v_cmpx_gt_i32_e64 s9, v30
	s_cbranch_execz .LBB304_38
; %bb.37:                               ;   in Loop: Header=BB304_5 Depth=1
	v_mul_lo_u32 v27, v30, s28
	s_delay_alu instid0(VALU_DEP_1) | instskip(NEXT) | instid1(VALU_DEP_1)
	v_ashrrev_i32_e32 v28, 31, v27
	v_lshlrev_b64_e32 v[27:28], 3, v[27:28]
	s_delay_alu instid0(VALU_DEP_1) | instskip(SKIP_1) | instid1(VALU_DEP_2)
	v_add_co_u32 v19, s7, v19, v27
	s_wait_alu 0xf1ff
	v_add_co_ci_u32_e64 v20, null, v20, v28, s7
	flat_load_b64 v[27:28], v[19:20]
.LBB304_38:                             ;   in Loop: Header=BB304_5 Depth=1
	s_or_b32 exec_lo, exec_lo, s44
.LBB304_39:                             ;   in Loop: Header=BB304_5 Depth=1
	s_wait_alu 0xfffe
	s_or_b32 exec_lo, exec_lo, s43
.LBB304_40:                             ;   in Loop: Header=BB304_5 Depth=1
	s_wait_alu 0xfffe
	s_or_b32 exec_lo, exec_lo, s42
.LBB304_41:                             ;   in Loop: Header=BB304_5 Depth=1
	s_delay_alu instid0(SALU_CYCLE_1)
	s_or_b32 exec_lo, exec_lo, s41
	s_and_saveexec_b32 s7, s1
	s_cbranch_execz .LBB304_49
; %bb.42:                               ;   in Loop: Header=BB304_5 Depth=1
	v_mul_lo_u32 v20, v71, s30
	v_or_b32_e32 v19, 2, v71
	v_mul_lo_u32 v31, v29, s30
	v_or_b32_e32 v30, 3, v71
	s_delay_alu instid0(VALU_DEP_3) | instskip(NEXT) | instid1(VALU_DEP_2)
	v_mul_lo_u32 v32, v19, s30
	v_mul_lo_u32 v33, v30, s30
	v_cndmask_b32_e32 v20, 0, v20, vcc_lo
	v_cmp_gt_i32_e32 vcc_lo, s9, v29
	s_wait_alu 0xfffd
	v_cndmask_b32_e32 v29, 0, v31, vcc_lo
	v_cmp_gt_i32_e32 vcc_lo, s9, v19
	v_add_nc_u32_e32 v19, v20, v65
	s_delay_alu instid0(VALU_DEP_3)
	v_add_nc_u32_e32 v29, v29, v65
	s_wait_alu 0xfffd
	v_cndmask_b32_e32 v31, 0, v32, vcc_lo
	v_cmp_gt_i32_e32 vcc_lo, s9, v30
	v_ashrrev_i32_e32 v20, 31, v19
	s_wait_alu 0xfffd
	v_cndmask_b32_e32 v30, 0, v33, vcc_lo
	v_add_nc_u32_e32 v31, v31, v65
	s_delay_alu instid0(VALU_DEP_3) | instskip(NEXT) | instid1(VALU_DEP_3)
	v_lshlrev_b64_e32 v[19:20], 3, v[19:20]
	v_add_nc_u32_e32 v33, v30, v65
	v_ashrrev_i32_e32 v30, 31, v29
	s_delay_alu instid0(VALU_DEP_4) | instskip(NEXT) | instid1(VALU_DEP_4)
	v_ashrrev_i32_e32 v32, 31, v31
	v_add_co_u32 v55, vcc_lo, v17, v19
	s_delay_alu instid0(VALU_DEP_4) | instskip(NEXT) | instid1(VALU_DEP_4)
	v_ashrrev_i32_e32 v34, 31, v33
	v_lshlrev_b64_e32 v[29:30], 3, v[29:30]
	s_delay_alu instid0(VALU_DEP_4) | instskip(SKIP_3) | instid1(VALU_DEP_4)
	v_lshlrev_b64_e32 v[31:32], 3, v[31:32]
	s_wait_alu 0xfffd
	v_add_co_ci_u32_e64 v56, null, v18, v20, vcc_lo
	v_lshlrev_b64_e32 v[33:34], 3, v[33:34]
	v_add_co_u32 v53, vcc_lo, v17, v29
	s_wait_alu 0xfffd
	v_add_co_ci_u32_e64 v54, null, v18, v30, vcc_lo
	v_add_co_u32 v51, vcc_lo, v17, v31
	s_wait_alu 0xfffd
	v_add_co_ci_u32_e64 v52, null, v18, v32, vcc_lo
	;; [unrolled: 3-line block ×3, first 2 shown]
	s_clause 0x3
	flat_load_b64 v[31:32], v[55:56]
	flat_load_b64 v[29:30], v[53:54]
	;; [unrolled: 1-line block ×4, first 2 shown]
	s_and_saveexec_b32 s41, s3
	s_cbranch_execz .LBB304_48
; %bb.43:                               ;   in Loop: Header=BB304_5 Depth=1
	s_clause 0x3
	flat_load_b64 v[39:40], v[55:56] offset:512
	flat_load_b64 v[37:38], v[53:54] offset:512
	flat_load_b64 v[35:36], v[51:52] offset:512
	flat_load_b64 v[33:34], v[49:50] offset:512
	s_and_saveexec_b32 s42, s4
	s_cbranch_execz .LBB304_47
; %bb.44:                               ;   in Loop: Header=BB304_5 Depth=1
	s_clause 0x3
	flat_load_b64 v[47:48], v[55:56] offset:1024
	flat_load_b64 v[45:46], v[53:54] offset:1024
	flat_load_b64 v[43:44], v[51:52] offset:1024
	flat_load_b64 v[41:42], v[49:50] offset:1024
	;; [unrolled: 8-line block ×3, first 2 shown]
	s_wait_loadcnt_dscnt 0x202
	v_dual_mul_f32 v57, v22, v56 :: v_dual_mul_f32 v58, v24, v54
	v_mul_f32_e32 v56, v21, v56
	s_wait_loadcnt_dscnt 0x101
	v_dual_mul_f32 v54, v23, v54 :: v_dual_mul_f32 v59, v26, v52
	s_delay_alu instid0(VALU_DEP_3)
	v_fma_f32 v57, v21, v55, -v57
	v_fma_f32 v58, v23, v53, -v58
	s_wait_loadcnt_dscnt 0x0
	v_dual_fmac_f32 v56, v22, v55 :: v_dual_mul_f32 v55, v28, v50
	v_fmac_f32_e32 v54, v24, v53
	v_add_f32_e32 v9, v9, v57
	v_mul_f32_e32 v52, v25, v52
	v_fma_f32 v53, v25, v51, -v59
	s_delay_alu instid0(VALU_DEP_3) | instskip(SKIP_1) | instid1(VALU_DEP_2)
	v_dual_mul_f32 v50, v27, v50 :: v_dual_add_f32 v9, v58, v9
	v_add_f32_e32 v10, v10, v56
	v_fmac_f32_e32 v50, v28, v49
	s_delay_alu instid0(VALU_DEP_3) | instskip(NEXT) | instid1(VALU_DEP_3)
	v_dual_add_f32 v9, v53, v9 :: v_dual_fmac_f32 v52, v26, v51
	v_add_f32_e32 v10, v54, v10
	v_fma_f32 v51, v27, v49, -v55
	s_delay_alu instid0(VALU_DEP_1) | instskip(NEXT) | instid1(VALU_DEP_1)
	v_dual_add_f32 v9, v51, v9 :: v_dual_add_f32 v10, v52, v10
	v_add_f32_e32 v10, v50, v10
.LBB304_46:                             ;   in Loop: Header=BB304_5 Depth=1
	s_wait_alu 0xfffe
	s_or_b32 exec_lo, exec_lo, s43
	s_wait_loadcnt_dscnt 0x202
	v_dual_mul_f32 v49, v22, v48 :: v_dual_mul_f32 v50, v24, v46
	v_mul_f32_e32 v48, v21, v48
	s_wait_loadcnt_dscnt 0x101
	v_dual_mul_f32 v46, v23, v46 :: v_dual_mul_f32 v51, v26, v44
	s_delay_alu instid0(VALU_DEP_3)
	v_fma_f32 v49, v21, v47, -v49
	v_mul_f32_e32 v44, v25, v44
	v_fmac_f32_e32 v48, v22, v47
	v_fma_f32 v50, v23, v45, -v50
	s_wait_loadcnt_dscnt 0x0
	v_mul_f32_e32 v47, v28, v42
	v_add_f32_e32 v11, v11, v49
	v_fmac_f32_e32 v46, v24, v45
	v_fma_f32 v45, v25, v43, -v51
	v_mul_f32_e32 v42, v27, v42
	v_fmac_f32_e32 v44, v26, v43
	v_dual_add_f32 v11, v50, v11 :: v_dual_add_f32 v12, v12, v48
	v_fma_f32 v43, v27, v41, -v47
	s_delay_alu instid0(VALU_DEP_2) | instskip(NEXT) | instid1(VALU_DEP_1)
	v_dual_fmac_f32 v42, v28, v41 :: v_dual_add_f32 v11, v45, v11
	v_dual_add_f32 v12, v46, v12 :: v_dual_add_f32 v11, v43, v11
	s_delay_alu instid0(VALU_DEP_1) | instskip(NEXT) | instid1(VALU_DEP_1)
	v_add_f32_e32 v12, v44, v12
	v_add_f32_e32 v12, v42, v12
.LBB304_47:                             ;   in Loop: Header=BB304_5 Depth=1
	s_wait_alu 0xfffe
	s_or_b32 exec_lo, exec_lo, s42
	s_wait_loadcnt_dscnt 0x202
	v_dual_mul_f32 v41, v22, v40 :: v_dual_mul_f32 v42, v24, v38
	v_mul_f32_e32 v40, v21, v40
	s_wait_loadcnt_dscnt 0x101
	v_dual_mul_f32 v38, v23, v38 :: v_dual_mul_f32 v43, v26, v36
	s_delay_alu instid0(VALU_DEP_3)
	v_fma_f32 v41, v21, v39, -v41
	v_fma_f32 v42, v23, v37, -v42
	s_wait_loadcnt_dscnt 0x0
	v_dual_fmac_f32 v40, v22, v39 :: v_dual_mul_f32 v39, v28, v34
	v_fmac_f32_e32 v38, v24, v37
	v_add_f32_e32 v13, v13, v41
	v_mul_f32_e32 v36, v25, v36
	v_fma_f32 v37, v25, v35, -v43
	s_delay_alu instid0(VALU_DEP_3) | instskip(SKIP_1) | instid1(VALU_DEP_2)
	v_dual_mul_f32 v34, v27, v34 :: v_dual_add_f32 v13, v42, v13
	v_add_f32_e32 v14, v14, v40
	v_fmac_f32_e32 v34, v28, v33
	s_delay_alu instid0(VALU_DEP_3) | instskip(NEXT) | instid1(VALU_DEP_3)
	v_dual_add_f32 v13, v37, v13 :: v_dual_fmac_f32 v36, v26, v35
	v_add_f32_e32 v14, v38, v14
	v_fma_f32 v35, v27, v33, -v39
	s_delay_alu instid0(VALU_DEP_1) | instskip(NEXT) | instid1(VALU_DEP_1)
	v_dual_add_f32 v13, v35, v13 :: v_dual_add_f32 v14, v36, v14
	v_add_f32_e32 v14, v34, v14
.LBB304_48:                             ;   in Loop: Header=BB304_5 Depth=1
	s_or_b32 exec_lo, exec_lo, s41
	s_wait_loadcnt_dscnt 0x202
	v_dual_mul_f32 v33, v22, v32 :: v_dual_mul_f32 v34, v24, v30
	v_mul_f32_e32 v32, v21, v32
	s_wait_loadcnt_dscnt 0x101
	v_dual_mul_f32 v30, v23, v30 :: v_dual_mul_f32 v35, v26, v20
	s_delay_alu instid0(VALU_DEP_3) | instskip(SKIP_1) | instid1(VALU_DEP_2)
	v_fma_f32 v21, v21, v31, -v33
	v_fma_f32 v23, v23, v29, -v34
	v_dual_add_f32 v15, v15, v21 :: v_dual_mul_f32 v20, v25, v20
	v_fmac_f32_e32 v32, v22, v31
	v_fma_f32 v21, v25, v19, -v35
	s_wait_loadcnt_dscnt 0x0
	s_delay_alu instid0(VALU_DEP_3) | instskip(NEXT) | instid1(VALU_DEP_3)
	v_dual_add_f32 v15, v23, v15 :: v_dual_mul_f32 v22, v28, v18
	v_add_f32_e32 v16, v16, v32
	v_fmac_f32_e32 v20, v26, v19
	s_delay_alu instid0(VALU_DEP_3) | instskip(NEXT) | instid1(VALU_DEP_4)
	v_dual_mul_f32 v18, v27, v18 :: v_dual_add_f32 v15, v21, v15
	v_fma_f32 v19, v27, v17, -v22
	v_fmac_f32_e32 v30, v24, v29
	s_delay_alu instid0(VALU_DEP_2) | instskip(NEXT) | instid1(VALU_DEP_2)
	v_dual_fmac_f32 v18, v28, v17 :: v_dual_add_f32 v15, v19, v15
	v_add_f32_e32 v16, v30, v16
	s_delay_alu instid0(VALU_DEP_1) | instskip(NEXT) | instid1(VALU_DEP_1)
	v_add_f32_e32 v16, v20, v16
	v_add_f32_e32 v16, v18, v16
.LBB304_49:                             ;   in Loop: Header=BB304_5 Depth=1
	s_wait_alu 0xfffe
	s_or_b32 exec_lo, exec_lo, s7
.LBB304_50:                             ;   in Loop: Header=BB304_5 Depth=1
	ds_store_2addr_stride64_b64 v62, v[15:16], v[13:14] offset1:1
	ds_store_2addr_stride64_b64 v62, v[11:12], v[9:10] offset0:2 offset1:3
	s_wait_storecnt 0x0
	s_wait_loadcnt_dscnt 0x0
	s_barrier_signal -1
	s_barrier_wait -1
	global_inv scope:SCOPE_SE
	s_and_saveexec_b32 s7, s0
	s_cbranch_execz .LBB304_3
; %bb.51:                               ;   in Loop: Header=BB304_5 Depth=1
	ds_load_2addr_stride64_b64 v[9:12], v63 offset1:4
	ds_load_2addr_stride64_b64 v[13:16], v63 offset0:8 offset1:12
	ds_load_2addr_stride64_b64 v[17:20], v63 offset0:16 offset1:20
	s_wait_dscnt 0x2
	v_dual_add_f32 v21, v9, v11 :: v_dual_add_f32 v22, v10, v12
	ds_load_2addr_stride64_b64 v[9:12], v63 offset0:24 offset1:28
	s_wait_dscnt 0x2
	v_dual_add_f32 v13, v21, v13 :: v_dual_add_f32 v14, v22, v14
	s_delay_alu instid0(VALU_DEP_1) | instskip(SKIP_3) | instid1(VALU_DEP_1)
	v_dual_add_f32 v21, v13, v15 :: v_dual_add_f32 v22, v14, v16
	ds_load_2addr_stride64_b64 v[13:16], v63 offset0:32 offset1:36
	s_wait_dscnt 0x2
	v_dual_add_f32 v17, v21, v17 :: v_dual_add_f32 v18, v22, v18
	v_dual_add_f32 v21, v17, v19 :: v_dual_add_f32 v22, v18, v20
	ds_load_2addr_stride64_b64 v[17:20], v63 offset0:40 offset1:44
	s_wait_dscnt 0x2
	v_dual_add_f32 v9, v21, v9 :: v_dual_add_f32 v10, v22, v10
	s_delay_alu instid0(VALU_DEP_1) | instskip(SKIP_3) | instid1(VALU_DEP_1)
	v_dual_add_f32 v21, v9, v11 :: v_dual_add_f32 v22, v10, v12
	ds_load_2addr_stride64_b64 v[9:12], v63 offset0:48 offset1:52
	s_wait_dscnt 0x2
	v_dual_add_f32 v13, v21, v13 :: v_dual_add_f32 v14, v22, v14
	v_dual_add_f32 v21, v13, v15 :: v_dual_add_f32 v22, v14, v16
	ds_load_2addr_stride64_b64 v[13:16], v63 offset0:56 offset1:60
	s_wait_dscnt 0x2
	v_dual_add_f32 v17, v21, v17 :: v_dual_add_f32 v18, v22, v18
	s_delay_alu instid0(VALU_DEP_1) | instskip(SKIP_1) | instid1(VALU_DEP_1)
	v_dual_add_f32 v17, v17, v19 :: v_dual_add_f32 v18, v18, v20
	s_wait_dscnt 0x1
	v_dual_add_f32 v9, v17, v9 :: v_dual_add_f32 v10, v18, v10
	s_delay_alu instid0(VALU_DEP_1) | instskip(SKIP_1) | instid1(VALU_DEP_1)
	v_dual_add_f32 v9, v9, v11 :: v_dual_add_f32 v10, v10, v12
	s_wait_dscnt 0x0
	v_dual_add_f32 v9, v9, v13 :: v_dual_add_f32 v10, v10, v14
	s_delay_alu instid0(VALU_DEP_1)
	v_dual_add_f32 v11, v9, v15 :: v_dual_add_f32 v12, v10, v16
	ds_store_b64 v63, v[11:12]
	s_and_b32 exec_lo, exec_lo, s2
	s_cbranch_execz .LBB304_3
; %bb.52:                               ;   in Loop: Header=BB304_5 Depth=1
	v_mul_f32_e32 v10, s10, v12
	v_mul_f32_e32 v9, s11, v12
	s_and_not1_b32 vcc_lo, exec_lo, s35
	s_delay_alu instid0(VALU_DEP_2) | instskip(NEXT) | instid1(VALU_DEP_2)
	v_fmac_f32_e32 v10, s11, v11
	v_fma_f32 v9, v11, s10, -v9
	s_wait_alu 0xfffe
	s_cbranch_vccnz .LBB304_2
; %bb.53:                               ;   in Loop: Header=BB304_5 Depth=1
	v_add_co_u32 v11, vcc_lo, v69, v7
	s_wait_alu 0xfffd
	v_add_co_ci_u32_e64 v12, null, v70, v8, vcc_lo
	flat_load_b64 v[11:12], v[11:12]
	s_wait_loadcnt_dscnt 0x0
	v_mul_f32_e32 v13, s27, v12
	v_mul_f32_e32 v12, s26, v12
	s_delay_alu instid0(VALU_DEP_1) | instskip(NEXT) | instid1(VALU_DEP_3)
	v_fmac_f32_e32 v12, s27, v11
	v_fma_f32 v13, s26, v11, -v13
	s_delay_alu instid0(VALU_DEP_1)
	v_dual_add_f32 v10, v10, v12 :: v_dual_add_f32 v9, v9, v13
	s_branch .LBB304_2
.LBB304_54:
	s_endpgm
	.section	.rodata,"a",@progbits
	.p2align	6, 0x0
	.amdhsa_kernel _ZL20rocblas_gemvn_kernelILi64ELi16EiPK19rocblas_complex_numIfES1_KPS1_EviiT3_lPKT2_lT1_lS9_lSA_lS6_lPT4_lSA_li
		.amdhsa_group_segment_fixed_size 32768
		.amdhsa_private_segment_fixed_size 0
		.amdhsa_kernarg_size 400
		.amdhsa_user_sgpr_count 2
		.amdhsa_user_sgpr_dispatch_ptr 0
		.amdhsa_user_sgpr_queue_ptr 0
		.amdhsa_user_sgpr_kernarg_segment_ptr 1
		.amdhsa_user_sgpr_dispatch_id 0
		.amdhsa_user_sgpr_private_segment_size 0
		.amdhsa_wavefront_size32 1
		.amdhsa_uses_dynamic_stack 0
		.amdhsa_enable_private_segment 0
		.amdhsa_system_sgpr_workgroup_id_x 1
		.amdhsa_system_sgpr_workgroup_id_y 0
		.amdhsa_system_sgpr_workgroup_id_z 1
		.amdhsa_system_sgpr_workgroup_info 0
		.amdhsa_system_vgpr_workitem_id 1
		.amdhsa_next_free_vgpr 79
		.amdhsa_next_free_sgpr 47
		.amdhsa_reserve_vcc 1
		.amdhsa_float_round_mode_32 0
		.amdhsa_float_round_mode_16_64 0
		.amdhsa_float_denorm_mode_32 3
		.amdhsa_float_denorm_mode_16_64 3
		.amdhsa_fp16_overflow 0
		.amdhsa_workgroup_processor_mode 1
		.amdhsa_memory_ordered 1
		.amdhsa_forward_progress 1
		.amdhsa_inst_pref_size 34
		.amdhsa_round_robin_scheduling 0
		.amdhsa_exception_fp_ieee_invalid_op 0
		.amdhsa_exception_fp_denorm_src 0
		.amdhsa_exception_fp_ieee_div_zero 0
		.amdhsa_exception_fp_ieee_overflow 0
		.amdhsa_exception_fp_ieee_underflow 0
		.amdhsa_exception_fp_ieee_inexact 0
		.amdhsa_exception_int_div_zero 0
	.end_amdhsa_kernel
	.section	.text._ZL20rocblas_gemvn_kernelILi64ELi16EiPK19rocblas_complex_numIfES1_KPS1_EviiT3_lPKT2_lT1_lS9_lSA_lS6_lPT4_lSA_li,"axG",@progbits,_ZL20rocblas_gemvn_kernelILi64ELi16EiPK19rocblas_complex_numIfES1_KPS1_EviiT3_lPKT2_lT1_lS9_lSA_lS6_lPT4_lSA_li,comdat
.Lfunc_end304:
	.size	_ZL20rocblas_gemvn_kernelILi64ELi16EiPK19rocblas_complex_numIfES1_KPS1_EviiT3_lPKT2_lT1_lS9_lSA_lS6_lPT4_lSA_li, .Lfunc_end304-_ZL20rocblas_gemvn_kernelILi64ELi16EiPK19rocblas_complex_numIfES1_KPS1_EviiT3_lPKT2_lT1_lS9_lSA_lS6_lPT4_lSA_li
                                        ; -- End function
	.set _ZL20rocblas_gemvn_kernelILi64ELi16EiPK19rocblas_complex_numIfES1_KPS1_EviiT3_lPKT2_lT1_lS9_lSA_lS6_lPT4_lSA_li.num_vgpr, 79
	.set _ZL20rocblas_gemvn_kernelILi64ELi16EiPK19rocblas_complex_numIfES1_KPS1_EviiT3_lPKT2_lT1_lS9_lSA_lS6_lPT4_lSA_li.num_agpr, 0
	.set _ZL20rocblas_gemvn_kernelILi64ELi16EiPK19rocblas_complex_numIfES1_KPS1_EviiT3_lPKT2_lT1_lS9_lSA_lS6_lPT4_lSA_li.numbered_sgpr, 47
	.set _ZL20rocblas_gemvn_kernelILi64ELi16EiPK19rocblas_complex_numIfES1_KPS1_EviiT3_lPKT2_lT1_lS9_lSA_lS6_lPT4_lSA_li.num_named_barrier, 0
	.set _ZL20rocblas_gemvn_kernelILi64ELi16EiPK19rocblas_complex_numIfES1_KPS1_EviiT3_lPKT2_lT1_lS9_lSA_lS6_lPT4_lSA_li.private_seg_size, 0
	.set _ZL20rocblas_gemvn_kernelILi64ELi16EiPK19rocblas_complex_numIfES1_KPS1_EviiT3_lPKT2_lT1_lS9_lSA_lS6_lPT4_lSA_li.uses_vcc, 1
	.set _ZL20rocblas_gemvn_kernelILi64ELi16EiPK19rocblas_complex_numIfES1_KPS1_EviiT3_lPKT2_lT1_lS9_lSA_lS6_lPT4_lSA_li.uses_flat_scratch, 1
	.set _ZL20rocblas_gemvn_kernelILi64ELi16EiPK19rocblas_complex_numIfES1_KPS1_EviiT3_lPKT2_lT1_lS9_lSA_lS6_lPT4_lSA_li.has_dyn_sized_stack, 0
	.set _ZL20rocblas_gemvn_kernelILi64ELi16EiPK19rocblas_complex_numIfES1_KPS1_EviiT3_lPKT2_lT1_lS9_lSA_lS6_lPT4_lSA_li.has_recursion, 0
	.set _ZL20rocblas_gemvn_kernelILi64ELi16EiPK19rocblas_complex_numIfES1_KPS1_EviiT3_lPKT2_lT1_lS9_lSA_lS6_lPT4_lSA_li.has_indirect_call, 0
	.section	.AMDGPU.csdata,"",@progbits
; Kernel info:
; codeLenInByte = 4308
; TotalNumSgprs: 49
; NumVgprs: 79
; ScratchSize: 0
; MemoryBound: 0
; FloatMode: 240
; IeeeMode: 1
; LDSByteSize: 32768 bytes/workgroup (compile time only)
; SGPRBlocks: 0
; VGPRBlocks: 9
; NumSGPRsForWavesPerEU: 49
; NumVGPRsForWavesPerEU: 79
; Occupancy: 16
; WaveLimiterHint : 1
; COMPUTE_PGM_RSRC2:SCRATCH_EN: 0
; COMPUTE_PGM_RSRC2:USER_SGPR: 2
; COMPUTE_PGM_RSRC2:TRAP_HANDLER: 0
; COMPUTE_PGM_RSRC2:TGID_X_EN: 1
; COMPUTE_PGM_RSRC2:TGID_Y_EN: 0
; COMPUTE_PGM_RSRC2:TGID_Z_EN: 1
; COMPUTE_PGM_RSRC2:TIDIG_COMP_CNT: 1
	.section	.text._ZL20rocblas_gemvn_kernelILi64ELi16ElPK19rocblas_complex_numIfES1_KPS1_EviiT3_lPKT2_lT1_lS9_lSA_lS6_lPT4_lSA_li,"axG",@progbits,_ZL20rocblas_gemvn_kernelILi64ELi16ElPK19rocblas_complex_numIfES1_KPS1_EviiT3_lPKT2_lT1_lS9_lSA_lS6_lPT4_lSA_li,comdat
	.globl	_ZL20rocblas_gemvn_kernelILi64ELi16ElPK19rocblas_complex_numIfES1_KPS1_EviiT3_lPKT2_lT1_lS9_lSA_lS6_lPT4_lSA_li ; -- Begin function _ZL20rocblas_gemvn_kernelILi64ELi16ElPK19rocblas_complex_numIfES1_KPS1_EviiT3_lPKT2_lT1_lS9_lSA_lS6_lPT4_lSA_li
	.p2align	8
	.type	_ZL20rocblas_gemvn_kernelILi64ELi16ElPK19rocblas_complex_numIfES1_KPS1_EviiT3_lPKT2_lT1_lS9_lSA_lS6_lPT4_lSA_li,@function
_ZL20rocblas_gemvn_kernelILi64ELi16ElPK19rocblas_complex_numIfES1_KPS1_EviiT3_lPKT2_lT1_lS9_lSA_lS6_lPT4_lSA_li: ; @_ZL20rocblas_gemvn_kernelILi64ELi16ElPK19rocblas_complex_numIfES1_KPS1_EviiT3_lPKT2_lT1_lS9_lSA_lS6_lPT4_lSA_li
; %bb.0:
	s_clause 0x1
	s_load_b64 s[2:3], s[0:1], 0x9c
	s_load_b32 s33, s[0:1], 0x88
	s_lshr_b32 s24, ttmp7, 16
	s_wait_kmcnt 0x0
	s_lshr_b32 s4, s2, 16
	s_and_b32 s2, s2, 0xffff
	s_and_b32 s3, s3, 0xffff
	s_mul_i32 s2, s4, s2
	s_delay_alu instid0(SALU_CYCLE_1) | instskip(NEXT) | instid1(SALU_CYCLE_1)
	s_mul_i32 s2, s2, s3
	s_cmp_lg_u32 s2, 0x400
	s_cselect_b32 s2, -1, 0
	s_cmp_ge_u32 s24, s33
	s_cselect_b32 s3, -1, 0
	s_delay_alu instid0(SALU_CYCLE_1) | instskip(NEXT) | instid1(SALU_CYCLE_1)
	s_or_b32 s2, s2, s3
	s_and_b32 vcc_lo, exec_lo, s2
	s_cbranch_vccnz .LBB305_54
; %bb.1:
	s_clause 0x7
	s_load_b128 s[8:11], s[0:1], 0x0
	s_load_b64 s[26:27], s[0:1], 0x58
	s_load_b64 s[28:29], s[0:1], 0x48
	s_load_b128 s[12:15], s[0:1], 0x18
	s_load_b64 s[30:31], s[0:1], 0x28
	s_load_b128 s[16:19], s[0:1], 0x38
	;; [unrolled: 2-line block ×3, first 2 shown]
	v_dual_mov_b32 v1, 0 :: v_dual_and_b32 v4, 0x3ff, v0
	v_bfe_u32 v13, v0, 10, 10
	s_mov_b32 s25, 0
	s_delay_alu instid0(VALU_DEP_2) | instskip(NEXT) | instid1(VALU_DEP_2)
	v_lshlrev_b32_e32 v0, 3, v4
	v_lshl_add_u32 v5, v13, 6, v4
	s_delay_alu instid0(VALU_DEP_2)
	v_lshl_add_u32 v73, v13, 11, v0
	v_lshl_add_u32 v74, v13, 9, v0
	s_wait_kmcnt 0x0
	s_cmp_neq_f32 s10, 0
	s_mov_b32 s2, s8
	v_mad_co_u64_u32 v[2:3], null, s28, v13, 0
	s_cselect_b32 s0, -1, 0
	s_cmp_neq_f32 s11, 0
	s_cselect_b32 s1, -1, 0
	s_delay_alu instid0(SALU_CYCLE_1)
	s_or_b32 s34, s0, s1
	s_cmp_neq_f32 s26, 1.0
	v_cmp_gt_u32_e64 s0, 0x100, v5
	s_cselect_b32 s35, -1, 0
	s_cmp_neq_f32 s27, 0
	s_cselect_b32 s45, -1, 0
	s_or_b32 s1, s10, s11
	s_delay_alu instid0(SALU_CYCLE_1) | instskip(NEXT) | instid1(SALU_CYCLE_1)
	s_bitset0_b32 s1, 31
	s_cmp_lg_u32 s1, 0
	s_cselect_b32 s40, -1, 0
	s_cmp_eq_u32 s1, 0
	s_cselect_b32 s41, -1, 0
	s_lshl_b32 s5, ttmp9, 8
	s_ashr_i32 s3, s8, 31
	v_add_nc_u32_e32 v0, s5, v5
	s_cmp_neq_f32 s26, 0
	v_add_nc_u32_e32 v4, s5, v4
	v_or_b32_e32 v6, s5, v5
	s_delay_alu instid0(VALU_DEP_3)
	v_mad_co_u64_u32 v[14:15], null, s6, v0, 0
	s_cselect_b32 s1, -1, 0
	s_ashr_i32 s4, s9, 31
	v_cmp_gt_i64_e32 vcc_lo, s[2:3], v[0:1]
	s_wait_alu 0xfffe
	s_lshr_b32 s3, s4, 26
	v_add_nc_u32_e32 v7, 64, v4
	s_wait_alu 0xfffe
	s_add_co_i32 s43, s9, s3
	v_add_nc_u32_e32 v8, 0x80, v4
	s_and_not1_b32 s43, s43, 63
	v_add_nc_u32_e32 v9, 0xc0, v4
	v_cmp_gt_i32_e64 s2, s8, v6
	v_mul_lo_u32 v10, s7, v6
	v_mad_co_u64_u32 v[16:17], null, s6, v6, 0
	v_mov_b32_e32 v6, v15
	s_sub_co_i32 s4, s9, s43
	s_or_b32 s42, s1, s45
	s_wait_alu 0xfffe
	s_cmp_gt_i32 s4, 0
	v_cmp_gt_i32_e64 s3, s8, v7
	v_mad_co_u64_u32 v[6:7], null, s7, v0, v[6:7]
	v_cmp_gt_i32_e64 s4, s8, v8
	s_cselect_b32 s44, -1, 0
	s_ashr_i32 s7, s5, 31
	v_cmp_gt_i32_e64 s5, s8, v9
	v_mad_co_u64_u32 v[8:9], null, s29, v13, v[3:4]
	v_dual_mov_b32 v15, v6 :: v_dual_lshlrev_b32 v72, 2, v13
	s_wait_alu 0xfffe
	s_mul_i32 s7, s6, s7
	s_lshl_b64 s[36:37], s[30:31], 9
	s_wait_alu 0xfffe
	v_add3_u32 v17, v17, s7, v10
	v_mad_co_u64_u32 v[9:10], null, s30, v13, 0
	v_mov_b32_e32 v3, v8
	v_or_b32_e32 v20, 3, v72
	v_or_b32_e32 v22, 2, v72
	v_mad_co_u64_u32 v[18:19], null, s30, v72, s[30:31]
	s_delay_alu instid0(VALU_DEP_4) | instskip(NEXT) | instid1(VALU_DEP_4)
	v_lshlrev_b64_e32 v[2:3], 5, v[2:3]
	v_mad_co_u64_u32 v[6:7], null, s30, v20, 0
	s_delay_alu instid0(VALU_DEP_4)
	v_mad_co_u64_u32 v[11:12], null, s30, v22, 0
	v_lshlrev_b64_e32 v[14:15], 3, v[14:15]
	v_mov_b32_e32 v8, v19
	v_lshlrev_b64_e32 v[16:17], 3, v[16:17]
	v_cmp_gt_i32_e64 s6, s43, v72
	v_dual_mov_b32 v0, v7 :: v_dual_mov_b32 v7, v10
	s_or_b32 s7, s34, s35
	s_lshl_b64 s[34:35], s[28:29], 9
	s_lshl_b64 s[38:39], s[28:29], 3
	s_delay_alu instid0(VALU_DEP_1)
	v_mad_co_u64_u32 v[20:21], null, s31, v20, v[0:1]
	v_mov_b32_e32 v0, v12
	v_mad_co_u64_u32 v[12:13], null, s31, v13, v[7:8]
	s_wait_alu 0xfffe
	s_or_b32 s45, s7, s45
	s_lshl_b64 s[14:15], s[14:15], 3
	v_mad_co_u64_u32 v[21:22], null, s31, v22, v[0:1]
	v_mad_co_u64_u32 v[22:23], null, s31, v72, v[8:9]
	v_mov_b32_e32 v7, v20
	v_ashrrev_i32_e32 v5, 31, v4
	v_mov_b32_e32 v10, v12
	v_cmp_gt_i32_e64 s1, s8, v4
	v_mov_b32_e32 v12, v21
	v_lshlrev_b64_e32 v[6:7], 3, v[6:7]
	v_mov_b32_e32 v19, v22
	v_lshlrev_b64_e32 v[4:5], 3, v[4:5]
	v_lshlrev_b64_e32 v[8:9], 5, v[9:10]
	;; [unrolled: 1-line block ×3, first 2 shown]
	s_and_b32 s8, s0, vcc_lo
	v_lshlrev_b64_e32 v[12:13], 3, v[18:19]
	s_lshl_b64 s[18:19], s[18:19], 3
	s_lshl_b64 s[22:23], s[22:23], 3
	s_branch .LBB305_5
.LBB305_2:                              ;   in Loop: Header=BB305_5 Depth=1
	v_add_co_u32 v20, vcc_lo, v0, v16
	s_wait_alu 0xfffd
	v_add_co_ci_u32_e64 v21, null, v75, v17, vcc_lo
	flat_store_b64 v[20:21], v[18:19]
.LBB305_3:                              ;   in Loop: Header=BB305_5 Depth=1
	s_wait_alu 0xfffe
	s_or_b32 exec_lo, exec_lo, s7
.LBB305_4:                              ;   in Loop: Header=BB305_5 Depth=1
	s_add_co_i32 s24, s24, 0x10000
	s_delay_alu instid0(SALU_CYCLE_1)
	s_cmp_lt_u32 s24, s33
	s_cbranch_scc0 .LBB305_54
.LBB305_5:                              ; =>This Loop Header: Depth=1
                                        ;     Child Loop BB305_26 Depth 2
	s_and_not1_b32 vcc_lo, exec_lo, s45
	s_wait_alu 0xfffe
	s_cbranch_vccnz .LBB305_4
; %bb.6:                                ;   in Loop: Header=BB305_5 Depth=1
	s_and_not1_b32 vcc_lo, exec_lo, s41
	s_wait_alu 0xfffe
	s_cbranch_vccnz .LBB305_8
; %bb.7:                                ;   in Loop: Header=BB305_5 Depth=1
	s_mov_b32 s7, 0
	s_branch .LBB305_9
.LBB305_8:                              ;   in Loop: Header=BB305_5 Depth=1
	s_mov_b32 s7, -1
.LBB305_9:                              ;   in Loop: Header=BB305_5 Depth=1
	v_mov_b32_e32 v28, 0
	v_dual_mov_b32 v29, 0 :: v_dual_mov_b32 v26, 0
	v_mov_b32_e32 v27, 0
	s_wait_alu 0xfffe
	s_and_not1_b32 vcc_lo, exec_lo, s7
	s_wait_alu 0xfffe
	s_cbranch_vccnz .LBB305_11
; %bb.10:                               ;   in Loop: Header=BB305_5 Depth=1
	s_lshl_b64 s[46:47], s[24:25], 3
	s_delay_alu instid0(SALU_CYCLE_1)
	s_add_nc_u64 s[46:47], s[12:13], s[46:47]
	global_load_b64 v[18:19], v1, s[46:47]
	s_wait_loadcnt 0x0
	v_add_co_u32 v26, vcc_lo, v18, s14
	s_wait_alu 0xfffd
	v_add_co_ci_u32_e64 v27, null, s15, v19, vcc_lo
.LBB305_11:                             ;   in Loop: Header=BB305_5 Depth=1
	s_and_not1_b32 vcc_lo, exec_lo, s40
	s_wait_alu 0xfffe
	s_cbranch_vccnz .LBB305_13
; %bb.12:                               ;   in Loop: Header=BB305_5 Depth=1
	s_lshl_b64 s[46:47], s[24:25], 3
	s_delay_alu instid0(SALU_CYCLE_1)
	s_add_nc_u64 s[46:47], s[16:17], s[46:47]
	global_load_b64 v[18:19], v1, s[46:47]
	s_wait_loadcnt 0x0
	v_add_co_u32 v28, vcc_lo, v18, s18
	s_wait_alu 0xfffd
	v_add_co_ci_u32_e64 v29, null, s19, v19, vcc_lo
.LBB305_13:                             ;   in Loop: Header=BB305_5 Depth=1
	s_lshl_b64 s[46:47], s[24:25], 3
	s_mov_b32 s7, -1
	s_add_nc_u64 s[46:47], s[20:21], s[46:47]
	global_load_b64 v[18:19], v1, s[46:47]
	s_wait_loadcnt 0x0
	v_add_co_u32 v0, vcc_lo, v18, s22
	s_wait_alu 0xfffd
	v_add_co_ci_u32_e64 v75, null, s23, v19, vcc_lo
	s_and_not1_b32 vcc_lo, exec_lo, s41
	s_wait_alu 0xfffe
	s_cbranch_vccnz .LBB305_19
; %bb.14:                               ;   in Loop: Header=BB305_5 Depth=1
	s_and_saveexec_b32 s7, s8
	s_cbranch_execz .LBB305_18
; %bb.15:                               ;   in Loop: Header=BB305_5 Depth=1
	v_dual_mov_b32 v18, 0 :: v_dual_mov_b32 v19, 0
	s_and_not1_b32 vcc_lo, exec_lo, s42
	s_wait_alu 0xfffe
	s_cbranch_vccnz .LBB305_17
; %bb.16:                               ;   in Loop: Header=BB305_5 Depth=1
	v_add_co_u32 v18, vcc_lo, v0, v14
	s_wait_alu 0xfffd
	v_add_co_ci_u32_e64 v19, null, v75, v15, vcc_lo
	flat_load_b64 v[20:21], v[18:19]
	s_wait_loadcnt_dscnt 0x0
	v_mul_f32_e32 v19, s26, v21
	s_delay_alu instid0(VALU_DEP_1) | instskip(NEXT) | instid1(VALU_DEP_1)
	v_dual_mul_f32 v18, s27, v21 :: v_dual_fmac_f32 v19, s27, v20
	v_fma_f32 v18, s26, v20, -v18
.LBB305_17:                             ;   in Loop: Header=BB305_5 Depth=1
	v_add_co_u32 v20, vcc_lo, v0, v14
	s_wait_alu 0xfffd
	v_add_co_ci_u32_e64 v21, null, v75, v15, vcc_lo
	flat_store_b64 v[20:21], v[18:19]
.LBB305_18:                             ;   in Loop: Header=BB305_5 Depth=1
	s_wait_alu 0xfffe
	s_or_b32 exec_lo, exec_lo, s7
	s_mov_b32 s7, 0
.LBB305_19:                             ;   in Loop: Header=BB305_5 Depth=1
	s_wait_alu 0xfffe
	s_and_not1_b32 vcc_lo, exec_lo, s7
	s_wait_alu 0xfffe
	s_cbranch_vccnz .LBB305_4
; %bb.20:                               ;   in Loop: Header=BB305_5 Depth=1
	v_dual_mov_b32 v19, 0 :: v_dual_mov_b32 v76, v72
	v_dual_mov_b32 v18, 0 :: v_dual_mov_b32 v21, 0
	;; [unrolled: 1-line block ×4, first 2 shown]
	v_mov_b32_e32 v24, 0
	s_and_saveexec_b32 s46, s6
	s_cbranch_execz .LBB305_32
; %bb.21:                               ;   in Loop: Header=BB305_5 Depth=1
	v_add_co_u32 v30, vcc_lo, v28, v2
	s_wait_alu 0xfffd
	v_add_co_ci_u32_e64 v31, null, v29, v3, vcc_lo
	v_add_co_u32 v77, vcc_lo, v26, v6
	s_wait_alu 0xfffd
	v_add_co_ci_u32_e64 v78, null, v27, v7, vcc_lo
	v_add_co_u32 v79, vcc_lo, v26, v8
	v_dual_mov_b32 v19, 0 :: v_dual_mov_b32 v76, v72
	s_wait_alu 0xfffd
	v_add_co_ci_u32_e64 v80, null, v27, v9, vcc_lo
	v_add_co_u32 v81, vcc_lo, v26, v10
	s_wait_alu 0xfffd
	v_add_co_ci_u32_e64 v82, null, v27, v11, vcc_lo
	v_add_co_u32 v83, vcc_lo, v26, v12
	s_wait_alu 0xfffd
	v_add_co_ci_u32_e64 v84, null, v27, v13, vcc_lo
	v_dual_mov_b32 v18, v19 :: v_dual_mov_b32 v21, v19
	v_dual_mov_b32 v20, v19 :: v_dual_mov_b32 v23, v19
	;; [unrolled: 1-line block ×3, first 2 shown]
	v_mov_b32_e32 v24, v19
	s_mov_b32 s47, 0
	s_branch .LBB305_26
.LBB305_22:                             ;   in Loop: Header=BB305_26 Depth=2
	s_or_b32 exec_lo, exec_lo, s50
	s_wait_loadcnt_dscnt 0x303
	v_mul_f32_e32 v64, v45, v63
	s_wait_loadcnt_dscnt 0x101
	v_dual_mul_f32 v65, v41, v61 :: v_dual_mul_f32 v66, v35, v59
	v_mul_f32_e32 v61, v40, v61
	v_mul_f32_e32 v63, v44, v63
	v_fma_f32 v64, v44, v62, -v64
	v_mul_f32_e32 v59, v34, v59
	v_fma_f32 v65, v40, v60, -v65
	v_fmac_f32_e32 v61, v41, v60
	v_fma_f32 v60, v34, v58, -v66
	s_delay_alu instid0(VALU_DEP_4) | instskip(NEXT) | instid1(VALU_DEP_1)
	v_dual_add_f32 v20, v20, v64 :: v_dual_fmac_f32 v59, v35, v58
	v_add_f32_e32 v20, v65, v20
	v_fmac_f32_e32 v63, v45, v62
	s_wait_loadcnt_dscnt 0x0
	v_mul_f32_e32 v62, v33, v57
	v_mul_f32_e32 v57, v32, v57
	v_add_f32_e32 v20, v60, v20
	s_delay_alu instid0(VALU_DEP_3) | instskip(SKIP_1) | instid1(VALU_DEP_4)
	v_fma_f32 v58, v32, v56, -v62
	v_add_f32_e32 v21, v21, v63
	v_fmac_f32_e32 v57, v33, v56
	s_delay_alu instid0(VALU_DEP_2) | instskip(NEXT) | instid1(VALU_DEP_1)
	v_dual_add_f32 v20, v58, v20 :: v_dual_add_f32 v21, v61, v21
	v_add_f32_e32 v21, v59, v21
	s_delay_alu instid0(VALU_DEP_1)
	v_add_f32_e32 v21, v57, v21
.LBB305_23:                             ;   in Loop: Header=BB305_26 Depth=2
	s_or_b32 exec_lo, exec_lo, s49
	s_wait_loadcnt_dscnt 0x303
	v_mul_f32_e32 v56, v45, v55
	v_mul_f32_e32 v55, v44, v55
	s_wait_loadcnt_dscnt 0x101
	v_dual_mul_f32 v57, v41, v53 :: v_dual_mul_f32 v58, v35, v51
	v_mul_f32_e32 v53, v40, v53
	v_fma_f32 v56, v44, v54, -v56
	v_fmac_f32_e32 v55, v45, v54
	s_delay_alu instid0(VALU_DEP_4) | instskip(SKIP_4) | instid1(VALU_DEP_2)
	v_fma_f32 v57, v40, v52, -v57
	s_wait_loadcnt_dscnt 0x0
	v_mul_f32_e32 v54, v33, v49
	v_dual_mul_f32 v49, v32, v49 :: v_dual_add_f32 v22, v22, v56
	v_mul_f32_e32 v51, v34, v51
	v_fmac_f32_e32 v49, v33, v48
	s_delay_alu instid0(VALU_DEP_3) | instskip(SKIP_4) | instid1(VALU_DEP_3)
	v_add_f32_e32 v22, v57, v22
	v_fmac_f32_e32 v53, v41, v52
	v_fma_f32 v52, v34, v50, -v58
	v_fmac_f32_e32 v51, v35, v50
	v_fma_f32 v50, v32, v48, -v54
	v_dual_add_f32 v22, v52, v22 :: v_dual_add_f32 v23, v23, v55
	s_delay_alu instid0(VALU_DEP_1) | instskip(NEXT) | instid1(VALU_DEP_1)
	v_dual_add_f32 v22, v50, v22 :: v_dual_add_f32 v23, v53, v23
	v_add_f32_e32 v23, v51, v23
	s_delay_alu instid0(VALU_DEP_1)
	v_add_f32_e32 v23, v49, v23
.LBB305_24:                             ;   in Loop: Header=BB305_26 Depth=2
	s_or_b32 exec_lo, exec_lo, s48
	s_wait_loadcnt_dscnt 0x101
	v_mul_f32_e32 v50, v35, v39
	v_mul_f32_e32 v48, v45, v47
	;; [unrolled: 1-line block ×3, first 2 shown]
	s_delay_alu instid0(VALU_DEP_3) | instskip(SKIP_1) | instid1(VALU_DEP_1)
	v_fma_f32 v34, v34, v38, -v50
	v_mul_f32_e32 v47, v44, v47
	v_fmac_f32_e32 v47, v45, v46
	s_wait_loadcnt_dscnt 0x0
	v_mul_f32_e32 v45, v33, v37
	v_mul_f32_e32 v37, v32, v37
	v_fma_f32 v44, v44, v46, -v48
	v_mul_f32_e32 v49, v41, v43
	v_mul_f32_e32 v43, v40, v43
	v_add_f32_e32 v25, v25, v47
	v_fma_f32 v32, v32, v36, -v45
	v_add_f32_e32 v24, v24, v44
	v_fma_f32 v40, v40, v42, -v49
	v_fmac_f32_e32 v43, v41, v42
	v_fmac_f32_e32 v37, v33, v36
	s_delay_alu instid0(VALU_DEP_3) | instskip(NEXT) | instid1(VALU_DEP_1)
	v_dual_add_f32 v24, v40, v24 :: v_dual_fmac_f32 v39, v35, v38
	v_dual_add_f32 v25, v43, v25 :: v_dual_add_f32 v24, v34, v24
	s_delay_alu instid0(VALU_DEP_1) | instskip(NEXT) | instid1(VALU_DEP_1)
	v_dual_add_f32 v25, v39, v25 :: v_dual_add_f32 v24, v32, v24
	v_add_f32_e32 v25, v37, v25
.LBB305_25:                             ;   in Loop: Header=BB305_26 Depth=2
	s_wait_alu 0xfffe
	s_or_b32 exec_lo, exec_lo, s7
	v_add_co_u32 v30, vcc_lo, v30, s34
	s_wait_alu 0xfffd
	v_add_co_ci_u32_e64 v31, null, s35, v31, vcc_lo
	v_add_co_u32 v77, vcc_lo, v77, s36
	v_add_nc_u32_e32 v76, 64, v76
	s_wait_alu 0xfffd
	v_add_co_ci_u32_e64 v78, null, s37, v78, vcc_lo
	v_add_co_u32 v79, vcc_lo, v79, s36
	s_wait_alu 0xfffd
	v_add_co_ci_u32_e64 v80, null, s37, v80, vcc_lo
	v_add_co_u32 v81, vcc_lo, v81, s36
	s_wait_alu 0xfffd
	v_add_co_ci_u32_e64 v82, null, s37, v82, vcc_lo
	v_cmp_le_i32_e32 vcc_lo, s43, v76
	v_add_co_u32 v83, s7, v83, s36
	s_wait_alu 0xf1ff
	v_add_co_ci_u32_e64 v84, null, s37, v84, s7
	s_or_b32 s47, vcc_lo, s47
	s_delay_alu instid0(SALU_CYCLE_1)
	s_and_not1_b32 exec_lo, exec_lo, s47
	s_cbranch_execz .LBB305_31
.LBB305_26:                             ;   Parent Loop BB305_5 Depth=1
                                        ; =>  This Inner Loop Header: Depth=2
	s_and_saveexec_b32 s7, s1
	s_cbranch_execz .LBB305_25
; %bb.27:                               ;   in Loop: Header=BB305_26 Depth=2
	v_add_co_u32 v32, vcc_lo, v30, s38
	s_wait_alu 0xfffd
	v_add_co_ci_u32_e64 v33, null, s39, v31, vcc_lo
	s_delay_alu instid0(VALU_DEP_2) | instskip(SKIP_1) | instid1(VALU_DEP_2)
	v_add_co_u32 v34, vcc_lo, v32, s38
	s_wait_alu 0xfffd
	v_add_co_ci_u32_e64 v35, null, s39, v33, vcc_lo
	s_delay_alu instid0(VALU_DEP_2) | instskip(SKIP_1) | instid1(VALU_DEP_2)
	v_add_co_u32 v36, vcc_lo, v34, s38
	s_wait_alu 0xfffd
	v_add_co_ci_u32_e64 v37, null, s39, v35, vcc_lo
	v_add_co_u32 v70, vcc_lo, v79, v4
	s_wait_alu 0xfffd
	v_add_co_ci_u32_e64 v71, null, v80, v5, vcc_lo
	;; [unrolled: 3-line block ×5, first 2 shown]
	s_clause 0x3
	flat_load_b64 v[44:45], v[30:31]
	flat_load_b64 v[40:41], v[32:33]
	;; [unrolled: 1-line block ×8, first 2 shown]
	s_and_saveexec_b32 s48, s3
	s_cbranch_execz .LBB305_24
; %bb.28:                               ;   in Loop: Header=BB305_26 Depth=2
	flat_load_b64 v[54:55], v[70:71] offset:512
	flat_load_b64 v[52:53], v[68:69] offset:512
	flat_load_b64 v[50:51], v[66:67] offset:512
	flat_load_b64 v[48:49], v[64:65] offset:512
	s_and_saveexec_b32 s49, s4
	s_cbranch_execz .LBB305_23
; %bb.29:                               ;   in Loop: Header=BB305_26 Depth=2
	flat_load_b64 v[62:63], v[70:71] offset:1024
	flat_load_b64 v[60:61], v[68:69] offset:1024
	flat_load_b64 v[58:59], v[66:67] offset:1024
	flat_load_b64 v[56:57], v[64:65] offset:1024
	;; [unrolled: 7-line block ×3, first 2 shown]
	s_wait_loadcnt_dscnt 0x101
	v_dual_mul_f32 v86, v41, v69 :: v_dual_mul_f32 v87, v35, v67
	v_mul_f32_e32 v69, v40, v69
	s_delay_alu instid0(VALU_DEP_2) | instskip(SKIP_2) | instid1(VALU_DEP_4)
	v_fma_f32 v86, v40, v68, -v86
	v_mul_f32_e32 v85, v45, v71
	v_mul_f32_e32 v71, v44, v71
	v_fmac_f32_e32 v69, v41, v68
	v_fma_f32 v68, v34, v66, -v87
	s_delay_alu instid0(VALU_DEP_4) | instskip(NEXT) | instid1(VALU_DEP_4)
	v_fma_f32 v85, v44, v70, -v85
	v_fmac_f32_e32 v71, v45, v70
	s_wait_loadcnt_dscnt 0x0
	v_mul_f32_e32 v70, v33, v65
	v_mul_f32_e32 v65, v32, v65
	s_delay_alu instid0(VALU_DEP_3) | instskip(NEXT) | instid1(VALU_DEP_1)
	v_dual_add_f32 v18, v18, v85 :: v_dual_add_f32 v19, v19, v71
	v_dual_fmac_f32 v65, v33, v64 :: v_dual_add_f32 v18, v86, v18
	v_mul_f32_e32 v67, v34, v67
	s_delay_alu instid0(VALU_DEP_2) | instskip(NEXT) | instid1(VALU_DEP_2)
	v_dual_add_f32 v19, v69, v19 :: v_dual_add_f32 v18, v68, v18
	v_fmac_f32_e32 v67, v35, v66
	v_fma_f32 v66, v32, v64, -v70
	s_delay_alu instid0(VALU_DEP_1) | instskip(NEXT) | instid1(VALU_DEP_1)
	v_dual_add_f32 v19, v67, v19 :: v_dual_add_f32 v18, v66, v18
	v_add_f32_e32 v19, v65, v19
	s_branch .LBB305_22
.LBB305_31:                             ;   in Loop: Header=BB305_5 Depth=1
	s_or_b32 exec_lo, exec_lo, s47
.LBB305_32:                             ;   in Loop: Header=BB305_5 Depth=1
	s_delay_alu instid0(SALU_CYCLE_1) | instskip(NEXT) | instid1(SALU_CYCLE_1)
	s_or_b32 exec_lo, exec_lo, s46
	s_and_not1_b32 vcc_lo, exec_lo, s44
	s_wait_alu 0xfffe
	s_cbranch_vccnz .LBB305_50
; %bb.33:                               ;   in Loop: Header=BB305_5 Depth=1
	v_cmp_gt_i32_e32 vcc_lo, s9, v76
	v_dual_mov_b32 v30, 0 :: v_dual_mov_b32 v31, 0
	v_or_b32_e32 v38, 1, v76
	v_dual_mov_b32 v32, 0 :: v_dual_mov_b32 v33, 0
	v_dual_mov_b32 v34, 0 :: v_dual_mov_b32 v35, 0
	;; [unrolled: 1-line block ×3, first 2 shown]
	s_and_saveexec_b32 s46, vcc_lo
	s_cbranch_execz .LBB305_41
; %bb.34:                               ;   in Loop: Header=BB305_5 Depth=1
	v_mad_co_u64_u32 v[30:31], null, s28, v76, 0
	v_dual_mov_b32 v37, 0 :: v_dual_mov_b32 v36, 0
	v_dual_mov_b32 v35, 0 :: v_dual_mov_b32 v34, 0
	v_mov_b32_e32 v33, 0
	s_mov_b32 s47, exec_lo
	s_delay_alu instid0(VALU_DEP_4) | instskip(SKIP_1) | instid1(VALU_DEP_2)
	v_mad_co_u64_u32 v[31:32], null, s29, v76, v[31:32]
	v_mov_b32_e32 v32, 0
	v_lshlrev_b64_e32 v[30:31], 3, v[30:31]
	s_delay_alu instid0(VALU_DEP_1) | instskip(SKIP_1) | instid1(VALU_DEP_2)
	v_add_co_u32 v30, s7, v28, v30
	s_wait_alu 0xf1ff
	v_add_co_ci_u32_e64 v31, null, v29, v31, s7
	flat_load_b64 v[30:31], v[30:31]
	v_cmpx_gt_i32_e64 s9, v38
	s_cbranch_execz .LBB305_40
; %bb.35:                               ;   in Loop: Header=BB305_5 Depth=1
	v_mad_co_u64_u32 v[32:33], null, s28, v38, 0
	v_or_b32_e32 v39, 2, v76
	v_dual_mov_b32 v37, 0 :: v_dual_mov_b32 v36, 0
	v_mov_b32_e32 v35, 0
	s_mov_b32 s48, exec_lo
	s_delay_alu instid0(VALU_DEP_4) | instskip(SKIP_1) | instid1(VALU_DEP_2)
	v_mad_co_u64_u32 v[33:34], null, s29, v38, v[33:34]
	v_mov_b32_e32 v34, 0
	v_lshlrev_b64_e32 v[32:33], 3, v[32:33]
	s_delay_alu instid0(VALU_DEP_1) | instskip(SKIP_1) | instid1(VALU_DEP_2)
	v_add_co_u32 v32, s7, v28, v32
	s_wait_alu 0xf1ff
	v_add_co_ci_u32_e64 v33, null, v29, v33, s7
	flat_load_b64 v[32:33], v[32:33]
	v_cmpx_gt_i32_e64 s9, v39
	s_cbranch_execz .LBB305_39
; %bb.36:                               ;   in Loop: Header=BB305_5 Depth=1
	v_mad_co_u64_u32 v[34:35], null, s28, v39, 0
	v_mov_b32_e32 v37, 0
	s_mov_b32 s49, exec_lo
	s_delay_alu instid0(VALU_DEP_2) | instskip(SKIP_2) | instid1(VALU_DEP_3)
	v_mad_co_u64_u32 v[35:36], null, s29, v39, v[35:36]
	v_or_b32_e32 v39, 3, v76
	v_mov_b32_e32 v36, 0
	v_lshlrev_b64_e32 v[34:35], 3, v[34:35]
	s_delay_alu instid0(VALU_DEP_1) | instskip(SKIP_1) | instid1(VALU_DEP_2)
	v_add_co_u32 v34, s7, v28, v34
	s_wait_alu 0xf1ff
	v_add_co_ci_u32_e64 v35, null, v29, v35, s7
	flat_load_b64 v[34:35], v[34:35]
	v_cmpx_gt_i32_e64 s9, v39
	s_cbranch_execz .LBB305_38
; %bb.37:                               ;   in Loop: Header=BB305_5 Depth=1
	v_mad_co_u64_u32 v[36:37], null, s28, v39, 0
	s_delay_alu instid0(VALU_DEP_1) | instskip(NEXT) | instid1(VALU_DEP_1)
	v_mad_co_u64_u32 v[39:40], null, s29, v39, v[37:38]
	v_mov_b32_e32 v37, v39
	s_delay_alu instid0(VALU_DEP_1) | instskip(NEXT) | instid1(VALU_DEP_1)
	v_lshlrev_b64_e32 v[36:37], 3, v[36:37]
	v_add_co_u32 v28, s7, v28, v36
	s_wait_alu 0xf1ff
	s_delay_alu instid0(VALU_DEP_2)
	v_add_co_ci_u32_e64 v29, null, v29, v37, s7
	flat_load_b64 v[36:37], v[28:29]
.LBB305_38:                             ;   in Loop: Header=BB305_5 Depth=1
	s_or_b32 exec_lo, exec_lo, s49
.LBB305_39:                             ;   in Loop: Header=BB305_5 Depth=1
	s_delay_alu instid0(SALU_CYCLE_1)
	s_or_b32 exec_lo, exec_lo, s48
.LBB305_40:                             ;   in Loop: Header=BB305_5 Depth=1
	s_delay_alu instid0(SALU_CYCLE_1)
	s_or_b32 exec_lo, exec_lo, s47
.LBB305_41:                             ;   in Loop: Header=BB305_5 Depth=1
	s_delay_alu instid0(SALU_CYCLE_1)
	s_or_b32 exec_lo, exec_lo, s46
	s_and_saveexec_b32 s46, s1
	s_cbranch_execz .LBB305_49
; %bb.42:                               ;   in Loop: Header=BB305_5 Depth=1
	v_or_b32_e32 v47, 2, v76
	v_mad_co_u64_u32 v[28:29], null, s30, v76, 0
	v_mad_co_u64_u32 v[39:40], null, s30, v38, 0
	s_delay_alu instid0(VALU_DEP_3) | instskip(SKIP_4) | instid1(VALU_DEP_4)
	v_mad_co_u64_u32 v[41:42], null, s30, v47, 0
	v_cmp_gt_i32_e64 s7, s9, v38
	v_or_b32_e32 v48, 3, v76
	s_wait_loadcnt_dscnt 0x0
	v_mad_co_u64_u32 v[43:44], null, s31, v76, v[29:30]
	v_dual_mov_b32 v29, v42 :: v_dual_cndmask_b32 v42, 0, v28
	v_mad_co_u64_u32 v[44:45], null, s31, v38, v[40:41]
	s_wait_alu 0xf1ff
	v_cndmask_b32_e64 v28, 0, v39, s7
	s_delay_alu instid0(VALU_DEP_3) | instskip(SKIP_4) | instid1(VALU_DEP_4)
	v_mad_co_u64_u32 v[38:39], null, s31, v47, v[29:30]
	v_cndmask_b32_e32 v43, 0, v43, vcc_lo
	v_mad_co_u64_u32 v[45:46], null, s30, v48, 0
	v_cndmask_b32_e64 v29, 0, v44, s7
	v_cmp_gt_i32_e32 vcc_lo, s9, v47
	v_lshlrev_b64_e32 v[39:40], 3, v[42:43]
	s_delay_alu instid0(VALU_DEP_3) | instskip(SKIP_3) | instid1(VALU_DEP_4)
	v_lshlrev_b64_e32 v[28:29], 3, v[28:29]
	v_mov_b32_e32 v43, v46
	s_wait_alu 0xfffd
	v_cndmask_b32_e32 v41, 0, v41, vcc_lo
	v_add_co_u32 v39, s7, v26, v39
	s_wait_alu 0xf1ff
	v_add_co_ci_u32_e64 v40, null, v27, v40, s7
	v_cndmask_b32_e32 v42, 0, v38, vcc_lo
	s_delay_alu instid0(VALU_DEP_3)
	v_add_co_u32 v60, vcc_lo, v39, v4
	v_mad_co_u64_u32 v[38:39], null, s31, v48, v[43:44]
	s_wait_alu 0xfffd
	v_add_co_ci_u32_e64 v61, null, v40, v5, vcc_lo
	v_cmp_gt_i32_e32 vcc_lo, s9, v48
	v_add_co_u32 v43, s7, v26, v28
	s_wait_alu 0xf1ff
	v_add_co_ci_u32_e64 v44, null, v27, v29, s7
	s_wait_alu 0xfffd
	v_dual_cndmask_b32 v39, 0, v45 :: v_dual_cndmask_b32 v40, 0, v38
	v_lshlrev_b64_e32 v[28:29], 3, v[41:42]
	v_add_co_u32 v62, vcc_lo, v43, v4
	s_wait_alu 0xfffd
	v_add_co_ci_u32_e64 v63, null, v44, v5, vcc_lo
	v_lshlrev_b64_e32 v[38:39], 3, v[39:40]
	s_delay_alu instid0(VALU_DEP_4) | instskip(SKIP_2) | instid1(VALU_DEP_3)
	v_add_co_u32 v28, vcc_lo, v26, v28
	s_wait_alu 0xfffd
	v_add_co_ci_u32_e64 v29, null, v27, v29, vcc_lo
	v_add_co_u32 v26, vcc_lo, v26, v38
	s_wait_alu 0xfffd
	v_add_co_ci_u32_e64 v27, null, v27, v39, vcc_lo
	;; [unrolled: 3-line block ×4, first 2 shown]
	s_clause 0x3
	flat_load_b64 v[40:41], v[60:61]
	flat_load_b64 v[38:39], v[62:63]
	;; [unrolled: 1-line block ×4, first 2 shown]
	s_and_saveexec_b32 s7, s3
	s_cbranch_execz .LBB305_48
; %bb.43:                               ;   in Loop: Header=BB305_5 Depth=1
	s_clause 0x3
	flat_load_b64 v[48:49], v[60:61] offset:512
	flat_load_b64 v[46:47], v[62:63] offset:512
	flat_load_b64 v[44:45], v[64:65] offset:512
	flat_load_b64 v[42:43], v[58:59] offset:512
	s_and_saveexec_b32 s47, s4
	s_cbranch_execz .LBB305_47
; %bb.44:                               ;   in Loop: Header=BB305_5 Depth=1
	s_clause 0x3
	flat_load_b64 v[56:57], v[60:61] offset:1024
	flat_load_b64 v[54:55], v[62:63] offset:1024
	flat_load_b64 v[52:53], v[64:65] offset:1024
	flat_load_b64 v[50:51], v[58:59] offset:1024
	;; [unrolled: 8-line block ×3, first 2 shown]
	s_wait_loadcnt_dscnt 0x202
	v_dual_mul_f32 v66, v31, v61 :: v_dual_mul_f32 v67, v33, v63
	v_mul_f32_e32 v61, v30, v61
	s_wait_loadcnt_dscnt 0x101
	v_dual_mul_f32 v63, v32, v63 :: v_dual_mul_f32 v68, v35, v65
	s_delay_alu instid0(VALU_DEP_3)
	v_fma_f32 v66, v30, v60, -v66
	v_fma_f32 v67, v32, v62, -v67
	s_wait_loadcnt_dscnt 0x0
	v_dual_fmac_f32 v61, v31, v60 :: v_dual_mul_f32 v60, v37, v59
	v_fmac_f32_e32 v63, v33, v62
	v_add_f32_e32 v18, v18, v66
	v_mul_f32_e32 v65, v34, v65
	v_mul_f32_e32 v59, v36, v59
	v_fma_f32 v60, v36, v58, -v60
	s_delay_alu instid0(VALU_DEP_4) | instskip(SKIP_3) | instid1(VALU_DEP_2)
	v_add_f32_e32 v18, v67, v18
	v_add_f32_e32 v19, v19, v61
	v_fma_f32 v61, v34, v64, -v68
	v_fmac_f32_e32 v59, v37, v58
	v_dual_add_f32 v18, v61, v18 :: v_dual_fmac_f32 v65, v35, v64
	s_delay_alu instid0(VALU_DEP_1) | instskip(NEXT) | instid1(VALU_DEP_1)
	v_dual_add_f32 v19, v63, v19 :: v_dual_add_f32 v18, v60, v18
	v_add_f32_e32 v19, v65, v19
	s_delay_alu instid0(VALU_DEP_1)
	v_add_f32_e32 v19, v59, v19
.LBB305_46:                             ;   in Loop: Header=BB305_5 Depth=1
	s_or_b32 exec_lo, exec_lo, s48
	s_wait_loadcnt_dscnt 0x202
	v_dual_mul_f32 v58, v31, v57 :: v_dual_mul_f32 v59, v33, v55
	v_mul_f32_e32 v57, v30, v57
	s_wait_loadcnt_dscnt 0x101
	v_dual_mul_f32 v55, v32, v55 :: v_dual_mul_f32 v60, v35, v53
	s_delay_alu instid0(VALU_DEP_3)
	v_fma_f32 v58, v30, v56, -v58
	v_mul_f32_e32 v53, v34, v53
	v_fmac_f32_e32 v57, v31, v56
	v_fma_f32 v59, v32, v54, -v59
	s_wait_loadcnt_dscnt 0x0
	v_mul_f32_e32 v56, v37, v51
	v_add_f32_e32 v20, v20, v58
	v_fmac_f32_e32 v55, v33, v54
	v_fma_f32 v54, v34, v52, -v60
	v_mul_f32_e32 v51, v36, v51
	v_fmac_f32_e32 v53, v35, v52
	v_dual_add_f32 v20, v59, v20 :: v_dual_add_f32 v21, v21, v57
	v_fma_f32 v52, v36, v50, -v56
	s_delay_alu instid0(VALU_DEP_2) | instskip(NEXT) | instid1(VALU_DEP_1)
	v_dual_fmac_f32 v51, v37, v50 :: v_dual_add_f32 v20, v54, v20
	v_dual_add_f32 v21, v55, v21 :: v_dual_add_f32 v20, v52, v20
	s_delay_alu instid0(VALU_DEP_1) | instskip(NEXT) | instid1(VALU_DEP_1)
	v_add_f32_e32 v21, v53, v21
	v_add_f32_e32 v21, v51, v21
.LBB305_47:                             ;   in Loop: Header=BB305_5 Depth=1
	s_or_b32 exec_lo, exec_lo, s47
	s_wait_loadcnt_dscnt 0x202
	v_dual_mul_f32 v50, v31, v49 :: v_dual_mul_f32 v51, v33, v47
	v_mul_f32_e32 v49, v30, v49
	s_wait_loadcnt_dscnt 0x101
	v_dual_mul_f32 v47, v32, v47 :: v_dual_mul_f32 v52, v35, v45
	s_delay_alu instid0(VALU_DEP_3)
	v_fma_f32 v50, v30, v48, -v50
	v_fma_f32 v51, v32, v46, -v51
	s_wait_loadcnt_dscnt 0x0
	v_dual_fmac_f32 v49, v31, v48 :: v_dual_mul_f32 v48, v37, v43
	v_fmac_f32_e32 v47, v33, v46
	v_add_f32_e32 v22, v22, v50
	v_mul_f32_e32 v45, v34, v45
	v_fma_f32 v46, v34, v44, -v52
	s_delay_alu instid0(VALU_DEP_3) | instskip(SKIP_1) | instid1(VALU_DEP_2)
	v_dual_mul_f32 v43, v36, v43 :: v_dual_add_f32 v22, v51, v22
	v_add_f32_e32 v23, v23, v49
	v_fmac_f32_e32 v43, v37, v42
	s_delay_alu instid0(VALU_DEP_3) | instskip(NEXT) | instid1(VALU_DEP_3)
	v_dual_add_f32 v22, v46, v22 :: v_dual_fmac_f32 v45, v35, v44
	v_add_f32_e32 v23, v47, v23
	v_fma_f32 v44, v36, v42, -v48
	s_delay_alu instid0(VALU_DEP_1) | instskip(NEXT) | instid1(VALU_DEP_1)
	v_dual_add_f32 v22, v44, v22 :: v_dual_add_f32 v23, v45, v23
	v_add_f32_e32 v23, v43, v23
.LBB305_48:                             ;   in Loop: Header=BB305_5 Depth=1
	s_wait_alu 0xfffe
	s_or_b32 exec_lo, exec_lo, s7
	s_wait_loadcnt_dscnt 0x202
	v_dual_mul_f32 v42, v31, v41 :: v_dual_mul_f32 v43, v33, v39
	v_mul_f32_e32 v41, v30, v41
	s_wait_loadcnt_dscnt 0x101
	v_dual_mul_f32 v39, v32, v39 :: v_dual_mul_f32 v44, v35, v29
	s_delay_alu instid0(VALU_DEP_3) | instskip(SKIP_1) | instid1(VALU_DEP_2)
	v_fma_f32 v30, v30, v40, -v42
	v_fma_f32 v32, v32, v38, -v43
	v_dual_add_f32 v24, v24, v30 :: v_dual_mul_f32 v29, v34, v29
	v_fmac_f32_e32 v41, v31, v40
	v_fma_f32 v30, v34, v28, -v44
	s_wait_loadcnt_dscnt 0x0
	s_delay_alu instid0(VALU_DEP_3) | instskip(NEXT) | instid1(VALU_DEP_3)
	v_dual_add_f32 v24, v32, v24 :: v_dual_mul_f32 v31, v37, v27
	v_add_f32_e32 v25, v25, v41
	v_fmac_f32_e32 v29, v35, v28
	s_delay_alu instid0(VALU_DEP_3) | instskip(NEXT) | instid1(VALU_DEP_4)
	v_dual_mul_f32 v27, v36, v27 :: v_dual_add_f32 v24, v30, v24
	v_fma_f32 v28, v36, v26, -v31
	v_fmac_f32_e32 v39, v33, v38
	s_delay_alu instid0(VALU_DEP_2) | instskip(NEXT) | instid1(VALU_DEP_2)
	v_dual_fmac_f32 v27, v37, v26 :: v_dual_add_f32 v24, v28, v24
	v_add_f32_e32 v25, v39, v25
	s_delay_alu instid0(VALU_DEP_1) | instskip(NEXT) | instid1(VALU_DEP_1)
	v_add_f32_e32 v25, v29, v25
	v_add_f32_e32 v25, v27, v25
.LBB305_49:                             ;   in Loop: Header=BB305_5 Depth=1
	s_or_b32 exec_lo, exec_lo, s46
.LBB305_50:                             ;   in Loop: Header=BB305_5 Depth=1
	ds_store_2addr_stride64_b64 v73, v[24:25], v[22:23] offset1:1
	ds_store_2addr_stride64_b64 v73, v[20:21], v[18:19] offset0:2 offset1:3
	s_wait_storecnt 0x0
	s_wait_loadcnt_dscnt 0x0
	s_barrier_signal -1
	s_barrier_wait -1
	global_inv scope:SCOPE_SE
	s_and_saveexec_b32 s7, s0
	s_cbranch_execz .LBB305_3
; %bb.51:                               ;   in Loop: Header=BB305_5 Depth=1
	ds_load_2addr_stride64_b64 v[18:21], v74 offset1:4
	ds_load_2addr_stride64_b64 v[22:25], v74 offset0:8 offset1:12
	ds_load_2addr_stride64_b64 v[26:29], v74 offset0:16 offset1:20
	s_wait_dscnt 0x2
	v_dual_add_f32 v30, v18, v20 :: v_dual_add_f32 v31, v19, v21
	ds_load_2addr_stride64_b64 v[18:21], v74 offset0:24 offset1:28
	s_wait_dscnt 0x2
	v_dual_add_f32 v22, v30, v22 :: v_dual_add_f32 v23, v31, v23
	s_delay_alu instid0(VALU_DEP_1) | instskip(SKIP_3) | instid1(VALU_DEP_1)
	v_dual_add_f32 v30, v22, v24 :: v_dual_add_f32 v31, v23, v25
	ds_load_2addr_stride64_b64 v[22:25], v74 offset0:32 offset1:36
	s_wait_dscnt 0x2
	v_dual_add_f32 v26, v30, v26 :: v_dual_add_f32 v27, v31, v27
	v_dual_add_f32 v30, v26, v28 :: v_dual_add_f32 v31, v27, v29
	ds_load_2addr_stride64_b64 v[26:29], v74 offset0:40 offset1:44
	s_wait_dscnt 0x2
	v_dual_add_f32 v18, v30, v18 :: v_dual_add_f32 v19, v31, v19
	s_delay_alu instid0(VALU_DEP_1) | instskip(SKIP_3) | instid1(VALU_DEP_1)
	v_dual_add_f32 v30, v18, v20 :: v_dual_add_f32 v31, v19, v21
	ds_load_2addr_stride64_b64 v[18:21], v74 offset0:48 offset1:52
	s_wait_dscnt 0x2
	v_dual_add_f32 v22, v30, v22 :: v_dual_add_f32 v23, v31, v23
	v_dual_add_f32 v30, v22, v24 :: v_dual_add_f32 v31, v23, v25
	ds_load_2addr_stride64_b64 v[22:25], v74 offset0:56 offset1:60
	s_wait_dscnt 0x2
	v_dual_add_f32 v26, v30, v26 :: v_dual_add_f32 v27, v31, v27
	s_delay_alu instid0(VALU_DEP_1) | instskip(SKIP_1) | instid1(VALU_DEP_1)
	v_dual_add_f32 v26, v26, v28 :: v_dual_add_f32 v27, v27, v29
	s_wait_dscnt 0x1
	v_dual_add_f32 v18, v26, v18 :: v_dual_add_f32 v19, v27, v19
	s_delay_alu instid0(VALU_DEP_1) | instskip(SKIP_1) | instid1(VALU_DEP_1)
	v_dual_add_f32 v18, v18, v20 :: v_dual_add_f32 v19, v19, v21
	s_wait_dscnt 0x0
	v_dual_add_f32 v18, v18, v22 :: v_dual_add_f32 v19, v19, v23
	s_delay_alu instid0(VALU_DEP_1)
	v_dual_add_f32 v20, v18, v24 :: v_dual_add_f32 v21, v19, v25
	ds_store_b64 v74, v[20:21]
	s_and_b32 exec_lo, exec_lo, s2
	s_cbranch_execz .LBB305_3
; %bb.52:                               ;   in Loop: Header=BB305_5 Depth=1
	v_mul_f32_e32 v19, s10, v21
	v_mul_f32_e32 v18, s11, v21
	s_and_not1_b32 vcc_lo, exec_lo, s42
	s_delay_alu instid0(VALU_DEP_2) | instskip(NEXT) | instid1(VALU_DEP_2)
	v_fmac_f32_e32 v19, s11, v20
	v_fma_f32 v18, v20, s10, -v18
	s_wait_alu 0xfffe
	s_cbranch_vccnz .LBB305_2
; %bb.53:                               ;   in Loop: Header=BB305_5 Depth=1
	v_add_co_u32 v20, vcc_lo, v0, v16
	s_wait_alu 0xfffd
	v_add_co_ci_u32_e64 v21, null, v75, v17, vcc_lo
	flat_load_b64 v[20:21], v[20:21]
	s_wait_loadcnt_dscnt 0x0
	v_mul_f32_e32 v22, s27, v21
	v_mul_f32_e32 v21, s26, v21
	s_delay_alu instid0(VALU_DEP_1) | instskip(NEXT) | instid1(VALU_DEP_3)
	v_fmac_f32_e32 v21, s27, v20
	v_fma_f32 v22, s26, v20, -v22
	s_delay_alu instid0(VALU_DEP_1)
	v_dual_add_f32 v19, v19, v21 :: v_dual_add_f32 v18, v18, v22
	s_branch .LBB305_2
.LBB305_54:
	s_endpgm
	.section	.rodata,"a",@progbits
	.p2align	6, 0x0
	.amdhsa_kernel _ZL20rocblas_gemvn_kernelILi64ELi16ElPK19rocblas_complex_numIfES1_KPS1_EviiT3_lPKT2_lT1_lS9_lSA_lS6_lPT4_lSA_li
		.amdhsa_group_segment_fixed_size 32768
		.amdhsa_private_segment_fixed_size 0
		.amdhsa_kernarg_size 400
		.amdhsa_user_sgpr_count 2
		.amdhsa_user_sgpr_dispatch_ptr 0
		.amdhsa_user_sgpr_queue_ptr 0
		.amdhsa_user_sgpr_kernarg_segment_ptr 1
		.amdhsa_user_sgpr_dispatch_id 0
		.amdhsa_user_sgpr_private_segment_size 0
		.amdhsa_wavefront_size32 1
		.amdhsa_uses_dynamic_stack 0
		.amdhsa_enable_private_segment 0
		.amdhsa_system_sgpr_workgroup_id_x 1
		.amdhsa_system_sgpr_workgroup_id_y 0
		.amdhsa_system_sgpr_workgroup_id_z 1
		.amdhsa_system_sgpr_workgroup_info 0
		.amdhsa_system_vgpr_workitem_id 1
		.amdhsa_next_free_vgpr 88
		.amdhsa_next_free_sgpr 51
		.amdhsa_reserve_vcc 1
		.amdhsa_float_round_mode_32 0
		.amdhsa_float_round_mode_16_64 0
		.amdhsa_float_denorm_mode_32 3
		.amdhsa_float_denorm_mode_16_64 3
		.amdhsa_fp16_overflow 0
		.amdhsa_workgroup_processor_mode 1
		.amdhsa_memory_ordered 1
		.amdhsa_forward_progress 1
		.amdhsa_inst_pref_size 36
		.amdhsa_round_robin_scheduling 0
		.amdhsa_exception_fp_ieee_invalid_op 0
		.amdhsa_exception_fp_denorm_src 0
		.amdhsa_exception_fp_ieee_div_zero 0
		.amdhsa_exception_fp_ieee_overflow 0
		.amdhsa_exception_fp_ieee_underflow 0
		.amdhsa_exception_fp_ieee_inexact 0
		.amdhsa_exception_int_div_zero 0
	.end_amdhsa_kernel
	.section	.text._ZL20rocblas_gemvn_kernelILi64ELi16ElPK19rocblas_complex_numIfES1_KPS1_EviiT3_lPKT2_lT1_lS9_lSA_lS6_lPT4_lSA_li,"axG",@progbits,_ZL20rocblas_gemvn_kernelILi64ELi16ElPK19rocblas_complex_numIfES1_KPS1_EviiT3_lPKT2_lT1_lS9_lSA_lS6_lPT4_lSA_li,comdat
.Lfunc_end305:
	.size	_ZL20rocblas_gemvn_kernelILi64ELi16ElPK19rocblas_complex_numIfES1_KPS1_EviiT3_lPKT2_lT1_lS9_lSA_lS6_lPT4_lSA_li, .Lfunc_end305-_ZL20rocblas_gemvn_kernelILi64ELi16ElPK19rocblas_complex_numIfES1_KPS1_EviiT3_lPKT2_lT1_lS9_lSA_lS6_lPT4_lSA_li
                                        ; -- End function
	.set _ZL20rocblas_gemvn_kernelILi64ELi16ElPK19rocblas_complex_numIfES1_KPS1_EviiT3_lPKT2_lT1_lS9_lSA_lS6_lPT4_lSA_li.num_vgpr, 88
	.set _ZL20rocblas_gemvn_kernelILi64ELi16ElPK19rocblas_complex_numIfES1_KPS1_EviiT3_lPKT2_lT1_lS9_lSA_lS6_lPT4_lSA_li.num_agpr, 0
	.set _ZL20rocblas_gemvn_kernelILi64ELi16ElPK19rocblas_complex_numIfES1_KPS1_EviiT3_lPKT2_lT1_lS9_lSA_lS6_lPT4_lSA_li.numbered_sgpr, 51
	.set _ZL20rocblas_gemvn_kernelILi64ELi16ElPK19rocblas_complex_numIfES1_KPS1_EviiT3_lPKT2_lT1_lS9_lSA_lS6_lPT4_lSA_li.num_named_barrier, 0
	.set _ZL20rocblas_gemvn_kernelILi64ELi16ElPK19rocblas_complex_numIfES1_KPS1_EviiT3_lPKT2_lT1_lS9_lSA_lS6_lPT4_lSA_li.private_seg_size, 0
	.set _ZL20rocblas_gemvn_kernelILi64ELi16ElPK19rocblas_complex_numIfES1_KPS1_EviiT3_lPKT2_lT1_lS9_lSA_lS6_lPT4_lSA_li.uses_vcc, 1
	.set _ZL20rocblas_gemvn_kernelILi64ELi16ElPK19rocblas_complex_numIfES1_KPS1_EviiT3_lPKT2_lT1_lS9_lSA_lS6_lPT4_lSA_li.uses_flat_scratch, 1
	.set _ZL20rocblas_gemvn_kernelILi64ELi16ElPK19rocblas_complex_numIfES1_KPS1_EviiT3_lPKT2_lT1_lS9_lSA_lS6_lPT4_lSA_li.has_dyn_sized_stack, 0
	.set _ZL20rocblas_gemvn_kernelILi64ELi16ElPK19rocblas_complex_numIfES1_KPS1_EviiT3_lPKT2_lT1_lS9_lSA_lS6_lPT4_lSA_li.has_recursion, 0
	.set _ZL20rocblas_gemvn_kernelILi64ELi16ElPK19rocblas_complex_numIfES1_KPS1_EviiT3_lPKT2_lT1_lS9_lSA_lS6_lPT4_lSA_li.has_indirect_call, 0
	.section	.AMDGPU.csdata,"",@progbits
; Kernel info:
; codeLenInByte = 4540
; TotalNumSgprs: 53
; NumVgprs: 88
; ScratchSize: 0
; MemoryBound: 0
; FloatMode: 240
; IeeeMode: 1
; LDSByteSize: 32768 bytes/workgroup (compile time only)
; SGPRBlocks: 0
; VGPRBlocks: 10
; NumSGPRsForWavesPerEU: 53
; NumVGPRsForWavesPerEU: 88
; Occupancy: 16
; WaveLimiterHint : 1
; COMPUTE_PGM_RSRC2:SCRATCH_EN: 0
; COMPUTE_PGM_RSRC2:USER_SGPR: 2
; COMPUTE_PGM_RSRC2:TRAP_HANDLER: 0
; COMPUTE_PGM_RSRC2:TGID_X_EN: 1
; COMPUTE_PGM_RSRC2:TGID_Y_EN: 0
; COMPUTE_PGM_RSRC2:TGID_Z_EN: 1
; COMPUTE_PGM_RSRC2:TIDIG_COMP_CNT: 1
	.section	.text._ZL22rocblas_gemvtsm_kernelILb0ELi256EPK19rocblas_complex_numIfES3_KPS1_EviiT2_lPKT1_lilS9_lilS6_lPT3_lil,"axG",@progbits,_ZL22rocblas_gemvtsm_kernelILb0ELi256EPK19rocblas_complex_numIfES3_KPS1_EviiT2_lPKT1_lilS9_lilS6_lPT3_lil,comdat
	.globl	_ZL22rocblas_gemvtsm_kernelILb0ELi256EPK19rocblas_complex_numIfES3_KPS1_EviiT2_lPKT1_lilS9_lilS6_lPT3_lil ; -- Begin function _ZL22rocblas_gemvtsm_kernelILb0ELi256EPK19rocblas_complex_numIfES3_KPS1_EviiT2_lPKT1_lilS9_lilS6_lPT3_lil
	.p2align	8
	.type	_ZL22rocblas_gemvtsm_kernelILb0ELi256EPK19rocblas_complex_numIfES3_KPS1_EviiT2_lPKT1_lilS9_lilS6_lPT3_lil,@function
_ZL22rocblas_gemvtsm_kernelILb0ELi256EPK19rocblas_complex_numIfES3_KPS1_EviiT2_lPKT1_lilS9_lilS6_lPT3_lil: ; @_ZL22rocblas_gemvtsm_kernelILb0ELi256EPK19rocblas_complex_numIfES3_KPS1_EviiT2_lPKT1_lilS9_lilS6_lPT3_lil
; %bb.0:
	s_clause 0x1
	s_load_b256 s[12:19], s[0:1], 0x8
	s_load_b256 s[4:11], s[0:1], 0x58
	s_mov_b32 s22, ttmp9
	s_mov_b32 s23, 0
	s_wait_kmcnt 0x0
	s_mul_u64 s[2:3], s[14:15], s[22:23]
	s_delay_alu instid0(SALU_CYCLE_1) | instskip(NEXT) | instid1(SALU_CYCLE_1)
	s_lshl_b64 s[2:3], s[2:3], 3
	s_add_nc_u64 s[2:3], s[12:13], s[2:3]
	s_load_b64 s[14:15], s[2:3], 0x0
	s_mul_u64 s[2:3], s[6:7], s[22:23]
	s_delay_alu instid0(SALU_CYCLE_1) | instskip(NEXT) | instid1(SALU_CYCLE_1)
	s_lshl_b64 s[2:3], s[2:3], 3
	s_add_nc_u64 s[2:3], s[4:5], s[2:3]
	s_load_b64 s[2:3], s[2:3], 0x0
	s_wait_kmcnt 0x0
	s_cmp_neq_f32 s14, 0
	s_cselect_b32 s4, -1, 0
	s_cmp_neq_f32 s15, 0
	s_cselect_b32 s5, -1, 0
	s_delay_alu instid0(SALU_CYCLE_1) | instskip(NEXT) | instid1(SALU_CYCLE_1)
	s_or_b32 s4, s4, s5
	s_and_b32 vcc_lo, exec_lo, s4
	s_mov_b32 s4, -1
	s_cbranch_vccnz .LBB306_2
; %bb.1:
	s_cmp_neq_f32 s2, 1.0
	s_cselect_b32 s4, -1, 0
	s_cmp_neq_f32 s3, 0
	s_cselect_b32 s5, -1, 0
	s_delay_alu instid0(SALU_CYCLE_1)
	s_or_b32 s4, s4, s5
.LBB306_2:
	s_delay_alu instid0(SALU_CYCLE_1)
	s_and_not1_b32 vcc_lo, exec_lo, s4
	s_cbranch_vccnz .LBB306_40
; %bb.3:
	s_or_b32 s4, s14, s15
	s_mov_b64 s[20:21], 0
	s_and_b32 s5, s4, 0x7fffffff
	s_mov_b64 s[12:13], 0
	s_cmp_lg_u32 s5, 0
	s_cselect_b32 s4, -1, 0
	s_cmp_eq_u32 s5, 0
	s_cselect_b32 s7, -1, 0
	s_delay_alu instid0(SALU_CYCLE_1)
	s_and_b32 vcc_lo, exec_lo, s7
	s_cbranch_vccnz .LBB306_5
; %bb.4:
	s_lshl_b64 s[12:13], s[22:23], 3
	s_delay_alu instid0(SALU_CYCLE_1)
	s_add_nc_u64 s[12:13], s[16:17], s[12:13]
	s_lshl_b64 s[16:17], s[18:19], 3
	s_load_b64 s[12:13], s[12:13], 0x0
	s_wait_kmcnt 0x0
	s_add_nc_u64 s[12:13], s[12:13], s[16:17]
.LBB306_5:
	s_and_not1_b32 vcc_lo, exec_lo, s4
	s_cbranch_vccnz .LBB306_7
; %bb.6:
	s_load_b128 s[16:19], s[0:1], 0x38
	s_lshl_b64 s[4:5], s[22:23], 3
	s_wait_kmcnt 0x0
	s_add_nc_u64 s[4:5], s[16:17], s[4:5]
	s_lshl_b64 s[16:17], s[18:19], 3
	s_load_b64 s[4:5], s[4:5], 0x0
	s_wait_kmcnt 0x0
	s_add_nc_u64 s[20:21], s[4:5], s[16:17]
.LBB306_7:
	s_lshl_b64 s[4:5], s[22:23], 3
	s_and_not1_b32 vcc_lo, exec_lo, s7
	s_add_nc_u64 s[8:9], s[8:9], s[4:5]
	s_clause 0x1
	s_load_b64 s[4:5], s[0:1], 0x0
	s_load_b32 s6, s[0:1], 0x78
	s_load_b64 s[8:9], s[8:9], 0x0
	s_mov_b32 s7, -1
	s_cbranch_vccnz .LBB306_22
; %bb.8:
	s_cmp_neq_f32 s2, 0
	s_cselect_b32 s7, -1, 0
	s_cmp_neq_f32 s3, 0
	s_cselect_b32 s16, -1, 0
	s_delay_alu instid0(SALU_CYCLE_1)
	s_or_b32 s7, s7, s16
	s_wait_kmcnt 0x0
	s_cmp_gt_i32 s5, 0
	s_cselect_b32 s18, -1, 0
	s_and_b32 vcc_lo, exec_lo, s7
	s_mov_b32 s7, -1
	s_cbranch_vccnz .LBB306_15
; %bb.9:
	s_and_not1_b32 vcc_lo, exec_lo, s18
	s_cbranch_vccnz .LBB306_14
; %bb.10:
	v_mad_co_i64_i32 v[1:2], null, s6, v0, 0
	s_lshl_b64 s[16:17], s[10:11], 3
	v_mov_b32_e32 v3, 0
	s_add_nc_u64 s[16:17], s[8:9], s[16:17]
	s_ashr_i32 s7, s6, 31
	v_lshlrev_b64_e32 v[1:2], 3, v[1:2]
	s_delay_alu instid0(VALU_DEP_1) | instskip(NEXT) | instid1(VALU_DEP_1)
	v_add_co_u32 v1, vcc_lo, s16, v1
	v_add_co_ci_u32_e64 v2, null, s17, v2, vcc_lo
	s_wait_alu 0xfffe
	s_lshl_b64 s[16:17], s[6:7], 11
	s_delay_alu instid0(VALU_DEP_2)
	v_add_co_u32 v1, vcc_lo, v1, 4
	s_wait_alu 0xfffd
	v_add_co_ci_u32_e64 v2, null, 0, v2, vcc_lo
	s_mov_b32 s7, 0
	s_branch .LBB306_12
.LBB306_11:                             ;   in Loop: Header=BB306_12 Depth=1
	s_or_b32 exec_lo, exec_lo, s19
	v_add_co_u32 v1, vcc_lo, v1, s16
	s_wait_alu 0xfffd
	v_add_co_ci_u32_e64 v2, null, s17, v2, vcc_lo
	s_addk_co_i32 s7, 0x100
	s_wait_alu 0xfffe
	s_cmp_ge_i32 s7, s5
	s_cbranch_scc1 .LBB306_14
.LBB306_12:                             ; =>This Inner Loop Header: Depth=1
	s_wait_alu 0xfffe
	v_add_nc_u32_e32 v4, s7, v0
	s_mov_b32 s19, exec_lo
	s_delay_alu instid0(VALU_DEP_1)
	v_cmpx_gt_i32_e64 s5, v4
	s_cbranch_execz .LBB306_11
; %bb.13:                               ;   in Loop: Header=BB306_12 Depth=1
	v_mov_b32_e32 v4, v3
	flat_store_b64 v[1:2], v[3:4] offset:-4
	s_branch .LBB306_11
.LBB306_14:
	s_mov_b32 s7, 0
.LBB306_15:
	s_wait_alu 0xfffe
	s_and_not1_b32 vcc_lo, exec_lo, s7
	s_wait_alu 0xfffe
	s_cbranch_vccnz .LBB306_21
; %bb.16:
	s_and_not1_b32 vcc_lo, exec_lo, s18
	s_wait_alu 0xfffe
	s_cbranch_vccnz .LBB306_21
; %bb.17:
	v_mad_co_i64_i32 v[1:2], null, s6, v0, 0
	s_lshl_b64 s[16:17], s[10:11], 3
	s_ashr_i32 s7, s6, 31
	s_wait_alu 0xfffe
	s_add_nc_u64 s[16:17], s[8:9], s[16:17]
	v_lshlrev_b64_e32 v[1:2], 3, v[1:2]
	s_wait_alu 0xfffe
	s_delay_alu instid0(VALU_DEP_1) | instskip(SKIP_1) | instid1(VALU_DEP_2)
	v_add_co_u32 v1, vcc_lo, s16, v1
	s_wait_alu 0xfffd
	v_add_co_ci_u32_e64 v2, null, s17, v2, vcc_lo
	s_lshl_b64 s[16:17], s[6:7], 11
	v_add_co_u32 v1, vcc_lo, v1, 4
	s_wait_alu 0xfffd
	v_add_co_ci_u32_e64 v2, null, 0, v2, vcc_lo
	s_mov_b32 s7, 0
	s_branch .LBB306_19
.LBB306_18:                             ;   in Loop: Header=BB306_19 Depth=1
	s_or_b32 exec_lo, exec_lo, s18
	v_add_co_u32 v1, vcc_lo, v1, s16
	s_wait_alu 0xfffd
	v_add_co_ci_u32_e64 v2, null, s17, v2, vcc_lo
	s_addk_co_i32 s7, 0x100
	s_wait_alu 0xfffe
	s_cmp_ge_i32 s7, s5
	s_cbranch_scc1 .LBB306_21
.LBB306_19:                             ; =>This Inner Loop Header: Depth=1
	s_wait_alu 0xfffe
	v_add_nc_u32_e32 v3, s7, v0
	s_mov_b32 s18, exec_lo
	s_delay_alu instid0(VALU_DEP_1)
	v_cmpx_gt_i32_e64 s5, v3
	s_cbranch_execz .LBB306_18
; %bb.20:                               ;   in Loop: Header=BB306_19 Depth=1
	flat_load_b64 v[3:4], v[1:2] offset:-4
	s_wait_loadcnt_dscnt 0x0
	v_mul_f32_e32 v5, s2, v4
	s_delay_alu instid0(VALU_DEP_1) | instskip(NEXT) | instid1(VALU_DEP_1)
	v_dual_mul_f32 v6, s3, v4 :: v_dual_fmac_f32 v5, s3, v3
	v_fma_f32 v4, s2, v3, -v6
	flat_store_b64 v[1:2], v[4:5] offset:-4
	s_branch .LBB306_18
.LBB306_21:
	s_mov_b32 s7, 0
.LBB306_22:
	s_wait_alu 0xfffe
	s_and_not1_b32 vcc_lo, exec_lo, s7
	s_wait_alu 0xfffe
	s_cbranch_vccnz .LBB306_40
; %bb.23:
	s_mov_b32 s7, exec_lo
	s_wait_kmcnt 0x0
	v_cmpx_gt_i32_e64 s4, v0
	s_cbranch_execz .LBB306_25
; %bb.24:
	s_load_b32 s16, s[0:1], 0x48
	s_wait_kmcnt 0x0
	v_mad_co_i64_i32 v[1:2], null, s16, v0, 0
	s_delay_alu instid0(VALU_DEP_1) | instskip(NEXT) | instid1(VALU_DEP_1)
	v_lshlrev_b64_e32 v[1:2], 3, v[1:2]
	v_add_co_u32 v1, vcc_lo, s20, v1
	s_wait_alu 0xfffd
	s_delay_alu instid0(VALU_DEP_2) | instskip(SKIP_3) | instid1(VALU_DEP_1)
	v_add_co_ci_u32_e64 v2, null, s21, v2, vcc_lo
	flat_load_b64 v[1:2], v[1:2]
	s_wait_loadcnt_dscnt 0x0
	v_mul_f32_e32 v3, s14, v2
	v_dual_mul_f32 v4, s15, v2 :: v_dual_fmac_f32 v3, s15, v1
	s_delay_alu instid0(VALU_DEP_1)
	v_fma_f32 v2, v1, s14, -v4
	v_lshlrev_b32_e32 v1, 3, v0
	ds_store_b64 v1, v[2:3]
.LBB306_25:
	s_wait_alu 0xfffe
	s_or_b32 exec_lo, exec_lo, s7
	s_cmp_lt_i32 s5, 1
	s_wait_storecnt_dscnt 0x0
	s_barrier_signal -1
	s_barrier_wait -1
	global_inv scope:SCOPE_SE
	s_cbranch_scc1 .LBB306_40
; %bb.26:
	s_load_b32 s18, s[0:1], 0x28
	s_lshl_b64 s[10:11], s[10:11], 3
	s_ashr_i32 s7, s6, 31
	s_add_nc_u64 s[8:9], s[8:9], s[10:11]
	s_mov_b32 s1, 0
	s_wait_kmcnt 0x0
	v_mad_co_i64_i32 v[1:2], null, s18, v0, 0
	s_ashr_i32 s19, s18, 31
	s_cmp_neq_f32 s2, 0
	s_cselect_b32 s0, -1, 0
	v_lshlrev_b64_e32 v[1:2], 3, v[1:2]
	s_cmp_neq_f32 s3, 0
	s_cselect_b32 s10, -1, 0
	s_delay_alu instid0(VALU_DEP_1)
	v_add_co_u32 v9, vcc_lo, s12, v1
	s_or_b32 s14, s0, s10
	s_cmp_gt_i32 s4, 0
	s_wait_alu 0xfffd
	v_add_co_ci_u32_e64 v10, null, s13, v2, vcc_lo
	s_cselect_b32 s15, -1, 0
	s_and_b32 s0, s4, 7
	s_cmp_gt_u32 s4, 7
	v_add_co_u32 v1, vcc_lo, v9, 60
	s_cselect_b32 s16, -1, 0
	s_and_b32 s4, s4, 0x7ffffff8
	s_wait_alu 0xfffd
	v_add_co_ci_u32_e64 v2, null, 0, v10, vcc_lo
	s_cmp_lg_u32 s0, 0
	s_cselect_b32 s17, -1, 0
	s_wait_alu 0xfffe
	s_lshl_b64 s[10:11], s[18:19], 11
	s_lshl_b32 s18, s0, 3
	s_mov_b32 s19, 0
	s_branch .LBB306_29
.LBB306_27:                             ;   in Loop: Header=BB306_29 Depth=1
	v_add_co_u32 v3, vcc_lo, s8, v3
	s_wait_alu 0xfffd
	v_add_co_ci_u32_e64 v4, null, s9, v4, vcc_lo
	flat_store_b64 v[3:4], v[5:6]
.LBB306_28:                             ;   in Loop: Header=BB306_29 Depth=1
	s_wait_alu 0xfffe
	s_or_b32 exec_lo, exec_lo, s20
	v_add_co_u32 v1, vcc_lo, v1, s10
	s_wait_alu 0xfffd
	v_add_co_ci_u32_e64 v2, null, s11, v2, vcc_lo
	v_add_co_u32 v9, vcc_lo, v9, s10
	s_wait_alu 0xfffd
	v_add_co_ci_u32_e64 v10, null, s11, v10, vcc_lo
	s_addk_co_i32 s19, 0x100
	s_wait_alu 0xfffe
	s_cmp_ge_i32 s19, s5
	s_cbranch_scc1 .LBB306_40
.LBB306_29:                             ; =>This Loop Header: Depth=1
                                        ;     Child Loop BB306_35 Depth 2
                                        ;     Child Loop BB306_39 Depth 2
	s_wait_alu 0xfffe
	v_add_nc_u32_e32 v3, s19, v0
	s_mov_b32 s20, exec_lo
	s_delay_alu instid0(VALU_DEP_1)
	v_cmpx_gt_i32_e64 s5, v3
	s_cbranch_execz .LBB306_28
; %bb.30:                               ;   in Loop: Header=BB306_29 Depth=1
	v_mad_co_u64_u32 v[6:7], null, v3, s6, 0
	s_and_not1_b32 vcc_lo, exec_lo, s14
	v_mov_b32_e32 v4, v7
	s_delay_alu instid0(VALU_DEP_1) | instskip(SKIP_1) | instid1(VALU_DEP_2)
	v_mad_co_u64_u32 v[3:4], null, v3, s7, v[4:5]
	v_mov_b32_e32 v5, 0
	v_mov_b32_e32 v7, v3
	s_delay_alu instid0(VALU_DEP_1)
	v_lshlrev_b64_e32 v[3:4], 3, v[6:7]
	v_mov_b32_e32 v6, 0
	s_wait_alu 0xfffe
	s_cbranch_vccnz .LBB306_32
; %bb.31:                               ;   in Loop: Header=BB306_29 Depth=1
	s_delay_alu instid0(VALU_DEP_2)
	v_add_co_u32 v5, vcc_lo, s8, v3
	s_wait_alu 0xfffd
	v_add_co_ci_u32_e64 v6, null, s9, v4, vcc_lo
	flat_load_b64 v[7:8], v[5:6]
	s_wait_loadcnt_dscnt 0x0
	v_mul_f32_e32 v6, s2, v8
	s_delay_alu instid0(VALU_DEP_1) | instskip(NEXT) | instid1(VALU_DEP_1)
	v_dual_mul_f32 v5, s3, v8 :: v_dual_fmac_f32 v6, s3, v7
	v_fma_f32 v5, s2, v7, -v5
.LBB306_32:                             ;   in Loop: Header=BB306_29 Depth=1
	s_and_not1_b32 vcc_lo, exec_lo, s15
	s_wait_alu 0xfffe
	s_cbranch_vccnz .LBB306_27
; %bb.33:                               ;   in Loop: Header=BB306_29 Depth=1
	s_and_not1_b32 vcc_lo, exec_lo, s16
	s_mov_b32 s0, 0
	s_wait_alu 0xfffe
	s_cbranch_vccnz .LBB306_37
; %bb.34:                               ;   in Loop: Header=BB306_29 Depth=1
	v_dual_mov_b32 v8, v2 :: v_dual_mov_b32 v7, v1
	s_mov_b32 s12, 0
.LBB306_35:                             ;   Parent Loop BB306_29 Depth=1
                                        ; =>  This Inner Loop Header: Depth=2
	s_clause 0x3
	flat_load_b128 v[11:14], v[7:8] offset:-60
	flat_load_b128 v[15:18], v[7:8] offset:-44
	;; [unrolled: 1-line block ×4, first 2 shown]
	v_mov_b32_e32 v39, s0
	v_add_co_u32 v7, vcc_lo, v7, 64
	s_wait_alu 0xfffd
	v_add_co_ci_u32_e64 v8, null, 0, v8, vcc_lo
	ds_load_b128 v[27:30], v39
	ds_load_b128 v[31:34], v39 offset:16
	ds_load_b128 v[35:38], v39 offset:32
	;; [unrolled: 1-line block ×3, first 2 shown]
	s_wait_alu 0xfffe
	s_add_co_i32 s12, s12, 8
	s_add_co_i32 s0, s0, 64
	s_wait_alu 0xfffe
	s_cmp_eq_u32 s4, s12
	s_wait_loadcnt_dscnt 0x303
	v_dual_mul_f32 v43, v12, v28 :: v_dual_mul_f32 v44, v14, v30
	v_mul_f32_e32 v28, v11, v28
	s_wait_loadcnt_dscnt 0x202
	v_dual_mul_f32 v30, v13, v30 :: v_dual_mul_f32 v45, v16, v32
	s_delay_alu instid0(VALU_DEP_3)
	v_fma_f32 v11, v11, v27, -v43
	v_mul_f32_e32 v32, v15, v32
	v_fmac_f32_e32 v28, v12, v27
	v_fma_f32 v12, v13, v29, -v44
	s_wait_loadcnt_dscnt 0x101
	v_dual_mul_f32 v46, v18, v34 :: v_dual_mul_f32 v47, v20, v36
	v_dual_add_f32 v5, v5, v11 :: v_dual_mul_f32 v48, v22, v38
	v_fma_f32 v11, v15, v31, -v45
	s_wait_loadcnt_dscnt 0x0
	v_dual_mul_f32 v34, v17, v34 :: v_dual_mul_f32 v49, v24, v40
	s_delay_alu instid0(VALU_DEP_3) | instskip(SKIP_2) | instid1(VALU_DEP_4)
	v_add_f32_e32 v5, v5, v12
	v_mul_f32_e32 v36, v19, v36
	v_fma_f32 v12, v17, v33, -v46
	v_fmac_f32_e32 v34, v18, v33
	v_mul_f32_e32 v38, v21, v38
	v_dual_add_f32 v5, v5, v11 :: v_dual_mul_f32 v50, v26, v42
	v_fma_f32 v11, v19, v35, -v47
	v_fmac_f32_e32 v36, v20, v35
	s_delay_alu instid0(VALU_DEP_3) | instskip(SKIP_3) | instid1(VALU_DEP_4)
	v_dual_fmac_f32 v38, v22, v37 :: v_dual_add_f32 v5, v5, v12
	v_mul_f32_e32 v40, v23, v40
	v_fma_f32 v12, v21, v37, -v48
	v_mul_f32_e32 v42, v25, v42
	v_add_f32_e32 v5, v5, v11
	v_fma_f32 v11, v23, v39, -v49
	v_fmac_f32_e32 v40, v24, v39
	s_delay_alu instid0(VALU_DEP_3) | instskip(SKIP_3) | instid1(VALU_DEP_4)
	v_dual_fmac_f32 v42, v26, v41 :: v_dual_add_f32 v5, v5, v12
	v_fmac_f32_e32 v30, v14, v29
	v_add_f32_e32 v6, v6, v28
	v_fma_f32 v12, v25, v41, -v50
	v_add_f32_e32 v5, v5, v11
	v_fmac_f32_e32 v32, v16, v31
	s_delay_alu instid0(VALU_DEP_2) | instskip(NEXT) | instid1(VALU_DEP_1)
	v_dual_add_f32 v6, v6, v30 :: v_dual_add_f32 v5, v5, v12
	v_add_f32_e32 v6, v6, v32
	s_delay_alu instid0(VALU_DEP_1) | instskip(NEXT) | instid1(VALU_DEP_1)
	v_add_f32_e32 v6, v6, v34
	v_add_f32_e32 v6, v6, v36
	s_delay_alu instid0(VALU_DEP_1) | instskip(NEXT) | instid1(VALU_DEP_1)
	v_add_f32_e32 v6, v6, v38
	v_add_f32_e32 v6, v6, v40
	s_delay_alu instid0(VALU_DEP_1)
	v_add_f32_e32 v6, v6, v42
	s_cbranch_scc0 .LBB306_35
; %bb.36:                               ;   in Loop: Header=BB306_29 Depth=1
	s_mov_b32 s0, s4
.LBB306_37:                             ;   in Loop: Header=BB306_29 Depth=1
	s_and_not1_b32 vcc_lo, exec_lo, s17
	s_wait_alu 0xfffe
	s_cbranch_vccnz .LBB306_27
; %bb.38:                               ;   in Loop: Header=BB306_29 Depth=1
	s_lshl_b64 s[12:13], s[0:1], 3
	s_lshl_b32 s0, s0, 3
	s_wait_alu 0xfffe
	v_add_co_u32 v7, vcc_lo, v9, s12
	s_wait_alu 0xfffd
	v_add_co_ci_u32_e64 v8, null, s13, v10, vcc_lo
	s_mov_b64 s[12:13], 0
.LBB306_39:                             ;   Parent Loop BB306_29 Depth=1
                                        ; =>  This Inner Loop Header: Depth=2
	s_wait_alu 0xfffe
	v_add_co_u32 v11, vcc_lo, v7, s12
	s_wait_alu 0xfffd
	v_add_co_ci_u32_e64 v12, null, s13, v8, vcc_lo
	s_add_nc_u64 s[12:13], s[12:13], 8
	flat_load_b64 v[11:12], v[11:12]
	v_mov_b32_e32 v13, s0
	s_add_co_i32 s0, s0, 8
	s_wait_alu 0xfffe
	s_cmp_lg_u32 s18, s12
	ds_load_b64 v[13:14], v13
	s_wait_loadcnt_dscnt 0x0
	v_mul_f32_e32 v15, v12, v14
	v_mul_f32_e32 v14, v11, v14
	s_delay_alu instid0(VALU_DEP_2) | instskip(NEXT) | instid1(VALU_DEP_1)
	v_fma_f32 v11, v11, v13, -v15
	v_dual_fmac_f32 v14, v12, v13 :: v_dual_add_f32 v5, v5, v11
	s_delay_alu instid0(VALU_DEP_1)
	v_add_f32_e32 v6, v6, v14
	s_cbranch_scc1 .LBB306_39
	s_branch .LBB306_27
.LBB306_40:
	s_endpgm
	.section	.rodata,"a",@progbits
	.p2align	6, 0x0
	.amdhsa_kernel _ZL22rocblas_gemvtsm_kernelILb0ELi256EPK19rocblas_complex_numIfES3_KPS1_EviiT2_lPKT1_lilS9_lilS6_lPT3_lil
		.amdhsa_group_segment_fixed_size 512
		.amdhsa_private_segment_fixed_size 0
		.amdhsa_kernarg_size 136
		.amdhsa_user_sgpr_count 2
		.amdhsa_user_sgpr_dispatch_ptr 0
		.amdhsa_user_sgpr_queue_ptr 0
		.amdhsa_user_sgpr_kernarg_segment_ptr 1
		.amdhsa_user_sgpr_dispatch_id 0
		.amdhsa_user_sgpr_private_segment_size 0
		.amdhsa_wavefront_size32 1
		.amdhsa_uses_dynamic_stack 0
		.amdhsa_enable_private_segment 0
		.amdhsa_system_sgpr_workgroup_id_x 1
		.amdhsa_system_sgpr_workgroup_id_y 0
		.amdhsa_system_sgpr_workgroup_id_z 0
		.amdhsa_system_sgpr_workgroup_info 0
		.amdhsa_system_vgpr_workitem_id 0
		.amdhsa_next_free_vgpr 51
		.amdhsa_next_free_sgpr 24
		.amdhsa_reserve_vcc 1
		.amdhsa_float_round_mode_32 0
		.amdhsa_float_round_mode_16_64 0
		.amdhsa_float_denorm_mode_32 3
		.amdhsa_float_denorm_mode_16_64 3
		.amdhsa_fp16_overflow 0
		.amdhsa_workgroup_processor_mode 1
		.amdhsa_memory_ordered 1
		.amdhsa_forward_progress 1
		.amdhsa_inst_pref_size 16
		.amdhsa_round_robin_scheduling 0
		.amdhsa_exception_fp_ieee_invalid_op 0
		.amdhsa_exception_fp_denorm_src 0
		.amdhsa_exception_fp_ieee_div_zero 0
		.amdhsa_exception_fp_ieee_overflow 0
		.amdhsa_exception_fp_ieee_underflow 0
		.amdhsa_exception_fp_ieee_inexact 0
		.amdhsa_exception_int_div_zero 0
	.end_amdhsa_kernel
	.section	.text._ZL22rocblas_gemvtsm_kernelILb0ELi256EPK19rocblas_complex_numIfES3_KPS1_EviiT2_lPKT1_lilS9_lilS6_lPT3_lil,"axG",@progbits,_ZL22rocblas_gemvtsm_kernelILb0ELi256EPK19rocblas_complex_numIfES3_KPS1_EviiT2_lPKT1_lilS9_lilS6_lPT3_lil,comdat
.Lfunc_end306:
	.size	_ZL22rocblas_gemvtsm_kernelILb0ELi256EPK19rocblas_complex_numIfES3_KPS1_EviiT2_lPKT1_lilS9_lilS6_lPT3_lil, .Lfunc_end306-_ZL22rocblas_gemvtsm_kernelILb0ELi256EPK19rocblas_complex_numIfES3_KPS1_EviiT2_lPKT1_lilS9_lilS6_lPT3_lil
                                        ; -- End function
	.set _ZL22rocblas_gemvtsm_kernelILb0ELi256EPK19rocblas_complex_numIfES3_KPS1_EviiT2_lPKT1_lilS9_lilS6_lPT3_lil.num_vgpr, 51
	.set _ZL22rocblas_gemvtsm_kernelILb0ELi256EPK19rocblas_complex_numIfES3_KPS1_EviiT2_lPKT1_lilS9_lilS6_lPT3_lil.num_agpr, 0
	.set _ZL22rocblas_gemvtsm_kernelILb0ELi256EPK19rocblas_complex_numIfES3_KPS1_EviiT2_lPKT1_lilS9_lilS6_lPT3_lil.numbered_sgpr, 24
	.set _ZL22rocblas_gemvtsm_kernelILb0ELi256EPK19rocblas_complex_numIfES3_KPS1_EviiT2_lPKT1_lilS9_lilS6_lPT3_lil.num_named_barrier, 0
	.set _ZL22rocblas_gemvtsm_kernelILb0ELi256EPK19rocblas_complex_numIfES3_KPS1_EviiT2_lPKT1_lilS9_lilS6_lPT3_lil.private_seg_size, 0
	.set _ZL22rocblas_gemvtsm_kernelILb0ELi256EPK19rocblas_complex_numIfES3_KPS1_EviiT2_lPKT1_lilS9_lilS6_lPT3_lil.uses_vcc, 1
	.set _ZL22rocblas_gemvtsm_kernelILb0ELi256EPK19rocblas_complex_numIfES3_KPS1_EviiT2_lPKT1_lilS9_lilS6_lPT3_lil.uses_flat_scratch, 1
	.set _ZL22rocblas_gemvtsm_kernelILb0ELi256EPK19rocblas_complex_numIfES3_KPS1_EviiT2_lPKT1_lilS9_lilS6_lPT3_lil.has_dyn_sized_stack, 0
	.set _ZL22rocblas_gemvtsm_kernelILb0ELi256EPK19rocblas_complex_numIfES3_KPS1_EviiT2_lPKT1_lilS9_lilS6_lPT3_lil.has_recursion, 0
	.set _ZL22rocblas_gemvtsm_kernelILb0ELi256EPK19rocblas_complex_numIfES3_KPS1_EviiT2_lPKT1_lilS9_lilS6_lPT3_lil.has_indirect_call, 0
	.section	.AMDGPU.csdata,"",@progbits
; Kernel info:
; codeLenInByte = 2012
; TotalNumSgprs: 26
; NumVgprs: 51
; ScratchSize: 0
; MemoryBound: 0
; FloatMode: 240
; IeeeMode: 1
; LDSByteSize: 512 bytes/workgroup (compile time only)
; SGPRBlocks: 0
; VGPRBlocks: 6
; NumSGPRsForWavesPerEU: 26
; NumVGPRsForWavesPerEU: 51
; Occupancy: 16
; WaveLimiterHint : 1
; COMPUTE_PGM_RSRC2:SCRATCH_EN: 0
; COMPUTE_PGM_RSRC2:USER_SGPR: 2
; COMPUTE_PGM_RSRC2:TRAP_HANDLER: 0
; COMPUTE_PGM_RSRC2:TGID_X_EN: 1
; COMPUTE_PGM_RSRC2:TGID_Y_EN: 0
; COMPUTE_PGM_RSRC2:TGID_Z_EN: 0
; COMPUTE_PGM_RSRC2:TIDIG_COMP_CNT: 0
	.section	.text._ZL22rocblas_gemvtsm_kernelILb0ELi256EPK19rocblas_complex_numIfES1_KPS1_EviiT2_lPKT1_lilS9_lilS6_lPT3_lil,"axG",@progbits,_ZL22rocblas_gemvtsm_kernelILb0ELi256EPK19rocblas_complex_numIfES1_KPS1_EviiT2_lPKT1_lilS9_lilS6_lPT3_lil,comdat
	.globl	_ZL22rocblas_gemvtsm_kernelILb0ELi256EPK19rocblas_complex_numIfES1_KPS1_EviiT2_lPKT1_lilS9_lilS6_lPT3_lil ; -- Begin function _ZL22rocblas_gemvtsm_kernelILb0ELi256EPK19rocblas_complex_numIfES1_KPS1_EviiT2_lPKT1_lilS9_lilS6_lPT3_lil
	.p2align	8
	.type	_ZL22rocblas_gemvtsm_kernelILb0ELi256EPK19rocblas_complex_numIfES1_KPS1_EviiT2_lPKT1_lilS9_lilS6_lPT3_lil,@function
_ZL22rocblas_gemvtsm_kernelILb0ELi256EPK19rocblas_complex_numIfES1_KPS1_EviiT2_lPKT1_lilS9_lilS6_lPT3_lil: ; @_ZL22rocblas_gemvtsm_kernelILb0ELi256EPK19rocblas_complex_numIfES1_KPS1_EviiT2_lPKT1_lilS9_lilS6_lPT3_lil
; %bb.0:
	s_clause 0x1
	s_load_b128 s[4:7], s[0:1], 0x0
	s_load_b64 s[2:3], s[0:1], 0x58
	s_wait_kmcnt 0x0
	s_cmp_neq_f32 s6, 0
	s_cselect_b32 s8, -1, 0
	s_cmp_neq_f32 s7, 0
	s_cselect_b32 s9, -1, 0
	s_delay_alu instid0(SALU_CYCLE_1) | instskip(NEXT) | instid1(SALU_CYCLE_1)
	s_or_b32 s8, s8, s9
	s_and_b32 vcc_lo, exec_lo, s8
	s_mov_b32 s8, -1
	s_cbranch_vccnz .LBB307_2
; %bb.1:
	s_cmp_neq_f32 s2, 1.0
	s_cselect_b32 s8, -1, 0
	s_cmp_neq_f32 s3, 0
	s_cselect_b32 s9, -1, 0
	s_delay_alu instid0(SALU_CYCLE_1)
	s_or_b32 s8, s8, s9
.LBB307_2:
	s_delay_alu instid0(SALU_CYCLE_1)
	s_and_not1_b32 vcc_lo, exec_lo, s8
	s_cbranch_vccnz .LBB307_42
; %bb.3:
	s_or_b32 s8, s6, s7
	s_mov_b32 s12, ttmp9
	s_and_b32 s9, s8, 0x7fffffff
	s_mov_b32 s13, 0
	s_cmp_lg_u32 s9, 0
	s_cselect_b32 s8, -1, 0
	s_cmp_eq_u32 s9, 0
	s_cselect_b32 s18, -1, 0
	s_and_b32 vcc_lo, exec_lo, s8
	s_cbranch_vccnz .LBB307_5
; %bb.4:
	s_mov_b32 s9, s13
	s_mov_b64 s[16:17], 0
	s_and_not1_b32 vcc_lo, exec_lo, s9
	s_mov_b64 s[14:15], 0
	s_cbranch_vccz .LBB307_6
	s_branch .LBB307_7
.LBB307_5:
	s_mov_b64 s[16:17], 0
	s_mov_b64 s[14:15], 0
.LBB307_6:
	s_load_b128 s[20:23], s[0:1], 0x18
	s_lshl_b64 s[10:11], s[12:13], 3
	s_wait_kmcnt 0x0
	s_add_nc_u64 s[10:11], s[20:21], s[10:11]
	s_lshl_b64 s[14:15], s[22:23], 3
	s_load_b64 s[10:11], s[10:11], 0x0
	s_wait_kmcnt 0x0
	s_add_nc_u64 s[14:15], s[10:11], s[14:15]
.LBB307_7:
	s_and_not1_b32 vcc_lo, exec_lo, s8
	s_cbranch_vccnz .LBB307_9
; %bb.8:
	s_load_b128 s[8:11], s[0:1], 0x38
	s_lshl_b64 s[16:17], s[12:13], 3
	s_wait_kmcnt 0x0
	s_add_nc_u64 s[8:9], s[8:9], s[16:17]
	s_lshl_b64 s[10:11], s[10:11], 3
	s_load_b64 s[8:9], s[8:9], 0x0
	s_wait_kmcnt 0x0
	s_add_nc_u64 s[16:17], s[8:9], s[10:11]
.LBB307_9:
	s_load_b128 s[8:11], s[0:1], 0x68
	s_lshl_b64 s[20:21], s[12:13], 3
	s_load_b32 s12, s[0:1], 0x78
	s_and_not1_b32 vcc_lo, exec_lo, s18
	s_mov_b32 s13, -1
	s_wait_kmcnt 0x0
	s_add_nc_u64 s[8:9], s[8:9], s[20:21]
	s_load_b64 s[8:9], s[8:9], 0x0
	s_cbranch_vccnz .LBB307_24
; %bb.10:
	s_cmp_neq_f32 s2, 0
	s_cselect_b32 s13, -1, 0
	s_cmp_neq_f32 s3, 0
	s_cselect_b32 s18, -1, 0
	s_delay_alu instid0(SALU_CYCLE_1)
	s_or_b32 s13, s13, s18
	s_cmp_gt_i32 s5, 0
	s_cselect_b32 s20, -1, 0
	s_and_b32 vcc_lo, exec_lo, s13
	s_mov_b32 s13, -1
	s_cbranch_vccnz .LBB307_17
; %bb.11:
	s_and_not1_b32 vcc_lo, exec_lo, s20
	s_cbranch_vccnz .LBB307_16
; %bb.12:
	v_mad_co_i64_i32 v[1:2], null, s12, v0, 0
	s_lshl_b64 s[18:19], s[10:11], 3
	v_mov_b32_e32 v3, 0
	s_wait_kmcnt 0x0
	s_add_nc_u64 s[18:19], s[8:9], s[18:19]
	s_ashr_i32 s13, s12, 31
	v_lshlrev_b64_e32 v[1:2], 3, v[1:2]
	s_delay_alu instid0(VALU_DEP_1) | instskip(NEXT) | instid1(VALU_DEP_1)
	v_add_co_u32 v1, vcc_lo, s18, v1
	v_add_co_ci_u32_e64 v2, null, s19, v2, vcc_lo
	s_wait_alu 0xfffe
	s_lshl_b64 s[18:19], s[12:13], 11
	s_delay_alu instid0(VALU_DEP_2)
	v_add_co_u32 v1, vcc_lo, v1, 4
	s_wait_alu 0xfffd
	v_add_co_ci_u32_e64 v2, null, 0, v2, vcc_lo
	s_mov_b32 s13, 0
	s_branch .LBB307_14
.LBB307_13:                             ;   in Loop: Header=BB307_14 Depth=1
	s_or_b32 exec_lo, exec_lo, s21
	v_add_co_u32 v1, vcc_lo, v1, s18
	s_wait_alu 0xfffd
	v_add_co_ci_u32_e64 v2, null, s19, v2, vcc_lo
	s_addk_co_i32 s13, 0x100
	s_wait_alu 0xfffe
	s_cmp_ge_i32 s13, s5
	s_cbranch_scc1 .LBB307_16
.LBB307_14:                             ; =>This Inner Loop Header: Depth=1
	s_wait_alu 0xfffe
	v_add_nc_u32_e32 v4, s13, v0
	s_mov_b32 s21, exec_lo
	s_delay_alu instid0(VALU_DEP_1)
	v_cmpx_gt_i32_e64 s5, v4
	s_cbranch_execz .LBB307_13
; %bb.15:                               ;   in Loop: Header=BB307_14 Depth=1
	v_mov_b32_e32 v4, v3
	flat_store_b64 v[1:2], v[3:4] offset:-4
	s_branch .LBB307_13
.LBB307_16:
	s_mov_b32 s13, 0
.LBB307_17:
	s_wait_alu 0xfffe
	s_and_not1_b32 vcc_lo, exec_lo, s13
	s_wait_alu 0xfffe
	s_cbranch_vccnz .LBB307_23
; %bb.18:
	s_and_not1_b32 vcc_lo, exec_lo, s20
	s_wait_alu 0xfffe
	s_cbranch_vccnz .LBB307_23
; %bb.19:
	v_mad_co_i64_i32 v[1:2], null, s12, v0, 0
	s_lshl_b64 s[18:19], s[10:11], 3
	s_ashr_i32 s13, s12, 31
	s_wait_kmcnt 0x0
	s_wait_alu 0xfffe
	s_add_nc_u64 s[18:19], s[8:9], s[18:19]
	v_lshlrev_b64_e32 v[1:2], 3, v[1:2]
	s_wait_alu 0xfffe
	s_delay_alu instid0(VALU_DEP_1) | instskip(SKIP_1) | instid1(VALU_DEP_2)
	v_add_co_u32 v1, vcc_lo, s18, v1
	s_wait_alu 0xfffd
	v_add_co_ci_u32_e64 v2, null, s19, v2, vcc_lo
	s_lshl_b64 s[18:19], s[12:13], 11
	v_add_co_u32 v1, vcc_lo, v1, 4
	s_wait_alu 0xfffd
	v_add_co_ci_u32_e64 v2, null, 0, v2, vcc_lo
	s_mov_b32 s13, 0
	s_branch .LBB307_21
.LBB307_20:                             ;   in Loop: Header=BB307_21 Depth=1
	s_or_b32 exec_lo, exec_lo, s20
	v_add_co_u32 v1, vcc_lo, v1, s18
	s_wait_alu 0xfffd
	v_add_co_ci_u32_e64 v2, null, s19, v2, vcc_lo
	s_addk_co_i32 s13, 0x100
	s_wait_alu 0xfffe
	s_cmp_ge_i32 s13, s5
	s_cbranch_scc1 .LBB307_23
.LBB307_21:                             ; =>This Inner Loop Header: Depth=1
	s_wait_alu 0xfffe
	v_add_nc_u32_e32 v3, s13, v0
	s_mov_b32 s20, exec_lo
	s_delay_alu instid0(VALU_DEP_1)
	v_cmpx_gt_i32_e64 s5, v3
	s_cbranch_execz .LBB307_20
; %bb.22:                               ;   in Loop: Header=BB307_21 Depth=1
	flat_load_b64 v[3:4], v[1:2] offset:-4
	s_wait_loadcnt_dscnt 0x0
	v_mul_f32_e32 v5, s2, v4
	s_delay_alu instid0(VALU_DEP_1) | instskip(NEXT) | instid1(VALU_DEP_1)
	v_dual_mul_f32 v6, s3, v4 :: v_dual_fmac_f32 v5, s3, v3
	v_fma_f32 v4, s2, v3, -v6
	flat_store_b64 v[1:2], v[4:5] offset:-4
	s_branch .LBB307_20
.LBB307_23:
	s_mov_b32 s13, 0
.LBB307_24:
	s_wait_alu 0xfffe
	s_and_not1_b32 vcc_lo, exec_lo, s13
	s_wait_alu 0xfffe
	s_cbranch_vccnz .LBB307_42
; %bb.25:
	s_mov_b32 s13, exec_lo
	v_cmpx_gt_i32_e64 s4, v0
	s_cbranch_execz .LBB307_27
; %bb.26:
	s_load_b32 s18, s[0:1], 0x48
	s_wait_kmcnt 0x0
	v_mad_co_i64_i32 v[1:2], null, s18, v0, 0
	s_delay_alu instid0(VALU_DEP_1) | instskip(NEXT) | instid1(VALU_DEP_1)
	v_lshlrev_b64_e32 v[1:2], 3, v[1:2]
	v_add_co_u32 v1, vcc_lo, s16, v1
	s_wait_alu 0xfffd
	s_delay_alu instid0(VALU_DEP_2) | instskip(SKIP_3) | instid1(VALU_DEP_1)
	v_add_co_ci_u32_e64 v2, null, s17, v2, vcc_lo
	flat_load_b64 v[1:2], v[1:2]
	s_wait_loadcnt_dscnt 0x0
	v_mul_f32_e32 v3, s6, v2
	v_dual_mul_f32 v4, s7, v2 :: v_dual_fmac_f32 v3, s7, v1
	s_delay_alu instid0(VALU_DEP_1)
	v_fma_f32 v2, v1, s6, -v4
	v_lshlrev_b32_e32 v1, 3, v0
	ds_store_b64 v1, v[2:3]
.LBB307_27:
	s_wait_alu 0xfffe
	s_or_b32 exec_lo, exec_lo, s13
	s_cmp_lt_i32 s5, 1
	s_wait_storecnt_dscnt 0x0
	s_barrier_signal -1
	s_barrier_wait -1
	global_inv scope:SCOPE_SE
	s_cbranch_scc1 .LBB307_42
; %bb.28:
	s_load_b32 s18, s[0:1], 0x28
	s_lshl_b64 s[6:7], s[10:11], 3
	s_ashr_i32 s13, s12, 31
	s_wait_kmcnt 0x0
	s_wait_alu 0xfffe
	s_add_nc_u64 s[6:7], s[8:9], s[6:7]
	s_mov_b32 s1, 0
	v_mad_co_i64_i32 v[1:2], null, s18, v0, 0
	s_ashr_i32 s19, s18, 31
	s_cmp_neq_f32 s2, 0
	s_cselect_b32 s0, -1, 0
	v_lshlrev_b64_e32 v[1:2], 3, v[1:2]
	s_cmp_neq_f32 s3, 0
	s_cselect_b32 s8, -1, 0
	s_delay_alu instid0(VALU_DEP_1)
	v_add_co_u32 v9, vcc_lo, s14, v1
	s_or_b32 s16, s0, s8
	s_cmp_gt_i32 s4, 0
	s_wait_alu 0xfffd
	v_add_co_ci_u32_e64 v10, null, s15, v2, vcc_lo
	s_cselect_b32 s17, -1, 0
	s_and_b32 s0, s4, 7
	s_cmp_gt_u32 s4, 7
	v_add_co_u32 v1, vcc_lo, v9, 60
	s_cselect_b32 s14, -1, 0
	s_and_b32 s4, s4, 0x7ffffff8
	s_wait_alu 0xfffd
	v_add_co_ci_u32_e64 v2, null, 0, v10, vcc_lo
	s_cmp_lg_u32 s0, 0
	s_cselect_b32 s15, -1, 0
	s_wait_alu 0xfffe
	s_lshl_b64 s[8:9], s[18:19], 11
	s_lshl_b32 s18, s0, 3
	s_mov_b32 s19, 0
	s_branch .LBB307_31
.LBB307_29:                             ;   in Loop: Header=BB307_31 Depth=1
	v_add_co_u32 v3, vcc_lo, s6, v3
	s_wait_alu 0xfffd
	v_add_co_ci_u32_e64 v4, null, s7, v4, vcc_lo
	flat_store_b64 v[3:4], v[5:6]
.LBB307_30:                             ;   in Loop: Header=BB307_31 Depth=1
	s_or_b32 exec_lo, exec_lo, s20
	v_add_co_u32 v1, vcc_lo, v1, s8
	s_wait_alu 0xfffd
	v_add_co_ci_u32_e64 v2, null, s9, v2, vcc_lo
	v_add_co_u32 v9, vcc_lo, v9, s8
	s_wait_alu 0xfffd
	v_add_co_ci_u32_e64 v10, null, s9, v10, vcc_lo
	s_addk_co_i32 s19, 0x100
	s_wait_alu 0xfffe
	s_cmp_ge_i32 s19, s5
	s_cbranch_scc1 .LBB307_42
.LBB307_31:                             ; =>This Loop Header: Depth=1
                                        ;     Child Loop BB307_37 Depth 2
                                        ;     Child Loop BB307_41 Depth 2
	s_wait_alu 0xfffe
	v_add_nc_u32_e32 v3, s19, v0
	s_mov_b32 s20, exec_lo
	s_delay_alu instid0(VALU_DEP_1)
	v_cmpx_gt_i32_e64 s5, v3
	s_cbranch_execz .LBB307_30
; %bb.32:                               ;   in Loop: Header=BB307_31 Depth=1
	v_mad_co_u64_u32 v[6:7], null, v3, s12, 0
	s_and_not1_b32 vcc_lo, exec_lo, s16
	v_mov_b32_e32 v4, v7
	s_delay_alu instid0(VALU_DEP_1) | instskip(SKIP_1) | instid1(VALU_DEP_2)
	v_mad_co_u64_u32 v[3:4], null, v3, s13, v[4:5]
	v_mov_b32_e32 v5, 0
	v_mov_b32_e32 v7, v3
	s_delay_alu instid0(VALU_DEP_1)
	v_lshlrev_b64_e32 v[3:4], 3, v[6:7]
	v_mov_b32_e32 v6, 0
	s_wait_alu 0xfffe
	s_cbranch_vccnz .LBB307_34
; %bb.33:                               ;   in Loop: Header=BB307_31 Depth=1
	s_delay_alu instid0(VALU_DEP_2)
	v_add_co_u32 v5, vcc_lo, s6, v3
	s_wait_alu 0xfffd
	v_add_co_ci_u32_e64 v6, null, s7, v4, vcc_lo
	flat_load_b64 v[7:8], v[5:6]
	s_wait_loadcnt_dscnt 0x0
	v_mul_f32_e32 v6, s2, v8
	s_delay_alu instid0(VALU_DEP_1) | instskip(NEXT) | instid1(VALU_DEP_1)
	v_dual_mul_f32 v5, s3, v8 :: v_dual_fmac_f32 v6, s3, v7
	v_fma_f32 v5, s2, v7, -v5
.LBB307_34:                             ;   in Loop: Header=BB307_31 Depth=1
	s_and_not1_b32 vcc_lo, exec_lo, s17
	s_wait_alu 0xfffe
	s_cbranch_vccnz .LBB307_29
; %bb.35:                               ;   in Loop: Header=BB307_31 Depth=1
	s_and_not1_b32 vcc_lo, exec_lo, s14
	s_mov_b32 s0, 0
	s_wait_alu 0xfffe
	s_cbranch_vccnz .LBB307_39
; %bb.36:                               ;   in Loop: Header=BB307_31 Depth=1
	v_dual_mov_b32 v8, v2 :: v_dual_mov_b32 v7, v1
	s_mov_b32 s10, 0
.LBB307_37:                             ;   Parent Loop BB307_31 Depth=1
                                        ; =>  This Inner Loop Header: Depth=2
	s_clause 0x3
	flat_load_b128 v[11:14], v[7:8] offset:-60
	flat_load_b128 v[15:18], v[7:8] offset:-44
	;; [unrolled: 1-line block ×4, first 2 shown]
	s_wait_alu 0xfffe
	v_mov_b32_e32 v39, s0
	v_add_co_u32 v7, vcc_lo, v7, 64
	s_wait_alu 0xfffd
	v_add_co_ci_u32_e64 v8, null, 0, v8, vcc_lo
	ds_load_b128 v[27:30], v39
	ds_load_b128 v[31:34], v39 offset:16
	ds_load_b128 v[35:38], v39 offset:32
	;; [unrolled: 1-line block ×3, first 2 shown]
	s_add_co_i32 s10, s10, 8
	s_add_co_i32 s0, s0, 64
	s_wait_alu 0xfffe
	s_cmp_eq_u32 s4, s10
	s_wait_loadcnt_dscnt 0x303
	v_dual_mul_f32 v43, v12, v28 :: v_dual_mul_f32 v44, v14, v30
	v_mul_f32_e32 v28, v11, v28
	s_wait_loadcnt_dscnt 0x202
	v_dual_mul_f32 v30, v13, v30 :: v_dual_mul_f32 v45, v16, v32
	s_delay_alu instid0(VALU_DEP_3)
	v_fma_f32 v11, v11, v27, -v43
	v_mul_f32_e32 v32, v15, v32
	v_fmac_f32_e32 v28, v12, v27
	v_fma_f32 v12, v13, v29, -v44
	s_wait_loadcnt_dscnt 0x101
	v_dual_mul_f32 v46, v18, v34 :: v_dual_mul_f32 v47, v20, v36
	v_dual_add_f32 v5, v5, v11 :: v_dual_mul_f32 v48, v22, v38
	v_fma_f32 v11, v15, v31, -v45
	s_wait_loadcnt_dscnt 0x0
	v_dual_mul_f32 v34, v17, v34 :: v_dual_mul_f32 v49, v24, v40
	s_delay_alu instid0(VALU_DEP_3) | instskip(SKIP_2) | instid1(VALU_DEP_4)
	v_add_f32_e32 v5, v5, v12
	v_mul_f32_e32 v36, v19, v36
	v_fma_f32 v12, v17, v33, -v46
	v_fmac_f32_e32 v34, v18, v33
	v_mul_f32_e32 v38, v21, v38
	v_dual_add_f32 v5, v5, v11 :: v_dual_mul_f32 v50, v26, v42
	v_fma_f32 v11, v19, v35, -v47
	v_fmac_f32_e32 v36, v20, v35
	s_delay_alu instid0(VALU_DEP_3) | instskip(SKIP_3) | instid1(VALU_DEP_4)
	v_dual_fmac_f32 v38, v22, v37 :: v_dual_add_f32 v5, v5, v12
	v_mul_f32_e32 v40, v23, v40
	v_fma_f32 v12, v21, v37, -v48
	v_mul_f32_e32 v42, v25, v42
	v_add_f32_e32 v5, v5, v11
	v_fma_f32 v11, v23, v39, -v49
	v_fmac_f32_e32 v40, v24, v39
	s_delay_alu instid0(VALU_DEP_3) | instskip(SKIP_3) | instid1(VALU_DEP_4)
	v_dual_fmac_f32 v42, v26, v41 :: v_dual_add_f32 v5, v5, v12
	v_fmac_f32_e32 v30, v14, v29
	v_add_f32_e32 v6, v6, v28
	v_fma_f32 v12, v25, v41, -v50
	v_add_f32_e32 v5, v5, v11
	v_fmac_f32_e32 v32, v16, v31
	s_delay_alu instid0(VALU_DEP_2) | instskip(NEXT) | instid1(VALU_DEP_1)
	v_dual_add_f32 v6, v6, v30 :: v_dual_add_f32 v5, v5, v12
	v_add_f32_e32 v6, v6, v32
	s_delay_alu instid0(VALU_DEP_1) | instskip(NEXT) | instid1(VALU_DEP_1)
	v_add_f32_e32 v6, v6, v34
	v_add_f32_e32 v6, v6, v36
	s_delay_alu instid0(VALU_DEP_1) | instskip(NEXT) | instid1(VALU_DEP_1)
	v_add_f32_e32 v6, v6, v38
	v_add_f32_e32 v6, v6, v40
	s_delay_alu instid0(VALU_DEP_1)
	v_add_f32_e32 v6, v6, v42
	s_cbranch_scc0 .LBB307_37
; %bb.38:                               ;   in Loop: Header=BB307_31 Depth=1
	s_mov_b32 s0, s4
.LBB307_39:                             ;   in Loop: Header=BB307_31 Depth=1
	s_and_not1_b32 vcc_lo, exec_lo, s15
	s_wait_alu 0xfffe
	s_cbranch_vccnz .LBB307_29
; %bb.40:                               ;   in Loop: Header=BB307_31 Depth=1
	s_lshl_b64 s[10:11], s[0:1], 3
	s_lshl_b32 s0, s0, 3
	s_wait_alu 0xfffe
	v_add_co_u32 v7, vcc_lo, v9, s10
	s_wait_alu 0xfffd
	v_add_co_ci_u32_e64 v8, null, s11, v10, vcc_lo
	s_mov_b64 s[10:11], 0
.LBB307_41:                             ;   Parent Loop BB307_31 Depth=1
                                        ; =>  This Inner Loop Header: Depth=2
	s_wait_alu 0xfffe
	v_add_co_u32 v11, vcc_lo, v7, s10
	s_wait_alu 0xfffd
	v_add_co_ci_u32_e64 v12, null, s11, v8, vcc_lo
	s_add_nc_u64 s[10:11], s[10:11], 8
	flat_load_b64 v[11:12], v[11:12]
	v_mov_b32_e32 v13, s0
	s_add_co_i32 s0, s0, 8
	s_wait_alu 0xfffe
	s_cmp_lg_u32 s18, s10
	ds_load_b64 v[13:14], v13
	s_wait_loadcnt_dscnt 0x0
	v_mul_f32_e32 v15, v12, v14
	v_mul_f32_e32 v14, v11, v14
	s_delay_alu instid0(VALU_DEP_2) | instskip(NEXT) | instid1(VALU_DEP_1)
	v_fma_f32 v11, v11, v13, -v15
	v_dual_fmac_f32 v14, v12, v13 :: v_dual_add_f32 v5, v5, v11
	s_delay_alu instid0(VALU_DEP_1)
	v_add_f32_e32 v6, v6, v14
	s_cbranch_scc1 .LBB307_41
	s_branch .LBB307_29
.LBB307_42:
	s_endpgm
	.section	.rodata,"a",@progbits
	.p2align	6, 0x0
	.amdhsa_kernel _ZL22rocblas_gemvtsm_kernelILb0ELi256EPK19rocblas_complex_numIfES1_KPS1_EviiT2_lPKT1_lilS9_lilS6_lPT3_lil
		.amdhsa_group_segment_fixed_size 512
		.amdhsa_private_segment_fixed_size 0
		.amdhsa_kernarg_size 136
		.amdhsa_user_sgpr_count 2
		.amdhsa_user_sgpr_dispatch_ptr 0
		.amdhsa_user_sgpr_queue_ptr 0
		.amdhsa_user_sgpr_kernarg_segment_ptr 1
		.amdhsa_user_sgpr_dispatch_id 0
		.amdhsa_user_sgpr_private_segment_size 0
		.amdhsa_wavefront_size32 1
		.amdhsa_uses_dynamic_stack 0
		.amdhsa_enable_private_segment 0
		.amdhsa_system_sgpr_workgroup_id_x 1
		.amdhsa_system_sgpr_workgroup_id_y 0
		.amdhsa_system_sgpr_workgroup_id_z 0
		.amdhsa_system_sgpr_workgroup_info 0
		.amdhsa_system_vgpr_workitem_id 0
		.amdhsa_next_free_vgpr 51
		.amdhsa_next_free_sgpr 24
		.amdhsa_reserve_vcc 1
		.amdhsa_float_round_mode_32 0
		.amdhsa_float_round_mode_16_64 0
		.amdhsa_float_denorm_mode_32 3
		.amdhsa_float_denorm_mode_16_64 3
		.amdhsa_fp16_overflow 0
		.amdhsa_workgroup_processor_mode 1
		.amdhsa_memory_ordered 1
		.amdhsa_forward_progress 1
		.amdhsa_inst_pref_size 16
		.amdhsa_round_robin_scheduling 0
		.amdhsa_exception_fp_ieee_invalid_op 0
		.amdhsa_exception_fp_denorm_src 0
		.amdhsa_exception_fp_ieee_div_zero 0
		.amdhsa_exception_fp_ieee_overflow 0
		.amdhsa_exception_fp_ieee_underflow 0
		.amdhsa_exception_fp_ieee_inexact 0
		.amdhsa_exception_int_div_zero 0
	.end_amdhsa_kernel
	.section	.text._ZL22rocblas_gemvtsm_kernelILb0ELi256EPK19rocblas_complex_numIfES1_KPS1_EviiT2_lPKT1_lilS9_lilS6_lPT3_lil,"axG",@progbits,_ZL22rocblas_gemvtsm_kernelILb0ELi256EPK19rocblas_complex_numIfES1_KPS1_EviiT2_lPKT1_lilS9_lilS6_lPT3_lil,comdat
.Lfunc_end307:
	.size	_ZL22rocblas_gemvtsm_kernelILb0ELi256EPK19rocblas_complex_numIfES1_KPS1_EviiT2_lPKT1_lilS9_lilS6_lPT3_lil, .Lfunc_end307-_ZL22rocblas_gemvtsm_kernelILb0ELi256EPK19rocblas_complex_numIfES1_KPS1_EviiT2_lPKT1_lilS9_lilS6_lPT3_lil
                                        ; -- End function
	.set _ZL22rocblas_gemvtsm_kernelILb0ELi256EPK19rocblas_complex_numIfES1_KPS1_EviiT2_lPKT1_lilS9_lilS6_lPT3_lil.num_vgpr, 51
	.set _ZL22rocblas_gemvtsm_kernelILb0ELi256EPK19rocblas_complex_numIfES1_KPS1_EviiT2_lPKT1_lilS9_lilS6_lPT3_lil.num_agpr, 0
	.set _ZL22rocblas_gemvtsm_kernelILb0ELi256EPK19rocblas_complex_numIfES1_KPS1_EviiT2_lPKT1_lilS9_lilS6_lPT3_lil.numbered_sgpr, 24
	.set _ZL22rocblas_gemvtsm_kernelILb0ELi256EPK19rocblas_complex_numIfES1_KPS1_EviiT2_lPKT1_lilS9_lilS6_lPT3_lil.num_named_barrier, 0
	.set _ZL22rocblas_gemvtsm_kernelILb0ELi256EPK19rocblas_complex_numIfES1_KPS1_EviiT2_lPKT1_lilS9_lilS6_lPT3_lil.private_seg_size, 0
	.set _ZL22rocblas_gemvtsm_kernelILb0ELi256EPK19rocblas_complex_numIfES1_KPS1_EviiT2_lPKT1_lilS9_lilS6_lPT3_lil.uses_vcc, 1
	.set _ZL22rocblas_gemvtsm_kernelILb0ELi256EPK19rocblas_complex_numIfES1_KPS1_EviiT2_lPKT1_lilS9_lilS6_lPT3_lil.uses_flat_scratch, 1
	.set _ZL22rocblas_gemvtsm_kernelILb0ELi256EPK19rocblas_complex_numIfES1_KPS1_EviiT2_lPKT1_lilS9_lilS6_lPT3_lil.has_dyn_sized_stack, 0
	.set _ZL22rocblas_gemvtsm_kernelILb0ELi256EPK19rocblas_complex_numIfES1_KPS1_EviiT2_lPKT1_lilS9_lilS6_lPT3_lil.has_recursion, 0
	.set _ZL22rocblas_gemvtsm_kernelILb0ELi256EPK19rocblas_complex_numIfES1_KPS1_EviiT2_lPKT1_lilS9_lilS6_lPT3_lil.has_indirect_call, 0
	.section	.AMDGPU.csdata,"",@progbits
; Kernel info:
; codeLenInByte = 1988
; TotalNumSgprs: 26
; NumVgprs: 51
; ScratchSize: 0
; MemoryBound: 0
; FloatMode: 240
; IeeeMode: 1
; LDSByteSize: 512 bytes/workgroup (compile time only)
; SGPRBlocks: 0
; VGPRBlocks: 6
; NumSGPRsForWavesPerEU: 26
; NumVGPRsForWavesPerEU: 51
; Occupancy: 16
; WaveLimiterHint : 1
; COMPUTE_PGM_RSRC2:SCRATCH_EN: 0
; COMPUTE_PGM_RSRC2:USER_SGPR: 2
; COMPUTE_PGM_RSRC2:TRAP_HANDLER: 0
; COMPUTE_PGM_RSRC2:TGID_X_EN: 1
; COMPUTE_PGM_RSRC2:TGID_Y_EN: 0
; COMPUTE_PGM_RSRC2:TGID_Z_EN: 0
; COMPUTE_PGM_RSRC2:TIDIG_COMP_CNT: 0
	.section	.text._ZL23rocblas_gemvt_sn_kernelILb0ELi256ELi4EiPK19rocblas_complex_numIfES3_S1_EviiT4_lPKT3_lilS7_lilPT5_i,"axG",@progbits,_ZL23rocblas_gemvt_sn_kernelILb0ELi256ELi4EiPK19rocblas_complex_numIfES3_S1_EviiT4_lPKT3_lilS7_lilPT5_i,comdat
	.globl	_ZL23rocblas_gemvt_sn_kernelILb0ELi256ELi4EiPK19rocblas_complex_numIfES3_S1_EviiT4_lPKT3_lilS7_lilPT5_i ; -- Begin function _ZL23rocblas_gemvt_sn_kernelILb0ELi256ELi4EiPK19rocblas_complex_numIfES3_S1_EviiT4_lPKT3_lilS7_lilPT5_i
	.p2align	8
	.type	_ZL23rocblas_gemvt_sn_kernelILb0ELi256ELi4EiPK19rocblas_complex_numIfES3_S1_EviiT4_lPKT3_lilS7_lilPT5_i,@function
_ZL23rocblas_gemvt_sn_kernelILb0ELi256ELi4EiPK19rocblas_complex_numIfES3_S1_EviiT4_lPKT3_lilS7_lilPT5_i: ; @_ZL23rocblas_gemvt_sn_kernelILb0ELi256ELi4EiPK19rocblas_complex_numIfES3_S1_EviiT4_lPKT3_lilS7_lilPT5_i
; %bb.0:
	s_load_b32 s33, s[0:1], 0x60
	s_lshr_b32 s10, ttmp7, 16
	s_wait_kmcnt 0x0
	s_cmp_ge_u32 s10, s33
	s_cbranch_scc1 .LBB308_84
; %bb.1:
	s_clause 0x6
	s_load_b64 s[26:27], s[0:1], 0x0
	s_load_b256 s[12:19], s[0:1], 0x8
	s_load_b32 s28, s[0:1], 0x68
	s_load_b32 s52, s[0:1], 0x28
	s_load_b128 s[20:23], s[0:1], 0x38
	s_load_b32 s53, s[0:1], 0x48
	s_load_b64 s[30:31], s[0:1], 0x58
	v_lshrrev_b32_e32 v2, 2, v0
	s_mov_b32 s35, 0
	v_cmp_eq_u32_e64 s0, 0, v0
	v_and_b32_e32 v1, 31, v0
	v_cmp_gt_u32_e64 s1, 32, v0
	v_and_b32_e32 v33, 56, v2
	v_cmp_gt_u32_e64 s2, 8, v0
	s_mov_b32 s29, s35
	v_mbcnt_lo_u32_b32 v34, -1, 0
	s_mov_b32 s24, ttmp9
	s_mov_b32 s25, s35
	s_wait_kmcnt 0x0
	s_ashr_i32 s5, s27, 31
	s_cmp_gt_i32 s27, 0
	s_mov_b32 s4, s27
	s_cselect_b32 s6, -1, 0
	s_lshl_b32 s7, ttmp9, 10
	s_mul_u64 s[36:37], s[4:5], s[28:29]
	v_lshl_or_b32 v2, v0, 2, s7
	s_lshr_b32 s4, s5, 30
	s_ashr_i32 s5, s26, 31
	s_add_co_i32 s4, s27, s4
	s_lshr_b32 s5, s5, 30
	v_mul_lo_u32 v0, s53, v2
	s_add_co_i32 s5, s26, s5
	s_and_b32 s55, s4, -4
	s_and_b32 s4, s5, -4
	s_and_b32 s54, s0, s6
	s_sub_co_i32 s56, s26, s4
	v_ashrrev_i32_e32 v3, 31, v2
	v_add_nc_u32_e32 v4, s56, v2
	v_add_nc_u32_e32 v8, s53, v0
	s_cmp_gt_i32 s55, 0
	s_mul_i32 s60, s52, 3
	s_cselect_b32 s57, -1, 0
	v_cmp_ge_i32_e64 s5, s26, v4
	v_add_nc_u32_e32 v10, s53, v8
	v_mov_b32_e32 v4, 0
	v_cmp_eq_u32_e64 s3, 0, v1
	v_lshlrev_b32_e32 v32, 3, v1
	v_add_nc_u32_e32 v1, 4, v2
	v_add_nc_u32_e32 v12, s53, v10
	v_ashrrev_i32_e32 v9, 31, v8
	v_ashrrev_i32_e32 v11, 31, v10
	s_cmp_gt_i32 s56, 0
	v_cmp_ge_i32_e64 s4, s26, v1
	v_ashrrev_i32_e32 v1, 31, v0
	v_ashrrev_i32_e32 v13, 31, v12
	s_cselect_b32 s58, -1, 0
	s_lshl_b64 s[38:39], s[24:25], 3
	v_lshlrev_b64_e32 v[2:3], 3, v[2:3]
	v_lshlrev_b64_e32 v[6:7], 3, v[0:1]
	;; [unrolled: 1-line block ×5, first 2 shown]
	v_lshl_or_b32 v1, v34, 2, 64
	s_add_nc_u64 s[6:7], s[30:31], s[38:39]
	s_and_b32 s25, s58, s5
	s_wait_alu 0xfffe
	s_add_nc_u64 s[40:41], s[6:7], 4
	s_lshl_b64 s[42:43], s[36:37], 3
	s_lshl_b64 s[44:45], s[28:29], 3
	s_lshl_b32 s26, s52, 2
	s_lshl_b32 s59, s52, 1
	s_or_b32 s61, 0, 4
	s_lshl_b64 s[18:19], s[18:19], 3
	s_lshl_b64 s[22:23], s[22:23], 3
	s_branch .LBB308_3
.LBB308_2:                              ;   in Loop: Header=BB308_3 Depth=1
	s_add_co_i32 s10, s10, 0x10000
	s_delay_alu instid0(SALU_CYCLE_1)
	s_cmp_lt_u32 s10, s33
	s_cbranch_scc0 .LBB308_84
.LBB308_3:                              ; =>This Loop Header: Depth=1
                                        ;     Child Loop BB308_11 Depth 2
                                        ;     Child Loop BB308_16 Depth 2
                                        ;       Child Loop BB308_47 Depth 3
                                        ;       Child Loop BB308_49 Depth 3
                                        ;     Child Loop BB308_65 Depth 2
                                        ;       Child Loop BB308_77 Depth 3
                                        ;       Child Loop BB308_79 Depth 3
	s_mov_b32 s11, s35
	v_mov_b32_e32 v16, 0
	s_mul_u64 s[6:7], s[14:15], s[10:11]
	v_mov_b32_e32 v17, 0
	s_wait_alu 0xfffe
	s_lshl_b64 s[6:7], s[6:7], 3
	s_wait_alu 0xfffe
	s_add_nc_u64 s[6:7], s[12:13], s[6:7]
	global_load_b64 v[14:15], v4, s[6:7]
	s_wait_loadcnt 0x0
	v_readfirstlane_b32 s62, v14
	v_readfirstlane_b32 s63, v15
	v_mov_b32_e32 v14, 0
	v_mov_b32_e32 v15, 0
	s_or_b32 s6, s62, s63
	s_wait_alu 0xfffe
	s_bitset0_b32 s6, 31
	s_wait_alu 0xfffe
	s_cmp_lg_u32 s6, 0
	s_cselect_b32 s7, -1, 0
	s_cmp_eq_u32 s6, 0
	s_cselect_b32 s6, -1, 0
	s_wait_alu 0xfffe
	s_and_b32 vcc_lo, exec_lo, s6
	s_wait_alu 0xfffe
	s_cbranch_vccz .LBB308_7
; %bb.4:                                ;   in Loop: Header=BB308_3 Depth=1
	s_and_not1_b32 vcc_lo, exec_lo, s7
	s_wait_alu 0xfffe
	s_cbranch_vccz .LBB308_8
.LBB308_5:                              ;   in Loop: Header=BB308_3 Depth=1
	s_and_not1_b32 vcc_lo, exec_lo, s6
	s_mov_b32 s6, -1
	s_wait_alu 0xfffe
	s_cbranch_vccz .LBB308_9
.LBB308_6:                              ;   in Loop: Header=BB308_3 Depth=1
	s_wait_alu 0xfffe
	s_and_not1_b32 vcc_lo, exec_lo, s6
	s_wait_alu 0xfffe
	s_cbranch_vccnz .LBB308_2
	s_branch .LBB308_13
.LBB308_7:                              ;   in Loop: Header=BB308_3 Depth=1
	s_lshl_b64 s[8:9], s[10:11], 3
	s_wait_alu 0xfffe
	s_add_nc_u64 s[8:9], s[16:17], s[8:9]
	global_load_b64 v[16:17], v4, s[8:9]
	s_wait_loadcnt 0x0
	v_add_co_u32 v16, vcc_lo, v16, s18
	s_wait_alu 0xfffd
	v_add_co_ci_u32_e64 v17, null, s19, v17, vcc_lo
	s_and_not1_b32 vcc_lo, exec_lo, s7
	s_wait_alu 0xfffe
	s_cbranch_vccnz .LBB308_5
.LBB308_8:                              ;   in Loop: Header=BB308_3 Depth=1
	s_lshl_b64 s[8:9], s[10:11], 3
	s_wait_alu 0xfffe
	s_add_nc_u64 s[8:9], s[20:21], s[8:9]
	global_load_b64 v[14:15], v4, s[8:9]
	s_wait_loadcnt 0x0
	v_add_co_u32 v14, vcc_lo, v14, s22
	s_wait_alu 0xfffd
	v_add_co_ci_u32_e64 v15, null, s23, v15, vcc_lo
	s_and_not1_b32 vcc_lo, exec_lo, s6
	s_mov_b32 s6, -1
	s_wait_alu 0xfffe
	s_cbranch_vccnz .LBB308_6
.LBB308_9:                              ;   in Loop: Header=BB308_3 Depth=1
	s_and_saveexec_b32 s8, s54
	s_cbranch_execz .LBB308_12
; %bb.10:                               ;   in Loop: Header=BB308_3 Depth=1
	s_mul_u64 s[6:7], s[42:43], s[10:11]
	s_mov_b32 s9, s27
	s_wait_alu 0xfffe
	s_add_nc_u64 s[6:7], s[40:41], s[6:7]
.LBB308_11:                             ;   Parent Loop BB308_3 Depth=1
                                        ; =>  This Inner Loop Header: Depth=2
	v_mov_b32_e32 v5, v4
	s_add_co_i32 s9, s9, -1
	s_wait_alu 0xfffe
	s_cmp_eq_u32 s9, 0
	global_store_b64 v4, v[4:5], s[6:7] offset:-4
	s_add_nc_u64 s[6:7], s[6:7], s[44:45]
	s_cbranch_scc0 .LBB308_11
.LBB308_12:                             ;   in Loop: Header=BB308_3 Depth=1
	s_wait_alu 0xfffe
	s_or_b32 exec_lo, exec_lo, s8
	s_cbranch_execnz .LBB308_2
.LBB308_13:                             ;   in Loop: Header=BB308_3 Depth=1
	v_add_co_u32 v35, vcc_lo, v16, v2
	s_mul_u64 s[46:47], s[36:37], s[10:11]
	s_wait_alu 0xfffd
	v_add_co_ci_u32_e64 v36, null, v17, v3, vcc_lo
	v_cmp_gt_u32_e64 s9, 24, v34
	v_cmp_gt_u32_e64 s8, 28, v34
	;; [unrolled: 1-line block ×3, first 2 shown]
	v_cmp_ne_u32_e64 s6, 31, v34
	s_wait_alu 0xfffe
	s_lshl_b64 s[46:47], s[46:47], 3
	s_and_not1_b32 vcc_lo, exec_lo, s57
	s_wait_alu 0xfffe
	s_add_nc_u64 s[46:47], s[30:31], s[46:47]
	s_cbranch_vccnz .LBB308_61
; %bb.14:                               ;   in Loop: Header=BB308_3 Depth=1
	v_cndmask_b32_e64 v16, 0, 4, s8
	v_cndmask_b32_e64 v17, 0, 2, s7
	v_add_co_ci_u32_e64 v18, null, 0, v34, s6
	v_cndmask_b32_e64 v5, 0, 8, s9
	s_delay_alu instid0(VALU_DEP_4)
	v_add_lshl_u32 v38, v16, v34, 2
	v_add_co_u32 v16, vcc_lo, v14, v6
	v_add_lshl_u32 v39, v17, v34, 2
	v_lshlrev_b32_e32 v40, 2, v18
	s_wait_alu 0xfffd
	v_add_co_ci_u32_e64 v17, null, v15, v7, vcc_lo
	v_add_co_u32 v18, vcc_lo, v14, v8
	s_wait_alu 0xfffd
	v_add_co_ci_u32_e64 v19, null, v15, v9, vcc_lo
	v_add_co_u32 v20, vcc_lo, v14, v10
	;; [unrolled: 3-line block ×3, first 2 shown]
	v_add_lshl_u32 v37, v5, v34, 2
	s_wait_alu 0xfffd
	v_add_co_ci_u32_e64 v23, null, v15, v13, vcc_lo
	s_mov_b32 s6, 0
	s_mov_b32 s64, s60
	;; [unrolled: 1-line block ×5, first 2 shown]
	s_branch .LBB308_16
.LBB308_15:                             ;   in Loop: Header=BB308_16 Depth=2
	s_wait_alu 0xfffe
	s_or_b32 exec_lo, exec_lo, s7
	s_add_co_i32 s11, s11, 4
	s_add_co_i32 s66, s66, s26
	;; [unrolled: 1-line block ×5, first 2 shown]
	s_cmp_ge_i32 s11, s55
	s_cbranch_scc1 .LBB308_62
.LBB308_16:                             ;   Parent Loop BB308_3 Depth=1
                                        ; =>  This Loop Header: Depth=2
                                        ;       Child Loop BB308_47 Depth 3
                                        ;       Child Loop BB308_49 Depth 3
                                        ; implicit-def: $vgpr41
                                        ; implicit-def: $vgpr42
                                        ; implicit-def: $vgpr26
                                        ; implicit-def: $vgpr27
                                        ; implicit-def: $vgpr28
                                        ; implicit-def: $vgpr29
                                        ; implicit-def: $vgpr31
                                        ; implicit-def: $vgpr30
	s_and_saveexec_b32 s7, s4
	s_wait_alu 0xfffe
	s_xor_b32 s7, exec_lo, s7
	s_cbranch_execnz .LBB308_43
; %bb.17:                               ;   in Loop: Header=BB308_16 Depth=2
	s_wait_alu 0xfffe
	s_and_not1_saveexec_b32 s34, s7
	s_cbranch_execnz .LBB308_44
.LBB308_18:                             ;   in Loop: Header=BB308_16 Depth=2
	s_or_b32 exec_lo, exec_lo, s34
	s_and_saveexec_b32 s7, s1
.LBB308_19:                             ;   in Loop: Header=BB308_16 Depth=2
	v_mov_b32_e32 v5, v4
	ds_store_b64 v32, v[4:5]
.LBB308_20:                             ;   in Loop: Header=BB308_16 Depth=2
	s_wait_alu 0xfffe
	s_or_b32 exec_lo, exec_lo, s7
	ds_bpermute_b32 v5, v1, v41
	s_wait_dscnt 0x1
	ds_bpermute_b32 v24, v1, v42
	s_wait_storecnt_dscnt 0x0
	s_barrier_signal -1
	s_barrier_wait -1
	global_inv scope:SCOPE_SE
	v_dual_add_f32 v5, v41, v5 :: v_dual_add_f32 v24, v42, v24
	ds_bpermute_b32 v25, v37, v5
	ds_bpermute_b32 v41, v37, v24
	s_wait_dscnt 0x1
	v_add_f32_e32 v5, v5, v25
	s_wait_dscnt 0x0
	v_add_f32_e32 v24, v24, v41
	ds_bpermute_b32 v25, v38, v5
	ds_bpermute_b32 v41, v38, v24
	s_wait_dscnt 0x1
	v_add_f32_e32 v5, v5, v25
	s_wait_dscnt 0x0
	v_add_f32_e32 v24, v24, v41
	;; [unrolled: 6-line block ×3, first 2 shown]
	ds_bpermute_b32 v25, v40, v5
	ds_bpermute_b32 v41, v40, v24
	s_and_saveexec_b32 s7, s3
	s_cbranch_execz .LBB308_22
; %bb.21:                               ;   in Loop: Header=BB308_16 Depth=2
	s_wait_dscnt 0x0
	v_add_f32_e32 v42, v24, v41
	v_add_f32_e32 v41, v5, v25
	ds_store_b64 v33, v[41:42]
.LBB308_22:                             ;   in Loop: Header=BB308_16 Depth=2
	s_wait_alu 0xfffe
	s_or_b32 exec_lo, exec_lo, s7
	s_wait_dscnt 0x1
	v_dual_mov_b32 v25, 0 :: v_dual_mov_b32 v24, 0
	s_wait_loadcnt_dscnt 0x0
	s_barrier_signal -1
	s_barrier_wait -1
	global_inv scope:SCOPE_SE
	s_and_saveexec_b32 s7, s2
	s_cbranch_execnz .LBB308_50
; %bb.23:                               ;   in Loop: Header=BB308_16 Depth=2
	s_wait_alu 0xfffe
	s_or_b32 exec_lo, exec_lo, s7
	s_and_saveexec_b32 s7, s1
	s_cbranch_execnz .LBB308_51
.LBB308_24:                             ;   in Loop: Header=BB308_16 Depth=2
	s_wait_alu 0xfffe
	s_or_b32 exec_lo, exec_lo, s7
	s_and_saveexec_b32 s7, s1
.LBB308_25:                             ;   in Loop: Header=BB308_16 Depth=2
	v_mov_b32_e32 v5, v4
	ds_store_b64 v32, v[4:5]
.LBB308_26:                             ;   in Loop: Header=BB308_16 Depth=2
	s_wait_alu 0xfffe
	s_or_b32 exec_lo, exec_lo, s7
	ds_bpermute_b32 v5, v1, v26
	ds_bpermute_b32 v41, v1, v27
	s_wait_loadcnt_dscnt 0x0
	s_barrier_signal -1
	s_barrier_wait -1
	global_inv scope:SCOPE_SE
	v_add_f32_e32 v5, v26, v5
	v_add_f32_e32 v26, v27, v41
	ds_bpermute_b32 v27, v37, v5
	s_wait_dscnt 0x0
	v_add_f32_e32 v5, v5, v27
	ds_bpermute_b32 v41, v37, v26
	ds_bpermute_b32 v27, v38, v5
	s_wait_dscnt 0x0
	v_dual_add_f32 v26, v26, v41 :: v_dual_add_f32 v5, v5, v27
	ds_bpermute_b32 v41, v38, v26
	ds_bpermute_b32 v27, v39, v5
	s_wait_dscnt 0x0
	v_dual_add_f32 v26, v26, v41 :: v_dual_add_f32 v5, v5, v27
	ds_bpermute_b32 v41, v39, v26
	ds_bpermute_b32 v27, v40, v5
	s_wait_dscnt 0x1
	v_add_f32_e32 v26, v26, v41
	ds_bpermute_b32 v41, v40, v26
	s_and_saveexec_b32 s7, s3
	s_cbranch_execz .LBB308_28
; %bb.27:                               ;   in Loop: Header=BB308_16 Depth=2
	s_wait_dscnt 0x0
	v_dual_add_f32 v42, v26, v41 :: v_dual_add_f32 v41, v5, v27
	ds_store_b64 v33, v[41:42]
.LBB308_28:                             ;   in Loop: Header=BB308_16 Depth=2
	s_wait_alu 0xfffe
	s_or_b32 exec_lo, exec_lo, s7
	s_wait_dscnt 0x1
	v_dual_mov_b32 v27, 0 :: v_dual_mov_b32 v26, 0
	s_wait_loadcnt_dscnt 0x0
	s_barrier_signal -1
	s_barrier_wait -1
	global_inv scope:SCOPE_SE
	s_and_saveexec_b32 s7, s2
	s_cbranch_execnz .LBB308_52
; %bb.29:                               ;   in Loop: Header=BB308_16 Depth=2
	s_wait_alu 0xfffe
	s_or_b32 exec_lo, exec_lo, s7
	s_and_saveexec_b32 s7, s1
	s_cbranch_execnz .LBB308_53
.LBB308_30:                             ;   in Loop: Header=BB308_16 Depth=2
	s_wait_alu 0xfffe
	s_or_b32 exec_lo, exec_lo, s7
	s_and_saveexec_b32 s7, s1
.LBB308_31:                             ;   in Loop: Header=BB308_16 Depth=2
	v_mov_b32_e32 v5, v4
	ds_store_b64 v32, v[4:5]
.LBB308_32:                             ;   in Loop: Header=BB308_16 Depth=2
	s_wait_alu 0xfffe
	s_or_b32 exec_lo, exec_lo, s7
	ds_bpermute_b32 v5, v1, v28
	ds_bpermute_b32 v41, v1, v29
	s_wait_loadcnt_dscnt 0x0
	s_barrier_signal -1
	s_barrier_wait -1
	global_inv scope:SCOPE_SE
	v_add_f32_e32 v5, v28, v5
	v_add_f32_e32 v28, v29, v41
	ds_bpermute_b32 v29, v37, v5
	ds_bpermute_b32 v41, v37, v28
	s_wait_dscnt 0x1
	v_add_f32_e32 v5, v5, v29
	s_wait_dscnt 0x0
	v_add_f32_e32 v28, v28, v41
	ds_bpermute_b32 v29, v38, v5
	ds_bpermute_b32 v41, v38, v28
	s_wait_dscnt 0x1
	v_add_f32_e32 v5, v5, v29
	s_wait_dscnt 0x0
	;; [unrolled: 6-line block ×3, first 2 shown]
	v_add_f32_e32 v28, v28, v41
	ds_bpermute_b32 v29, v40, v5
	ds_bpermute_b32 v41, v40, v28
	s_and_saveexec_b32 s7, s3
	s_cbranch_execz .LBB308_34
; %bb.33:                               ;   in Loop: Header=BB308_16 Depth=2
	s_wait_dscnt 0x0
	v_add_f32_e32 v42, v28, v41
	v_add_f32_e32 v41, v5, v29
	ds_store_b64 v33, v[41:42]
.LBB308_34:                             ;   in Loop: Header=BB308_16 Depth=2
	s_wait_alu 0xfffe
	s_or_b32 exec_lo, exec_lo, s7
	s_wait_dscnt 0x1
	v_dual_mov_b32 v29, 0 :: v_dual_mov_b32 v28, 0
	s_wait_loadcnt_dscnt 0x0
	s_barrier_signal -1
	s_barrier_wait -1
	global_inv scope:SCOPE_SE
	s_and_saveexec_b32 s7, s2
	s_cbranch_execnz .LBB308_54
; %bb.35:                               ;   in Loop: Header=BB308_16 Depth=2
	s_wait_alu 0xfffe
	s_or_b32 exec_lo, exec_lo, s7
	s_and_saveexec_b32 s7, s1
	s_cbranch_execnz .LBB308_55
.LBB308_36:                             ;   in Loop: Header=BB308_16 Depth=2
	s_wait_alu 0xfffe
	s_or_b32 exec_lo, exec_lo, s7
	s_and_saveexec_b32 s7, s1
.LBB308_37:                             ;   in Loop: Header=BB308_16 Depth=2
	v_mov_b32_e32 v5, v4
	ds_store_b64 v32, v[4:5]
.LBB308_38:                             ;   in Loop: Header=BB308_16 Depth=2
	s_wait_alu 0xfffe
	s_or_b32 exec_lo, exec_lo, s7
	ds_bpermute_b32 v5, v1, v31
	ds_bpermute_b32 v41, v1, v30
	s_wait_loadcnt_dscnt 0x0
	s_barrier_signal -1
	s_barrier_wait -1
	global_inv scope:SCOPE_SE
	v_add_f32_e32 v5, v31, v5
	ds_bpermute_b32 v31, v37, v5
	s_wait_dscnt 0x0
	v_dual_add_f32 v30, v30, v41 :: v_dual_add_f32 v5, v5, v31
	ds_bpermute_b32 v41, v37, v30
	ds_bpermute_b32 v31, v38, v5
	s_wait_dscnt 0x0
	v_dual_add_f32 v30, v30, v41 :: v_dual_add_f32 v5, v5, v31
	ds_bpermute_b32 v41, v38, v30
	;; [unrolled: 4-line block ×3, first 2 shown]
	ds_bpermute_b32 v31, v40, v5
	s_wait_dscnt 0x1
	v_add_f32_e32 v30, v30, v41
	ds_bpermute_b32 v41, v40, v30
	s_and_saveexec_b32 s7, s3
	s_cbranch_execz .LBB308_40
; %bb.39:                               ;   in Loop: Header=BB308_16 Depth=2
	s_wait_dscnt 0x0
	v_dual_add_f32 v42, v30, v41 :: v_dual_add_f32 v41, v5, v31
	ds_store_b64 v33, v[41:42]
.LBB308_40:                             ;   in Loop: Header=BB308_16 Depth=2
	s_wait_alu 0xfffe
	s_or_b32 exec_lo, exec_lo, s7
	s_wait_dscnt 0x1
	v_dual_mov_b32 v31, 0 :: v_dual_mov_b32 v30, 0
	s_wait_loadcnt_dscnt 0x0
	s_barrier_signal -1
	s_barrier_wait -1
	global_inv scope:SCOPE_SE
	s_and_saveexec_b32 s7, s2
	s_cbranch_execnz .LBB308_56
; %bb.41:                               ;   in Loop: Header=BB308_16 Depth=2
	s_wait_alu 0xfffe
	s_or_b32 exec_lo, exec_lo, s7
	s_and_saveexec_b32 s7, s1
	s_cbranch_execnz .LBB308_57
.LBB308_42:                             ;   in Loop: Header=BB308_16 Depth=2
	s_wait_alu 0xfffe
	s_or_b32 exec_lo, exec_lo, s7
	s_and_saveexec_b32 s7, s0
	s_cbranch_execz .LBB308_15
	s_branch .LBB308_58
.LBB308_43:                             ;   in Loop: Header=BB308_16 Depth=2
	s_mul_i32 s8, s11, s52
	s_wait_alu 0xfffe
	s_ashr_i32 s9, s8, 31
	s_add_co_i32 s48, s8, s52
	s_wait_alu 0xfffe
	s_lshl_b64 s[8:9], s[8:9], 3
	s_ashr_i32 s49, s48, 31
	s_wait_alu 0xfffe
	v_add_co_u32 v28, vcc_lo, v35, s8
	s_wait_alu 0xfffd
	v_add_co_ci_u32_e64 v29, null, s9, v36, vcc_lo
	s_lshl_b64 s[8:9], s[48:49], 3
	s_wait_alu 0xfffe
	v_add_co_u32 v41, vcc_lo, v35, s8
	s_add_co_i32 s8, s48, s52
	s_wait_alu 0xfffd
	v_add_co_ci_u32_e64 v42, null, s9, v36, vcc_lo
	s_wait_alu 0xfffe
	s_ashr_i32 s9, s8, 31
	s_wait_dscnt 0x0
	flat_load_b128 v[24:27], v[28:29]
	s_wait_alu 0xfffe
	s_lshl_b64 s[48:49], s[8:9], 3
	s_add_co_i32 s8, s8, s52
	s_wait_alu 0xfffe
	v_add_co_u32 v63, vcc_lo, v35, s48
	s_wait_alu 0xfffd
	v_add_co_ci_u32_e64 v64, null, s49, v36, vcc_lo
	s_ashr_i32 s9, s8, 31
	s_clause 0x3
	flat_load_b64 v[43:44], v[16:17]
	flat_load_b64 v[45:46], v[18:19]
	;; [unrolled: 1-line block ×4, first 2 shown]
	s_wait_alu 0xfffe
	s_lshl_b64 s[8:9], s[8:9], 3
	s_clause 0x3
	flat_load_b128 v[28:31], v[28:29] offset:16
	flat_load_b128 v[51:54], v[41:42]
	flat_load_b128 v[55:58], v[41:42] offset:16
	flat_load_b128 v[59:62], v[63:64]
	s_wait_alu 0xfffe
	v_add_co_u32 v41, vcc_lo, v35, s8
	s_wait_alu 0xfffd
	v_add_co_ci_u32_e64 v42, null, s9, v36, vcc_lo
	s_clause 0x2
	flat_load_b128 v[63:66], v[63:64] offset:16
	flat_load_b128 v[67:70], v[41:42]
	flat_load_b128 v[71:74], v[41:42] offset:16
	s_wait_loadcnt_dscnt 0x909
	scratch_store_b128 off, v[43:46], off
	s_wait_loadcnt_dscnt 0x707
	scratch_store_b128 off, v[47:50], off offset:16
	v_mul_f32_e32 v5, v44, v25
	s_wait_loadcnt_dscnt 0x505
	v_dual_mul_f32 v25, v43, v25 :: v_dual_mul_f32 v76, v44, v52
	v_dual_mul_f32 v41, v46, v27 :: v_dual_mul_f32 v42, v48, v29
	s_wait_loadcnt_dscnt 0x404
	v_dual_mul_f32 v27, v45, v27 :: v_dual_mul_f32 v78, v48, v56
	v_mul_f32_e32 v29, v47, v29
	v_dual_mul_f32 v75, v50, v31 :: v_dual_mul_f32 v56, v47, v56
	s_wait_loadcnt_dscnt 0x303
	v_dual_mul_f32 v31, v49, v31 :: v_dual_mul_f32 v80, v44, v60
	v_mul_f32_e32 v52, v43, v52
	v_fma_f32 v5, v43, v24, -v5
	v_dual_mul_f32 v77, v46, v54 :: v_dual_mul_f32 v60, v43, v60
	v_mul_f32_e32 v54, v45, v54
	s_wait_loadcnt_dscnt 0x202
	v_dual_mul_f32 v79, v50, v58 :: v_dual_mul_f32 v82, v48, v64
	v_dual_mul_f32 v58, v49, v58 :: v_dual_fmac_f32 v25, v44, v24
	v_dual_mul_f32 v81, v46, v62 :: v_dual_mul_f32 v64, v47, v64
	v_dual_mul_f32 v62, v45, v62 :: v_dual_fmac_f32 v29, v48, v28
	v_mul_f32_e32 v83, v50, v66
	v_mul_f32_e32 v66, v49, v66
	v_fma_f32 v24, v45, v26, -v41
	v_fmac_f32_e32 v27, v46, v26
	v_fma_f32 v26, v47, v28, -v42
	v_fma_f32 v28, v49, v30, -v75
	s_wait_loadcnt_dscnt 0x101
	v_dual_fmac_f32 v31, v50, v30 :: v_dual_mul_f32 v30, v44, v68
	v_dual_mul_f32 v41, v43, v68 :: v_dual_mul_f32 v42, v46, v70
	v_dual_add_f32 v5, 0, v5 :: v_dual_mul_f32 v68, v45, v70
	v_add_f32_e32 v25, 0, v25
	v_fma_f32 v76, v43, v51, -v76
	s_wait_loadcnt_dscnt 0x0
	v_dual_mul_f32 v75, v50, v74 :: v_dual_fmac_f32 v52, v44, v51
	v_dual_mul_f32 v74, v49, v74 :: v_dual_fmac_f32 v41, v44, v67
	v_fma_f32 v51, v45, v53, -v77
	v_fmac_f32_e32 v54, v46, v53
	v_fma_f32 v53, v47, v55, -v78
	v_fmac_f32_e32 v56, v48, v55
	v_fma_f32 v55, v49, v57, -v79
	v_dual_fmac_f32 v58, v50, v57 :: v_dual_add_f32 v5, v5, v24
	v_fma_f32 v57, v43, v59, -v80
	v_fma_f32 v30, v43, v67, -v30
	;; [unrolled: 1-line block ×3, first 2 shown]
	s_delay_alu instid0(VALU_DEP_4)
	v_dual_fmac_f32 v68, v46, v69 :: v_dual_add_f32 v5, v5, v26
	v_add_f32_e32 v69, 0, v76
	v_mul_f32_e32 v70, v48, v72
	v_mul_f32_e32 v72, v47, v72
	v_fmac_f32_e32 v60, v44, v59
	v_fma_f32 v59, v45, v61, -v81
	v_dual_fmac_f32 v64, v48, v63 :: v_dual_add_f32 v57, 0, v57
	v_fmac_f32_e32 v66, v50, v65
	v_dual_add_f32 v24, v25, v27 :: v_dual_add_f32 v25, 0, v30
	v_dual_add_f32 v27, 0, v41 :: v_dual_add_f32 v30, v69, v51
	v_add_f32_e32 v52, 0, v52
	s_delay_alu instid0(VALU_DEP_3) | instskip(NEXT) | instid1(VALU_DEP_3)
	v_dual_fmac_f32 v72, v48, v71 :: v_dual_add_f32 v25, v25, v42
	v_dual_add_f32 v26, v27, v68 :: v_dual_add_f32 v27, v30, v53
	s_delay_alu instid0(VALU_DEP_3)
	v_dual_fmac_f32 v62, v46, v61 :: v_dual_add_f32 v41, v52, v54
	v_fma_f32 v61, v47, v63, -v82
	v_fma_f32 v63, v49, v65, -v83
	;; [unrolled: 1-line block ×3, first 2 shown]
	v_add_f32_e32 v60, 0, v60
	v_fma_f32 v67, v49, v73, -v75
	v_dual_fmac_f32 v74, v50, v73 :: v_dual_add_f32 v51, v57, v59
	v_dual_add_f32 v24, v24, v29 :: v_dual_add_f32 v29, v41, v56
	v_add_f32_e32 v41, v5, v28
	v_dual_add_f32 v5, v25, v65 :: v_dual_add_f32 v52, v60, v62
	s_delay_alu instid0(VALU_DEP_4) | instskip(NEXT) | instid1(VALU_DEP_4)
	v_add_f32_e32 v30, v51, v61
	v_add_f32_e32 v42, v24, v31
	s_delay_alu instid0(VALU_DEP_3) | instskip(NEXT) | instid1(VALU_DEP_4)
	v_dual_add_f32 v24, v26, v72 :: v_dual_add_f32 v31, v5, v67
	v_dual_add_f32 v51, v52, v64 :: v_dual_add_f32 v26, v27, v55
	s_delay_alu instid0(VALU_DEP_4) | instskip(NEXT) | instid1(VALU_DEP_3)
	v_dual_add_f32 v27, v29, v58 :: v_dual_add_f32 v28, v30, v63
	v_add_f32_e32 v30, v24, v74
	s_delay_alu instid0(VALU_DEP_3)
	v_add_f32_e32 v29, v51, v66
	s_and_not1_saveexec_b32 s34, s7
	s_cbranch_execz .LBB308_18
.LBB308_44:                             ;   in Loop: Header=BB308_16 Depth=2
	v_dual_mov_b32 v41, 0 :: v_dual_mov_b32 v42, 0
	v_dual_mov_b32 v26, 0 :: v_dual_mov_b32 v27, 0
	;; [unrolled: 1-line block ×3, first 2 shown]
	s_wait_dscnt 0x0
	v_dual_mov_b32 v31, 0 :: v_dual_mov_b32 v30, 0
	s_and_saveexec_b32 s67, s5
	s_cbranch_execz .LBB308_60
; %bb.45:                               ;   in Loop: Header=BB308_16 Depth=2
	s_and_not1_b32 vcc_lo, exec_lo, s58
	s_wait_alu 0xfffe
	s_cbranch_vccnz .LBB308_59
; %bb.46:                               ;   in Loop: Header=BB308_16 Depth=2
	v_mov_b32_e32 v24, v0
	s_mov_b32 s7, 0
	s_mov_b32 s8, s56
.LBB308_47:                             ;   Parent Loop BB308_3 Depth=1
                                        ;     Parent Loop BB308_16 Depth=2
                                        ; =>    This Inner Loop Header: Depth=3
	s_delay_alu instid0(VALU_DEP_1) | instskip(SKIP_2) | instid1(VALU_DEP_1)
	v_ashrrev_i32_e32 v25, 31, v24
	s_wait_alu 0xfffe
	s_add_co_i32 s8, s8, -1
	v_lshlrev_b64_e32 v[25:26], 3, v[24:25]
	v_add_nc_u32_e32 v24, s53, v24
	s_delay_alu instid0(VALU_DEP_2) | instskip(SKIP_1) | instid1(VALU_DEP_3)
	v_add_co_u32 v25, vcc_lo, v14, v25
	s_wait_alu 0xfffd
	v_add_co_ci_u32_e64 v26, null, v15, v26, vcc_lo
	flat_load_b64 v[25:26], v[25:26]
	s_wait_loadcnt_dscnt 0x0
	scratch_store_b64 off, v[25:26], s7
	s_add_co_i32 s7, s7, 8
	s_wait_alu 0xfffe
	s_cmp_eq_u32 s8, 0
	s_cbranch_scc0 .LBB308_47
; %bb.48:                               ;   in Loop: Header=BB308_16 Depth=2
	s_ashr_i32 s7, s6, 31
	v_dual_mov_b32 v30, 0 :: v_dual_mov_b32 v31, 0
	s_wait_alu 0xfffe
	s_lshl_b64 s[8:9], s[6:7], 3
	v_dual_mov_b32 v29, 0 :: v_dual_mov_b32 v28, 0
	s_wait_alu 0xfffe
	v_add_co_u32 v24, vcc_lo, v35, s8
	s_wait_alu 0xfffd
	v_add_co_ci_u32_e64 v25, null, s9, v36, vcc_lo
	v_dual_mov_b32 v27, 0 :: v_dual_mov_b32 v26, 0
	v_dual_mov_b32 v42, 0 :: v_dual_mov_b32 v41, 0
	s_mov_b32 s7, s61
	s_mov_b32 s8, s64
	;; [unrolled: 1-line block ×5, first 2 shown]
.LBB308_49:                             ;   Parent Loop BB308_3 Depth=1
                                        ;     Parent Loop BB308_16 Depth=2
                                        ; =>    This Inner Loop Header: Depth=3
	s_ashr_i32 s51, s50, 31
	s_wait_alu 0xfffe
	s_ashr_i32 s49, s48, 31
	s_lshl_b64 s[70:71], s[50:51], 3
	s_ashr_i32 s9, s8, 31
	s_wait_alu 0xfffe
	s_lshl_b64 s[72:73], s[48:49], 3
	v_add_co_u32 v47, vcc_lo, v35, s70
	s_lshl_b64 s[74:75], s[8:9], 3
	s_wait_alu 0xfffd
	v_add_co_ci_u32_e64 v48, null, s71, v36, vcc_lo
	s_wait_alu 0xfffe
	v_add_co_u32 v49, vcc_lo, v35, s72
	scratch_load_b64 v[43:44], off, s7 offset:-4
	flat_load_b64 v[45:46], v[24:25]
	s_wait_alu 0xfffd
	v_add_co_ci_u32_e64 v50, null, s73, v36, vcc_lo
	v_add_co_u32 v51, vcc_lo, v35, s74
	s_wait_alu 0xfffd
	v_add_co_ci_u32_e64 v52, null, s75, v36, vcc_lo
	s_clause 0x2
	flat_load_b64 v[47:48], v[47:48]
	flat_load_b64 v[49:50], v[49:50]
	;; [unrolled: 1-line block ×3, first 2 shown]
	v_add_co_u32 v24, vcc_lo, v24, 8
	s_wait_alu 0xfffd
	v_add_co_ci_u32_e64 v25, null, 0, v25, vcc_lo
	s_add_co_i32 s68, s68, -1
	s_add_co_i32 s7, s7, 8
	s_add_co_i32 s50, s50, 1
	;; [unrolled: 1-line block ×4, first 2 shown]
	s_cmp_lg_u32 s68, 0
	s_wait_loadcnt_dscnt 0x303
	v_mul_f32_e32 v5, v44, v46
	v_mul_f32_e32 v46, v43, v46
	s_delay_alu instid0(VALU_DEP_2) | instskip(NEXT) | instid1(VALU_DEP_2)
	v_fma_f32 v5, v43, v45, -v5
	v_fmac_f32_e32 v46, v44, v45
	s_wait_loadcnt_dscnt 0x101
	v_mul_f32_e32 v53, v44, v50
	v_dual_mul_f32 v50, v43, v50 :: v_dual_mul_f32 v45, v44, v48
	v_dual_mul_f32 v48, v43, v48 :: v_dual_add_f32 v41, v41, v5
	s_delay_alu instid0(VALU_DEP_2)
	v_fmac_f32_e32 v50, v44, v49
	s_wait_loadcnt_dscnt 0x0
	v_mul_f32_e32 v54, v44, v52
	v_mul_f32_e32 v52, v43, v52
	v_fma_f32 v5, v43, v47, -v45
	v_fmac_f32_e32 v48, v44, v47
	v_fma_f32 v45, v43, v49, -v53
	v_add_f32_e32 v29, v29, v50
	v_fma_f32 v43, v43, v51, -v54
	v_fmac_f32_e32 v52, v44, v51
	v_dual_add_f32 v26, v26, v5 :: v_dual_add_f32 v27, v27, v48
	s_delay_alu instid0(VALU_DEP_3) | instskip(SKIP_1) | instid1(VALU_DEP_4)
	v_dual_add_f32 v42, v42, v46 :: v_dual_add_f32 v31, v31, v43
	v_add_f32_e32 v28, v28, v45
	v_add_f32_e32 v30, v30, v52
	s_cbranch_scc1 .LBB308_49
	s_branch .LBB308_60
.LBB308_50:                             ;   in Loop: Header=BB308_16 Depth=2
	ds_load_b64 v[24:25], v32
	s_wait_alu 0xfffe
	s_or_b32 exec_lo, exec_lo, s7
	s_and_saveexec_b32 s7, s1
	s_cbranch_execz .LBB308_24
.LBB308_51:                             ;   in Loop: Header=BB308_16 Depth=2
	s_wait_dscnt 0x0
	ds_bpermute_b32 v5, v38, v24
	ds_bpermute_b32 v41, v38, v25
	s_wait_dscnt 0x1
	v_add_f32_e32 v5, v24, v5
	s_wait_dscnt 0x0
	v_add_f32_e32 v24, v25, v41
	ds_bpermute_b32 v25, v39, v5
	ds_bpermute_b32 v41, v39, v24
	s_wait_dscnt 0x1
	v_add_f32_e32 v5, v5, v25
	s_wait_dscnt 0x0
	v_add_f32_e32 v25, v24, v41
	ds_bpermute_b32 v24, v40, v5
	s_wait_dscnt 0x0
	v_add_f32_e32 v24, v5, v24
	ds_bpermute_b32 v41, v40, v25
	s_wait_dscnt 0x0
	v_add_f32_e32 v25, v25, v41
	s_wait_alu 0xfffe
	s_or_b32 exec_lo, exec_lo, s7
	s_and_saveexec_b32 s7, s1
	s_cbranch_execnz .LBB308_25
	s_branch .LBB308_26
.LBB308_52:                             ;   in Loop: Header=BB308_16 Depth=2
	ds_load_b64 v[26:27], v32
	s_wait_alu 0xfffe
	s_or_b32 exec_lo, exec_lo, s7
	s_and_saveexec_b32 s7, s1
	s_cbranch_execz .LBB308_30
.LBB308_53:                             ;   in Loop: Header=BB308_16 Depth=2
	s_wait_dscnt 0x0
	ds_bpermute_b32 v5, v38, v26
	ds_bpermute_b32 v41, v38, v27
	s_wait_dscnt 0x1
	v_add_f32_e32 v5, v26, v5
	s_wait_dscnt 0x0
	v_add_f32_e32 v26, v27, v41
	ds_bpermute_b32 v27, v39, v5
	s_wait_dscnt 0x0
	v_add_f32_e32 v5, v5, v27
	ds_bpermute_b32 v41, v39, v26
	;; [unrolled: 3-line block ×4, first 2 shown]
	s_wait_dscnt 0x0
	v_add_f32_e32 v27, v27, v41
	s_wait_alu 0xfffe
	s_or_b32 exec_lo, exec_lo, s7
	s_and_saveexec_b32 s7, s1
	s_cbranch_execnz .LBB308_31
	s_branch .LBB308_32
.LBB308_54:                             ;   in Loop: Header=BB308_16 Depth=2
	ds_load_b64 v[28:29], v32
	s_wait_alu 0xfffe
	s_or_b32 exec_lo, exec_lo, s7
	s_and_saveexec_b32 s7, s1
	s_cbranch_execz .LBB308_36
.LBB308_55:                             ;   in Loop: Header=BB308_16 Depth=2
	s_wait_dscnt 0x0
	ds_bpermute_b32 v5, v38, v28
	ds_bpermute_b32 v41, v38, v29
	s_wait_dscnt 0x1
	v_add_f32_e32 v5, v28, v5
	s_wait_dscnt 0x0
	v_add_f32_e32 v28, v29, v41
	ds_bpermute_b32 v29, v39, v5
	ds_bpermute_b32 v41, v39, v28
	s_wait_dscnt 0x1
	v_add_f32_e32 v5, v5, v29
	s_wait_dscnt 0x0
	v_add_f32_e32 v29, v28, v41
	ds_bpermute_b32 v28, v40, v5
	s_wait_dscnt 0x0
	v_add_f32_e32 v28, v5, v28
	ds_bpermute_b32 v41, v40, v29
	s_wait_dscnt 0x0
	v_add_f32_e32 v29, v29, v41
	s_wait_alu 0xfffe
	s_or_b32 exec_lo, exec_lo, s7
	s_and_saveexec_b32 s7, s1
	s_cbranch_execnz .LBB308_37
	s_branch .LBB308_38
.LBB308_56:                             ;   in Loop: Header=BB308_16 Depth=2
	ds_load_b64 v[30:31], v32
	s_wait_alu 0xfffe
	s_or_b32 exec_lo, exec_lo, s7
	s_and_saveexec_b32 s7, s1
	s_cbranch_execz .LBB308_42
.LBB308_57:                             ;   in Loop: Header=BB308_16 Depth=2
	s_wait_dscnt 0x0
	ds_bpermute_b32 v5, v38, v30
	ds_bpermute_b32 v41, v38, v31
	s_wait_dscnt 0x1
	v_add_f32_e32 v5, v30, v5
	s_wait_dscnt 0x0
	v_add_f32_e32 v30, v31, v41
	ds_bpermute_b32 v31, v39, v5
	s_wait_dscnt 0x0
	v_add_f32_e32 v5, v5, v31
	ds_bpermute_b32 v41, v39, v30
	;; [unrolled: 3-line block ×4, first 2 shown]
	s_wait_dscnt 0x0
	v_add_f32_e32 v31, v31, v41
	s_wait_alu 0xfffe
	s_or_b32 exec_lo, exec_lo, s7
	s_and_saveexec_b32 s7, s0
	s_cbranch_execz .LBB308_15
.LBB308_58:                             ;   in Loop: Header=BB308_16 Depth=2
	v_dual_mul_f32 v42, s62, v25 :: v_dual_mul_f32 v43, s63, v27
	v_mul_f32_e32 v5, s63, v25
	s_mul_i32 s8, s11, s28
	v_mul_f32_e32 v25, s62, v27
	s_wait_alu 0xfffe
	s_add_co_i32 s34, s8, s24
	v_fmac_f32_e32 v42, s63, v24
	v_fma_f32 v41, v24, s62, -v5
	s_lshl_b64 s[8:9], s[34:35], 3
	s_add_co_i32 s34, s34, s28
	v_fma_f32 v24, v26, s62, -v43
	v_fmac_f32_e32 v25, s63, v26
	v_mul_f32_e32 v5, s63, v29
	s_lshl_b64 s[48:49], s[34:35], 3
	s_wait_alu 0xfffe
	s_add_nc_u64 s[8:9], s[46:47], s[8:9]
	s_add_nc_u64 s[48:49], s[46:47], s[48:49]
	s_clause 0x1
	global_store_b64 v4, v[41:42], s[8:9]
	global_store_b64 v4, v[24:25], s[48:49]
	v_mul_f32_e32 v25, s62, v29
	v_fma_f32 v24, v28, s62, -v5
	s_wait_dscnt 0x0
	v_mul_f32_e32 v5, s63, v31
	v_mul_f32_e32 v27, s62, v31
	s_add_co_i32 s34, s34, s28
	v_fmac_f32_e32 v25, s63, v28
	s_lshl_b64 s[8:9], s[34:35], 3
	s_add_co_i32 s34, s34, s28
	v_fma_f32 v26, v30, s62, -v5
	v_fmac_f32_e32 v27, s63, v30
	s_lshl_b64 s[48:49], s[34:35], 3
	s_wait_alu 0xfffe
	s_add_nc_u64 s[8:9], s[46:47], s[8:9]
	s_add_nc_u64 s[48:49], s[46:47], s[48:49]
	s_clause 0x1
	global_store_b64 v4, v[24:25], s[8:9]
	global_store_b64 v4, v[26:27], s[48:49]
	s_branch .LBB308_15
.LBB308_59:                             ;   in Loop: Header=BB308_16 Depth=2
	v_dual_mov_b32 v41, 0 :: v_dual_mov_b32 v42, 0
	v_dual_mov_b32 v26, 0 :: v_dual_mov_b32 v27, 0
	;; [unrolled: 1-line block ×4, first 2 shown]
.LBB308_60:                             ;   in Loop: Header=BB308_16 Depth=2
	s_or_b32 exec_lo, exec_lo, s67
	s_delay_alu instid0(SALU_CYCLE_1)
	s_or_b32 exec_lo, exec_lo, s34
	s_and_saveexec_b32 s7, s1
	s_cbranch_execnz .LBB308_19
	s_branch .LBB308_20
.LBB308_61:                             ;   in Loop: Header=BB308_3 Depth=1
	s_mov_b32 s11, 0
.LBB308_62:                             ;   in Loop: Header=BB308_3 Depth=1
	s_delay_alu instid0(SALU_CYCLE_1)
	s_cmp_ge_i32 s11, s27
	s_cbranch_scc1 .LBB308_2
; %bb.63:                               ;   in Loop: Header=BB308_3 Depth=1
	v_cmp_gt_u32_e32 vcc_lo, 24, v34
	s_wait_alu 0xfffe
	s_add_nc_u64 s[6:7], s[46:47], s[38:39]
	s_mul_i32 s8, s52, s11
	s_mov_b32 s34, s11
	s_wait_alu 0xfffd
	v_cndmask_b32_e64 v5, 0, 8, vcc_lo
	v_cmp_gt_u32_e32 vcc_lo, 28, v34
	s_delay_alu instid0(VALU_DEP_2) | instskip(SKIP_3) | instid1(VALU_DEP_2)
	v_add_lshl_u32 v26, v5, v34, 2
	s_wait_alu 0xfffd
	v_cndmask_b32_e64 v16, 0, 4, vcc_lo
	v_cmp_gt_u32_e32 vcc_lo, 30, v34
	v_add_lshl_u32 v27, v16, v34, 2
	s_wait_alu 0xfffd
	v_cndmask_b32_e64 v17, 0, 2, vcc_lo
	v_cmp_ne_u32_e32 vcc_lo, 31, v34
	s_delay_alu instid0(VALU_DEP_2)
	v_add_lshl_u32 v28, v17, v34, 2
	s_wait_alu 0xfffd
	v_add_co_ci_u32_e64 v18, null, 0, v34, vcc_lo
	v_add_co_u32 v16, vcc_lo, v14, v6
	s_wait_alu 0xfffd
	v_add_co_ci_u32_e64 v17, null, v15, v7, vcc_lo
	s_delay_alu instid0(VALU_DEP_3)
	v_lshlrev_b32_e32 v29, 2, v18
	v_add_co_u32 v18, vcc_lo, v14, v8
	s_wait_alu 0xfffd
	v_add_co_ci_u32_e64 v19, null, v15, v9, vcc_lo
	v_add_co_u32 v20, vcc_lo, v14, v10
	s_wait_alu 0xfffd
	v_add_co_ci_u32_e64 v21, null, v15, v11, vcc_lo
	;; [unrolled: 3-line block ×3, first 2 shown]
	s_branch .LBB308_65
.LBB308_64:                             ;   in Loop: Header=BB308_65 Depth=2
	s_wait_alu 0xfffe
	s_or_b32 exec_lo, exec_lo, s9
	s_add_co_i32 s34, s34, 1
	s_add_co_i32 s8, s8, s52
	s_cmp_lt_i32 s34, s27
	s_cbranch_scc0 .LBB308_2
.LBB308_65:                             ;   Parent Loop BB308_3 Depth=1
                                        ; =>  This Loop Header: Depth=2
                                        ;       Child Loop BB308_77 Depth 3
                                        ;       Child Loop BB308_79 Depth 3
                                        ; implicit-def: $vgpr30
                                        ; implicit-def: $vgpr31
	s_and_saveexec_b32 s9, s4
	s_wait_alu 0xfffe
	s_xor_b32 s9, exec_lo, s9
	s_cbranch_execnz .LBB308_74
; %bb.66:                               ;   in Loop: Header=BB308_65 Depth=2
	s_wait_alu 0xfffe
	s_and_not1_saveexec_b32 s11, s9
	s_cbranch_execnz .LBB308_75
.LBB308_67:                             ;   in Loop: Header=BB308_65 Depth=2
	s_or_b32 exec_lo, exec_lo, s11
	s_and_saveexec_b32 s9, s1
.LBB308_68:                             ;   in Loop: Header=BB308_65 Depth=2
	v_mov_b32_e32 v5, v4
	ds_store_b64 v32, v[4:5]
.LBB308_69:                             ;   in Loop: Header=BB308_65 Depth=2
	s_wait_alu 0xfffe
	s_or_b32 exec_lo, exec_lo, s9
	s_wait_dscnt 0x0
	ds_bpermute_b32 v5, v1, v30
	ds_bpermute_b32 v24, v1, v31
	s_wait_storecnt 0x0
	s_wait_loadcnt_dscnt 0x0
	s_barrier_signal -1
	s_barrier_wait -1
	global_inv scope:SCOPE_SE
	v_dual_add_f32 v5, v30, v5 :: v_dual_add_f32 v24, v31, v24
	ds_bpermute_b32 v25, v26, v5
	ds_bpermute_b32 v30, v26, v24
	s_wait_dscnt 0x0
	v_dual_add_f32 v5, v5, v25 :: v_dual_add_f32 v24, v24, v30
	ds_bpermute_b32 v25, v27, v5
	ds_bpermute_b32 v30, v27, v24
	s_wait_dscnt 0x0
	;; [unrolled: 4-line block ×3, first 2 shown]
	v_dual_add_f32 v5, v5, v25 :: v_dual_add_f32 v24, v24, v30
	ds_bpermute_b32 v25, v29, v5
	ds_bpermute_b32 v30, v29, v24
	s_and_saveexec_b32 s9, s3
	s_cbranch_execz .LBB308_71
; %bb.70:                               ;   in Loop: Header=BB308_65 Depth=2
	s_wait_dscnt 0x0
	v_dual_add_f32 v31, v24, v30 :: v_dual_add_f32 v30, v5, v25
	ds_store_b64 v33, v[30:31]
.LBB308_71:                             ;   in Loop: Header=BB308_65 Depth=2
	s_wait_alu 0xfffe
	s_or_b32 exec_lo, exec_lo, s9
	s_wait_dscnt 0x1
	v_dual_mov_b32 v25, 0 :: v_dual_mov_b32 v24, 0
	s_wait_loadcnt_dscnt 0x0
	s_barrier_signal -1
	s_barrier_wait -1
	global_inv scope:SCOPE_SE
	s_and_saveexec_b32 s9, s2
	s_cbranch_execnz .LBB308_81
; %bb.72:                               ;   in Loop: Header=BB308_65 Depth=2
	s_wait_alu 0xfffe
	s_or_b32 exec_lo, exec_lo, s9
	s_and_saveexec_b32 s9, s1
	s_cbranch_execnz .LBB308_82
.LBB308_73:                             ;   in Loop: Header=BB308_65 Depth=2
	s_wait_alu 0xfffe
	s_or_b32 exec_lo, exec_lo, s9
	s_and_saveexec_b32 s9, s0
	s_cbranch_execz .LBB308_64
	s_branch .LBB308_83
.LBB308_74:                             ;   in Loop: Header=BB308_65 Depth=2
	s_mul_i32 s46, s34, s52
	s_wait_alu 0xfffe
	s_ashr_i32 s47, s46, 31
	s_wait_alu 0xfffe
	s_lshl_b64 s[46:47], s[46:47], 3
	s_wait_dscnt 0x0
	s_wait_alu 0xfffe
	v_add_co_u32 v24, vcc_lo, v35, s46
	s_wait_alu 0xfffd
	v_add_co_ci_u32_e64 v25, null, s47, v36, vcc_lo
	flat_load_b128 v[37:40], v[24:25]
	s_clause 0x1
	flat_load_b64 v[41:42], v[16:17]
	flat_load_b64 v[43:44], v[18:19]
	flat_load_b128 v[45:48], v[24:25] offset:16
	s_clause 0x1
	flat_load_b64 v[49:50], v[20:21]
	flat_load_b64 v[51:52], v[22:23]
	s_wait_loadcnt_dscnt 0x303
	scratch_store_b128 off, v[41:44], off
	s_wait_loadcnt_dscnt 0x0
	scratch_store_b128 off, v[49:52], off offset:16
	v_dual_mul_f32 v5, v42, v38 :: v_dual_mul_f32 v30, v43, v40
	v_dual_mul_f32 v24, v41, v38 :: v_dual_mul_f32 v25, v44, v40
	v_mul_f32_e32 v31, v50, v46
	s_delay_alu instid0(VALU_DEP_3) | instskip(SKIP_1) | instid1(VALU_DEP_4)
	v_fma_f32 v5, v41, v37, -v5
	v_mul_f32_e32 v38, v49, v46
	v_fmac_f32_e32 v24, v42, v37
	v_fma_f32 v25, v43, v39, -v25
	v_dual_fmac_f32 v30, v44, v39 :: v_dual_mul_f32 v39, v51, v48
	s_delay_alu instid0(VALU_DEP_3) | instskip(SKIP_2) | instid1(VALU_DEP_4)
	v_dual_add_f32 v5, 0, v5 :: v_dual_add_f32 v24, 0, v24
	v_mul_f32_e32 v37, v52, v48
	v_fma_f32 v31, v49, v45, -v31
	v_dual_fmac_f32 v38, v50, v45 :: v_dual_fmac_f32 v39, v52, v47
	s_delay_alu instid0(VALU_DEP_4) | instskip(NEXT) | instid1(VALU_DEP_4)
	v_dual_add_f32 v5, v5, v25 :: v_dual_add_f32 v24, v24, v30
	v_fma_f32 v25, v51, v47, -v37
	s_delay_alu instid0(VALU_DEP_2) | instskip(NEXT) | instid1(VALU_DEP_1)
	v_dual_add_f32 v5, v5, v31 :: v_dual_add_f32 v24, v24, v38
	v_dual_add_f32 v30, v5, v25 :: v_dual_add_f32 v31, v24, v39
	s_and_not1_saveexec_b32 s11, s9
	s_cbranch_execz .LBB308_67
.LBB308_75:                             ;   in Loop: Header=BB308_65 Depth=2
	s_wait_dscnt 0x0
	v_dual_mov_b32 v30, 0 :: v_dual_mov_b32 v31, 0
	s_and_saveexec_b32 s46, s25
	s_cbranch_execz .LBB308_80
; %bb.76:                               ;   in Loop: Header=BB308_65 Depth=2
	v_mov_b32_e32 v24, v0
	s_mov_b32 s9, 0
	s_mov_b32 s47, s56
.LBB308_77:                             ;   Parent Loop BB308_3 Depth=1
                                        ;     Parent Loop BB308_65 Depth=2
                                        ; =>    This Inner Loop Header: Depth=3
	s_delay_alu instid0(VALU_DEP_1) | instskip(SKIP_2) | instid1(VALU_DEP_1)
	v_ashrrev_i32_e32 v25, 31, v24
	s_wait_alu 0xfffe
	s_add_co_i32 s47, s47, -1
	v_lshlrev_b64_e32 v[30:31], 3, v[24:25]
	v_add_nc_u32_e32 v24, s53, v24
	s_delay_alu instid0(VALU_DEP_2) | instskip(SKIP_1) | instid1(VALU_DEP_3)
	v_add_co_u32 v30, vcc_lo, v14, v30
	s_wait_alu 0xfffd
	v_add_co_ci_u32_e64 v31, null, v15, v31, vcc_lo
	flat_load_b64 v[30:31], v[30:31]
	s_wait_loadcnt_dscnt 0x0
	scratch_store_b64 off, v[30:31], s9
	s_add_co_i32 s9, s9, 8
	s_wait_alu 0xfffe
	s_cmp_eq_u32 s47, 0
	s_cbranch_scc0 .LBB308_77
; %bb.78:                               ;   in Loop: Header=BB308_65 Depth=2
	s_ashr_i32 s9, s8, 31
	v_dual_mov_b32 v30, 0 :: v_dual_mov_b32 v31, 0
	s_wait_alu 0xfffe
	s_lshl_b64 s[48:49], s[8:9], 3
	s_mov_b32 s9, s61
	s_wait_alu 0xfffe
	v_add_co_u32 v24, vcc_lo, v35, s48
	s_wait_alu 0xfffd
	v_add_co_ci_u32_e64 v25, null, s49, v36, vcc_lo
	s_mov_b32 s47, s56
.LBB308_79:                             ;   Parent Loop BB308_3 Depth=1
                                        ;     Parent Loop BB308_65 Depth=2
                                        ; =>    This Inner Loop Header: Depth=3
	flat_load_b64 v[37:38], v[24:25]
	scratch_load_b64 v[39:40], off, s9 offset:-4
	v_add_co_u32 v24, vcc_lo, v24, 8
	s_wait_alu 0xfffd
	v_add_co_ci_u32_e64 v25, null, 0, v25, vcc_lo
	s_wait_alu 0xfffe
	s_add_co_i32 s47, s47, -1
	s_add_co_i32 s9, s9, 8
	s_wait_alu 0xfffe
	s_cmp_lg_u32 s47, 0
	s_wait_loadcnt_dscnt 0x0
	v_mul_f32_e32 v5, v40, v38
	v_mul_f32_e32 v38, v39, v38
	s_delay_alu instid0(VALU_DEP_2) | instskip(NEXT) | instid1(VALU_DEP_2)
	v_fma_f32 v5, v39, v37, -v5
	v_fmac_f32_e32 v38, v40, v37
	s_delay_alu instid0(VALU_DEP_1)
	v_dual_add_f32 v30, v30, v5 :: v_dual_add_f32 v31, v31, v38
	s_cbranch_scc1 .LBB308_79
.LBB308_80:                             ;   in Loop: Header=BB308_65 Depth=2
	s_wait_alu 0xfffe
	s_or_b32 exec_lo, exec_lo, s46
	s_delay_alu instid0(SALU_CYCLE_1)
	s_or_b32 exec_lo, exec_lo, s11
	s_and_saveexec_b32 s9, s1
	s_cbranch_execnz .LBB308_68
	s_branch .LBB308_69
.LBB308_81:                             ;   in Loop: Header=BB308_65 Depth=2
	ds_load_b64 v[24:25], v32
	s_wait_alu 0xfffe
	s_or_b32 exec_lo, exec_lo, s9
	s_and_saveexec_b32 s9, s1
	s_cbranch_execz .LBB308_73
.LBB308_82:                             ;   in Loop: Header=BB308_65 Depth=2
	s_wait_dscnt 0x0
	ds_bpermute_b32 v5, v27, v24
	ds_bpermute_b32 v30, v27, v25
	s_wait_dscnt 0x0
	v_dual_add_f32 v5, v24, v5 :: v_dual_add_f32 v24, v25, v30
	ds_bpermute_b32 v25, v28, v5
	ds_bpermute_b32 v30, v28, v24
	s_wait_dscnt 0x1
	v_add_f32_e32 v5, v5, v25
	s_wait_dscnt 0x0
	v_add_f32_e32 v25, v24, v30
	ds_bpermute_b32 v24, v29, v5
	s_wait_dscnt 0x0
	v_add_f32_e32 v24, v5, v24
	ds_bpermute_b32 v30, v29, v25
	s_wait_dscnt 0x0
	v_add_f32_e32 v25, v25, v30
	s_wait_alu 0xfffe
	s_or_b32 exec_lo, exec_lo, s9
	s_and_saveexec_b32 s9, s0
	s_cbranch_execz .LBB308_64
.LBB308_83:                             ;   in Loop: Header=BB308_65 Depth=2
	s_wait_dscnt 0x0
	v_mul_f32_e32 v5, s63, v25
	v_mul_f32_e32 v31, s62, v25
	s_mul_u64 s[46:47], s[34:35], s[28:29]
	s_wait_alu 0xfffe
	s_lshl_b64 s[46:47], s[46:47], 3
	v_fma_f32 v30, v24, s62, -v5
	v_fmac_f32_e32 v31, s63, v24
	s_wait_alu 0xfffe
	s_add_nc_u64 s[46:47], s[6:7], s[46:47]
	global_store_b64 v4, v[30:31], s[46:47]
	s_branch .LBB308_64
.LBB308_84:
	s_endpgm
	.section	.rodata,"a",@progbits
	.p2align	6, 0x0
	.amdhsa_kernel _ZL23rocblas_gemvt_sn_kernelILb0ELi256ELi4EiPK19rocblas_complex_numIfES3_S1_EviiT4_lPKT3_lilS7_lilPT5_i
		.amdhsa_group_segment_fixed_size 256
		.amdhsa_private_segment_fixed_size 48
		.amdhsa_kernarg_size 360
		.amdhsa_user_sgpr_count 2
		.amdhsa_user_sgpr_dispatch_ptr 0
		.amdhsa_user_sgpr_queue_ptr 0
		.amdhsa_user_sgpr_kernarg_segment_ptr 1
		.amdhsa_user_sgpr_dispatch_id 0
		.amdhsa_user_sgpr_private_segment_size 0
		.amdhsa_wavefront_size32 1
		.amdhsa_uses_dynamic_stack 0
		.amdhsa_enable_private_segment 1
		.amdhsa_system_sgpr_workgroup_id_x 1
		.amdhsa_system_sgpr_workgroup_id_y 0
		.amdhsa_system_sgpr_workgroup_id_z 1
		.amdhsa_system_sgpr_workgroup_info 0
		.amdhsa_system_vgpr_workitem_id 0
		.amdhsa_next_free_vgpr 84
		.amdhsa_next_free_sgpr 76
		.amdhsa_reserve_vcc 1
		.amdhsa_float_round_mode_32 0
		.amdhsa_float_round_mode_16_64 0
		.amdhsa_float_denorm_mode_32 3
		.amdhsa_float_denorm_mode_16_64 3
		.amdhsa_fp16_overflow 0
		.amdhsa_workgroup_processor_mode 1
		.amdhsa_memory_ordered 1
		.amdhsa_forward_progress 1
		.amdhsa_inst_pref_size 47
		.amdhsa_round_robin_scheduling 0
		.amdhsa_exception_fp_ieee_invalid_op 0
		.amdhsa_exception_fp_denorm_src 0
		.amdhsa_exception_fp_ieee_div_zero 0
		.amdhsa_exception_fp_ieee_overflow 0
		.amdhsa_exception_fp_ieee_underflow 0
		.amdhsa_exception_fp_ieee_inexact 0
		.amdhsa_exception_int_div_zero 0
	.end_amdhsa_kernel
	.section	.text._ZL23rocblas_gemvt_sn_kernelILb0ELi256ELi4EiPK19rocblas_complex_numIfES3_S1_EviiT4_lPKT3_lilS7_lilPT5_i,"axG",@progbits,_ZL23rocblas_gemvt_sn_kernelILb0ELi256ELi4EiPK19rocblas_complex_numIfES3_S1_EviiT4_lPKT3_lilS7_lilPT5_i,comdat
.Lfunc_end308:
	.size	_ZL23rocblas_gemvt_sn_kernelILb0ELi256ELi4EiPK19rocblas_complex_numIfES3_S1_EviiT4_lPKT3_lilS7_lilPT5_i, .Lfunc_end308-_ZL23rocblas_gemvt_sn_kernelILb0ELi256ELi4EiPK19rocblas_complex_numIfES3_S1_EviiT4_lPKT3_lilS7_lilPT5_i
                                        ; -- End function
	.set _ZL23rocblas_gemvt_sn_kernelILb0ELi256ELi4EiPK19rocblas_complex_numIfES3_S1_EviiT4_lPKT3_lilS7_lilPT5_i.num_vgpr, 84
	.set _ZL23rocblas_gemvt_sn_kernelILb0ELi256ELi4EiPK19rocblas_complex_numIfES3_S1_EviiT4_lPKT3_lilS7_lilPT5_i.num_agpr, 0
	.set _ZL23rocblas_gemvt_sn_kernelILb0ELi256ELi4EiPK19rocblas_complex_numIfES3_S1_EviiT4_lPKT3_lilS7_lilPT5_i.numbered_sgpr, 76
	.set _ZL23rocblas_gemvt_sn_kernelILb0ELi256ELi4EiPK19rocblas_complex_numIfES3_S1_EviiT4_lPKT3_lilS7_lilPT5_i.num_named_barrier, 0
	.set _ZL23rocblas_gemvt_sn_kernelILb0ELi256ELi4EiPK19rocblas_complex_numIfES3_S1_EviiT4_lPKT3_lilS7_lilPT5_i.private_seg_size, 48
	.set _ZL23rocblas_gemvt_sn_kernelILb0ELi256ELi4EiPK19rocblas_complex_numIfES3_S1_EviiT4_lPKT3_lilS7_lilPT5_i.uses_vcc, 1
	.set _ZL23rocblas_gemvt_sn_kernelILb0ELi256ELi4EiPK19rocblas_complex_numIfES3_S1_EviiT4_lPKT3_lilS7_lilPT5_i.uses_flat_scratch, 1
	.set _ZL23rocblas_gemvt_sn_kernelILb0ELi256ELi4EiPK19rocblas_complex_numIfES3_S1_EviiT4_lPKT3_lilS7_lilPT5_i.has_dyn_sized_stack, 0
	.set _ZL23rocblas_gemvt_sn_kernelILb0ELi256ELi4EiPK19rocblas_complex_numIfES3_S1_EviiT4_lPKT3_lilS7_lilPT5_i.has_recursion, 0
	.set _ZL23rocblas_gemvt_sn_kernelILb0ELi256ELi4EiPK19rocblas_complex_numIfES3_S1_EviiT4_lPKT3_lilS7_lilPT5_i.has_indirect_call, 0
	.section	.AMDGPU.csdata,"",@progbits
; Kernel info:
; codeLenInByte = 5916
; TotalNumSgprs: 78
; NumVgprs: 84
; ScratchSize: 48
; MemoryBound: 0
; FloatMode: 240
; IeeeMode: 1
; LDSByteSize: 256 bytes/workgroup (compile time only)
; SGPRBlocks: 0
; VGPRBlocks: 10
; NumSGPRsForWavesPerEU: 78
; NumVGPRsForWavesPerEU: 84
; Occupancy: 16
; WaveLimiterHint : 0
; COMPUTE_PGM_RSRC2:SCRATCH_EN: 1
; COMPUTE_PGM_RSRC2:USER_SGPR: 2
; COMPUTE_PGM_RSRC2:TRAP_HANDLER: 0
; COMPUTE_PGM_RSRC2:TGID_X_EN: 1
; COMPUTE_PGM_RSRC2:TGID_Y_EN: 0
; COMPUTE_PGM_RSRC2:TGID_Z_EN: 1
; COMPUTE_PGM_RSRC2:TIDIG_COMP_CNT: 0
	.section	.text._ZL23rocblas_gemvt_sn_kernelILb0ELi256ELi4ElPK19rocblas_complex_numIfES3_S1_EviiT4_lPKT3_lilS7_lilPT5_i,"axG",@progbits,_ZL23rocblas_gemvt_sn_kernelILb0ELi256ELi4ElPK19rocblas_complex_numIfES3_S1_EviiT4_lPKT3_lilS7_lilPT5_i,comdat
	.globl	_ZL23rocblas_gemvt_sn_kernelILb0ELi256ELi4ElPK19rocblas_complex_numIfES3_S1_EviiT4_lPKT3_lilS7_lilPT5_i ; -- Begin function _ZL23rocblas_gemvt_sn_kernelILb0ELi256ELi4ElPK19rocblas_complex_numIfES3_S1_EviiT4_lPKT3_lilS7_lilPT5_i
	.p2align	8
	.type	_ZL23rocblas_gemvt_sn_kernelILb0ELi256ELi4ElPK19rocblas_complex_numIfES3_S1_EviiT4_lPKT3_lilS7_lilPT5_i,@function
_ZL23rocblas_gemvt_sn_kernelILb0ELi256ELi4ElPK19rocblas_complex_numIfES3_S1_EviiT4_lPKT3_lilS7_lilPT5_i: ; @_ZL23rocblas_gemvt_sn_kernelILb0ELi256ELi4ElPK19rocblas_complex_numIfES3_S1_EviiT4_lPKT3_lilS7_lilPT5_i
; %bb.0:
	s_load_b32 s33, s[0:1], 0x60
	s_lshr_b32 s10, ttmp7, 16
	s_wait_kmcnt 0x0
	s_cmp_ge_u32 s10, s33
	s_cbranch_scc1 .LBB309_84
; %bb.1:
	s_clause 0x6
	s_load_b32 s26, s[0:1], 0x28
	s_load_b32 s6, s[0:1], 0x48
	s_load_b64 s[28:29], s[0:1], 0x0
	s_load_b32 s30, s[0:1], 0x68
	s_load_b256 s[12:19], s[0:1], 0x8
	s_load_b128 s[20:23], s[0:1], 0x38
	s_load_b64 s[34:35], s[0:1], 0x58
	s_mov_b32 s25, 0
	v_cmp_eq_u32_e64 s0, 0, v0
	s_mov_b32 s31, s25
	v_and_b32_e32 v1, 31, v0
	v_cmp_gt_u32_e64 s5, 8, v0
	v_mbcnt_lo_u32_b32 v36, -1, 0
	s_mov_b32 s24, ttmp9
	s_delay_alu instid0(VALU_DEP_1)
	v_lshl_or_b32 v37, v36, 2, 64
	s_wait_kmcnt 0x0
	s_ashr_i32 s27, s26, 31
	s_ashr_i32 s7, s6, 31
	;; [unrolled: 1-line block ×3, first 2 shown]
	s_mov_b32 s2, s29
	s_cmp_gt_i32 s29, 0
	s_mul_u64 s[36:37], s[2:3], s[30:31]
	s_cselect_b32 s1, -1, 0
	s_lshl_b32 s2, ttmp9, 10
	s_ashr_i32 s4, s28, 31
	v_lshl_or_b32 v2, v0, 2, s2
	s_and_b32 s58, s0, s1
	s_lshr_b32 s1, s4, 30
	s_lshr_b32 s3, s3, 30
	s_add_co_i32 s1, s28, s1
	v_add_nc_u32_e32 v4, 4, v2
	s_and_b32 s1, s1, -4
	s_wait_alu 0xfffe
	s_add_co_i32 s2, s29, s3
	s_sub_co_i32 s60, s28, s1
	s_wait_alu 0xfffe
	s_and_b32 s59, s2, -4
	v_cmp_ge_i32_e64 s1, s28, v4
	v_lshrrev_b32_e32 v4, 2, v0
	v_add_nc_u32_e32 v5, s60, v2
	v_or_b32_e32 v7, 2, v2
	v_cmp_gt_u32_e64 s3, 32, v0
	v_ashrrev_i32_e32 v3, 31, v2
	v_and_b32_e32 v35, 56, v4
	v_or_b32_e32 v4, 1, v2
	v_cmp_ge_i32_e64 s2, s28, v5
	v_mad_co_i64_i32 v[8:9], null, s6, v7, 0
	s_cmp_gt_i32 s59, 0
	v_mad_co_i64_i32 v[5:6], null, s6, v4, 0
	v_or_b32_e32 v4, 3, v2
	s_cselect_b32 s61, -1, 0
	s_cmp_gt_i32 s60, 0
	v_lshlrev_b64_e32 v[8:9], 3, v[8:9]
	s_cselect_b32 s62, -1, 0
	v_mad_co_i64_i32 v[10:11], null, s6, v4, 0
	v_mov_b32_e32 v4, 0
	v_cmp_eq_u32_e64 s4, 0, v1
	v_lshlrev_b32_e32 v34, 3, v1
	v_mad_co_i64_i32 v[0:1], null, s6, v2, 0
	s_lshl_b64 s[38:39], s[24:25], 3
	v_lshlrev_b64_e32 v[2:3], 3, v[2:3]
	v_lshlrev_b64_e32 v[6:7], 3, v[5:6]
	;; [unrolled: 1-line block ×3, first 2 shown]
	s_add_nc_u64 s[8:9], s[34:35], s[38:39]
	s_and_b32 s28, s62, s2
	v_lshlrev_b64_e32 v[0:1], 3, v[0:1]
	s_add_nc_u64 s[40:41], s[8:9], 4
	s_lshl_b64 s[42:43], s[36:37], 3
	s_lshl_b64 s[44:45], s[30:31], 3
	;; [unrolled: 1-line block ×3, first 2 shown]
	s_or_b32 s63, 0, 4
	s_lshl_b64 s[48:49], s[26:27], 5
	s_mul_u64 s[50:51], s[26:27], 24
	s_lshl_b64 s[52:53], s[26:27], 4
	s_lshl_b64 s[54:55], s[26:27], 3
	;; [unrolled: 1-line block ×4, first 2 shown]
	s_branch .LBB309_3
.LBB309_2:                              ;   in Loop: Header=BB309_3 Depth=1
	s_add_co_i32 s10, s10, 0x10000
	s_delay_alu instid0(SALU_CYCLE_1)
	s_cmp_lt_u32 s10, s33
	s_cbranch_scc0 .LBB309_84
.LBB309_3:                              ; =>This Loop Header: Depth=1
                                        ;     Child Loop BB309_11 Depth 2
                                        ;     Child Loop BB309_16 Depth 2
                                        ;       Child Loop BB309_47 Depth 3
                                        ;       Child Loop BB309_49 Depth 3
                                        ;     Child Loop BB309_65 Depth 2
                                        ;       Child Loop BB309_77 Depth 3
                                        ;       Child Loop BB309_79 Depth 3
	s_mov_b32 s11, s25
	v_mov_b32_e32 v14, 0
	s_mul_u64 s[6:7], s[14:15], s[10:11]
	v_mov_b32_e32 v15, 0
	s_wait_alu 0xfffe
	s_lshl_b64 s[6:7], s[6:7], 3
	s_wait_alu 0xfffe
	s_add_nc_u64 s[6:7], s[12:13], s[6:7]
	global_load_b64 v[12:13], v4, s[6:7]
	s_wait_loadcnt 0x0
	v_readfirstlane_b32 s64, v12
	v_readfirstlane_b32 s65, v13
	v_mov_b32_e32 v12, 0
	v_mov_b32_e32 v13, 0
	s_or_b32 s6, s64, s65
	s_wait_alu 0xfffe
	s_bitset0_b32 s6, 31
	s_wait_alu 0xfffe
	s_cmp_lg_u32 s6, 0
	s_cselect_b32 s7, -1, 0
	s_cmp_eq_u32 s6, 0
	s_cselect_b32 s6, -1, 0
	s_wait_alu 0xfffe
	s_and_b32 vcc_lo, exec_lo, s6
	s_wait_alu 0xfffe
	s_cbranch_vccz .LBB309_7
; %bb.4:                                ;   in Loop: Header=BB309_3 Depth=1
	s_and_not1_b32 vcc_lo, exec_lo, s7
	s_wait_alu 0xfffe
	s_cbranch_vccz .LBB309_8
.LBB309_5:                              ;   in Loop: Header=BB309_3 Depth=1
	s_and_not1_b32 vcc_lo, exec_lo, s6
	s_mov_b32 s6, -1
	s_wait_alu 0xfffe
	s_cbranch_vccz .LBB309_9
.LBB309_6:                              ;   in Loop: Header=BB309_3 Depth=1
	s_wait_alu 0xfffe
	s_and_not1_b32 vcc_lo, exec_lo, s6
	s_wait_alu 0xfffe
	s_cbranch_vccnz .LBB309_2
	s_branch .LBB309_13
.LBB309_7:                              ;   in Loop: Header=BB309_3 Depth=1
	s_lshl_b64 s[8:9], s[10:11], 3
	s_wait_alu 0xfffe
	s_add_nc_u64 s[8:9], s[16:17], s[8:9]
	global_load_b64 v[12:13], v4, s[8:9]
	s_wait_loadcnt 0x0
	v_add_co_u32 v12, vcc_lo, v12, s18
	s_wait_alu 0xfffd
	v_add_co_ci_u32_e64 v13, null, s19, v13, vcc_lo
	s_and_not1_b32 vcc_lo, exec_lo, s7
	s_wait_alu 0xfffe
	s_cbranch_vccnz .LBB309_5
.LBB309_8:                              ;   in Loop: Header=BB309_3 Depth=1
	s_lshl_b64 s[8:9], s[10:11], 3
	s_wait_alu 0xfffe
	s_add_nc_u64 s[8:9], s[20:21], s[8:9]
	global_load_b64 v[14:15], v4, s[8:9]
	s_wait_loadcnt 0x0
	v_add_co_u32 v14, vcc_lo, v14, s22
	s_wait_alu 0xfffd
	v_add_co_ci_u32_e64 v15, null, s23, v15, vcc_lo
	s_and_not1_b32 vcc_lo, exec_lo, s6
	s_mov_b32 s6, -1
	s_wait_alu 0xfffe
	s_cbranch_vccnz .LBB309_6
.LBB309_9:                              ;   in Loop: Header=BB309_3 Depth=1
	s_and_saveexec_b32 s8, s58
	s_cbranch_execz .LBB309_12
; %bb.10:                               ;   in Loop: Header=BB309_3 Depth=1
	s_mul_u64 s[6:7], s[42:43], s[10:11]
	s_mov_b32 s9, s29
	s_wait_alu 0xfffe
	s_add_nc_u64 s[6:7], s[40:41], s[6:7]
.LBB309_11:                             ;   Parent Loop BB309_3 Depth=1
                                        ; =>  This Inner Loop Header: Depth=2
	v_mov_b32_e32 v5, v4
	s_add_co_i32 s9, s9, -1
	s_wait_alu 0xfffe
	s_cmp_eq_u32 s9, 0
	global_store_b64 v4, v[4:5], s[6:7] offset:-4
	s_add_nc_u64 s[6:7], s[6:7], s[44:45]
	s_cbranch_scc0 .LBB309_11
.LBB309_12:                             ;   in Loop: Header=BB309_3 Depth=1
	s_wait_alu 0xfffe
	s_or_b32 exec_lo, exec_lo, s8
	s_cbranch_execnz .LBB309_2
.LBB309_13:                             ;   in Loop: Header=BB309_3 Depth=1
	s_mul_u64 s[6:7], s[36:37], s[10:11]
	v_add_co_u32 v12, vcc_lo, v12, v2
	s_wait_alu 0xfffe
	s_lshl_b64 s[56:57], s[6:7], 3
	s_wait_alu 0xfffd
	v_add_co_ci_u32_e64 v13, null, v13, v3, vcc_lo
	v_cmp_gt_u32_e64 s9, 24, v36
	v_cmp_gt_u32_e64 s8, 28, v36
	;; [unrolled: 1-line block ×3, first 2 shown]
	v_cmp_ne_u32_e64 s6, 31, v36
	s_add_nc_u64 s[56:57], s[34:35], s[56:57]
	s_and_not1_b32 vcc_lo, exec_lo, s61
	s_add_nc_u64 s[56:57], s[56:57], s[38:39]
	s_wait_alu 0xfffe
	s_cbranch_vccnz .LBB309_61
; %bb.14:                               ;   in Loop: Header=BB309_3 Depth=1
	v_cndmask_b32_e64 v16, 0, 4, s8
	v_cndmask_b32_e64 v17, 0, 2, s7
	v_add_co_ci_u32_e64 v18, null, 0, v36, s6
	v_cndmask_b32_e64 v5, 0, 8, s9
	s_delay_alu instid0(VALU_DEP_4)
	v_add_lshl_u32 v39, v16, v36, 2
	v_add_co_u32 v16, vcc_lo, v14, v0
	v_add_lshl_u32 v40, v17, v36, 2
	v_lshlrev_b32_e32 v41, 2, v18
	s_wait_alu 0xfffd
	v_add_co_ci_u32_e64 v17, null, v15, v1, vcc_lo
	v_add_co_u32 v18, vcc_lo, v14, v6
	s_wait_alu 0xfffd
	v_add_co_ci_u32_e64 v19, null, v15, v7, vcc_lo
	v_add_co_u32 v20, vcc_lo, v14, v8
	;; [unrolled: 3-line block ×3, first 2 shown]
	s_wait_dscnt 0x0
	v_mov_b32_e32 v25, v13
	v_add_lshl_u32 v38, v5, v36, 2
	s_wait_alu 0xfffd
	v_add_co_ci_u32_e64 v23, null, v15, v11, vcc_lo
	v_mov_b32_e32 v24, v12
	s_mov_b32 s24, 0
	s_branch .LBB309_16
.LBB309_15:                             ;   in Loop: Header=BB309_16 Depth=2
	s_wait_alu 0xfffe
	s_or_b32 exec_lo, exec_lo, s6
	v_add_co_u32 v24, vcc_lo, v24, s48
	s_wait_alu 0xfffd
	v_add_co_ci_u32_e64 v25, null, s49, v25, vcc_lo
	s_add_co_i32 s24, s24, 4
	s_wait_alu 0xfffe
	s_cmp_ge_i32 s24, s59
	s_cbranch_scc1 .LBB309_62
.LBB309_16:                             ;   Parent Loop BB309_3 Depth=1
                                        ; =>  This Loop Header: Depth=2
                                        ;       Child Loop BB309_47 Depth 3
                                        ;       Child Loop BB309_49 Depth 3
                                        ; implicit-def: $vgpr42
                                        ; implicit-def: $vgpr43
                                        ; implicit-def: $vgpr28
                                        ; implicit-def: $vgpr29
                                        ; implicit-def: $vgpr30
                                        ; implicit-def: $vgpr31
                                        ; implicit-def: $vgpr33
                                        ; implicit-def: $vgpr32
	s_and_saveexec_b32 s6, s1
	s_wait_alu 0xfffe
	s_xor_b32 s6, exec_lo, s6
	s_cbranch_execnz .LBB309_43
; %bb.17:                               ;   in Loop: Header=BB309_16 Depth=2
	s_wait_alu 0xfffe
	s_and_not1_saveexec_b32 s6, s6
	s_cbranch_execnz .LBB309_44
.LBB309_18:                             ;   in Loop: Header=BB309_16 Depth=2
	s_wait_alu 0xfffe
	s_or_b32 exec_lo, exec_lo, s6
	s_and_saveexec_b32 s6, s3
.LBB309_19:                             ;   in Loop: Header=BB309_16 Depth=2
	v_mov_b32_e32 v5, v4
	ds_store_b64 v34, v[4:5]
.LBB309_20:                             ;   in Loop: Header=BB309_16 Depth=2
	s_wait_alu 0xfffe
	s_or_b32 exec_lo, exec_lo, s6
	ds_bpermute_b32 v5, v37, v42
	ds_bpermute_b32 v26, v37, v43
	s_wait_storecnt_dscnt 0x0
	s_barrier_signal -1
	s_barrier_wait -1
	global_inv scope:SCOPE_SE
	v_dual_add_f32 v5, v42, v5 :: v_dual_add_f32 v26, v43, v26
	ds_bpermute_b32 v27, v38, v5
	ds_bpermute_b32 v42, v38, v26
	s_wait_dscnt 0x0
	v_dual_add_f32 v5, v5, v27 :: v_dual_add_f32 v26, v26, v42
	ds_bpermute_b32 v27, v39, v5
	ds_bpermute_b32 v42, v39, v26
	s_wait_dscnt 0x0
	;; [unrolled: 4-line block ×3, first 2 shown]
	v_dual_add_f32 v5, v5, v27 :: v_dual_add_f32 v26, v26, v42
	ds_bpermute_b32 v27, v41, v5
	ds_bpermute_b32 v42, v41, v26
	s_and_saveexec_b32 s6, s4
	s_cbranch_execz .LBB309_22
; %bb.21:                               ;   in Loop: Header=BB309_16 Depth=2
	s_wait_dscnt 0x0
	v_dual_add_f32 v43, v26, v42 :: v_dual_add_f32 v42, v5, v27
	ds_store_b64 v35, v[42:43]
.LBB309_22:                             ;   in Loop: Header=BB309_16 Depth=2
	s_wait_alu 0xfffe
	s_or_b32 exec_lo, exec_lo, s6
	s_wait_dscnt 0x1
	v_dual_mov_b32 v27, 0 :: v_dual_mov_b32 v26, 0
	s_wait_loadcnt_dscnt 0x0
	s_barrier_signal -1
	s_barrier_wait -1
	global_inv scope:SCOPE_SE
	s_and_saveexec_b32 s6, s5
	s_cbranch_execnz .LBB309_50
; %bb.23:                               ;   in Loop: Header=BB309_16 Depth=2
	s_wait_alu 0xfffe
	s_or_b32 exec_lo, exec_lo, s6
	s_and_saveexec_b32 s6, s3
	s_cbranch_execnz .LBB309_51
.LBB309_24:                             ;   in Loop: Header=BB309_16 Depth=2
	s_wait_alu 0xfffe
	s_or_b32 exec_lo, exec_lo, s6
	s_and_saveexec_b32 s6, s3
.LBB309_25:                             ;   in Loop: Header=BB309_16 Depth=2
	v_mov_b32_e32 v5, v4
	ds_store_b64 v34, v[4:5]
.LBB309_26:                             ;   in Loop: Header=BB309_16 Depth=2
	s_wait_alu 0xfffe
	s_or_b32 exec_lo, exec_lo, s6
	ds_bpermute_b32 v5, v37, v28
	ds_bpermute_b32 v42, v37, v29
	s_wait_loadcnt_dscnt 0x0
	s_barrier_signal -1
	s_barrier_wait -1
	global_inv scope:SCOPE_SE
	v_dual_add_f32 v5, v28, v5 :: v_dual_add_f32 v28, v29, v42
	ds_bpermute_b32 v29, v38, v5
	ds_bpermute_b32 v42, v38, v28
	s_wait_dscnt 0x0
	v_dual_add_f32 v5, v5, v29 :: v_dual_add_f32 v28, v28, v42
	ds_bpermute_b32 v29, v39, v5
	ds_bpermute_b32 v42, v39, v28
	s_wait_dscnt 0x0
	;; [unrolled: 4-line block ×3, first 2 shown]
	v_dual_add_f32 v5, v5, v29 :: v_dual_add_f32 v28, v28, v42
	ds_bpermute_b32 v29, v41, v5
	ds_bpermute_b32 v42, v41, v28
	s_and_saveexec_b32 s6, s4
	s_cbranch_execz .LBB309_28
; %bb.27:                               ;   in Loop: Header=BB309_16 Depth=2
	s_wait_dscnt 0x0
	v_dual_add_f32 v43, v28, v42 :: v_dual_add_f32 v42, v5, v29
	ds_store_b64 v35, v[42:43]
.LBB309_28:                             ;   in Loop: Header=BB309_16 Depth=2
	s_wait_alu 0xfffe
	s_or_b32 exec_lo, exec_lo, s6
	s_wait_dscnt 0x1
	v_dual_mov_b32 v29, 0 :: v_dual_mov_b32 v28, 0
	s_wait_loadcnt_dscnt 0x0
	s_barrier_signal -1
	s_barrier_wait -1
	global_inv scope:SCOPE_SE
	s_and_saveexec_b32 s6, s5
	s_cbranch_execnz .LBB309_52
; %bb.29:                               ;   in Loop: Header=BB309_16 Depth=2
	s_wait_alu 0xfffe
	s_or_b32 exec_lo, exec_lo, s6
	s_and_saveexec_b32 s6, s3
	s_cbranch_execnz .LBB309_53
.LBB309_30:                             ;   in Loop: Header=BB309_16 Depth=2
	s_wait_alu 0xfffe
	s_or_b32 exec_lo, exec_lo, s6
	s_and_saveexec_b32 s6, s3
.LBB309_31:                             ;   in Loop: Header=BB309_16 Depth=2
	v_mov_b32_e32 v5, v4
	ds_store_b64 v34, v[4:5]
.LBB309_32:                             ;   in Loop: Header=BB309_16 Depth=2
	s_wait_alu 0xfffe
	s_or_b32 exec_lo, exec_lo, s6
	ds_bpermute_b32 v5, v37, v30
	ds_bpermute_b32 v42, v37, v31
	s_wait_loadcnt_dscnt 0x0
	s_barrier_signal -1
	s_barrier_wait -1
	global_inv scope:SCOPE_SE
	v_dual_add_f32 v5, v30, v5 :: v_dual_add_f32 v30, v31, v42
	ds_bpermute_b32 v31, v38, v5
	ds_bpermute_b32 v42, v38, v30
	s_wait_dscnt 0x0
	v_dual_add_f32 v5, v5, v31 :: v_dual_add_f32 v30, v30, v42
	ds_bpermute_b32 v31, v39, v5
	ds_bpermute_b32 v42, v39, v30
	s_wait_dscnt 0x0
	;; [unrolled: 4-line block ×3, first 2 shown]
	v_dual_add_f32 v5, v5, v31 :: v_dual_add_f32 v30, v30, v42
	ds_bpermute_b32 v31, v41, v5
	ds_bpermute_b32 v42, v41, v30
	s_and_saveexec_b32 s6, s4
	s_cbranch_execz .LBB309_34
; %bb.33:                               ;   in Loop: Header=BB309_16 Depth=2
	s_wait_dscnt 0x0
	v_dual_add_f32 v43, v30, v42 :: v_dual_add_f32 v42, v5, v31
	ds_store_b64 v35, v[42:43]
.LBB309_34:                             ;   in Loop: Header=BB309_16 Depth=2
	s_wait_alu 0xfffe
	s_or_b32 exec_lo, exec_lo, s6
	s_wait_dscnt 0x1
	v_dual_mov_b32 v31, 0 :: v_dual_mov_b32 v30, 0
	s_wait_loadcnt_dscnt 0x0
	s_barrier_signal -1
	s_barrier_wait -1
	global_inv scope:SCOPE_SE
	s_and_saveexec_b32 s6, s5
	s_cbranch_execnz .LBB309_54
; %bb.35:                               ;   in Loop: Header=BB309_16 Depth=2
	s_wait_alu 0xfffe
	s_or_b32 exec_lo, exec_lo, s6
	s_and_saveexec_b32 s6, s3
	s_cbranch_execnz .LBB309_55
.LBB309_36:                             ;   in Loop: Header=BB309_16 Depth=2
	s_wait_alu 0xfffe
	s_or_b32 exec_lo, exec_lo, s6
	s_and_saveexec_b32 s6, s3
.LBB309_37:                             ;   in Loop: Header=BB309_16 Depth=2
	v_mov_b32_e32 v5, v4
	ds_store_b64 v34, v[4:5]
.LBB309_38:                             ;   in Loop: Header=BB309_16 Depth=2
	s_wait_alu 0xfffe
	s_or_b32 exec_lo, exec_lo, s6
	ds_bpermute_b32 v5, v37, v33
	ds_bpermute_b32 v42, v37, v32
	s_wait_loadcnt_dscnt 0x0
	s_barrier_signal -1
	s_barrier_wait -1
	global_inv scope:SCOPE_SE
	v_dual_add_f32 v5, v33, v5 :: v_dual_add_f32 v32, v32, v42
	ds_bpermute_b32 v33, v38, v5
	ds_bpermute_b32 v42, v38, v32
	s_wait_dscnt 0x0
	v_dual_add_f32 v5, v5, v33 :: v_dual_add_f32 v32, v32, v42
	ds_bpermute_b32 v33, v39, v5
	ds_bpermute_b32 v42, v39, v32
	s_wait_dscnt 0x0
	;; [unrolled: 4-line block ×3, first 2 shown]
	v_dual_add_f32 v5, v5, v33 :: v_dual_add_f32 v32, v32, v42
	ds_bpermute_b32 v33, v41, v5
	ds_bpermute_b32 v42, v41, v32
	s_and_saveexec_b32 s6, s4
	s_cbranch_execz .LBB309_40
; %bb.39:                               ;   in Loop: Header=BB309_16 Depth=2
	s_wait_dscnt 0x0
	v_dual_add_f32 v43, v32, v42 :: v_dual_add_f32 v42, v5, v33
	ds_store_b64 v35, v[42:43]
.LBB309_40:                             ;   in Loop: Header=BB309_16 Depth=2
	s_wait_alu 0xfffe
	s_or_b32 exec_lo, exec_lo, s6
	s_wait_dscnt 0x1
	v_dual_mov_b32 v33, 0 :: v_dual_mov_b32 v32, 0
	s_wait_loadcnt_dscnt 0x0
	s_barrier_signal -1
	s_barrier_wait -1
	global_inv scope:SCOPE_SE
	s_and_saveexec_b32 s6, s5
	s_cbranch_execnz .LBB309_56
; %bb.41:                               ;   in Loop: Header=BB309_16 Depth=2
	s_wait_alu 0xfffe
	s_or_b32 exec_lo, exec_lo, s6
	s_and_saveexec_b32 s6, s3
	s_cbranch_execnz .LBB309_57
.LBB309_42:                             ;   in Loop: Header=BB309_16 Depth=2
	s_wait_alu 0xfffe
	s_or_b32 exec_lo, exec_lo, s6
	s_and_saveexec_b32 s6, s0
	s_cbranch_execz .LBB309_15
	s_branch .LBB309_58
.LBB309_43:                             ;   in Loop: Header=BB309_16 Depth=2
	s_mul_u64 s[8:9], s[24:25], s[26:27]
	s_or_b32 s66, s24, 2
	s_wait_alu 0xfffe
	s_lshl_b64 s[8:9], s[8:9], 3
	s_mov_b32 s67, s25
	s_wait_alu 0xfffe
	v_add_co_u32 v30, vcc_lo, v12, s8
	s_wait_alu 0xfffd
	v_add_co_ci_u32_e64 v31, null, s9, v13, vcc_lo
	s_or_b32 s8, s24, 1
	s_mov_b32 s9, s25
	s_clause 0x3
	flat_load_b64 v[44:45], v[16:17]
	flat_load_b64 v[46:47], v[18:19]
	flat_load_b64 v[48:49], v[20:21]
	flat_load_b64 v[50:51], v[22:23]
	s_wait_alu 0xfffe
	s_mul_u64 s[8:9], s[8:9], s[26:27]
	flat_load_b128 v[26:29], v[30:31]
	s_wait_alu 0xfffe
	s_lshl_b64 s[8:9], s[8:9], 3
	s_wait_dscnt 0x5
	flat_load_b128 v[30:33], v[30:31] offset:16
	s_wait_alu 0xfffe
	v_add_co_u32 v42, vcc_lo, v12, s8
	s_wait_alu 0xfffd
	v_add_co_ci_u32_e64 v43, null, s9, v13, vcc_lo
	s_mul_u64 s[8:9], s[66:67], s[26:27]
	s_or_b32 s66, s24, 3
	s_wait_alu 0xfffe
	s_lshl_b64 s[8:9], s[8:9], 3
	s_mul_u64 s[66:67], s[66:67], s[26:27]
	s_wait_alu 0xfffe
	v_add_co_u32 v68, vcc_lo, v12, s8
	s_wait_alu 0xfffd
	v_add_co_ci_u32_e64 v69, null, s9, v13, vcc_lo
	s_lshl_b64 s[8:9], s[66:67], 3
	s_wait_alu 0xfffe
	v_add_co_u32 v72, vcc_lo, v12, s8
	s_wait_alu 0xfffd
	v_add_co_ci_u32_e64 v73, null, s9, v13, vcc_lo
	s_clause 0x5
	flat_load_b128 v[52:55], v[42:43]
	flat_load_b128 v[56:59], v[68:69]
	;; [unrolled: 1-line block ×3, first 2 shown]
	flat_load_b128 v[64:67], v[42:43] offset:16
	flat_load_b128 v[68:71], v[68:69] offset:16
	;; [unrolled: 1-line block ×3, first 2 shown]
	s_wait_loadcnt_dscnt 0xa0a
	scratch_store_b128 off, v[44:47], off
	s_wait_loadcnt_dscnt 0x808
	scratch_store_b128 off, v[48:51], off offset:16
	s_wait_loadcnt_dscnt 0x707
	v_dual_mul_f32 v5, v45, v27 :: v_dual_mul_f32 v42, v47, v29
	s_wait_loadcnt_dscnt 0x606
	v_dual_mul_f32 v27, v44, v27 :: v_dual_mul_f32 v76, v51, v33
	v_mul_f32_e32 v29, v46, v29
	s_delay_alu instid0(VALU_DEP_3) | instskip(SKIP_3) | instid1(VALU_DEP_4)
	v_fma_f32 v5, v44, v26, -v5
	v_mul_f32_e32 v43, v49, v31
	v_mul_f32_e32 v31, v48, v31
	;; [unrolled: 1-line block ×3, first 2 shown]
	v_add_f32_e32 v5, 0, v5
	s_wait_loadcnt_dscnt 0x505
	v_mul_f32_e32 v77, v45, v53
	v_mul_f32_e32 v53, v44, v53
	s_wait_loadcnt_dscnt 0x404
	v_mul_f32_e32 v78, v45, v57
	v_mul_f32_e32 v80, v47, v55
	v_fmac_f32_e32 v29, v47, v28
	s_wait_loadcnt_dscnt 0x0
	v_mul_f32_e32 v88, v51, v75
	v_mul_f32_e32 v75, v50, v75
	v_dual_mul_f32 v55, v46, v55 :: v_dual_mul_f32 v84, v49, v69
	v_dual_fmac_f32 v31, v49, v30 :: v_dual_mul_f32 v82, v47, v63
	s_delay_alu instid0(VALU_DEP_3)
	v_fmac_f32_e32 v75, v51, v74
	v_fmac_f32_e32 v27, v45, v26
	v_fma_f32 v26, v46, v28, -v42
	v_fma_f32 v28, v48, v30, -v43
	;; [unrolled: 1-line block ×4, first 2 shown]
	v_mul_f32_e32 v57, v44, v57
	v_dual_add_f32 v5, v5, v26 :: v_dual_mul_f32 v86, v51, v67
	v_fmac_f32_e32 v33, v51, v32
	v_fma_f32 v32, v44, v52, -v77
	v_add_f32_e32 v27, 0, v27
	s_delay_alu instid0(VALU_DEP_4) | instskip(SKIP_4) | instid1(VALU_DEP_4)
	v_add_f32_e32 v5, v5, v28
	v_dual_mul_f32 v69, v48, v69 :: v_dual_add_f32 v42, 0, v42
	v_fmac_f32_e32 v57, v45, v56
	v_fmac_f32_e32 v53, v45, v52
	v_fma_f32 v52, v46, v54, -v80
	v_fmac_f32_e32 v69, v49, v68
	v_mul_f32_e32 v81, v47, v59
	v_dual_mul_f32 v59, v46, v59 :: v_dual_add_f32 v26, v27, v29
	v_mul_f32_e32 v83, v49, v65
	v_fmac_f32_e32 v55, v47, v54
	s_delay_alu instid0(VALU_DEP_4)
	v_fma_f32 v54, v46, v58, -v81
	v_mul_f32_e32 v79, v45, v61
	v_dual_fmac_f32 v59, v47, v58 :: v_dual_add_f32 v32, 0, v32
	v_add_f32_e32 v57, 0, v57
	v_dual_mul_f32 v61, v44, v61 :: v_dual_add_f32 v26, v26, v31
	v_fma_f32 v58, v48, v64, -v83
	s_delay_alu instid0(VALU_DEP_4)
	v_dual_add_f32 v27, v32, v52 :: v_dual_add_f32 v32, v42, v54
	v_fma_f32 v43, v44, v60, -v79
	v_add_f32_e32 v42, v57, v59
	v_fmac_f32_e32 v61, v45, v60
	v_fma_f32 v60, v48, v68, -v84
	v_add_f32_e32 v27, v27, v58
	v_mul_f32_e32 v85, v49, v73
	v_fma_f32 v56, v46, v62, -v82
	v_add_f32_e32 v61, 0, v61
	v_add_f32_e32 v31, v32, v60
	v_mul_f32_e32 v73, v48, v73
	v_add_f32_e32 v53, 0, v53
	v_add_f32_e32 v43, 0, v43
	v_mul_f32_e32 v67, v50, v67
	v_mul_f32_e32 v87, v51, v71
	v_fmac_f32_e32 v73, v49, v72
	v_mul_f32_e32 v63, v46, v63
	v_mul_f32_e32 v71, v50, v71
	v_add_f32_e32 v29, v53, v55
	v_add_f32_e32 v43, v43, v56
	v_fmac_f32_e32 v67, v51, v66
	v_fmac_f32_e32 v63, v47, v62
	v_mul_f32_e32 v65, v48, v65
	v_fmac_f32_e32 v71, v51, v70
	v_fma_f32 v68, v50, v74, -v88
	v_add_f32_e32 v32, v42, v69
	v_add_f32_e32 v52, v61, v63
	v_fmac_f32_e32 v65, v49, v64
	v_fma_f32 v64, v50, v66, -v86
	v_fma_f32 v66, v50, v70, -v87
	v_add_f32_e32 v42, v5, v30
	v_add_f32_e32 v52, v52, v73
	s_delay_alu instid0(VALU_DEP_4) | instskip(SKIP_2) | instid1(VALU_DEP_3)
	v_dual_add_f32 v29, v29, v65 :: v_dual_add_f32 v28, v27, v64
	v_fma_f32 v62, v48, v72, -v85
	v_dual_add_f32 v30, v31, v66 :: v_dual_add_f32 v31, v32, v71
	v_add_f32_e32 v29, v29, v67
	s_delay_alu instid0(VALU_DEP_3) | instskip(SKIP_1) | instid1(VALU_DEP_2)
	v_dual_add_f32 v32, v52, v75 :: v_dual_add_f32 v53, v43, v62
	v_add_f32_e32 v43, v26, v33
	v_add_f32_e32 v33, v53, v68
	s_and_not1_saveexec_b32 s6, s6
	s_cbranch_execz .LBB309_18
.LBB309_44:                             ;   in Loop: Header=BB309_16 Depth=2
	v_dual_mov_b32 v42, 0 :: v_dual_mov_b32 v43, 0
	v_dual_mov_b32 v28, 0 :: v_dual_mov_b32 v29, 0
	;; [unrolled: 1-line block ×3, first 2 shown]
	s_wait_dscnt 0x0
	v_dual_mov_b32 v33, 0 :: v_dual_mov_b32 v32, 0
	s_and_saveexec_b32 s7, s2
	s_cbranch_execz .LBB309_60
; %bb.45:                               ;   in Loop: Header=BB309_16 Depth=2
	s_and_not1_b32 vcc_lo, exec_lo, s62
	s_wait_alu 0xfffe
	s_cbranch_vccnz .LBB309_59
; %bb.46:                               ;   in Loop: Header=BB309_16 Depth=2
	v_dual_mov_b32 v27, v17 :: v_dual_mov_b32 v26, v16
	s_mov_b32 s8, 0
	s_mov_b32 s9, s60
.LBB309_47:                             ;   Parent Loop BB309_3 Depth=1
                                        ;     Parent Loop BB309_16 Depth=2
                                        ; =>    This Inner Loop Header: Depth=3
	flat_load_b64 v[28:29], v[26:27]
	v_add_co_u32 v26, vcc_lo, v26, s46
	s_wait_alu 0xfffd
	v_add_co_ci_u32_e64 v27, null, s47, v27, vcc_lo
	s_wait_alu 0xfffe
	s_add_co_i32 s9, s9, -1
	s_wait_loadcnt_dscnt 0x0
	scratch_store_b64 off, v[28:29], s8
	s_add_co_i32 s8, s8, 8
	s_wait_alu 0xfffe
	s_cmp_eq_u32 s9, 0
	s_cbranch_scc0 .LBB309_47
; %bb.48:                               ;   in Loop: Header=BB309_16 Depth=2
	v_dual_mov_b32 v32, 0 :: v_dual_mov_b32 v27, v25
	v_dual_mov_b32 v26, v24 :: v_dual_mov_b32 v33, 0
	;; [unrolled: 1-line block ×5, first 2 shown]
	s_mov_b32 s8, s63
	s_mov_b32 s9, s60
.LBB309_49:                             ;   Parent Loop BB309_3 Depth=1
                                        ;     Parent Loop BB309_16 Depth=2
                                        ; =>    This Inner Loop Header: Depth=3
	v_add_co_u32 v48, vcc_lo, v26, s54
	s_wait_alu 0xfffd
	v_add_co_ci_u32_e64 v49, null, s55, v27, vcc_lo
	v_add_co_u32 v50, vcc_lo, v26, s52
	scratch_load_b64 v[44:45], off, s8 offset:-4
	flat_load_b64 v[46:47], v[26:27]
	s_wait_alu 0xfffd
	v_add_co_ci_u32_e64 v51, null, s53, v27, vcc_lo
	v_add_co_u32 v52, vcc_lo, v26, s50
	s_wait_alu 0xfffd
	v_add_co_ci_u32_e64 v53, null, s51, v27, vcc_lo
	s_clause 0x2
	flat_load_b64 v[48:49], v[48:49]
	flat_load_b64 v[50:51], v[50:51]
	;; [unrolled: 1-line block ×3, first 2 shown]
	v_add_co_u32 v26, vcc_lo, v26, 8
	s_wait_alu 0xfffd
	v_add_co_ci_u32_e64 v27, null, 0, v27, vcc_lo
	s_wait_alu 0xfffe
	s_add_co_i32 s9, s9, -1
	s_add_co_i32 s8, s8, 8
	s_wait_alu 0xfffe
	s_cmp_lg_u32 s9, 0
	s_wait_loadcnt_dscnt 0x303
	v_mul_f32_e32 v5, v45, v47
	v_mul_f32_e32 v47, v44, v47
	s_delay_alu instid0(VALU_DEP_2) | instskip(NEXT) | instid1(VALU_DEP_2)
	v_fma_f32 v5, v44, v46, -v5
	v_fmac_f32_e32 v47, v45, v46
	s_wait_loadcnt_dscnt 0x202
	v_mul_f32_e32 v46, v45, v49
	s_wait_loadcnt_dscnt 0x101
	v_dual_mul_f32 v49, v44, v49 :: v_dual_mul_f32 v54, v45, v51
	v_mul_f32_e32 v51, v44, v51
	s_wait_loadcnt_dscnt 0x0
	v_mul_f32_e32 v55, v45, v53
	v_mul_f32_e32 v53, v44, v53
	v_add_f32_e32 v42, v42, v5
	v_fma_f32 v5, v44, v48, -v46
	v_fma_f32 v46, v44, v50, -v54
	v_fmac_f32_e32 v51, v45, v50
	v_fma_f32 v44, v44, v52, -v55
	v_fmac_f32_e32 v53, v45, v52
	v_fmac_f32_e32 v49, v45, v48
	v_dual_add_f32 v43, v43, v47 :: v_dual_add_f32 v28, v28, v5
	v_dual_add_f32 v30, v30, v46 :: v_dual_add_f32 v31, v31, v51
	s_delay_alu instid0(VALU_DEP_4) | instskip(NEXT) | instid1(VALU_DEP_4)
	v_dual_add_f32 v33, v33, v44 :: v_dual_add_f32 v32, v32, v53
	v_add_f32_e32 v29, v29, v49
	s_cbranch_scc1 .LBB309_49
	s_branch .LBB309_60
.LBB309_50:                             ;   in Loop: Header=BB309_16 Depth=2
	ds_load_b64 v[26:27], v34
	s_wait_alu 0xfffe
	s_or_b32 exec_lo, exec_lo, s6
	s_and_saveexec_b32 s6, s3
	s_cbranch_execz .LBB309_24
.LBB309_51:                             ;   in Loop: Header=BB309_16 Depth=2
	s_wait_dscnt 0x0
	ds_bpermute_b32 v5, v39, v26
	ds_bpermute_b32 v42, v39, v27
	s_wait_dscnt 0x0
	v_dual_add_f32 v5, v26, v5 :: v_dual_add_f32 v26, v27, v42
	ds_bpermute_b32 v27, v40, v5
	ds_bpermute_b32 v42, v40, v26
	s_wait_dscnt 0x1
	v_add_f32_e32 v5, v5, v27
	s_wait_dscnt 0x0
	v_add_f32_e32 v27, v26, v42
	ds_bpermute_b32 v26, v41, v5
	ds_bpermute_b32 v42, v41, v27
	s_wait_dscnt 0x1
	v_add_f32_e32 v26, v5, v26
	s_wait_dscnt 0x0
	v_add_f32_e32 v27, v27, v42
	s_wait_alu 0xfffe
	s_or_b32 exec_lo, exec_lo, s6
	s_and_saveexec_b32 s6, s3
	s_cbranch_execnz .LBB309_25
	s_branch .LBB309_26
.LBB309_52:                             ;   in Loop: Header=BB309_16 Depth=2
	ds_load_b64 v[28:29], v34
	s_wait_alu 0xfffe
	s_or_b32 exec_lo, exec_lo, s6
	s_and_saveexec_b32 s6, s3
	s_cbranch_execz .LBB309_30
.LBB309_53:                             ;   in Loop: Header=BB309_16 Depth=2
	s_wait_dscnt 0x0
	ds_bpermute_b32 v5, v39, v28
	ds_bpermute_b32 v42, v39, v29
	s_wait_dscnt 0x0
	v_dual_add_f32 v5, v28, v5 :: v_dual_add_f32 v28, v29, v42
	ds_bpermute_b32 v29, v40, v5
	ds_bpermute_b32 v42, v40, v28
	s_wait_dscnt 0x1
	v_add_f32_e32 v5, v5, v29
	s_wait_dscnt 0x0
	v_add_f32_e32 v29, v28, v42
	ds_bpermute_b32 v28, v41, v5
	s_wait_dscnt 0x0
	v_add_f32_e32 v28, v5, v28
	ds_bpermute_b32 v42, v41, v29
	s_wait_dscnt 0x0
	v_add_f32_e32 v29, v29, v42
	s_wait_alu 0xfffe
	s_or_b32 exec_lo, exec_lo, s6
	s_and_saveexec_b32 s6, s3
	s_cbranch_execnz .LBB309_31
	s_branch .LBB309_32
.LBB309_54:                             ;   in Loop: Header=BB309_16 Depth=2
	ds_load_b64 v[30:31], v34
	s_wait_alu 0xfffe
	s_or_b32 exec_lo, exec_lo, s6
	s_and_saveexec_b32 s6, s3
	s_cbranch_execz .LBB309_36
.LBB309_55:                             ;   in Loop: Header=BB309_16 Depth=2
	s_wait_dscnt 0x0
	ds_bpermute_b32 v5, v39, v30
	ds_bpermute_b32 v42, v39, v31
	s_wait_dscnt 0x0
	v_dual_add_f32 v5, v30, v5 :: v_dual_add_f32 v30, v31, v42
	ds_bpermute_b32 v31, v40, v5
	ds_bpermute_b32 v42, v40, v30
	s_wait_dscnt 0x1
	v_add_f32_e32 v5, v5, v31
	s_wait_dscnt 0x0
	v_add_f32_e32 v31, v30, v42
	ds_bpermute_b32 v30, v41, v5
	ds_bpermute_b32 v42, v41, v31
	s_wait_dscnt 0x1
	v_add_f32_e32 v30, v5, v30
	s_wait_dscnt 0x0
	v_add_f32_e32 v31, v31, v42
	s_wait_alu 0xfffe
	s_or_b32 exec_lo, exec_lo, s6
	s_and_saveexec_b32 s6, s3
	s_cbranch_execnz .LBB309_37
	s_branch .LBB309_38
.LBB309_56:                             ;   in Loop: Header=BB309_16 Depth=2
	ds_load_b64 v[32:33], v34
	s_wait_alu 0xfffe
	s_or_b32 exec_lo, exec_lo, s6
	s_and_saveexec_b32 s6, s3
	s_cbranch_execz .LBB309_42
.LBB309_57:                             ;   in Loop: Header=BB309_16 Depth=2
	s_wait_dscnt 0x0
	ds_bpermute_b32 v5, v39, v32
	ds_bpermute_b32 v42, v39, v33
	s_wait_dscnt 0x0
	v_dual_add_f32 v5, v32, v5 :: v_dual_add_f32 v32, v33, v42
	ds_bpermute_b32 v33, v40, v5
	ds_bpermute_b32 v42, v40, v32
	s_wait_dscnt 0x1
	v_add_f32_e32 v5, v5, v33
	s_wait_dscnt 0x0
	v_add_f32_e32 v33, v32, v42
	ds_bpermute_b32 v32, v41, v5
	s_wait_dscnt 0x0
	v_add_f32_e32 v32, v5, v32
	ds_bpermute_b32 v42, v41, v33
	s_wait_dscnt 0x0
	v_add_f32_e32 v33, v33, v42
	s_wait_alu 0xfffe
	s_or_b32 exec_lo, exec_lo, s6
	s_and_saveexec_b32 s6, s0
	s_cbranch_execz .LBB309_15
.LBB309_58:                             ;   in Loop: Header=BB309_16 Depth=2
	v_dual_mul_f32 v5, s65, v27 :: v_dual_mul_f32 v44, s65, v29
	v_mul_f32_e32 v43, s64, v27
	v_mul_f32_e32 v27, s64, v29
	s_or_b32 s66, s24, 1
	s_mov_b32 s67, s25
	s_mul_u64 s[8:9], s[24:25], s[30:31]
	v_fma_f32 v42, v26, s64, -v5
	s_mul_u64 s[66:67], s[66:67], s[30:31]
	v_fmac_f32_e32 v43, s65, v26
	s_wait_alu 0xfffe
	s_lshl_b64 s[8:9], s[8:9], 3
	v_fma_f32 v26, v28, s64, -v44
	v_fmac_f32_e32 v27, s65, v28
	v_mul_f32_e32 v5, s65, v31
	s_lshl_b64 s[66:67], s[66:67], 3
	s_wait_alu 0xfffe
	s_add_nc_u64 s[8:9], s[56:57], s[8:9]
	s_add_nc_u64 s[66:67], s[56:57], s[66:67]
	s_clause 0x1
	global_store_b64 v4, v[42:43], s[8:9]
	global_store_b64 v4, v[26:27], s[66:67]
	v_mul_f32_e32 v27, s64, v31
	v_fma_f32 v26, v30, s64, -v5
	s_wait_dscnt 0x0
	v_mul_f32_e32 v5, s65, v33
	v_mul_f32_e32 v29, s64, v33
	s_or_b32 s8, s24, 2
	s_mov_b32 s9, s25
	s_or_b32 s66, s24, 3
	s_mov_b32 s67, s25
	s_wait_alu 0xfffe
	s_mul_u64 s[8:9], s[8:9], s[30:31]
	s_mul_u64 s[66:67], s[66:67], s[30:31]
	v_fmac_f32_e32 v27, s65, v30
	s_wait_alu 0xfffe
	s_lshl_b64 s[8:9], s[8:9], 3
	v_fma_f32 v28, v32, s64, -v5
	v_fmac_f32_e32 v29, s65, v32
	s_lshl_b64 s[66:67], s[66:67], 3
	s_wait_alu 0xfffe
	s_add_nc_u64 s[8:9], s[56:57], s[8:9]
	s_add_nc_u64 s[66:67], s[56:57], s[66:67]
	s_clause 0x1
	global_store_b64 v4, v[26:27], s[8:9]
	global_store_b64 v4, v[28:29], s[66:67]
	s_branch .LBB309_15
.LBB309_59:                             ;   in Loop: Header=BB309_16 Depth=2
	v_dual_mov_b32 v42, 0 :: v_dual_mov_b32 v43, 0
	v_dual_mov_b32 v28, 0 :: v_dual_mov_b32 v29, 0
	;; [unrolled: 1-line block ×4, first 2 shown]
.LBB309_60:                             ;   in Loop: Header=BB309_16 Depth=2
	s_wait_alu 0xfffe
	s_or_b32 exec_lo, exec_lo, s7
	s_delay_alu instid0(SALU_CYCLE_1)
	s_or_b32 exec_lo, exec_lo, s6
	s_and_saveexec_b32 s6, s3
	s_cbranch_execnz .LBB309_19
	s_branch .LBB309_20
.LBB309_61:                             ;   in Loop: Header=BB309_3 Depth=1
	s_mov_b32 s24, 0
.LBB309_62:                             ;   in Loop: Header=BB309_3 Depth=1
	s_wait_alu 0xfffe
	s_cmp_ge_i32 s24, s29
	s_cbranch_scc1 .LBB309_2
; %bb.63:                               ;   in Loop: Header=BB309_3 Depth=1
	v_cmp_gt_u32_e32 vcc_lo, 24, v36
	v_mad_co_u64_u32 v[16:17], null, s54, s24, v[12:13]
	s_wait_alu 0xfffd
	v_cndmask_b32_e64 v5, 0, 8, vcc_lo
	v_cmp_gt_u32_e32 vcc_lo, 28, v36
	s_delay_alu instid0(VALU_DEP_2) | instskip(SKIP_3) | instid1(VALU_DEP_2)
	v_add_lshl_u32 v26, v5, v36, 2
	s_wait_alu 0xfffd
	v_cndmask_b32_e64 v18, 0, 4, vcc_lo
	v_cmp_gt_u32_e32 vcc_lo, 30, v36
	v_add_lshl_u32 v27, v18, v36, 2
	s_wait_alu 0xfffd
	v_cndmask_b32_e64 v5, 0, 2, vcc_lo
	v_cmp_ne_u32_e32 vcc_lo, 31, v36
	s_delay_alu instid0(VALU_DEP_2)
	v_add_lshl_u32 v28, v5, v36, 2
	v_mov_b32_e32 v5, v17
	s_wait_alu 0xfffd
	v_add_co_ci_u32_e64 v19, null, 0, v36, vcc_lo
	v_add_co_u32 v18, vcc_lo, v14, v0
	s_wait_dscnt 0x0
	v_mad_co_u64_u32 v[24:25], null, s55, s24, v[5:6]
	s_delay_alu instid0(VALU_DEP_3)
	v_lshlrev_b32_e32 v29, 2, v19
	s_wait_alu 0xfffd
	v_add_co_ci_u32_e64 v19, null, v15, v1, vcc_lo
	v_add_co_u32 v20, vcc_lo, v14, v6
	s_wait_alu 0xfffd
	v_add_co_ci_u32_e64 v21, null, v15, v7, vcc_lo
	v_add_co_u32 v22, vcc_lo, v14, v8
	;; [unrolled: 3-line block ×3, first 2 shown]
	s_wait_alu 0xfffd
	v_add_co_ci_u32_e64 v15, null, v15, v11, vcc_lo
	v_mov_b32_e32 v17, v24
	s_branch .LBB309_65
.LBB309_64:                             ;   in Loop: Header=BB309_65 Depth=2
	s_wait_alu 0xfffe
	s_or_b32 exec_lo, exec_lo, s6
	v_add_co_u32 v16, vcc_lo, v16, s54
	s_wait_alu 0xfffd
	v_add_co_ci_u32_e64 v17, null, s55, v17, vcc_lo
	s_add_co_i32 s24, s24, 1
	s_wait_alu 0xfffe
	s_cmp_lt_i32 s24, s29
	s_cbranch_scc0 .LBB309_2
.LBB309_65:                             ;   Parent Loop BB309_3 Depth=1
                                        ; =>  This Loop Header: Depth=2
                                        ;       Child Loop BB309_77 Depth 3
                                        ;       Child Loop BB309_79 Depth 3
                                        ; implicit-def: $vgpr30
                                        ; implicit-def: $vgpr31
	s_and_saveexec_b32 s6, s1
	s_wait_alu 0xfffe
	s_xor_b32 s6, exec_lo, s6
	s_cbranch_execnz .LBB309_74
; %bb.66:                               ;   in Loop: Header=BB309_65 Depth=2
	s_wait_alu 0xfffe
	s_and_not1_saveexec_b32 s6, s6
	s_cbranch_execnz .LBB309_75
.LBB309_67:                             ;   in Loop: Header=BB309_65 Depth=2
	s_wait_alu 0xfffe
	s_or_b32 exec_lo, exec_lo, s6
	s_and_saveexec_b32 s6, s3
.LBB309_68:                             ;   in Loop: Header=BB309_65 Depth=2
	v_mov_b32_e32 v5, v4
	ds_store_b64 v34, v[4:5]
.LBB309_69:                             ;   in Loop: Header=BB309_65 Depth=2
	s_wait_alu 0xfffe
	s_or_b32 exec_lo, exec_lo, s6
	ds_bpermute_b32 v5, v37, v30
	s_wait_dscnt 0x1
	ds_bpermute_b32 v24, v37, v31
	s_wait_storecnt 0x0
	s_wait_loadcnt_dscnt 0x0
	s_barrier_signal -1
	s_barrier_wait -1
	global_inv scope:SCOPE_SE
	v_dual_add_f32 v5, v30, v5 :: v_dual_add_f32 v24, v31, v24
	ds_bpermute_b32 v25, v26, v5
	ds_bpermute_b32 v30, v26, v24
	s_wait_dscnt 0x0
	v_dual_add_f32 v5, v5, v25 :: v_dual_add_f32 v24, v24, v30
	ds_bpermute_b32 v25, v27, v5
	ds_bpermute_b32 v30, v27, v24
	s_wait_dscnt 0x0
	v_dual_add_f32 v5, v5, v25 :: v_dual_add_f32 v24, v24, v30
	ds_bpermute_b32 v25, v28, v5
	ds_bpermute_b32 v30, v28, v24
	s_wait_dscnt 0x0
	v_dual_add_f32 v5, v5, v25 :: v_dual_add_f32 v24, v24, v30
	ds_bpermute_b32 v25, v29, v5
	ds_bpermute_b32 v30, v29, v24
	s_and_saveexec_b32 s6, s4
	s_cbranch_execz .LBB309_71
; %bb.70:                               ;   in Loop: Header=BB309_65 Depth=2
	s_wait_dscnt 0x0
	v_dual_add_f32 v31, v24, v30 :: v_dual_add_f32 v30, v5, v25
	ds_store_b64 v35, v[30:31]
.LBB309_71:                             ;   in Loop: Header=BB309_65 Depth=2
	s_wait_alu 0xfffe
	s_or_b32 exec_lo, exec_lo, s6
	s_wait_dscnt 0x1
	v_dual_mov_b32 v25, 0 :: v_dual_mov_b32 v24, 0
	s_wait_loadcnt_dscnt 0x0
	s_barrier_signal -1
	s_barrier_wait -1
	global_inv scope:SCOPE_SE
	s_and_saveexec_b32 s6, s5
	s_cbranch_execnz .LBB309_81
; %bb.72:                               ;   in Loop: Header=BB309_65 Depth=2
	s_wait_alu 0xfffe
	s_or_b32 exec_lo, exec_lo, s6
	s_and_saveexec_b32 s6, s3
	s_cbranch_execnz .LBB309_82
.LBB309_73:                             ;   in Loop: Header=BB309_65 Depth=2
	s_wait_alu 0xfffe
	s_or_b32 exec_lo, exec_lo, s6
	s_and_saveexec_b32 s6, s0
	s_cbranch_execz .LBB309_64
	s_branch .LBB309_83
.LBB309_74:                             ;   in Loop: Header=BB309_65 Depth=2
	s_mul_u64 s[8:9], s[24:25], s[26:27]
	s_wait_alu 0xfffe
	s_lshl_b64 s[8:9], s[8:9], 3
	s_wait_dscnt 0x0
	s_wait_alu 0xfffe
	v_add_co_u32 v24, vcc_lo, v12, s8
	s_wait_alu 0xfffd
	v_add_co_ci_u32_e64 v25, null, s9, v13, vcc_lo
	s_wait_dscnt 0x0
	flat_load_b128 v[30:33], v[24:25]
	s_clause 0x1
	flat_load_b64 v[38:39], v[18:19]
	flat_load_b64 v[40:41], v[20:21]
	flat_load_b128 v[42:45], v[24:25] offset:16
	s_clause 0x1
	flat_load_b64 v[46:47], v[22:23]
	flat_load_b64 v[48:49], v[14:15]
	s_wait_loadcnt_dscnt 0x303
	scratch_store_b128 off, v[38:41], off
	s_wait_loadcnt_dscnt 0x0
	scratch_store_b128 off, v[46:49], off offset:16
	v_mul_f32_e32 v5, v39, v31
	v_dual_mul_f32 v24, v38, v31 :: v_dual_mul_f32 v25, v41, v33
	v_mul_f32_e32 v31, v40, v33
	s_delay_alu instid0(VALU_DEP_3) | instskip(NEXT) | instid1(VALU_DEP_3)
	v_fma_f32 v5, v38, v30, -v5
	v_fmac_f32_e32 v24, v39, v30
	v_mul_f32_e32 v33, v47, v43
	v_mul_f32_e32 v43, v46, v43
	v_fma_f32 v25, v40, v32, -v25
	v_fmac_f32_e32 v31, v41, v32
	v_dual_add_f32 v24, 0, v24 :: v_dual_add_f32 v5, 0, v5
	v_mul_f32_e32 v30, v49, v45
	v_mul_f32_e32 v32, v48, v45
	v_fma_f32 v33, v46, v42, -v33
	s_delay_alu instid0(VALU_DEP_4) | instskip(SKIP_3) | instid1(VALU_DEP_3)
	v_dual_fmac_f32 v43, v47, v42 :: v_dual_add_f32 v24, v24, v31
	v_add_f32_e32 v5, v5, v25
	v_fma_f32 v25, v48, v44, -v30
	v_fmac_f32_e32 v32, v49, v44
	v_dual_add_f32 v24, v24, v43 :: v_dual_add_f32 v5, v5, v33
	s_delay_alu instid0(VALU_DEP_1)
	v_dual_add_f32 v31, v24, v32 :: v_dual_add_f32 v30, v5, v25
	s_and_not1_saveexec_b32 s6, s6
	s_cbranch_execz .LBB309_67
.LBB309_75:                             ;   in Loop: Header=BB309_65 Depth=2
	v_dual_mov_b32 v30, 0 :: v_dual_mov_b32 v31, 0
	s_and_saveexec_b32 s7, s28
	s_cbranch_execz .LBB309_80
; %bb.76:                               ;   in Loop: Header=BB309_65 Depth=2
	s_wait_dscnt 0x0
	v_dual_mov_b32 v25, v19 :: v_dual_mov_b32 v24, v18
	s_mov_b32 s8, 0
	s_mov_b32 s9, s60
.LBB309_77:                             ;   Parent Loop BB309_3 Depth=1
                                        ;     Parent Loop BB309_65 Depth=2
                                        ; =>    This Inner Loop Header: Depth=3
	flat_load_b64 v[30:31], v[24:25]
	v_add_co_u32 v24, vcc_lo, v24, s46
	s_wait_alu 0xfffd
	v_add_co_ci_u32_e64 v25, null, s47, v25, vcc_lo
	s_wait_alu 0xfffe
	s_add_co_i32 s9, s9, -1
	s_wait_loadcnt_dscnt 0x0
	scratch_store_b64 off, v[30:31], s8
	s_add_co_i32 s8, s8, 8
	s_wait_alu 0xfffe
	s_cmp_eq_u32 s9, 0
	s_cbranch_scc0 .LBB309_77
; %bb.78:                               ;   in Loop: Header=BB309_65 Depth=2
	v_dual_mov_b32 v30, 0 :: v_dual_mov_b32 v25, v17
	v_dual_mov_b32 v24, v16 :: v_dual_mov_b32 v31, 0
	s_mov_b32 s8, s63
	s_mov_b32 s9, s60
.LBB309_79:                             ;   Parent Loop BB309_3 Depth=1
                                        ;     Parent Loop BB309_65 Depth=2
                                        ; =>    This Inner Loop Header: Depth=3
	flat_load_b64 v[32:33], v[24:25]
	scratch_load_b64 v[38:39], off, s8 offset:-4
	v_add_co_u32 v24, vcc_lo, v24, 8
	s_wait_alu 0xfffd
	v_add_co_ci_u32_e64 v25, null, 0, v25, vcc_lo
	s_wait_alu 0xfffe
	s_add_co_i32 s9, s9, -1
	s_add_co_i32 s8, s8, 8
	s_wait_alu 0xfffe
	s_cmp_lg_u32 s9, 0
	s_wait_loadcnt_dscnt 0x0
	v_mul_f32_e32 v5, v39, v33
	v_mul_f32_e32 v33, v38, v33
	s_delay_alu instid0(VALU_DEP_2) | instskip(NEXT) | instid1(VALU_DEP_1)
	v_fma_f32 v5, v38, v32, -v5
	v_dual_fmac_f32 v33, v39, v32 :: v_dual_add_f32 v30, v30, v5
	s_delay_alu instid0(VALU_DEP_1)
	v_add_f32_e32 v31, v31, v33
	s_cbranch_scc1 .LBB309_79
.LBB309_80:                             ;   in Loop: Header=BB309_65 Depth=2
	s_wait_alu 0xfffe
	s_or_b32 exec_lo, exec_lo, s7
	s_delay_alu instid0(SALU_CYCLE_1)
	s_or_b32 exec_lo, exec_lo, s6
	s_and_saveexec_b32 s6, s3
	s_cbranch_execnz .LBB309_68
	s_branch .LBB309_69
.LBB309_81:                             ;   in Loop: Header=BB309_65 Depth=2
	ds_load_b64 v[24:25], v34
	s_wait_alu 0xfffe
	s_or_b32 exec_lo, exec_lo, s6
	s_and_saveexec_b32 s6, s3
	s_cbranch_execz .LBB309_73
.LBB309_82:                             ;   in Loop: Header=BB309_65 Depth=2
	s_wait_dscnt 0x0
	ds_bpermute_b32 v5, v27, v24
	ds_bpermute_b32 v30, v27, v25
	s_wait_dscnt 0x0
	v_dual_add_f32 v5, v24, v5 :: v_dual_add_f32 v24, v25, v30
	ds_bpermute_b32 v25, v28, v5
	ds_bpermute_b32 v30, v28, v24
	s_wait_dscnt 0x1
	v_add_f32_e32 v5, v5, v25
	s_wait_dscnt 0x0
	v_add_f32_e32 v25, v24, v30
	ds_bpermute_b32 v24, v29, v5
	s_wait_dscnt 0x0
	v_add_f32_e32 v24, v5, v24
	ds_bpermute_b32 v30, v29, v25
	s_wait_dscnt 0x0
	v_add_f32_e32 v25, v25, v30
	s_wait_alu 0xfffe
	s_or_b32 exec_lo, exec_lo, s6
	s_and_saveexec_b32 s6, s0
	s_cbranch_execz .LBB309_64
.LBB309_83:                             ;   in Loop: Header=BB309_65 Depth=2
	s_wait_dscnt 0x0
	v_mul_f32_e32 v5, s65, v25
	v_mul_f32_e32 v31, s64, v25
	s_mul_u64 s[8:9], s[24:25], s[30:31]
	s_wait_alu 0xfffe
	s_lshl_b64 s[8:9], s[8:9], 3
	v_fma_f32 v30, v24, s64, -v5
	v_fmac_f32_e32 v31, s65, v24
	s_wait_alu 0xfffe
	s_add_nc_u64 s[8:9], s[56:57], s[8:9]
	global_store_b64 v4, v[30:31], s[8:9]
	s_branch .LBB309_64
.LBB309_84:
	s_endpgm
	.section	.rodata,"a",@progbits
	.p2align	6, 0x0
	.amdhsa_kernel _ZL23rocblas_gemvt_sn_kernelILb0ELi256ELi4ElPK19rocblas_complex_numIfES3_S1_EviiT4_lPKT3_lilS7_lilPT5_i
		.amdhsa_group_segment_fixed_size 256
		.amdhsa_private_segment_fixed_size 48
		.amdhsa_kernarg_size 360
		.amdhsa_user_sgpr_count 2
		.amdhsa_user_sgpr_dispatch_ptr 0
		.amdhsa_user_sgpr_queue_ptr 0
		.amdhsa_user_sgpr_kernarg_segment_ptr 1
		.amdhsa_user_sgpr_dispatch_id 0
		.amdhsa_user_sgpr_private_segment_size 0
		.amdhsa_wavefront_size32 1
		.amdhsa_uses_dynamic_stack 0
		.amdhsa_enable_private_segment 1
		.amdhsa_system_sgpr_workgroup_id_x 1
		.amdhsa_system_sgpr_workgroup_id_y 0
		.amdhsa_system_sgpr_workgroup_id_z 1
		.amdhsa_system_sgpr_workgroup_info 0
		.amdhsa_system_vgpr_workitem_id 0
		.amdhsa_next_free_vgpr 89
		.amdhsa_next_free_sgpr 68
		.amdhsa_reserve_vcc 1
		.amdhsa_float_round_mode_32 0
		.amdhsa_float_round_mode_16_64 0
		.amdhsa_float_denorm_mode_32 3
		.amdhsa_float_denorm_mode_16_64 3
		.amdhsa_fp16_overflow 0
		.amdhsa_workgroup_processor_mode 1
		.amdhsa_memory_ordered 1
		.amdhsa_forward_progress 1
		.amdhsa_inst_pref_size 46
		.amdhsa_round_robin_scheduling 0
		.amdhsa_exception_fp_ieee_invalid_op 0
		.amdhsa_exception_fp_denorm_src 0
		.amdhsa_exception_fp_ieee_div_zero 0
		.amdhsa_exception_fp_ieee_overflow 0
		.amdhsa_exception_fp_ieee_underflow 0
		.amdhsa_exception_fp_ieee_inexact 0
		.amdhsa_exception_int_div_zero 0
	.end_amdhsa_kernel
	.section	.text._ZL23rocblas_gemvt_sn_kernelILb0ELi256ELi4ElPK19rocblas_complex_numIfES3_S1_EviiT4_lPKT3_lilS7_lilPT5_i,"axG",@progbits,_ZL23rocblas_gemvt_sn_kernelILb0ELi256ELi4ElPK19rocblas_complex_numIfES3_S1_EviiT4_lPKT3_lilS7_lilPT5_i,comdat
.Lfunc_end309:
	.size	_ZL23rocblas_gemvt_sn_kernelILb0ELi256ELi4ElPK19rocblas_complex_numIfES3_S1_EviiT4_lPKT3_lilS7_lilPT5_i, .Lfunc_end309-_ZL23rocblas_gemvt_sn_kernelILb0ELi256ELi4ElPK19rocblas_complex_numIfES3_S1_EviiT4_lPKT3_lilS7_lilPT5_i
                                        ; -- End function
	.set _ZL23rocblas_gemvt_sn_kernelILb0ELi256ELi4ElPK19rocblas_complex_numIfES3_S1_EviiT4_lPKT3_lilS7_lilPT5_i.num_vgpr, 89
	.set _ZL23rocblas_gemvt_sn_kernelILb0ELi256ELi4ElPK19rocblas_complex_numIfES3_S1_EviiT4_lPKT3_lilS7_lilPT5_i.num_agpr, 0
	.set _ZL23rocblas_gemvt_sn_kernelILb0ELi256ELi4ElPK19rocblas_complex_numIfES3_S1_EviiT4_lPKT3_lilS7_lilPT5_i.numbered_sgpr, 68
	.set _ZL23rocblas_gemvt_sn_kernelILb0ELi256ELi4ElPK19rocblas_complex_numIfES3_S1_EviiT4_lPKT3_lilS7_lilPT5_i.num_named_barrier, 0
	.set _ZL23rocblas_gemvt_sn_kernelILb0ELi256ELi4ElPK19rocblas_complex_numIfES3_S1_EviiT4_lPKT3_lilS7_lilPT5_i.private_seg_size, 48
	.set _ZL23rocblas_gemvt_sn_kernelILb0ELi256ELi4ElPK19rocblas_complex_numIfES3_S1_EviiT4_lPKT3_lilS7_lilPT5_i.uses_vcc, 1
	.set _ZL23rocblas_gemvt_sn_kernelILb0ELi256ELi4ElPK19rocblas_complex_numIfES3_S1_EviiT4_lPKT3_lilS7_lilPT5_i.uses_flat_scratch, 1
	.set _ZL23rocblas_gemvt_sn_kernelILb0ELi256ELi4ElPK19rocblas_complex_numIfES3_S1_EviiT4_lPKT3_lilS7_lilPT5_i.has_dyn_sized_stack, 0
	.set _ZL23rocblas_gemvt_sn_kernelILb0ELi256ELi4ElPK19rocblas_complex_numIfES3_S1_EviiT4_lPKT3_lilS7_lilPT5_i.has_recursion, 0
	.set _ZL23rocblas_gemvt_sn_kernelILb0ELi256ELi4ElPK19rocblas_complex_numIfES3_S1_EviiT4_lPKT3_lilS7_lilPT5_i.has_indirect_call, 0
	.section	.AMDGPU.csdata,"",@progbits
; Kernel info:
; codeLenInByte = 5816
; TotalNumSgprs: 70
; NumVgprs: 89
; ScratchSize: 48
; MemoryBound: 0
; FloatMode: 240
; IeeeMode: 1
; LDSByteSize: 256 bytes/workgroup (compile time only)
; SGPRBlocks: 0
; VGPRBlocks: 11
; NumSGPRsForWavesPerEU: 70
; NumVGPRsForWavesPerEU: 89
; Occupancy: 16
; WaveLimiterHint : 0
; COMPUTE_PGM_RSRC2:SCRATCH_EN: 1
; COMPUTE_PGM_RSRC2:USER_SGPR: 2
; COMPUTE_PGM_RSRC2:TRAP_HANDLER: 0
; COMPUTE_PGM_RSRC2:TGID_X_EN: 1
; COMPUTE_PGM_RSRC2:TGID_Y_EN: 0
; COMPUTE_PGM_RSRC2:TGID_Z_EN: 1
; COMPUTE_PGM_RSRC2:TIDIG_COMP_CNT: 0
	.section	.text._ZL23rocblas_gemvt_sn_reduceILi256ELi8E19rocblas_complex_numIfEPKS1_KPS1_EviT2_lPT3_lilPT1_i,"axG",@progbits,_ZL23rocblas_gemvt_sn_reduceILi256ELi8E19rocblas_complex_numIfEPKS1_KPS1_EviT2_lPT3_lilPT1_i,comdat
	.globl	_ZL23rocblas_gemvt_sn_reduceILi256ELi8E19rocblas_complex_numIfEPKS1_KPS1_EviT2_lPT3_lilPT1_i ; -- Begin function _ZL23rocblas_gemvt_sn_reduceILi256ELi8E19rocblas_complex_numIfEPKS1_KPS1_EviT2_lPT3_lilPT1_i
	.p2align	8
	.type	_ZL23rocblas_gemvt_sn_reduceILi256ELi8E19rocblas_complex_numIfEPKS1_KPS1_EviT2_lPT3_lilPT1_i,@function
_ZL23rocblas_gemvt_sn_reduceILi256ELi8E19rocblas_complex_numIfEPKS1_KPS1_EviT2_lPT3_lilPT1_i: ; @_ZL23rocblas_gemvt_sn_reduceILi256ELi8E19rocblas_complex_numIfEPKS1_KPS1_EviT2_lPT3_lilPT1_i
; %bb.0:
	s_load_b32 s7, s[0:1], 0x40
	s_lshr_b32 s16, ttmp7, 16
	s_wait_kmcnt 0x0
	s_cmp_ge_u32 s16, s7
	s_cbranch_scc1 .LBB310_21
; %bb.1:
	s_clause 0x5
	s_load_b32 s18, s[0:1], 0x0
	s_load_b32 s28, s[0:1], 0x4c
	;; [unrolled: 1-line block ×4, first 2 shown]
	s_load_b64 s[20:21], s[0:1], 0x38
	s_load_b256 s[8:15], s[0:1], 0x8
	v_mbcnt_lo_u32_b32 v3, -1, 0
	v_dual_mov_b32 v1, 0 :: v_dual_and_b32 v2, 31, v0
	v_lshlrev_b32_e32 v13, 3, v0
	v_cmp_gt_u32_e64 s0, 32, v0
	s_delay_alu instid0(VALU_DEP_4)
	v_cmp_gt_u32_e32 vcc_lo, 24, v3
	v_cmp_gt_u32_e64 s4, 8, v0
	v_lshlrev_b32_e32 v14, 3, v2
	v_cmp_eq_u32_e64 s3, 0, v2
	v_lshlrev_b32_e32 v2, 6, v0
	v_cndmask_b32_e64 v4, 0, 8, vcc_lo
	v_cmp_gt_u32_e32 vcc_lo, 28, v3
	v_cmp_eq_u32_e64 s5, 0, v0
	v_mov_b32_e32 v6, v1
	s_wait_kmcnt 0x0
	s_ashr_i32 s19, s18, 31
	v_xad_u32 v5, v0, -1, s18
	s_wait_alu 0xfffd
	v_cndmask_b32_e64 v7, 0, 4, vcc_lo
	s_lshr_b32 s1, s19, 29
	v_cmp_gt_u32_e32 vcc_lo, 30, v3
	s_add_co_i32 s1, s18, s1
	s_and_b32 s6, s2, 0xffff
	s_and_b32 s29, s1, -8
	v_add_lshl_u32 v16, v4, v3, 2
	s_wait_alu 0xfffd
	v_cndmask_b32_e64 v8, 0, 2, vcc_lo
	v_cmp_ne_u32_e32 vcc_lo, 31, v3
	s_sub_co_i32 s2, s18, s29
	v_lshrrev_b32_e32 v4, 2, v0
	v_cmp_gt_u32_e64 s2, s2, v0
	v_add_co_u32 v0, s26, s20, v2
	s_wait_alu 0xfffd
	v_add_co_ci_u32_e64 v9, null, 0, v3, vcc_lo
	v_add_co_ci_u32_e64 v2, null, s21, 0, s26
	s_mov_b32 s17, 0
	v_lshl_or_b32 v15, v3, 2, 64
	v_add_lshl_u32 v17, v7, v3, 2
	v_add_lshl_u32 v18, v8, v3, 2
	v_add_co_u32 v3, vcc_lo, v0, 60
	s_and_b32 s22, ttmp7, 0xffff
	s_ashr_i32 s25, s24, 31
	s_mov_b32 s23, s17
	v_lshlrev_b64_e32 v[5:6], 3, v[5:6]
	v_cmp_gt_i32_e64 s1, s29, v13
	v_lshlrev_b32_e32 v19, 2, v9
	v_and_b32_e32 v20, 56, v4
	s_wait_alu 0xfffd
	v_add_co_ci_u32_e64 v4, null, 0, v2, vcc_lo
	s_mul_u64 s[26:27], s[24:25], s[22:23]
	s_mul_i32 s23, s16, s28
	s_lshl_b32 s30, s6, 3
	s_lshl_b64 s[24:25], s[18:19], 3
	s_add_co_i32 s23, s22, s23
	s_lshl_b32 s31, s28, 16
	s_lshl_b32 s33, s6, 6
	s_lshl_b64 s[14:15], s[14:15], 3
	s_wait_alu 0xfffe
	s_lshl_b64 s[26:27], s[26:27], 3
	s_branch .LBB310_4
.LBB310_2:                              ;   in Loop: Header=BB310_4 Depth=1
	v_add_co_u32 v7, vcc_lo, v0, s26
	s_wait_alu 0xfffd
	v_add_co_ci_u32_e64 v8, null, s27, v2, vcc_lo
	s_wait_dscnt 0x0
	flat_store_b64 v[7:8], v[11:12]
.LBB310_3:                              ;   in Loop: Header=BB310_4 Depth=1
	s_wait_alu 0xfffe
	s_or_b32 exec_lo, exec_lo, s34
	s_add_co_i32 s16, s16, 0x10000
	s_add_co_i32 s23, s23, s31
	s_cmp_lt_u32 s16, s7
	s_cbranch_scc0 .LBB310_21
.LBB310_4:                              ; =>This Loop Header: Depth=1
                                        ;     Child Loop BB310_14 Depth 2
	s_mul_u64 s[34:35], s[10:11], s[16:17]
	s_lshl_b64 s[36:37], s[16:17], 3
	s_wait_alu 0xfffe
	s_lshl_b64 s[34:35], s[34:35], 3
	s_add_nc_u64 s[36:37], s[12:13], s[36:37]
	s_wait_alu 0xfffe
	s_add_nc_u64 s[34:35], s[8:9], s[34:35]
	s_clause 0x1
	global_load_b64 v[9:10], v1, s[36:37]
	global_load_b64 v[7:8], v1, s[34:35]
	v_dual_mov_b32 v0, 0 :: v_dual_mov_b32 v21, 0
	s_and_saveexec_b32 s34, s1
	s_cbranch_execnz .LBB310_13
; %bb.5:                                ;   in Loop: Header=BB310_4 Depth=1
	s_wait_alu 0xfffe
	s_or_b32 exec_lo, exec_lo, s34
	s_and_saveexec_b32 s6, s2
	s_cbranch_execnz .LBB310_16
.LBB310_6:                              ;   in Loop: Header=BB310_4 Depth=1
	s_or_b32 exec_lo, exec_lo, s6
	s_and_saveexec_b32 s6, s0
.LBB310_7:                              ;   in Loop: Header=BB310_4 Depth=1
	v_mov_b32_e32 v2, v1
	ds_store_b64 v14, v[1:2]
.LBB310_8:                              ;   in Loop: Header=BB310_4 Depth=1
	s_or_b32 exec_lo, exec_lo, s6
	s_wait_dscnt 0x0
	ds_bpermute_b32 v11, v15, v0
	ds_bpermute_b32 v2, v15, v21
	s_wait_loadcnt_dscnt 0x0
	s_barrier_signal -1
	s_barrier_wait -1
	global_inv scope:SCOPE_SE
	v_add_f32_e32 v0, v0, v11
	ds_bpermute_b32 v12, v16, v0
	s_wait_dscnt 0x0
	v_add_f32_e32 v0, v0, v12
	ds_bpermute_b32 v12, v17, v0
	v_add_f32_e32 v2, v21, v2
	ds_bpermute_b32 v11, v16, v2
	s_wait_dscnt 0x0
	v_add_f32_e32 v2, v2, v11
	ds_bpermute_b32 v11, v17, v2
	s_wait_dscnt 0x0
	v_dual_add_f32 v2, v2, v11 :: v_dual_add_f32 v11, v0, v12
	ds_bpermute_b32 v0, v18, v2
	ds_bpermute_b32 v12, v18, v11
	s_wait_dscnt 0x1
	v_add_f32_e32 v0, v2, v0
	s_wait_dscnt 0x0
	v_add_f32_e32 v2, v11, v12
	ds_bpermute_b32 v11, v19, v0
	ds_bpermute_b32 v12, v19, v2
	s_and_saveexec_b32 s6, s3
	s_cbranch_execz .LBB310_10
; %bb.9:                                ;   in Loop: Header=BB310_4 Depth=1
	s_wait_dscnt 0x0
	v_dual_add_f32 v12, v2, v12 :: v_dual_add_f32 v11, v0, v11
	ds_store_b64 v20, v[11:12]
.LBB310_10:                             ;   in Loop: Header=BB310_4 Depth=1
	s_or_b32 exec_lo, exec_lo, s6
	s_wait_dscnt 0x0
	v_dual_mov_b32 v12, 0 :: v_dual_mov_b32 v11, 0
	s_wait_loadcnt 0x0
	s_barrier_signal -1
	s_barrier_wait -1
	global_inv scope:SCOPE_SE
	s_and_saveexec_b32 s6, s4
	s_cbranch_execnz .LBB310_17
; %bb.11:                               ;   in Loop: Header=BB310_4 Depth=1
	s_or_b32 exec_lo, exec_lo, s6
	s_and_saveexec_b32 s6, s0
	s_cbranch_execnz .LBB310_18
.LBB310_12:                             ;   in Loop: Header=BB310_4 Depth=1
	s_or_b32 exec_lo, exec_lo, s6
	s_and_saveexec_b32 s34, s5
	s_cbranch_execz .LBB310_3
	s_branch .LBB310_19
.LBB310_13:                             ;   in Loop: Header=BB310_4 Depth=1
	s_wait_dscnt 0x0
	v_mad_co_u64_u32 v[11:12], null, s24, s23, v[3:4]
	v_mov_b32_e32 v2, v13
	s_mov_b32 s35, 0
	s_delay_alu instid0(VALU_DEP_2) | instskip(NEXT) | instid1(VALU_DEP_1)
	v_mov_b32_e32 v0, v12
	v_mad_co_u64_u32 v[21:22], null, s25, s23, v[0:1]
	v_mov_b32_e32 v0, 0
	s_delay_alu instid0(VALU_DEP_2)
	v_dual_mov_b32 v12, v21 :: v_dual_mov_b32 v21, 0
.LBB310_14:                             ;   Parent Loop BB310_4 Depth=1
                                        ; =>  This Inner Loop Header: Depth=2
	s_clause 0x3
	global_load_b128 v[22:25], v[11:12], off offset:-60
	global_load_b128 v[26:29], v[11:12], off offset:-44
	;; [unrolled: 1-line block ×4, first 2 shown]
	v_add_co_u32 v11, vcc_lo, v11, s33
	s_wait_alu 0xfffd
	v_add_co_ci_u32_e64 v12, null, 0, v12, vcc_lo
	s_wait_loadcnt 0x3
	v_dual_add_f32 v21, v21, v22 :: v_dual_add_f32 v0, v0, v23
	s_delay_alu instid0(VALU_DEP_1) | instskip(SKIP_1) | instid1(VALU_DEP_1)
	v_dual_add_f32 v21, v21, v24 :: v_dual_add_f32 v0, v0, v25
	s_wait_loadcnt 0x2
	v_dual_add_f32 v21, v21, v26 :: v_dual_add_f32 v0, v0, v27
	s_delay_alu instid0(VALU_DEP_1) | instskip(SKIP_1) | instid1(VALU_DEP_1)
	v_dual_add_f32 v21, v21, v28 :: v_dual_add_f32 v0, v0, v29
	;; [unrolled: 4-line block ×3, first 2 shown]
	s_wait_loadcnt 0x0
	v_dual_add_f32 v21, v21, v34 :: v_dual_add_f32 v0, v0, v35
	s_delay_alu instid0(VALU_DEP_1) | instskip(NEXT) | instid1(VALU_DEP_2)
	v_dual_add_f32 v21, v21, v36 :: v_dual_add_nc_u32 v2, s30, v2
	v_add_f32_e32 v0, v0, v37
	s_delay_alu instid0(VALU_DEP_2)
	v_cmp_le_i32_e64 s6, s29, v2
	s_wait_alu 0xfffe
	s_or_b32 s35, s6, s35
	s_wait_alu 0xfffe
	s_and_not1_b32 exec_lo, exec_lo, s35
	s_cbranch_execnz .LBB310_14
; %bb.15:                               ;   in Loop: Header=BB310_4 Depth=1
	s_or_b32 exec_lo, exec_lo, s35
	s_delay_alu instid0(SALU_CYCLE_1)
	s_or_b32 exec_lo, exec_lo, s34
	s_and_saveexec_b32 s6, s2
	s_cbranch_execz .LBB310_6
.LBB310_16:                             ;   in Loop: Header=BB310_4 Depth=1
	s_mul_i32 s34, s28, s16
	s_mov_b32 s35, s17
	s_wait_alu 0xfffe
	s_add_co_i32 s34, s34, s22
	s_wait_alu 0xfffe
	s_mul_u64 s[34:35], s[34:35], s[18:19]
	s_wait_alu 0xfffe
	s_lshl_b64 s[34:35], s[34:35], 3
	s_wait_alu 0xfffe
	s_add_nc_u64 s[34:35], s[20:21], s[34:35]
	s_wait_dscnt 0x0
	s_wait_alu 0xfffe
	v_add_co_u32 v11, vcc_lo, s34, v5
	s_wait_alu 0xfffd
	v_add_co_ci_u32_e64 v12, null, s35, v6, vcc_lo
	global_load_b64 v[11:12], v[11:12], off
	s_wait_loadcnt 0x0
	v_dual_add_f32 v21, v21, v11 :: v_dual_add_f32 v0, v0, v12
	s_or_b32 exec_lo, exec_lo, s6
	s_and_saveexec_b32 s6, s0
	s_cbranch_execnz .LBB310_7
	s_branch .LBB310_8
.LBB310_17:                             ;   in Loop: Header=BB310_4 Depth=1
	ds_load_b64 v[11:12], v14
	s_or_b32 exec_lo, exec_lo, s6
	s_and_saveexec_b32 s6, s0
	s_cbranch_execz .LBB310_12
.LBB310_18:                             ;   in Loop: Header=BB310_4 Depth=1
	s_wait_dscnt 0x0
	ds_bpermute_b32 v0, v17, v11
	ds_bpermute_b32 v2, v17, v12
	s_wait_dscnt 0x1
	v_add_f32_e32 v0, v11, v0
	s_wait_dscnt 0x0
	v_add_f32_e32 v2, v12, v2
	ds_bpermute_b32 v11, v18, v0
	ds_bpermute_b32 v12, v18, v2
	s_wait_dscnt 0x1
	v_add_f32_e32 v0, v0, v11
	ds_bpermute_b32 v11, v19, v0
	s_wait_dscnt 0x0
	v_dual_add_f32 v2, v2, v12 :: v_dual_add_f32 v11, v0, v11
	ds_bpermute_b32 v12, v19, v2
	s_wait_dscnt 0x0
	v_add_f32_e32 v12, v2, v12
	s_or_b32 exec_lo, exec_lo, s6
	s_and_saveexec_b32 s34, s5
	s_cbranch_execz .LBB310_3
.LBB310_19:                             ;   in Loop: Header=BB310_4 Depth=1
	v_cmp_neq_f32_e32 vcc_lo, 0, v7
	v_cmp_neq_f32_e64 s6, 0, v8
	s_or_b32 s6, vcc_lo, s6
	v_add_co_u32 v0, vcc_lo, v9, s14
	s_wait_alu 0xfffd
	v_add_co_ci_u32_e64 v2, null, s15, v10, vcc_lo
	s_and_not1_b32 vcc_lo, exec_lo, s6
	s_wait_alu 0xfffe
	s_cbranch_vccnz .LBB310_2
; %bb.20:                               ;   in Loop: Header=BB310_4 Depth=1
	v_add_co_u32 v9, vcc_lo, v0, s26
	s_wait_alu 0xfffd
	v_add_co_ci_u32_e64 v10, null, s27, v2, vcc_lo
	flat_load_b64 v[9:10], v[9:10]
	s_wait_loadcnt_dscnt 0x0
	v_mul_f32_e32 v21, v8, v10
	v_mul_f32_e32 v10, v7, v10
	s_delay_alu instid0(VALU_DEP_2) | instskip(NEXT) | instid1(VALU_DEP_1)
	v_fma_f32 v7, v7, v9, -v21
	v_dual_fmac_f32 v10, v8, v9 :: v_dual_add_f32 v11, v11, v7
	s_delay_alu instid0(VALU_DEP_1)
	v_add_f32_e32 v12, v12, v10
	s_branch .LBB310_2
.LBB310_21:
	s_endpgm
	.section	.rodata,"a",@progbits
	.p2align	6, 0x0
	.amdhsa_kernel _ZL23rocblas_gemvt_sn_reduceILi256ELi8E19rocblas_complex_numIfEPKS1_KPS1_EviT2_lPT3_lilPT1_i
		.amdhsa_group_segment_fixed_size 256
		.amdhsa_private_segment_fixed_size 0
		.amdhsa_kernarg_size 328
		.amdhsa_user_sgpr_count 2
		.amdhsa_user_sgpr_dispatch_ptr 0
		.amdhsa_user_sgpr_queue_ptr 0
		.amdhsa_user_sgpr_kernarg_segment_ptr 1
		.amdhsa_user_sgpr_dispatch_id 0
		.amdhsa_user_sgpr_private_segment_size 0
		.amdhsa_wavefront_size32 1
		.amdhsa_uses_dynamic_stack 0
		.amdhsa_enable_private_segment 0
		.amdhsa_system_sgpr_workgroup_id_x 1
		.amdhsa_system_sgpr_workgroup_id_y 1
		.amdhsa_system_sgpr_workgroup_id_z 1
		.amdhsa_system_sgpr_workgroup_info 0
		.amdhsa_system_vgpr_workitem_id 0
		.amdhsa_next_free_vgpr 38
		.amdhsa_next_free_sgpr 38
		.amdhsa_reserve_vcc 1
		.amdhsa_float_round_mode_32 0
		.amdhsa_float_round_mode_16_64 0
		.amdhsa_float_denorm_mode_32 3
		.amdhsa_float_denorm_mode_16_64 3
		.amdhsa_fp16_overflow 0
		.amdhsa_workgroup_processor_mode 1
		.amdhsa_memory_ordered 1
		.amdhsa_forward_progress 1
		.amdhsa_inst_pref_size 12
		.amdhsa_round_robin_scheduling 0
		.amdhsa_exception_fp_ieee_invalid_op 0
		.amdhsa_exception_fp_denorm_src 0
		.amdhsa_exception_fp_ieee_div_zero 0
		.amdhsa_exception_fp_ieee_overflow 0
		.amdhsa_exception_fp_ieee_underflow 0
		.amdhsa_exception_fp_ieee_inexact 0
		.amdhsa_exception_int_div_zero 0
	.end_amdhsa_kernel
	.section	.text._ZL23rocblas_gemvt_sn_reduceILi256ELi8E19rocblas_complex_numIfEPKS1_KPS1_EviT2_lPT3_lilPT1_i,"axG",@progbits,_ZL23rocblas_gemvt_sn_reduceILi256ELi8E19rocblas_complex_numIfEPKS1_KPS1_EviT2_lPT3_lilPT1_i,comdat
.Lfunc_end310:
	.size	_ZL23rocblas_gemvt_sn_reduceILi256ELi8E19rocblas_complex_numIfEPKS1_KPS1_EviT2_lPT3_lilPT1_i, .Lfunc_end310-_ZL23rocblas_gemvt_sn_reduceILi256ELi8E19rocblas_complex_numIfEPKS1_KPS1_EviT2_lPT3_lilPT1_i
                                        ; -- End function
	.set _ZL23rocblas_gemvt_sn_reduceILi256ELi8E19rocblas_complex_numIfEPKS1_KPS1_EviT2_lPT3_lilPT1_i.num_vgpr, 38
	.set _ZL23rocblas_gemvt_sn_reduceILi256ELi8E19rocblas_complex_numIfEPKS1_KPS1_EviT2_lPT3_lilPT1_i.num_agpr, 0
	.set _ZL23rocblas_gemvt_sn_reduceILi256ELi8E19rocblas_complex_numIfEPKS1_KPS1_EviT2_lPT3_lilPT1_i.numbered_sgpr, 38
	.set _ZL23rocblas_gemvt_sn_reduceILi256ELi8E19rocblas_complex_numIfEPKS1_KPS1_EviT2_lPT3_lilPT1_i.num_named_barrier, 0
	.set _ZL23rocblas_gemvt_sn_reduceILi256ELi8E19rocblas_complex_numIfEPKS1_KPS1_EviT2_lPT3_lilPT1_i.private_seg_size, 0
	.set _ZL23rocblas_gemvt_sn_reduceILi256ELi8E19rocblas_complex_numIfEPKS1_KPS1_EviT2_lPT3_lilPT1_i.uses_vcc, 1
	.set _ZL23rocblas_gemvt_sn_reduceILi256ELi8E19rocblas_complex_numIfEPKS1_KPS1_EviT2_lPT3_lilPT1_i.uses_flat_scratch, 0
	.set _ZL23rocblas_gemvt_sn_reduceILi256ELi8E19rocblas_complex_numIfEPKS1_KPS1_EviT2_lPT3_lilPT1_i.has_dyn_sized_stack, 0
	.set _ZL23rocblas_gemvt_sn_reduceILi256ELi8E19rocblas_complex_numIfEPKS1_KPS1_EviT2_lPT3_lilPT1_i.has_recursion, 0
	.set _ZL23rocblas_gemvt_sn_reduceILi256ELi8E19rocblas_complex_numIfEPKS1_KPS1_EviT2_lPT3_lilPT1_i.has_indirect_call, 0
	.section	.AMDGPU.csdata,"",@progbits
; Kernel info:
; codeLenInByte = 1488
; TotalNumSgprs: 40
; NumVgprs: 38
; ScratchSize: 0
; MemoryBound: 0
; FloatMode: 240
; IeeeMode: 1
; LDSByteSize: 256 bytes/workgroup (compile time only)
; SGPRBlocks: 0
; VGPRBlocks: 4
; NumSGPRsForWavesPerEU: 40
; NumVGPRsForWavesPerEU: 38
; Occupancy: 16
; WaveLimiterHint : 1
; COMPUTE_PGM_RSRC2:SCRATCH_EN: 0
; COMPUTE_PGM_RSRC2:USER_SGPR: 2
; COMPUTE_PGM_RSRC2:TRAP_HANDLER: 0
; COMPUTE_PGM_RSRC2:TGID_X_EN: 1
; COMPUTE_PGM_RSRC2:TGID_Y_EN: 1
; COMPUTE_PGM_RSRC2:TGID_Z_EN: 1
; COMPUTE_PGM_RSRC2:TIDIG_COMP_CNT: 0
	.section	.text._ZL23rocblas_gemvt_sn_kernelILb0ELi256ELi4EiPK19rocblas_complex_numIfES1_S1_EviiT4_lPKT3_lilS7_lilPT5_i,"axG",@progbits,_ZL23rocblas_gemvt_sn_kernelILb0ELi256ELi4EiPK19rocblas_complex_numIfES1_S1_EviiT4_lPKT3_lilS7_lilPT5_i,comdat
	.globl	_ZL23rocblas_gemvt_sn_kernelILb0ELi256ELi4EiPK19rocblas_complex_numIfES1_S1_EviiT4_lPKT3_lilS7_lilPT5_i ; -- Begin function _ZL23rocblas_gemvt_sn_kernelILb0ELi256ELi4EiPK19rocblas_complex_numIfES1_S1_EviiT4_lPKT3_lilS7_lilPT5_i
	.p2align	8
	.type	_ZL23rocblas_gemvt_sn_kernelILb0ELi256ELi4EiPK19rocblas_complex_numIfES1_S1_EviiT4_lPKT3_lilS7_lilPT5_i,@function
_ZL23rocblas_gemvt_sn_kernelILb0ELi256ELi4EiPK19rocblas_complex_numIfES1_S1_EviiT4_lPKT3_lilS7_lilPT5_i: ; @_ZL23rocblas_gemvt_sn_kernelILb0ELi256ELi4EiPK19rocblas_complex_numIfES1_S1_EviiT4_lPKT3_lilS7_lilPT5_i
; %bb.0:
	s_load_b32 s33, s[0:1], 0x60
	s_lshr_b32 s10, ttmp7, 16
	s_wait_kmcnt 0x0
	s_cmp_ge_u32 s10, s33
	s_cbranch_scc1 .LBB311_86
; %bb.1:
	s_clause 0x6
	s_load_b128 s[12:15], s[0:1], 0x0
	s_load_b128 s[16:19], s[0:1], 0x18
	s_load_b32 s50, s[0:1], 0x28
	s_load_b128 s[20:23], s[0:1], 0x38
	s_load_b32 s51, s[0:1], 0x48
	s_load_b64 s[26:27], s[0:1], 0x58
	s_load_b32 s30, s[0:1], 0x68
	s_mov_b32 s29, 0
	v_lshrrev_b32_e32 v2, 2, v0
	s_mov_b32 s31, s29
	v_cmp_eq_u32_e64 s0, 0, v0
	v_and_b32_e32 v1, 31, v0
	v_cmp_gt_u32_e64 s1, 32, v0
	v_and_b32_e32 v33, 56, v2
	v_cmp_gt_u32_e64 s2, 8, v0
	v_mbcnt_lo_u32_b32 v34, -1, 0
	s_mov_b32 s24, ttmp9
	s_mov_b32 s25, s29
	s_wait_kmcnt 0x0
	s_or_b32 s4, s14, s15
	s_delay_alu instid0(SALU_CYCLE_1)
	s_bitset0_b32 s4, 31
	s_mul_i32 s60, s50, 3
	s_cmp_lg_u32 s4, 0
	s_cselect_b32 s52, -1, 0
	s_cmp_eq_u32 s4, 0
	s_mov_b32 s4, s13
	s_cselect_b32 s53, -1, 0
	s_ashr_i32 s5, s13, 31
	s_cmp_gt_i32 s13, 0
	s_mul_u64 s[34:35], s[4:5], s[30:31]
	s_cselect_b32 s4, -1, 0
	s_lshl_b32 s6, ttmp9, 10
	s_ashr_i32 s7, s12, 31
	v_lshl_or_b32 v2, v0, 2, s6
	s_and_b32 s54, s0, s4
	s_lshr_b32 s4, s7, 30
	s_lshr_b32 s5, s5, 30
	s_add_co_i32 s4, s12, s4
	v_mul_lo_u32 v0, s51, v2
	s_and_b32 s4, s4, -4
	s_add_co_i32 s5, s13, s5
	s_sub_co_i32 s56, s12, s4
	s_and_b32 s55, s5, -4
	v_add_nc_u32_e32 v4, s56, v2
	v_ashrrev_i32_e32 v3, 31, v2
	s_cmp_gt_i32 s55, 0
	v_add_nc_u32_e32 v8, s51, v0
	s_cselect_b32 s57, -1, 0
	v_cmp_ge_i32_e64 s5, s12, v4
	v_mov_b32_e32 v4, 0
	v_cmp_eq_u32_e64 s3, 0, v1
	v_add_nc_u32_e32 v10, s51, v8
	v_lshlrev_b32_e32 v32, 3, v1
	v_add_nc_u32_e32 v1, 4, v2
	v_ashrrev_i32_e32 v9, 31, v8
	s_cmp_gt_i32 s56, 0
	v_add_nc_u32_e32 v12, s51, v10
	v_ashrrev_i32_e32 v11, 31, v10
	v_cmp_ge_i32_e64 s4, s12, v1
	v_ashrrev_i32_e32 v1, 31, v0
	s_cselect_b32 s58, -1, 0
	v_ashrrev_i32_e32 v13, 31, v12
	s_lshl_b64 s[36:37], s[24:25], 3
	v_lshlrev_b64_e32 v[2:3], 3, v[2:3]
	v_lshlrev_b64_e32 v[6:7], 3, v[0:1]
	;; [unrolled: 1-line block ×5, first 2 shown]
	v_lshl_or_b32 v1, v34, 2, 64
	s_add_nc_u64 s[6:7], s[26:27], s[36:37]
	s_and_b32 s12, s58, s5
	s_wait_alu 0xfffe
	s_add_nc_u64 s[38:39], s[6:7], 4
	s_lshl_b64 s[40:41], s[34:35], 3
	s_lshl_b64 s[42:43], s[30:31], 3
	s_lshl_b32 s25, s50, 2
	s_lshl_b32 s59, s50, 1
	s_or_b32 s61, 0, 4
	s_lshl_b64 s[18:19], s[18:19], 3
	s_lshl_b64 s[22:23], s[22:23], 3
	s_branch .LBB311_3
.LBB311_2:                              ;   in Loop: Header=BB311_3 Depth=1
	s_add_co_i32 s10, s10, 0x10000
	s_delay_alu instid0(SALU_CYCLE_1)
	s_cmp_lt_u32 s10, s33
	s_cbranch_scc0 .LBB311_86
.LBB311_3:                              ; =>This Loop Header: Depth=1
                                        ;     Child Loop BB311_13 Depth 2
                                        ;     Child Loop BB311_18 Depth 2
                                        ;       Child Loop BB311_49 Depth 3
                                        ;       Child Loop BB311_51 Depth 3
                                        ;     Child Loop BB311_67 Depth 2
                                        ;       Child Loop BB311_79 Depth 3
                                        ;       Child Loop BB311_81 Depth 3
	s_mov_b32 s11, s29
	s_and_not1_b32 vcc_lo, exec_lo, s53
	s_mov_b32 s6, -1
	s_wait_alu 0xfffe
	s_cbranch_vccnz .LBB311_5
; %bb.4:                                ;   in Loop: Header=BB311_3 Depth=1
	s_mov_b32 s6, 0
.LBB311_5:                              ;   in Loop: Header=BB311_3 Depth=1
	v_mov_b32_e32 v14, 0
	v_dual_mov_b32 v15, 0 :: v_dual_mov_b32 v16, 0
	v_mov_b32_e32 v17, 0
	s_wait_alu 0xfffe
	s_and_not1_b32 vcc_lo, exec_lo, s6
	s_wait_alu 0xfffe
	s_cbranch_vccz .LBB311_9
; %bb.6:                                ;   in Loop: Header=BB311_3 Depth=1
	s_and_not1_b32 vcc_lo, exec_lo, s52
	s_wait_alu 0xfffe
	s_cbranch_vccz .LBB311_10
.LBB311_7:                              ;   in Loop: Header=BB311_3 Depth=1
	s_and_not1_b32 vcc_lo, exec_lo, s53
	s_mov_b32 s6, -1
	s_wait_alu 0xfffe
	s_cbranch_vccz .LBB311_11
.LBB311_8:                              ;   in Loop: Header=BB311_3 Depth=1
	s_wait_alu 0xfffe
	s_and_not1_b32 vcc_lo, exec_lo, s6
	s_wait_alu 0xfffe
	s_cbranch_vccnz .LBB311_2
	s_branch .LBB311_15
.LBB311_9:                              ;   in Loop: Header=BB311_3 Depth=1
	s_lshl_b64 s[6:7], s[10:11], 3
	s_wait_alu 0xfffe
	s_add_nc_u64 s[6:7], s[16:17], s[6:7]
	global_load_b64 v[16:17], v4, s[6:7]
	s_wait_loadcnt 0x0
	v_add_co_u32 v16, vcc_lo, v16, s18
	s_wait_alu 0xfffd
	v_add_co_ci_u32_e64 v17, null, s19, v17, vcc_lo
	s_and_not1_b32 vcc_lo, exec_lo, s52
	s_wait_alu 0xfffe
	s_cbranch_vccnz .LBB311_7
.LBB311_10:                             ;   in Loop: Header=BB311_3 Depth=1
	s_lshl_b64 s[6:7], s[10:11], 3
	s_wait_alu 0xfffe
	s_add_nc_u64 s[6:7], s[20:21], s[6:7]
	global_load_b64 v[14:15], v4, s[6:7]
	s_wait_loadcnt 0x0
	v_add_co_u32 v14, vcc_lo, v14, s22
	s_wait_alu 0xfffd
	v_add_co_ci_u32_e64 v15, null, s23, v15, vcc_lo
	s_and_not1_b32 vcc_lo, exec_lo, s53
	s_mov_b32 s6, -1
	s_wait_alu 0xfffe
	s_cbranch_vccnz .LBB311_8
.LBB311_11:                             ;   in Loop: Header=BB311_3 Depth=1
	s_and_saveexec_b32 s8, s54
	s_cbranch_execz .LBB311_14
; %bb.12:                               ;   in Loop: Header=BB311_3 Depth=1
	s_mul_u64 s[6:7], s[40:41], s[10:11]
	s_mov_b32 s9, s13
	s_wait_alu 0xfffe
	s_add_nc_u64 s[6:7], s[38:39], s[6:7]
.LBB311_13:                             ;   Parent Loop BB311_3 Depth=1
                                        ; =>  This Inner Loop Header: Depth=2
	v_mov_b32_e32 v5, v4
	s_add_co_i32 s9, s9, -1
	s_wait_alu 0xfffe
	s_cmp_eq_u32 s9, 0
	global_store_b64 v4, v[4:5], s[6:7] offset:-4
	s_add_nc_u64 s[6:7], s[6:7], s[42:43]
	s_cbranch_scc0 .LBB311_13
.LBB311_14:                             ;   in Loop: Header=BB311_3 Depth=1
	s_wait_alu 0xfffe
	s_or_b32 exec_lo, exec_lo, s8
	s_cbranch_execnz .LBB311_2
.LBB311_15:                             ;   in Loop: Header=BB311_3 Depth=1
	v_add_co_u32 v35, vcc_lo, v16, v2
	s_mul_u64 s[44:45], s[34:35], s[10:11]
	s_wait_alu 0xfffd
	v_add_co_ci_u32_e64 v36, null, v17, v3, vcc_lo
	v_cmp_gt_u32_e64 s9, 24, v34
	v_cmp_gt_u32_e64 s8, 28, v34
	;; [unrolled: 1-line block ×3, first 2 shown]
	v_cmp_ne_u32_e64 s6, 31, v34
	s_wait_alu 0xfffe
	s_lshl_b64 s[44:45], s[44:45], 3
	s_and_not1_b32 vcc_lo, exec_lo, s57
	s_wait_alu 0xfffe
	s_add_nc_u64 s[44:45], s[26:27], s[44:45]
	s_cbranch_vccnz .LBB311_63
; %bb.16:                               ;   in Loop: Header=BB311_3 Depth=1
	v_cndmask_b32_e64 v16, 0, 4, s8
	v_cndmask_b32_e64 v17, 0, 2, s7
	v_add_co_ci_u32_e64 v18, null, 0, v34, s6
	v_cndmask_b32_e64 v5, 0, 8, s9
	s_delay_alu instid0(VALU_DEP_4)
	v_add_lshl_u32 v38, v16, v34, 2
	v_add_co_u32 v16, vcc_lo, v14, v6
	v_add_lshl_u32 v39, v17, v34, 2
	v_lshlrev_b32_e32 v40, 2, v18
	s_wait_alu 0xfffd
	v_add_co_ci_u32_e64 v17, null, v15, v7, vcc_lo
	v_add_co_u32 v18, vcc_lo, v14, v8
	s_wait_alu 0xfffd
	v_add_co_ci_u32_e64 v19, null, v15, v9, vcc_lo
	v_add_co_u32 v20, vcc_lo, v14, v10
	s_wait_alu 0xfffd
	v_add_co_ci_u32_e64 v21, null, v15, v11, vcc_lo
	v_add_co_u32 v22, vcc_lo, v14, v12
	v_add_lshl_u32 v37, v5, v34, 2
	s_wait_alu 0xfffd
	v_add_co_ci_u32_e64 v23, null, v15, v13, vcc_lo
	s_mov_b32 s6, 0
	s_mov_b32 s62, s60
	;; [unrolled: 1-line block ×5, first 2 shown]
	s_branch .LBB311_18
.LBB311_17:                             ;   in Loop: Header=BB311_18 Depth=2
	s_wait_alu 0xfffe
	s_or_b32 exec_lo, exec_lo, s7
	s_add_co_i32 s11, s11, 4
	s_add_co_i32 s64, s64, s25
	;; [unrolled: 1-line block ×5, first 2 shown]
	s_cmp_ge_i32 s11, s55
	s_cbranch_scc1 .LBB311_64
.LBB311_18:                             ;   Parent Loop BB311_3 Depth=1
                                        ; =>  This Loop Header: Depth=2
                                        ;       Child Loop BB311_49 Depth 3
                                        ;       Child Loop BB311_51 Depth 3
                                        ; implicit-def: $vgpr41
                                        ; implicit-def: $vgpr42
                                        ; implicit-def: $vgpr26
                                        ; implicit-def: $vgpr27
                                        ; implicit-def: $vgpr28
                                        ; implicit-def: $vgpr29
                                        ; implicit-def: $vgpr31
                                        ; implicit-def: $vgpr30
	s_and_saveexec_b32 s7, s4
	s_wait_alu 0xfffe
	s_xor_b32 s7, exec_lo, s7
	s_cbranch_execnz .LBB311_45
; %bb.19:                               ;   in Loop: Header=BB311_18 Depth=2
	s_wait_alu 0xfffe
	s_and_not1_saveexec_b32 s28, s7
	s_cbranch_execnz .LBB311_46
.LBB311_20:                             ;   in Loop: Header=BB311_18 Depth=2
	s_or_b32 exec_lo, exec_lo, s28
	s_and_saveexec_b32 s7, s1
.LBB311_21:                             ;   in Loop: Header=BB311_18 Depth=2
	v_mov_b32_e32 v5, v4
	ds_store_b64 v32, v[4:5]
.LBB311_22:                             ;   in Loop: Header=BB311_18 Depth=2
	s_wait_alu 0xfffe
	s_or_b32 exec_lo, exec_lo, s7
	ds_bpermute_b32 v5, v1, v41
	s_wait_dscnt 0x1
	ds_bpermute_b32 v24, v1, v42
	s_wait_storecnt_dscnt 0x0
	s_barrier_signal -1
	s_barrier_wait -1
	global_inv scope:SCOPE_SE
	v_dual_add_f32 v5, v41, v5 :: v_dual_add_f32 v24, v42, v24
	ds_bpermute_b32 v25, v37, v5
	ds_bpermute_b32 v41, v37, v24
	s_wait_dscnt 0x1
	v_add_f32_e32 v5, v5, v25
	s_wait_dscnt 0x0
	v_add_f32_e32 v24, v24, v41
	ds_bpermute_b32 v25, v38, v5
	ds_bpermute_b32 v41, v38, v24
	s_wait_dscnt 0x1
	v_add_f32_e32 v5, v5, v25
	s_wait_dscnt 0x0
	v_add_f32_e32 v24, v24, v41
	;; [unrolled: 6-line block ×3, first 2 shown]
	ds_bpermute_b32 v25, v40, v5
	ds_bpermute_b32 v41, v40, v24
	s_and_saveexec_b32 s7, s3
	s_cbranch_execz .LBB311_24
; %bb.23:                               ;   in Loop: Header=BB311_18 Depth=2
	s_wait_dscnt 0x0
	v_add_f32_e32 v42, v24, v41
	v_add_f32_e32 v41, v5, v25
	ds_store_b64 v33, v[41:42]
.LBB311_24:                             ;   in Loop: Header=BB311_18 Depth=2
	s_wait_alu 0xfffe
	s_or_b32 exec_lo, exec_lo, s7
	s_wait_dscnt 0x1
	v_dual_mov_b32 v25, 0 :: v_dual_mov_b32 v24, 0
	s_wait_loadcnt_dscnt 0x0
	s_barrier_signal -1
	s_barrier_wait -1
	global_inv scope:SCOPE_SE
	s_and_saveexec_b32 s7, s2
	s_cbranch_execnz .LBB311_52
; %bb.25:                               ;   in Loop: Header=BB311_18 Depth=2
	s_wait_alu 0xfffe
	s_or_b32 exec_lo, exec_lo, s7
	s_and_saveexec_b32 s7, s1
	s_cbranch_execnz .LBB311_53
.LBB311_26:                             ;   in Loop: Header=BB311_18 Depth=2
	s_wait_alu 0xfffe
	s_or_b32 exec_lo, exec_lo, s7
	s_and_saveexec_b32 s7, s1
.LBB311_27:                             ;   in Loop: Header=BB311_18 Depth=2
	v_mov_b32_e32 v5, v4
	ds_store_b64 v32, v[4:5]
.LBB311_28:                             ;   in Loop: Header=BB311_18 Depth=2
	s_wait_alu 0xfffe
	s_or_b32 exec_lo, exec_lo, s7
	ds_bpermute_b32 v5, v1, v26
	ds_bpermute_b32 v41, v1, v27
	s_wait_loadcnt_dscnt 0x0
	s_barrier_signal -1
	s_barrier_wait -1
	global_inv scope:SCOPE_SE
	v_add_f32_e32 v5, v26, v5
	v_add_f32_e32 v26, v27, v41
	ds_bpermute_b32 v27, v37, v5
	s_wait_dscnt 0x0
	v_add_f32_e32 v5, v5, v27
	ds_bpermute_b32 v41, v37, v26
	ds_bpermute_b32 v27, v38, v5
	s_wait_dscnt 0x0
	v_dual_add_f32 v26, v26, v41 :: v_dual_add_f32 v5, v5, v27
	ds_bpermute_b32 v41, v38, v26
	ds_bpermute_b32 v27, v39, v5
	s_wait_dscnt 0x0
	v_dual_add_f32 v26, v26, v41 :: v_dual_add_f32 v5, v5, v27
	ds_bpermute_b32 v41, v39, v26
	ds_bpermute_b32 v27, v40, v5
	s_wait_dscnt 0x1
	v_add_f32_e32 v26, v26, v41
	ds_bpermute_b32 v41, v40, v26
	s_and_saveexec_b32 s7, s3
	s_cbranch_execz .LBB311_30
; %bb.29:                               ;   in Loop: Header=BB311_18 Depth=2
	s_wait_dscnt 0x0
	v_dual_add_f32 v42, v26, v41 :: v_dual_add_f32 v41, v5, v27
	ds_store_b64 v33, v[41:42]
.LBB311_30:                             ;   in Loop: Header=BB311_18 Depth=2
	s_wait_alu 0xfffe
	s_or_b32 exec_lo, exec_lo, s7
	s_wait_dscnt 0x1
	v_dual_mov_b32 v27, 0 :: v_dual_mov_b32 v26, 0
	s_wait_loadcnt_dscnt 0x0
	s_barrier_signal -1
	s_barrier_wait -1
	global_inv scope:SCOPE_SE
	s_and_saveexec_b32 s7, s2
	s_cbranch_execnz .LBB311_54
; %bb.31:                               ;   in Loop: Header=BB311_18 Depth=2
	s_wait_alu 0xfffe
	s_or_b32 exec_lo, exec_lo, s7
	s_and_saveexec_b32 s7, s1
	s_cbranch_execnz .LBB311_55
.LBB311_32:                             ;   in Loop: Header=BB311_18 Depth=2
	s_wait_alu 0xfffe
	s_or_b32 exec_lo, exec_lo, s7
	s_and_saveexec_b32 s7, s1
.LBB311_33:                             ;   in Loop: Header=BB311_18 Depth=2
	v_mov_b32_e32 v5, v4
	ds_store_b64 v32, v[4:5]
.LBB311_34:                             ;   in Loop: Header=BB311_18 Depth=2
	s_wait_alu 0xfffe
	s_or_b32 exec_lo, exec_lo, s7
	ds_bpermute_b32 v5, v1, v28
	ds_bpermute_b32 v41, v1, v29
	s_wait_loadcnt_dscnt 0x0
	s_barrier_signal -1
	s_barrier_wait -1
	global_inv scope:SCOPE_SE
	v_add_f32_e32 v5, v28, v5
	v_add_f32_e32 v28, v29, v41
	ds_bpermute_b32 v29, v37, v5
	ds_bpermute_b32 v41, v37, v28
	s_wait_dscnt 0x1
	v_add_f32_e32 v5, v5, v29
	s_wait_dscnt 0x0
	v_add_f32_e32 v28, v28, v41
	ds_bpermute_b32 v29, v38, v5
	ds_bpermute_b32 v41, v38, v28
	s_wait_dscnt 0x1
	v_add_f32_e32 v5, v5, v29
	s_wait_dscnt 0x0
	;; [unrolled: 6-line block ×3, first 2 shown]
	v_add_f32_e32 v28, v28, v41
	ds_bpermute_b32 v29, v40, v5
	ds_bpermute_b32 v41, v40, v28
	s_and_saveexec_b32 s7, s3
	s_cbranch_execz .LBB311_36
; %bb.35:                               ;   in Loop: Header=BB311_18 Depth=2
	s_wait_dscnt 0x0
	v_add_f32_e32 v42, v28, v41
	v_add_f32_e32 v41, v5, v29
	ds_store_b64 v33, v[41:42]
.LBB311_36:                             ;   in Loop: Header=BB311_18 Depth=2
	s_wait_alu 0xfffe
	s_or_b32 exec_lo, exec_lo, s7
	s_wait_dscnt 0x1
	v_dual_mov_b32 v29, 0 :: v_dual_mov_b32 v28, 0
	s_wait_loadcnt_dscnt 0x0
	s_barrier_signal -1
	s_barrier_wait -1
	global_inv scope:SCOPE_SE
	s_and_saveexec_b32 s7, s2
	s_cbranch_execnz .LBB311_56
; %bb.37:                               ;   in Loop: Header=BB311_18 Depth=2
	s_wait_alu 0xfffe
	s_or_b32 exec_lo, exec_lo, s7
	s_and_saveexec_b32 s7, s1
	s_cbranch_execnz .LBB311_57
.LBB311_38:                             ;   in Loop: Header=BB311_18 Depth=2
	s_wait_alu 0xfffe
	s_or_b32 exec_lo, exec_lo, s7
	s_and_saveexec_b32 s7, s1
.LBB311_39:                             ;   in Loop: Header=BB311_18 Depth=2
	v_mov_b32_e32 v5, v4
	ds_store_b64 v32, v[4:5]
.LBB311_40:                             ;   in Loop: Header=BB311_18 Depth=2
	s_wait_alu 0xfffe
	s_or_b32 exec_lo, exec_lo, s7
	ds_bpermute_b32 v5, v1, v31
	ds_bpermute_b32 v41, v1, v30
	s_wait_loadcnt_dscnt 0x0
	s_barrier_signal -1
	s_barrier_wait -1
	global_inv scope:SCOPE_SE
	v_add_f32_e32 v5, v31, v5
	ds_bpermute_b32 v31, v37, v5
	s_wait_dscnt 0x0
	v_dual_add_f32 v30, v30, v41 :: v_dual_add_f32 v5, v5, v31
	ds_bpermute_b32 v41, v37, v30
	ds_bpermute_b32 v31, v38, v5
	s_wait_dscnt 0x0
	v_dual_add_f32 v30, v30, v41 :: v_dual_add_f32 v5, v5, v31
	ds_bpermute_b32 v41, v38, v30
	;; [unrolled: 4-line block ×3, first 2 shown]
	ds_bpermute_b32 v31, v40, v5
	s_wait_dscnt 0x1
	v_add_f32_e32 v30, v30, v41
	ds_bpermute_b32 v41, v40, v30
	s_and_saveexec_b32 s7, s3
	s_cbranch_execz .LBB311_42
; %bb.41:                               ;   in Loop: Header=BB311_18 Depth=2
	s_wait_dscnt 0x0
	v_dual_add_f32 v42, v30, v41 :: v_dual_add_f32 v41, v5, v31
	ds_store_b64 v33, v[41:42]
.LBB311_42:                             ;   in Loop: Header=BB311_18 Depth=2
	s_wait_alu 0xfffe
	s_or_b32 exec_lo, exec_lo, s7
	s_wait_dscnt 0x1
	v_dual_mov_b32 v31, 0 :: v_dual_mov_b32 v30, 0
	s_wait_loadcnt_dscnt 0x0
	s_barrier_signal -1
	s_barrier_wait -1
	global_inv scope:SCOPE_SE
	s_and_saveexec_b32 s7, s2
	s_cbranch_execnz .LBB311_58
; %bb.43:                               ;   in Loop: Header=BB311_18 Depth=2
	s_wait_alu 0xfffe
	s_or_b32 exec_lo, exec_lo, s7
	s_and_saveexec_b32 s7, s1
	s_cbranch_execnz .LBB311_59
.LBB311_44:                             ;   in Loop: Header=BB311_18 Depth=2
	s_wait_alu 0xfffe
	s_or_b32 exec_lo, exec_lo, s7
	s_and_saveexec_b32 s7, s0
	s_cbranch_execz .LBB311_17
	s_branch .LBB311_60
.LBB311_45:                             ;   in Loop: Header=BB311_18 Depth=2
	s_mul_i32 s8, s11, s50
	s_wait_alu 0xfffe
	s_ashr_i32 s9, s8, 31
	s_add_co_i32 s46, s8, s50
	s_wait_alu 0xfffe
	s_lshl_b64 s[8:9], s[8:9], 3
	s_ashr_i32 s47, s46, 31
	s_wait_alu 0xfffe
	v_add_co_u32 v28, vcc_lo, v35, s8
	s_wait_alu 0xfffd
	v_add_co_ci_u32_e64 v29, null, s9, v36, vcc_lo
	s_lshl_b64 s[8:9], s[46:47], 3
	s_wait_alu 0xfffe
	v_add_co_u32 v41, vcc_lo, v35, s8
	s_add_co_i32 s8, s46, s50
	s_wait_alu 0xfffd
	v_add_co_ci_u32_e64 v42, null, s9, v36, vcc_lo
	s_wait_alu 0xfffe
	s_ashr_i32 s9, s8, 31
	s_wait_dscnt 0x0
	flat_load_b128 v[24:27], v[28:29]
	s_wait_alu 0xfffe
	s_lshl_b64 s[46:47], s[8:9], 3
	s_add_co_i32 s8, s8, s50
	s_wait_alu 0xfffe
	v_add_co_u32 v63, vcc_lo, v35, s46
	s_wait_alu 0xfffd
	v_add_co_ci_u32_e64 v64, null, s47, v36, vcc_lo
	s_ashr_i32 s9, s8, 31
	s_clause 0x3
	flat_load_b64 v[43:44], v[16:17]
	flat_load_b64 v[45:46], v[18:19]
	;; [unrolled: 1-line block ×4, first 2 shown]
	s_wait_alu 0xfffe
	s_lshl_b64 s[8:9], s[8:9], 3
	s_clause 0x3
	flat_load_b128 v[28:31], v[28:29] offset:16
	flat_load_b128 v[51:54], v[41:42]
	flat_load_b128 v[55:58], v[41:42] offset:16
	flat_load_b128 v[59:62], v[63:64]
	s_wait_alu 0xfffe
	v_add_co_u32 v41, vcc_lo, v35, s8
	s_wait_alu 0xfffd
	v_add_co_ci_u32_e64 v42, null, s9, v36, vcc_lo
	s_clause 0x2
	flat_load_b128 v[63:66], v[63:64] offset:16
	flat_load_b128 v[67:70], v[41:42]
	flat_load_b128 v[71:74], v[41:42] offset:16
	s_wait_loadcnt_dscnt 0x909
	scratch_store_b128 off, v[43:46], off
	s_wait_loadcnt_dscnt 0x707
	scratch_store_b128 off, v[47:50], off offset:16
	v_mul_f32_e32 v5, v44, v25
	s_wait_loadcnt_dscnt 0x505
	v_dual_mul_f32 v25, v43, v25 :: v_dual_mul_f32 v76, v44, v52
	v_dual_mul_f32 v41, v46, v27 :: v_dual_mul_f32 v42, v48, v29
	s_wait_loadcnt_dscnt 0x404
	v_dual_mul_f32 v27, v45, v27 :: v_dual_mul_f32 v78, v48, v56
	v_mul_f32_e32 v29, v47, v29
	v_dual_mul_f32 v75, v50, v31 :: v_dual_mul_f32 v56, v47, v56
	s_wait_loadcnt_dscnt 0x303
	v_dual_mul_f32 v31, v49, v31 :: v_dual_mul_f32 v80, v44, v60
	v_mul_f32_e32 v52, v43, v52
	v_fma_f32 v5, v43, v24, -v5
	v_dual_mul_f32 v77, v46, v54 :: v_dual_mul_f32 v60, v43, v60
	v_mul_f32_e32 v54, v45, v54
	s_wait_loadcnt_dscnt 0x202
	v_dual_mul_f32 v79, v50, v58 :: v_dual_mul_f32 v82, v48, v64
	v_dual_mul_f32 v58, v49, v58 :: v_dual_fmac_f32 v25, v44, v24
	v_dual_mul_f32 v81, v46, v62 :: v_dual_mul_f32 v64, v47, v64
	v_dual_mul_f32 v62, v45, v62 :: v_dual_fmac_f32 v29, v48, v28
	v_mul_f32_e32 v83, v50, v66
	v_mul_f32_e32 v66, v49, v66
	v_fma_f32 v24, v45, v26, -v41
	v_fmac_f32_e32 v27, v46, v26
	v_fma_f32 v26, v47, v28, -v42
	v_fma_f32 v28, v49, v30, -v75
	s_wait_loadcnt_dscnt 0x101
	v_dual_fmac_f32 v31, v50, v30 :: v_dual_mul_f32 v30, v44, v68
	v_dual_mul_f32 v41, v43, v68 :: v_dual_mul_f32 v42, v46, v70
	v_dual_add_f32 v5, 0, v5 :: v_dual_mul_f32 v68, v45, v70
	v_add_f32_e32 v25, 0, v25
	v_fma_f32 v76, v43, v51, -v76
	s_wait_loadcnt_dscnt 0x0
	v_dual_mul_f32 v75, v50, v74 :: v_dual_fmac_f32 v52, v44, v51
	v_dual_mul_f32 v74, v49, v74 :: v_dual_fmac_f32 v41, v44, v67
	v_fma_f32 v51, v45, v53, -v77
	v_fmac_f32_e32 v54, v46, v53
	v_fma_f32 v53, v47, v55, -v78
	v_fmac_f32_e32 v56, v48, v55
	v_fma_f32 v55, v49, v57, -v79
	v_dual_fmac_f32 v58, v50, v57 :: v_dual_add_f32 v5, v5, v24
	v_fma_f32 v57, v43, v59, -v80
	v_fma_f32 v30, v43, v67, -v30
	;; [unrolled: 1-line block ×3, first 2 shown]
	s_delay_alu instid0(VALU_DEP_4)
	v_dual_fmac_f32 v68, v46, v69 :: v_dual_add_f32 v5, v5, v26
	v_add_f32_e32 v69, 0, v76
	v_mul_f32_e32 v70, v48, v72
	v_mul_f32_e32 v72, v47, v72
	v_fmac_f32_e32 v60, v44, v59
	v_fma_f32 v59, v45, v61, -v81
	v_dual_fmac_f32 v64, v48, v63 :: v_dual_add_f32 v57, 0, v57
	v_fmac_f32_e32 v66, v50, v65
	v_dual_add_f32 v24, v25, v27 :: v_dual_add_f32 v25, 0, v30
	v_dual_add_f32 v27, 0, v41 :: v_dual_add_f32 v30, v69, v51
	v_add_f32_e32 v52, 0, v52
	s_delay_alu instid0(VALU_DEP_3) | instskip(NEXT) | instid1(VALU_DEP_3)
	v_dual_fmac_f32 v72, v48, v71 :: v_dual_add_f32 v25, v25, v42
	v_dual_add_f32 v26, v27, v68 :: v_dual_add_f32 v27, v30, v53
	s_delay_alu instid0(VALU_DEP_3)
	v_dual_fmac_f32 v62, v46, v61 :: v_dual_add_f32 v41, v52, v54
	v_fma_f32 v61, v47, v63, -v82
	v_fma_f32 v63, v49, v65, -v83
	;; [unrolled: 1-line block ×3, first 2 shown]
	v_add_f32_e32 v60, 0, v60
	v_fma_f32 v67, v49, v73, -v75
	v_dual_fmac_f32 v74, v50, v73 :: v_dual_add_f32 v51, v57, v59
	v_dual_add_f32 v24, v24, v29 :: v_dual_add_f32 v29, v41, v56
	v_add_f32_e32 v41, v5, v28
	v_dual_add_f32 v5, v25, v65 :: v_dual_add_f32 v52, v60, v62
	s_delay_alu instid0(VALU_DEP_4) | instskip(NEXT) | instid1(VALU_DEP_4)
	v_add_f32_e32 v30, v51, v61
	v_add_f32_e32 v42, v24, v31
	s_delay_alu instid0(VALU_DEP_3) | instskip(NEXT) | instid1(VALU_DEP_4)
	v_dual_add_f32 v24, v26, v72 :: v_dual_add_f32 v31, v5, v67
	v_dual_add_f32 v51, v52, v64 :: v_dual_add_f32 v26, v27, v55
	s_delay_alu instid0(VALU_DEP_4) | instskip(NEXT) | instid1(VALU_DEP_3)
	v_dual_add_f32 v27, v29, v58 :: v_dual_add_f32 v28, v30, v63
	v_add_f32_e32 v30, v24, v74
	s_delay_alu instid0(VALU_DEP_3)
	v_add_f32_e32 v29, v51, v66
	s_and_not1_saveexec_b32 s28, s7
	s_cbranch_execz .LBB311_20
.LBB311_46:                             ;   in Loop: Header=BB311_18 Depth=2
	v_dual_mov_b32 v41, 0 :: v_dual_mov_b32 v42, 0
	v_dual_mov_b32 v26, 0 :: v_dual_mov_b32 v27, 0
	;; [unrolled: 1-line block ×3, first 2 shown]
	s_wait_dscnt 0x0
	v_dual_mov_b32 v31, 0 :: v_dual_mov_b32 v30, 0
	s_and_saveexec_b32 s65, s5
	s_cbranch_execz .LBB311_62
; %bb.47:                               ;   in Loop: Header=BB311_18 Depth=2
	s_and_not1_b32 vcc_lo, exec_lo, s58
	s_wait_alu 0xfffe
	s_cbranch_vccnz .LBB311_61
; %bb.48:                               ;   in Loop: Header=BB311_18 Depth=2
	v_mov_b32_e32 v24, v0
	s_mov_b32 s7, 0
	s_mov_b32 s8, s56
.LBB311_49:                             ;   Parent Loop BB311_3 Depth=1
                                        ;     Parent Loop BB311_18 Depth=2
                                        ; =>    This Inner Loop Header: Depth=3
	s_delay_alu instid0(VALU_DEP_1) | instskip(SKIP_2) | instid1(VALU_DEP_1)
	v_ashrrev_i32_e32 v25, 31, v24
	s_wait_alu 0xfffe
	s_add_co_i32 s8, s8, -1
	v_lshlrev_b64_e32 v[25:26], 3, v[24:25]
	v_add_nc_u32_e32 v24, s51, v24
	s_delay_alu instid0(VALU_DEP_2) | instskip(SKIP_1) | instid1(VALU_DEP_3)
	v_add_co_u32 v25, vcc_lo, v14, v25
	s_wait_alu 0xfffd
	v_add_co_ci_u32_e64 v26, null, v15, v26, vcc_lo
	flat_load_b64 v[25:26], v[25:26]
	s_wait_loadcnt_dscnt 0x0
	scratch_store_b64 off, v[25:26], s7
	s_add_co_i32 s7, s7, 8
	s_wait_alu 0xfffe
	s_cmp_eq_u32 s8, 0
	s_cbranch_scc0 .LBB311_49
; %bb.50:                               ;   in Loop: Header=BB311_18 Depth=2
	s_ashr_i32 s7, s6, 31
	v_dual_mov_b32 v30, 0 :: v_dual_mov_b32 v31, 0
	s_wait_alu 0xfffe
	s_lshl_b64 s[8:9], s[6:7], 3
	v_dual_mov_b32 v29, 0 :: v_dual_mov_b32 v28, 0
	s_wait_alu 0xfffe
	v_add_co_u32 v24, vcc_lo, v35, s8
	s_wait_alu 0xfffd
	v_add_co_ci_u32_e64 v25, null, s9, v36, vcc_lo
	v_dual_mov_b32 v27, 0 :: v_dual_mov_b32 v26, 0
	v_dual_mov_b32 v42, 0 :: v_dual_mov_b32 v41, 0
	s_mov_b32 s7, s61
	s_mov_b32 s8, s62
	;; [unrolled: 1-line block ×5, first 2 shown]
.LBB311_51:                             ;   Parent Loop BB311_3 Depth=1
                                        ;     Parent Loop BB311_18 Depth=2
                                        ; =>    This Inner Loop Header: Depth=3
	s_ashr_i32 s49, s48, 31
	s_wait_alu 0xfffe
	s_ashr_i32 s47, s46, 31
	s_lshl_b64 s[68:69], s[48:49], 3
	s_ashr_i32 s9, s8, 31
	s_wait_alu 0xfffe
	s_lshl_b64 s[70:71], s[46:47], 3
	v_add_co_u32 v47, vcc_lo, v35, s68
	s_lshl_b64 s[72:73], s[8:9], 3
	s_wait_alu 0xfffd
	v_add_co_ci_u32_e64 v48, null, s69, v36, vcc_lo
	s_wait_alu 0xfffe
	v_add_co_u32 v49, vcc_lo, v35, s70
	scratch_load_b64 v[43:44], off, s7 offset:-4
	flat_load_b64 v[45:46], v[24:25]
	s_wait_alu 0xfffd
	v_add_co_ci_u32_e64 v50, null, s71, v36, vcc_lo
	v_add_co_u32 v51, vcc_lo, v35, s72
	s_wait_alu 0xfffd
	v_add_co_ci_u32_e64 v52, null, s73, v36, vcc_lo
	s_clause 0x2
	flat_load_b64 v[47:48], v[47:48]
	flat_load_b64 v[49:50], v[49:50]
	;; [unrolled: 1-line block ×3, first 2 shown]
	v_add_co_u32 v24, vcc_lo, v24, 8
	s_wait_alu 0xfffd
	v_add_co_ci_u32_e64 v25, null, 0, v25, vcc_lo
	s_add_co_i32 s66, s66, -1
	s_add_co_i32 s7, s7, 8
	s_add_co_i32 s48, s48, 1
	;; [unrolled: 1-line block ×4, first 2 shown]
	s_cmp_lg_u32 s66, 0
	s_wait_loadcnt_dscnt 0x303
	v_mul_f32_e32 v5, v44, v46
	v_mul_f32_e32 v46, v43, v46
	s_delay_alu instid0(VALU_DEP_2) | instskip(NEXT) | instid1(VALU_DEP_2)
	v_fma_f32 v5, v43, v45, -v5
	v_fmac_f32_e32 v46, v44, v45
	s_wait_loadcnt_dscnt 0x101
	v_mul_f32_e32 v53, v44, v50
	v_dual_mul_f32 v50, v43, v50 :: v_dual_mul_f32 v45, v44, v48
	v_dual_mul_f32 v48, v43, v48 :: v_dual_add_f32 v41, v41, v5
	s_delay_alu instid0(VALU_DEP_2)
	v_fmac_f32_e32 v50, v44, v49
	s_wait_loadcnt_dscnt 0x0
	v_mul_f32_e32 v54, v44, v52
	v_mul_f32_e32 v52, v43, v52
	v_fma_f32 v5, v43, v47, -v45
	v_fmac_f32_e32 v48, v44, v47
	v_fma_f32 v45, v43, v49, -v53
	v_add_f32_e32 v29, v29, v50
	v_fma_f32 v43, v43, v51, -v54
	v_fmac_f32_e32 v52, v44, v51
	v_dual_add_f32 v26, v26, v5 :: v_dual_add_f32 v27, v27, v48
	s_delay_alu instid0(VALU_DEP_3) | instskip(SKIP_1) | instid1(VALU_DEP_4)
	v_dual_add_f32 v42, v42, v46 :: v_dual_add_f32 v31, v31, v43
	v_add_f32_e32 v28, v28, v45
	v_add_f32_e32 v30, v30, v52
	s_cbranch_scc1 .LBB311_51
	s_branch .LBB311_62
.LBB311_52:                             ;   in Loop: Header=BB311_18 Depth=2
	ds_load_b64 v[24:25], v32
	s_wait_alu 0xfffe
	s_or_b32 exec_lo, exec_lo, s7
	s_and_saveexec_b32 s7, s1
	s_cbranch_execz .LBB311_26
.LBB311_53:                             ;   in Loop: Header=BB311_18 Depth=2
	s_wait_dscnt 0x0
	ds_bpermute_b32 v5, v38, v24
	ds_bpermute_b32 v41, v38, v25
	s_wait_dscnt 0x1
	v_add_f32_e32 v5, v24, v5
	s_wait_dscnt 0x0
	v_add_f32_e32 v24, v25, v41
	ds_bpermute_b32 v25, v39, v5
	ds_bpermute_b32 v41, v39, v24
	s_wait_dscnt 0x1
	v_add_f32_e32 v5, v5, v25
	s_wait_dscnt 0x0
	v_add_f32_e32 v25, v24, v41
	ds_bpermute_b32 v24, v40, v5
	s_wait_dscnt 0x0
	v_add_f32_e32 v24, v5, v24
	ds_bpermute_b32 v41, v40, v25
	s_wait_dscnt 0x0
	v_add_f32_e32 v25, v25, v41
	s_wait_alu 0xfffe
	s_or_b32 exec_lo, exec_lo, s7
	s_and_saveexec_b32 s7, s1
	s_cbranch_execnz .LBB311_27
	s_branch .LBB311_28
.LBB311_54:                             ;   in Loop: Header=BB311_18 Depth=2
	ds_load_b64 v[26:27], v32
	s_wait_alu 0xfffe
	s_or_b32 exec_lo, exec_lo, s7
	s_and_saveexec_b32 s7, s1
	s_cbranch_execz .LBB311_32
.LBB311_55:                             ;   in Loop: Header=BB311_18 Depth=2
	s_wait_dscnt 0x0
	ds_bpermute_b32 v5, v38, v26
	ds_bpermute_b32 v41, v38, v27
	s_wait_dscnt 0x1
	v_add_f32_e32 v5, v26, v5
	s_wait_dscnt 0x0
	v_add_f32_e32 v26, v27, v41
	ds_bpermute_b32 v27, v39, v5
	s_wait_dscnt 0x0
	v_add_f32_e32 v5, v5, v27
	ds_bpermute_b32 v41, v39, v26
	;; [unrolled: 3-line block ×4, first 2 shown]
	s_wait_dscnt 0x0
	v_add_f32_e32 v27, v27, v41
	s_wait_alu 0xfffe
	s_or_b32 exec_lo, exec_lo, s7
	s_and_saveexec_b32 s7, s1
	s_cbranch_execnz .LBB311_33
	s_branch .LBB311_34
.LBB311_56:                             ;   in Loop: Header=BB311_18 Depth=2
	ds_load_b64 v[28:29], v32
	s_wait_alu 0xfffe
	s_or_b32 exec_lo, exec_lo, s7
	s_and_saveexec_b32 s7, s1
	s_cbranch_execz .LBB311_38
.LBB311_57:                             ;   in Loop: Header=BB311_18 Depth=2
	s_wait_dscnt 0x0
	ds_bpermute_b32 v5, v38, v28
	ds_bpermute_b32 v41, v38, v29
	s_wait_dscnt 0x1
	v_add_f32_e32 v5, v28, v5
	s_wait_dscnt 0x0
	v_add_f32_e32 v28, v29, v41
	ds_bpermute_b32 v29, v39, v5
	ds_bpermute_b32 v41, v39, v28
	s_wait_dscnt 0x1
	v_add_f32_e32 v5, v5, v29
	s_wait_dscnt 0x0
	v_add_f32_e32 v29, v28, v41
	ds_bpermute_b32 v28, v40, v5
	s_wait_dscnt 0x0
	v_add_f32_e32 v28, v5, v28
	ds_bpermute_b32 v41, v40, v29
	s_wait_dscnt 0x0
	v_add_f32_e32 v29, v29, v41
	s_wait_alu 0xfffe
	s_or_b32 exec_lo, exec_lo, s7
	s_and_saveexec_b32 s7, s1
	s_cbranch_execnz .LBB311_39
	s_branch .LBB311_40
.LBB311_58:                             ;   in Loop: Header=BB311_18 Depth=2
	ds_load_b64 v[30:31], v32
	s_wait_alu 0xfffe
	s_or_b32 exec_lo, exec_lo, s7
	s_and_saveexec_b32 s7, s1
	s_cbranch_execz .LBB311_44
.LBB311_59:                             ;   in Loop: Header=BB311_18 Depth=2
	s_wait_dscnt 0x0
	ds_bpermute_b32 v5, v38, v30
	ds_bpermute_b32 v41, v38, v31
	s_wait_dscnt 0x1
	v_add_f32_e32 v5, v30, v5
	s_wait_dscnt 0x0
	v_add_f32_e32 v30, v31, v41
	ds_bpermute_b32 v31, v39, v5
	s_wait_dscnt 0x0
	v_add_f32_e32 v5, v5, v31
	ds_bpermute_b32 v41, v39, v30
	;; [unrolled: 3-line block ×4, first 2 shown]
	s_wait_dscnt 0x0
	v_add_f32_e32 v31, v31, v41
	s_wait_alu 0xfffe
	s_or_b32 exec_lo, exec_lo, s7
	s_and_saveexec_b32 s7, s0
	s_cbranch_execz .LBB311_17
.LBB311_60:                             ;   in Loop: Header=BB311_18 Depth=2
	v_dual_mul_f32 v42, s14, v25 :: v_dual_mul_f32 v43, s15, v27
	v_mul_f32_e32 v5, s15, v25
	s_mul_i32 s8, s11, s30
	v_mul_f32_e32 v25, s14, v27
	s_wait_alu 0xfffe
	s_add_co_i32 s28, s8, s24
	v_fmac_f32_e32 v42, s15, v24
	v_fma_f32 v41, v24, s14, -v5
	s_lshl_b64 s[8:9], s[28:29], 3
	s_add_co_i32 s28, s28, s30
	v_fma_f32 v24, v26, s14, -v43
	v_fmac_f32_e32 v25, s15, v26
	v_mul_f32_e32 v5, s15, v29
	s_lshl_b64 s[46:47], s[28:29], 3
	s_wait_alu 0xfffe
	s_add_nc_u64 s[8:9], s[44:45], s[8:9]
	s_add_nc_u64 s[46:47], s[44:45], s[46:47]
	s_clause 0x1
	global_store_b64 v4, v[41:42], s[8:9]
	global_store_b64 v4, v[24:25], s[46:47]
	v_mul_f32_e32 v25, s14, v29
	v_fma_f32 v24, v28, s14, -v5
	s_wait_dscnt 0x0
	v_mul_f32_e32 v5, s15, v31
	v_mul_f32_e32 v27, s14, v31
	s_add_co_i32 s28, s28, s30
	v_fmac_f32_e32 v25, s15, v28
	s_lshl_b64 s[8:9], s[28:29], 3
	s_add_co_i32 s28, s28, s30
	v_fma_f32 v26, v30, s14, -v5
	v_fmac_f32_e32 v27, s15, v30
	s_lshl_b64 s[46:47], s[28:29], 3
	s_wait_alu 0xfffe
	s_add_nc_u64 s[8:9], s[44:45], s[8:9]
	s_add_nc_u64 s[46:47], s[44:45], s[46:47]
	s_clause 0x1
	global_store_b64 v4, v[24:25], s[8:9]
	global_store_b64 v4, v[26:27], s[46:47]
	s_branch .LBB311_17
.LBB311_61:                             ;   in Loop: Header=BB311_18 Depth=2
	v_dual_mov_b32 v41, 0 :: v_dual_mov_b32 v42, 0
	v_dual_mov_b32 v26, 0 :: v_dual_mov_b32 v27, 0
	;; [unrolled: 1-line block ×4, first 2 shown]
.LBB311_62:                             ;   in Loop: Header=BB311_18 Depth=2
	s_or_b32 exec_lo, exec_lo, s65
	s_delay_alu instid0(SALU_CYCLE_1)
	s_or_b32 exec_lo, exec_lo, s28
	s_and_saveexec_b32 s7, s1
	s_cbranch_execnz .LBB311_21
	s_branch .LBB311_22
.LBB311_63:                             ;   in Loop: Header=BB311_3 Depth=1
	s_mov_b32 s11, 0
.LBB311_64:                             ;   in Loop: Header=BB311_3 Depth=1
	s_delay_alu instid0(SALU_CYCLE_1)
	s_cmp_ge_i32 s11, s13
	s_cbranch_scc1 .LBB311_2
; %bb.65:                               ;   in Loop: Header=BB311_3 Depth=1
	v_cmp_gt_u32_e32 vcc_lo, 24, v34
	s_wait_alu 0xfffe
	s_add_nc_u64 s[6:7], s[44:45], s[36:37]
	s_mul_i32 s8, s50, s11
	s_mov_b32 s28, s11
	s_wait_alu 0xfffd
	v_cndmask_b32_e64 v5, 0, 8, vcc_lo
	v_cmp_gt_u32_e32 vcc_lo, 28, v34
	s_delay_alu instid0(VALU_DEP_2) | instskip(SKIP_3) | instid1(VALU_DEP_2)
	v_add_lshl_u32 v26, v5, v34, 2
	s_wait_alu 0xfffd
	v_cndmask_b32_e64 v16, 0, 4, vcc_lo
	v_cmp_gt_u32_e32 vcc_lo, 30, v34
	v_add_lshl_u32 v27, v16, v34, 2
	s_wait_alu 0xfffd
	v_cndmask_b32_e64 v17, 0, 2, vcc_lo
	v_cmp_ne_u32_e32 vcc_lo, 31, v34
	s_delay_alu instid0(VALU_DEP_2)
	v_add_lshl_u32 v28, v17, v34, 2
	s_wait_alu 0xfffd
	v_add_co_ci_u32_e64 v18, null, 0, v34, vcc_lo
	v_add_co_u32 v16, vcc_lo, v14, v6
	s_wait_alu 0xfffd
	v_add_co_ci_u32_e64 v17, null, v15, v7, vcc_lo
	s_delay_alu instid0(VALU_DEP_3)
	v_lshlrev_b32_e32 v29, 2, v18
	v_add_co_u32 v18, vcc_lo, v14, v8
	s_wait_alu 0xfffd
	v_add_co_ci_u32_e64 v19, null, v15, v9, vcc_lo
	v_add_co_u32 v20, vcc_lo, v14, v10
	s_wait_alu 0xfffd
	v_add_co_ci_u32_e64 v21, null, v15, v11, vcc_lo
	;; [unrolled: 3-line block ×3, first 2 shown]
	s_branch .LBB311_67
.LBB311_66:                             ;   in Loop: Header=BB311_67 Depth=2
	s_wait_alu 0xfffe
	s_or_b32 exec_lo, exec_lo, s9
	s_add_co_i32 s28, s28, 1
	s_add_co_i32 s8, s8, s50
	s_cmp_lt_i32 s28, s13
	s_cbranch_scc0 .LBB311_2
.LBB311_67:                             ;   Parent Loop BB311_3 Depth=1
                                        ; =>  This Loop Header: Depth=2
                                        ;       Child Loop BB311_79 Depth 3
                                        ;       Child Loop BB311_81 Depth 3
                                        ; implicit-def: $vgpr30
                                        ; implicit-def: $vgpr31
	s_and_saveexec_b32 s9, s4
	s_wait_alu 0xfffe
	s_xor_b32 s9, exec_lo, s9
	s_cbranch_execnz .LBB311_76
; %bb.68:                               ;   in Loop: Header=BB311_67 Depth=2
	s_wait_alu 0xfffe
	s_and_not1_saveexec_b32 s11, s9
	s_cbranch_execnz .LBB311_77
.LBB311_69:                             ;   in Loop: Header=BB311_67 Depth=2
	s_or_b32 exec_lo, exec_lo, s11
	s_and_saveexec_b32 s9, s1
.LBB311_70:                             ;   in Loop: Header=BB311_67 Depth=2
	v_mov_b32_e32 v5, v4
	ds_store_b64 v32, v[4:5]
.LBB311_71:                             ;   in Loop: Header=BB311_67 Depth=2
	s_wait_alu 0xfffe
	s_or_b32 exec_lo, exec_lo, s9
	s_wait_dscnt 0x0
	ds_bpermute_b32 v5, v1, v30
	ds_bpermute_b32 v24, v1, v31
	s_wait_storecnt 0x0
	s_wait_loadcnt_dscnt 0x0
	s_barrier_signal -1
	s_barrier_wait -1
	global_inv scope:SCOPE_SE
	v_dual_add_f32 v5, v30, v5 :: v_dual_add_f32 v24, v31, v24
	ds_bpermute_b32 v25, v26, v5
	ds_bpermute_b32 v30, v26, v24
	s_wait_dscnt 0x0
	v_dual_add_f32 v5, v5, v25 :: v_dual_add_f32 v24, v24, v30
	ds_bpermute_b32 v25, v27, v5
	ds_bpermute_b32 v30, v27, v24
	s_wait_dscnt 0x0
	;; [unrolled: 4-line block ×3, first 2 shown]
	v_dual_add_f32 v5, v5, v25 :: v_dual_add_f32 v24, v24, v30
	ds_bpermute_b32 v25, v29, v5
	ds_bpermute_b32 v30, v29, v24
	s_and_saveexec_b32 s9, s3
	s_cbranch_execz .LBB311_73
; %bb.72:                               ;   in Loop: Header=BB311_67 Depth=2
	s_wait_dscnt 0x0
	v_dual_add_f32 v31, v24, v30 :: v_dual_add_f32 v30, v5, v25
	ds_store_b64 v33, v[30:31]
.LBB311_73:                             ;   in Loop: Header=BB311_67 Depth=2
	s_wait_alu 0xfffe
	s_or_b32 exec_lo, exec_lo, s9
	s_wait_dscnt 0x1
	v_dual_mov_b32 v25, 0 :: v_dual_mov_b32 v24, 0
	s_wait_loadcnt_dscnt 0x0
	s_barrier_signal -1
	s_barrier_wait -1
	global_inv scope:SCOPE_SE
	s_and_saveexec_b32 s9, s2
	s_cbranch_execnz .LBB311_83
; %bb.74:                               ;   in Loop: Header=BB311_67 Depth=2
	s_wait_alu 0xfffe
	s_or_b32 exec_lo, exec_lo, s9
	s_and_saveexec_b32 s9, s1
	s_cbranch_execnz .LBB311_84
.LBB311_75:                             ;   in Loop: Header=BB311_67 Depth=2
	s_wait_alu 0xfffe
	s_or_b32 exec_lo, exec_lo, s9
	s_and_saveexec_b32 s9, s0
	s_cbranch_execz .LBB311_66
	s_branch .LBB311_85
.LBB311_76:                             ;   in Loop: Header=BB311_67 Depth=2
	s_mul_i32 s44, s28, s50
	s_wait_alu 0xfffe
	s_ashr_i32 s45, s44, 31
	s_wait_alu 0xfffe
	s_lshl_b64 s[44:45], s[44:45], 3
	s_wait_dscnt 0x0
	s_wait_alu 0xfffe
	v_add_co_u32 v24, vcc_lo, v35, s44
	s_wait_alu 0xfffd
	v_add_co_ci_u32_e64 v25, null, s45, v36, vcc_lo
	flat_load_b128 v[37:40], v[24:25]
	s_clause 0x1
	flat_load_b64 v[41:42], v[16:17]
	flat_load_b64 v[43:44], v[18:19]
	flat_load_b128 v[45:48], v[24:25] offset:16
	s_clause 0x1
	flat_load_b64 v[49:50], v[20:21]
	flat_load_b64 v[51:52], v[22:23]
	s_wait_loadcnt_dscnt 0x303
	scratch_store_b128 off, v[41:44], off
	s_wait_loadcnt_dscnt 0x0
	scratch_store_b128 off, v[49:52], off offset:16
	v_dual_mul_f32 v5, v42, v38 :: v_dual_mul_f32 v30, v43, v40
	v_dual_mul_f32 v24, v41, v38 :: v_dual_mul_f32 v25, v44, v40
	v_mul_f32_e32 v31, v50, v46
	s_delay_alu instid0(VALU_DEP_3) | instskip(SKIP_1) | instid1(VALU_DEP_4)
	v_fma_f32 v5, v41, v37, -v5
	v_mul_f32_e32 v38, v49, v46
	v_fmac_f32_e32 v24, v42, v37
	v_fma_f32 v25, v43, v39, -v25
	v_dual_fmac_f32 v30, v44, v39 :: v_dual_mul_f32 v39, v51, v48
	s_delay_alu instid0(VALU_DEP_3) | instskip(SKIP_2) | instid1(VALU_DEP_4)
	v_dual_add_f32 v5, 0, v5 :: v_dual_add_f32 v24, 0, v24
	v_mul_f32_e32 v37, v52, v48
	v_fma_f32 v31, v49, v45, -v31
	v_dual_fmac_f32 v38, v50, v45 :: v_dual_fmac_f32 v39, v52, v47
	s_delay_alu instid0(VALU_DEP_4) | instskip(NEXT) | instid1(VALU_DEP_4)
	v_dual_add_f32 v5, v5, v25 :: v_dual_add_f32 v24, v24, v30
	v_fma_f32 v25, v51, v47, -v37
	s_delay_alu instid0(VALU_DEP_2) | instskip(NEXT) | instid1(VALU_DEP_1)
	v_dual_add_f32 v5, v5, v31 :: v_dual_add_f32 v24, v24, v38
	v_dual_add_f32 v30, v5, v25 :: v_dual_add_f32 v31, v24, v39
	s_and_not1_saveexec_b32 s11, s9
	s_cbranch_execz .LBB311_69
.LBB311_77:                             ;   in Loop: Header=BB311_67 Depth=2
	s_wait_dscnt 0x0
	v_dual_mov_b32 v30, 0 :: v_dual_mov_b32 v31, 0
	s_and_saveexec_b32 s44, s12
	s_cbranch_execz .LBB311_82
; %bb.78:                               ;   in Loop: Header=BB311_67 Depth=2
	v_mov_b32_e32 v24, v0
	s_mov_b32 s9, 0
	s_mov_b32 s45, s56
.LBB311_79:                             ;   Parent Loop BB311_3 Depth=1
                                        ;     Parent Loop BB311_67 Depth=2
                                        ; =>    This Inner Loop Header: Depth=3
	s_delay_alu instid0(VALU_DEP_1) | instskip(SKIP_2) | instid1(VALU_DEP_1)
	v_ashrrev_i32_e32 v25, 31, v24
	s_wait_alu 0xfffe
	s_add_co_i32 s45, s45, -1
	v_lshlrev_b64_e32 v[30:31], 3, v[24:25]
	v_add_nc_u32_e32 v24, s51, v24
	s_delay_alu instid0(VALU_DEP_2) | instskip(SKIP_1) | instid1(VALU_DEP_3)
	v_add_co_u32 v30, vcc_lo, v14, v30
	s_wait_alu 0xfffd
	v_add_co_ci_u32_e64 v31, null, v15, v31, vcc_lo
	flat_load_b64 v[30:31], v[30:31]
	s_wait_loadcnt_dscnt 0x0
	scratch_store_b64 off, v[30:31], s9
	s_add_co_i32 s9, s9, 8
	s_wait_alu 0xfffe
	s_cmp_eq_u32 s45, 0
	s_cbranch_scc0 .LBB311_79
; %bb.80:                               ;   in Loop: Header=BB311_67 Depth=2
	s_ashr_i32 s9, s8, 31
	v_dual_mov_b32 v30, 0 :: v_dual_mov_b32 v31, 0
	s_wait_alu 0xfffe
	s_lshl_b64 s[46:47], s[8:9], 3
	s_mov_b32 s9, s61
	s_wait_alu 0xfffe
	v_add_co_u32 v24, vcc_lo, v35, s46
	s_wait_alu 0xfffd
	v_add_co_ci_u32_e64 v25, null, s47, v36, vcc_lo
	s_mov_b32 s45, s56
.LBB311_81:                             ;   Parent Loop BB311_3 Depth=1
                                        ;     Parent Loop BB311_67 Depth=2
                                        ; =>    This Inner Loop Header: Depth=3
	flat_load_b64 v[37:38], v[24:25]
	scratch_load_b64 v[39:40], off, s9 offset:-4
	v_add_co_u32 v24, vcc_lo, v24, 8
	s_wait_alu 0xfffd
	v_add_co_ci_u32_e64 v25, null, 0, v25, vcc_lo
	s_wait_alu 0xfffe
	s_add_co_i32 s45, s45, -1
	s_add_co_i32 s9, s9, 8
	s_wait_alu 0xfffe
	s_cmp_lg_u32 s45, 0
	s_wait_loadcnt_dscnt 0x0
	v_mul_f32_e32 v5, v40, v38
	v_mul_f32_e32 v38, v39, v38
	s_delay_alu instid0(VALU_DEP_2) | instskip(NEXT) | instid1(VALU_DEP_2)
	v_fma_f32 v5, v39, v37, -v5
	v_fmac_f32_e32 v38, v40, v37
	s_delay_alu instid0(VALU_DEP_1)
	v_dual_add_f32 v30, v30, v5 :: v_dual_add_f32 v31, v31, v38
	s_cbranch_scc1 .LBB311_81
.LBB311_82:                             ;   in Loop: Header=BB311_67 Depth=2
	s_wait_alu 0xfffe
	s_or_b32 exec_lo, exec_lo, s44
	s_delay_alu instid0(SALU_CYCLE_1)
	s_or_b32 exec_lo, exec_lo, s11
	s_and_saveexec_b32 s9, s1
	s_cbranch_execnz .LBB311_70
	s_branch .LBB311_71
.LBB311_83:                             ;   in Loop: Header=BB311_67 Depth=2
	ds_load_b64 v[24:25], v32
	s_wait_alu 0xfffe
	s_or_b32 exec_lo, exec_lo, s9
	s_and_saveexec_b32 s9, s1
	s_cbranch_execz .LBB311_75
.LBB311_84:                             ;   in Loop: Header=BB311_67 Depth=2
	s_wait_dscnt 0x0
	ds_bpermute_b32 v5, v27, v24
	ds_bpermute_b32 v30, v27, v25
	s_wait_dscnt 0x0
	v_dual_add_f32 v5, v24, v5 :: v_dual_add_f32 v24, v25, v30
	ds_bpermute_b32 v25, v28, v5
	ds_bpermute_b32 v30, v28, v24
	s_wait_dscnt 0x1
	v_add_f32_e32 v5, v5, v25
	s_wait_dscnt 0x0
	v_add_f32_e32 v25, v24, v30
	ds_bpermute_b32 v24, v29, v5
	s_wait_dscnt 0x0
	v_add_f32_e32 v24, v5, v24
	ds_bpermute_b32 v30, v29, v25
	s_wait_dscnt 0x0
	v_add_f32_e32 v25, v25, v30
	s_wait_alu 0xfffe
	s_or_b32 exec_lo, exec_lo, s9
	s_and_saveexec_b32 s9, s0
	s_cbranch_execz .LBB311_66
.LBB311_85:                             ;   in Loop: Header=BB311_67 Depth=2
	s_wait_dscnt 0x0
	v_mul_f32_e32 v5, s15, v25
	v_mul_f32_e32 v31, s14, v25
	s_mul_u64 s[44:45], s[28:29], s[30:31]
	s_wait_alu 0xfffe
	s_lshl_b64 s[44:45], s[44:45], 3
	v_fma_f32 v30, v24, s14, -v5
	v_fmac_f32_e32 v31, s15, v24
	s_wait_alu 0xfffe
	s_add_nc_u64 s[44:45], s[6:7], s[44:45]
	global_store_b64 v4, v[30:31], s[44:45]
	s_branch .LBB311_66
.LBB311_86:
	s_endpgm
	.section	.rodata,"a",@progbits
	.p2align	6, 0x0
	.amdhsa_kernel _ZL23rocblas_gemvt_sn_kernelILb0ELi256ELi4EiPK19rocblas_complex_numIfES1_S1_EviiT4_lPKT3_lilS7_lilPT5_i
		.amdhsa_group_segment_fixed_size 256
		.amdhsa_private_segment_fixed_size 48
		.amdhsa_kernarg_size 360
		.amdhsa_user_sgpr_count 2
		.amdhsa_user_sgpr_dispatch_ptr 0
		.amdhsa_user_sgpr_queue_ptr 0
		.amdhsa_user_sgpr_kernarg_segment_ptr 1
		.amdhsa_user_sgpr_dispatch_id 0
		.amdhsa_user_sgpr_private_segment_size 0
		.amdhsa_wavefront_size32 1
		.amdhsa_uses_dynamic_stack 0
		.amdhsa_enable_private_segment 1
		.amdhsa_system_sgpr_workgroup_id_x 1
		.amdhsa_system_sgpr_workgroup_id_y 0
		.amdhsa_system_sgpr_workgroup_id_z 1
		.amdhsa_system_sgpr_workgroup_info 0
		.amdhsa_system_vgpr_workitem_id 0
		.amdhsa_next_free_vgpr 84
		.amdhsa_next_free_sgpr 74
		.amdhsa_reserve_vcc 1
		.amdhsa_float_round_mode_32 0
		.amdhsa_float_round_mode_16_64 0
		.amdhsa_float_denorm_mode_32 3
		.amdhsa_float_denorm_mode_16_64 3
		.amdhsa_fp16_overflow 0
		.amdhsa_workgroup_processor_mode 1
		.amdhsa_memory_ordered 1
		.amdhsa_forward_progress 1
		.amdhsa_inst_pref_size 46
		.amdhsa_round_robin_scheduling 0
		.amdhsa_exception_fp_ieee_invalid_op 0
		.amdhsa_exception_fp_denorm_src 0
		.amdhsa_exception_fp_ieee_div_zero 0
		.amdhsa_exception_fp_ieee_overflow 0
		.amdhsa_exception_fp_ieee_underflow 0
		.amdhsa_exception_fp_ieee_inexact 0
		.amdhsa_exception_int_div_zero 0
	.end_amdhsa_kernel
	.section	.text._ZL23rocblas_gemvt_sn_kernelILb0ELi256ELi4EiPK19rocblas_complex_numIfES1_S1_EviiT4_lPKT3_lilS7_lilPT5_i,"axG",@progbits,_ZL23rocblas_gemvt_sn_kernelILb0ELi256ELi4EiPK19rocblas_complex_numIfES1_S1_EviiT4_lPKT3_lilS7_lilPT5_i,comdat
.Lfunc_end311:
	.size	_ZL23rocblas_gemvt_sn_kernelILb0ELi256ELi4EiPK19rocblas_complex_numIfES1_S1_EviiT4_lPKT3_lilS7_lilPT5_i, .Lfunc_end311-_ZL23rocblas_gemvt_sn_kernelILb0ELi256ELi4EiPK19rocblas_complex_numIfES1_S1_EviiT4_lPKT3_lilS7_lilPT5_i
                                        ; -- End function
	.set _ZL23rocblas_gemvt_sn_kernelILb0ELi256ELi4EiPK19rocblas_complex_numIfES1_S1_EviiT4_lPKT3_lilS7_lilPT5_i.num_vgpr, 84
	.set _ZL23rocblas_gemvt_sn_kernelILb0ELi256ELi4EiPK19rocblas_complex_numIfES1_S1_EviiT4_lPKT3_lilS7_lilPT5_i.num_agpr, 0
	.set _ZL23rocblas_gemvt_sn_kernelILb0ELi256ELi4EiPK19rocblas_complex_numIfES1_S1_EviiT4_lPKT3_lilS7_lilPT5_i.numbered_sgpr, 74
	.set _ZL23rocblas_gemvt_sn_kernelILb0ELi256ELi4EiPK19rocblas_complex_numIfES1_S1_EviiT4_lPKT3_lilS7_lilPT5_i.num_named_barrier, 0
	.set _ZL23rocblas_gemvt_sn_kernelILb0ELi256ELi4EiPK19rocblas_complex_numIfES1_S1_EviiT4_lPKT3_lilS7_lilPT5_i.private_seg_size, 48
	.set _ZL23rocblas_gemvt_sn_kernelILb0ELi256ELi4EiPK19rocblas_complex_numIfES1_S1_EviiT4_lPKT3_lilS7_lilPT5_i.uses_vcc, 1
	.set _ZL23rocblas_gemvt_sn_kernelILb0ELi256ELi4EiPK19rocblas_complex_numIfES1_S1_EviiT4_lPKT3_lilS7_lilPT5_i.uses_flat_scratch, 1
	.set _ZL23rocblas_gemvt_sn_kernelILb0ELi256ELi4EiPK19rocblas_complex_numIfES1_S1_EviiT4_lPKT3_lilS7_lilPT5_i.has_dyn_sized_stack, 0
	.set _ZL23rocblas_gemvt_sn_kernelILb0ELi256ELi4EiPK19rocblas_complex_numIfES1_S1_EviiT4_lPKT3_lilS7_lilPT5_i.has_recursion, 0
	.set _ZL23rocblas_gemvt_sn_kernelILb0ELi256ELi4EiPK19rocblas_complex_numIfES1_S1_EviiT4_lPKT3_lilS7_lilPT5_i.has_indirect_call, 0
	.section	.AMDGPU.csdata,"",@progbits
; Kernel info:
; codeLenInByte = 5888
; TotalNumSgprs: 76
; NumVgprs: 84
; ScratchSize: 48
; MemoryBound: 0
; FloatMode: 240
; IeeeMode: 1
; LDSByteSize: 256 bytes/workgroup (compile time only)
; SGPRBlocks: 0
; VGPRBlocks: 10
; NumSGPRsForWavesPerEU: 76
; NumVGPRsForWavesPerEU: 84
; Occupancy: 16
; WaveLimiterHint : 1
; COMPUTE_PGM_RSRC2:SCRATCH_EN: 1
; COMPUTE_PGM_RSRC2:USER_SGPR: 2
; COMPUTE_PGM_RSRC2:TRAP_HANDLER: 0
; COMPUTE_PGM_RSRC2:TGID_X_EN: 1
; COMPUTE_PGM_RSRC2:TGID_Y_EN: 0
; COMPUTE_PGM_RSRC2:TGID_Z_EN: 1
; COMPUTE_PGM_RSRC2:TIDIG_COMP_CNT: 0
	.section	.text._ZL23rocblas_gemvt_sn_kernelILb0ELi256ELi4ElPK19rocblas_complex_numIfES1_S1_EviiT4_lPKT3_lilS7_lilPT5_i,"axG",@progbits,_ZL23rocblas_gemvt_sn_kernelILb0ELi256ELi4ElPK19rocblas_complex_numIfES1_S1_EviiT4_lPKT3_lilS7_lilPT5_i,comdat
	.globl	_ZL23rocblas_gemvt_sn_kernelILb0ELi256ELi4ElPK19rocblas_complex_numIfES1_S1_EviiT4_lPKT3_lilS7_lilPT5_i ; -- Begin function _ZL23rocblas_gemvt_sn_kernelILb0ELi256ELi4ElPK19rocblas_complex_numIfES1_S1_EviiT4_lPKT3_lilS7_lilPT5_i
	.p2align	8
	.type	_ZL23rocblas_gemvt_sn_kernelILb0ELi256ELi4ElPK19rocblas_complex_numIfES1_S1_EviiT4_lPKT3_lilS7_lilPT5_i,@function
_ZL23rocblas_gemvt_sn_kernelILb0ELi256ELi4ElPK19rocblas_complex_numIfES1_S1_EviiT4_lPKT3_lilS7_lilPT5_i: ; @_ZL23rocblas_gemvt_sn_kernelILb0ELi256ELi4ElPK19rocblas_complex_numIfES1_S1_EviiT4_lPKT3_lilS7_lilPT5_i
; %bb.0:
	s_load_b32 s33, s[0:1], 0x60
	s_lshr_b32 s10, ttmp7, 16
	s_wait_kmcnt 0x0
	s_cmp_ge_u32 s10, s33
	s_cbranch_scc1 .LBB312_86
; %bb.1:
	s_clause 0x6
	s_load_b128 s[12:15], s[0:1], 0x0
	s_load_b32 s26, s[0:1], 0x28
	s_load_b32 s6, s[0:1], 0x48
	s_load_b128 s[16:19], s[0:1], 0x18
	s_load_b32 s28, s[0:1], 0x68
	s_load_b128 s[20:23], s[0:1], 0x38
	s_load_b64 s[30:31], s[0:1], 0x58
	s_mov_b32 s25, 0
	v_cmp_eq_u32_e64 s0, 0, v0
	s_mov_b32 s29, s25
	v_lshrrev_b32_e32 v4, 2, v0
	v_and_b32_e32 v1, 31, v0
	v_cmp_gt_u32_e64 s1, 32, v0
	v_mbcnt_lo_u32_b32 v36, -1, 0
	s_mov_b32 s24, ttmp9
	v_and_b32_e32 v35, 56, v4
	s_delay_alu instid0(VALU_DEP_2)
	v_lshl_or_b32 v37, v36, 2, 64
	s_wait_kmcnt 0x0
	s_or_b32 s2, s14, s15
	s_ashr_i32 s27, s26, 31
	s_bitset0_b32 s2, 31
	s_ashr_i32 s7, s6, 31
	s_cmp_lg_u32 s2, 0
	s_mul_u64 s[48:49], s[26:27], 24
	s_cselect_b32 s56, -1, 0
	s_cmp_eq_u32 s2, 0
	s_mov_b32 s2, s13
	s_cselect_b32 s57, -1, 0
	s_ashr_i32 s3, s13, 31
	s_cmp_gt_i32 s13, 0
	s_mul_u64 s[34:35], s[2:3], s[28:29]
	s_cselect_b32 s2, -1, 0
	s_ashr_i32 s5, s12, 31
	s_and_b32 s58, s0, s2
	s_lshr_b32 s2, s5, 30
	s_lshl_b32 s4, ttmp9, 10
	s_add_co_i32 s2, s12, s2
	v_lshl_or_b32 v2, v0, 2, s4
	s_and_b32 s2, s2, -4
	s_lshr_b32 s3, s3, 30
	s_sub_co_i32 s60, s12, s2
	s_add_co_i32 s3, s13, s3
	v_add_nc_u32_e32 v5, 4, v2
	v_add_nc_u32_e32 v6, s60, v2
	v_or_b32_e32 v4, 1, v2
	s_and_b32 s59, s3, -4
	v_or_b32_e32 v7, 2, v2
	v_cmp_ge_i32_e64 s2, s12, v5
	v_cmp_ge_i32_e64 s3, s12, v6
	v_mad_co_i64_i32 v[5:6], null, s6, v4, 0
	v_or_b32_e32 v4, 3, v2
	v_cmp_gt_u32_e64 s5, 8, v0
	v_mad_co_i64_i32 v[8:9], null, s6, v7, 0
	v_ashrrev_i32_e32 v3, 31, v2
	s_delay_alu instid0(VALU_DEP_4)
	v_mad_co_i64_i32 v[10:11], null, s6, v4, 0
	v_mov_b32_e32 v4, 0
	v_cmp_eq_u32_e64 s4, 0, v1
	v_lshlrev_b32_e32 v34, 3, v1
	v_mad_co_i64_i32 v[0:1], null, s6, v2, 0
	s_cmp_gt_i32 s59, 0
	v_lshlrev_b64_e32 v[2:3], 3, v[2:3]
	s_cselect_b32 s61, -1, 0
	s_cmp_gt_i32 s60, 0
	v_lshlrev_b64_e32 v[6:7], 3, v[5:6]
	s_cselect_b32 s62, -1, 0
	s_lshl_b64 s[36:37], s[24:25], 3
	v_lshlrev_b64_e32 v[0:1], 3, v[0:1]
	v_lshlrev_b64_e32 v[8:9], 3, v[8:9]
	;; [unrolled: 1-line block ×3, first 2 shown]
	s_add_nc_u64 s[8:9], s[30:31], s[36:37]
	s_and_b32 s12, s62, s3
	s_add_nc_u64 s[38:39], s[8:9], 4
	s_lshl_b64 s[40:41], s[34:35], 3
	s_lshl_b64 s[42:43], s[28:29], 3
	;; [unrolled: 1-line block ×3, first 2 shown]
	s_or_b32 s63, 0, 4
	s_lshl_b64 s[46:47], s[26:27], 5
	s_lshl_b64 s[50:51], s[26:27], 4
	;; [unrolled: 1-line block ×5, first 2 shown]
	s_branch .LBB312_3
.LBB312_2:                              ;   in Loop: Header=BB312_3 Depth=1
	s_add_co_i32 s10, s10, 0x10000
	s_delay_alu instid0(SALU_CYCLE_1)
	s_cmp_lt_u32 s10, s33
	s_cbranch_scc0 .LBB312_86
.LBB312_3:                              ; =>This Loop Header: Depth=1
                                        ;     Child Loop BB312_13 Depth 2
                                        ;     Child Loop BB312_18 Depth 2
                                        ;       Child Loop BB312_49 Depth 3
                                        ;       Child Loop BB312_51 Depth 3
                                        ;     Child Loop BB312_67 Depth 2
                                        ;       Child Loop BB312_79 Depth 3
                                        ;       Child Loop BB312_81 Depth 3
	s_mov_b32 s11, s25
	s_and_not1_b32 vcc_lo, exec_lo, s57
	s_mov_b32 s6, -1
	s_wait_alu 0xfffe
	s_cbranch_vccnz .LBB312_5
; %bb.4:                                ;   in Loop: Header=BB312_3 Depth=1
	s_mov_b32 s6, 0
.LBB312_5:                              ;   in Loop: Header=BB312_3 Depth=1
	v_mov_b32_e32 v14, 0
	v_dual_mov_b32 v15, 0 :: v_dual_mov_b32 v12, 0
	v_mov_b32_e32 v13, 0
	s_wait_alu 0xfffe
	s_and_not1_b32 vcc_lo, exec_lo, s6
	s_wait_alu 0xfffe
	s_cbranch_vccz .LBB312_9
; %bb.6:                                ;   in Loop: Header=BB312_3 Depth=1
	s_and_not1_b32 vcc_lo, exec_lo, s56
	s_wait_alu 0xfffe
	s_cbranch_vccz .LBB312_10
.LBB312_7:                              ;   in Loop: Header=BB312_3 Depth=1
	s_and_not1_b32 vcc_lo, exec_lo, s57
	s_mov_b32 s6, -1
	s_wait_alu 0xfffe
	s_cbranch_vccz .LBB312_11
.LBB312_8:                              ;   in Loop: Header=BB312_3 Depth=1
	s_wait_alu 0xfffe
	s_and_not1_b32 vcc_lo, exec_lo, s6
	s_wait_alu 0xfffe
	s_cbranch_vccnz .LBB312_2
	s_branch .LBB312_15
.LBB312_9:                              ;   in Loop: Header=BB312_3 Depth=1
	s_lshl_b64 s[6:7], s[10:11], 3
	s_wait_alu 0xfffe
	s_add_nc_u64 s[6:7], s[16:17], s[6:7]
	global_load_b64 v[12:13], v4, s[6:7]
	s_wait_loadcnt 0x0
	v_add_co_u32 v12, vcc_lo, v12, s18
	s_wait_alu 0xfffd
	v_add_co_ci_u32_e64 v13, null, s19, v13, vcc_lo
	s_and_not1_b32 vcc_lo, exec_lo, s56
	s_wait_alu 0xfffe
	s_cbranch_vccnz .LBB312_7
.LBB312_10:                             ;   in Loop: Header=BB312_3 Depth=1
	s_lshl_b64 s[6:7], s[10:11], 3
	s_wait_alu 0xfffe
	s_add_nc_u64 s[6:7], s[20:21], s[6:7]
	global_load_b64 v[14:15], v4, s[6:7]
	s_wait_loadcnt 0x0
	v_add_co_u32 v14, vcc_lo, v14, s22
	s_wait_alu 0xfffd
	v_add_co_ci_u32_e64 v15, null, s23, v15, vcc_lo
	s_and_not1_b32 vcc_lo, exec_lo, s57
	s_mov_b32 s6, -1
	s_wait_alu 0xfffe
	s_cbranch_vccnz .LBB312_8
.LBB312_11:                             ;   in Loop: Header=BB312_3 Depth=1
	s_and_saveexec_b32 s8, s58
	s_cbranch_execz .LBB312_14
; %bb.12:                               ;   in Loop: Header=BB312_3 Depth=1
	s_mul_u64 s[6:7], s[40:41], s[10:11]
	s_mov_b32 s9, s13
	s_wait_alu 0xfffe
	s_add_nc_u64 s[6:7], s[38:39], s[6:7]
.LBB312_13:                             ;   Parent Loop BB312_3 Depth=1
                                        ; =>  This Inner Loop Header: Depth=2
	v_mov_b32_e32 v5, v4
	s_add_co_i32 s9, s9, -1
	s_wait_alu 0xfffe
	s_cmp_eq_u32 s9, 0
	global_store_b64 v4, v[4:5], s[6:7] offset:-4
	s_add_nc_u64 s[6:7], s[6:7], s[42:43]
	s_cbranch_scc0 .LBB312_13
.LBB312_14:                             ;   in Loop: Header=BB312_3 Depth=1
	s_wait_alu 0xfffe
	s_or_b32 exec_lo, exec_lo, s8
	s_cbranch_execnz .LBB312_2
.LBB312_15:                             ;   in Loop: Header=BB312_3 Depth=1
	s_mul_u64 s[6:7], s[34:35], s[10:11]
	v_add_co_u32 v12, vcc_lo, v12, v2
	s_wait_alu 0xfffe
	s_lshl_b64 s[54:55], s[6:7], 3
	s_wait_alu 0xfffd
	v_add_co_ci_u32_e64 v13, null, v13, v3, vcc_lo
	v_cmp_gt_u32_e64 s9, 24, v36
	v_cmp_gt_u32_e64 s8, 28, v36
	v_cmp_gt_u32_e64 s7, 30, v36
	v_cmp_ne_u32_e64 s6, 31, v36
	s_add_nc_u64 s[54:55], s[30:31], s[54:55]
	s_and_not1_b32 vcc_lo, exec_lo, s61
	s_add_nc_u64 s[54:55], s[54:55], s[36:37]
	s_wait_alu 0xfffe
	s_cbranch_vccnz .LBB312_63
; %bb.16:                               ;   in Loop: Header=BB312_3 Depth=1
	v_cndmask_b32_e64 v16, 0, 4, s8
	v_cndmask_b32_e64 v17, 0, 2, s7
	v_add_co_ci_u32_e64 v18, null, 0, v36, s6
	v_cndmask_b32_e64 v5, 0, 8, s9
	s_delay_alu instid0(VALU_DEP_4)
	v_add_lshl_u32 v39, v16, v36, 2
	v_add_co_u32 v16, vcc_lo, v14, v0
	v_add_lshl_u32 v40, v17, v36, 2
	v_lshlrev_b32_e32 v41, 2, v18
	s_wait_alu 0xfffd
	v_add_co_ci_u32_e64 v17, null, v15, v1, vcc_lo
	v_add_co_u32 v18, vcc_lo, v14, v6
	s_wait_alu 0xfffd
	v_add_co_ci_u32_e64 v19, null, v15, v7, vcc_lo
	v_add_co_u32 v20, vcc_lo, v14, v8
	;; [unrolled: 3-line block ×3, first 2 shown]
	s_wait_dscnt 0x0
	v_mov_b32_e32 v25, v13
	v_add_lshl_u32 v38, v5, v36, 2
	s_wait_alu 0xfffd
	v_add_co_ci_u32_e64 v23, null, v15, v11, vcc_lo
	v_mov_b32_e32 v24, v12
	s_mov_b32 s24, 0
	s_branch .LBB312_18
.LBB312_17:                             ;   in Loop: Header=BB312_18 Depth=2
	s_wait_alu 0xfffe
	s_or_b32 exec_lo, exec_lo, s6
	v_add_co_u32 v24, vcc_lo, v24, s46
	s_wait_alu 0xfffd
	v_add_co_ci_u32_e64 v25, null, s47, v25, vcc_lo
	s_add_co_i32 s24, s24, 4
	s_wait_alu 0xfffe
	s_cmp_ge_i32 s24, s59
	s_cbranch_scc1 .LBB312_64
.LBB312_18:                             ;   Parent Loop BB312_3 Depth=1
                                        ; =>  This Loop Header: Depth=2
                                        ;       Child Loop BB312_49 Depth 3
                                        ;       Child Loop BB312_51 Depth 3
                                        ; implicit-def: $vgpr42
                                        ; implicit-def: $vgpr43
                                        ; implicit-def: $vgpr28
                                        ; implicit-def: $vgpr29
                                        ; implicit-def: $vgpr30
                                        ; implicit-def: $vgpr31
                                        ; implicit-def: $vgpr33
                                        ; implicit-def: $vgpr32
	s_and_saveexec_b32 s6, s2
	s_wait_alu 0xfffe
	s_xor_b32 s6, exec_lo, s6
	s_cbranch_execnz .LBB312_45
; %bb.19:                               ;   in Loop: Header=BB312_18 Depth=2
	s_wait_alu 0xfffe
	s_and_not1_saveexec_b32 s6, s6
	s_cbranch_execnz .LBB312_46
.LBB312_20:                             ;   in Loop: Header=BB312_18 Depth=2
	s_wait_alu 0xfffe
	s_or_b32 exec_lo, exec_lo, s6
	s_and_saveexec_b32 s6, s1
.LBB312_21:                             ;   in Loop: Header=BB312_18 Depth=2
	v_mov_b32_e32 v5, v4
	ds_store_b64 v34, v[4:5]
.LBB312_22:                             ;   in Loop: Header=BB312_18 Depth=2
	s_wait_alu 0xfffe
	s_or_b32 exec_lo, exec_lo, s6
	ds_bpermute_b32 v5, v37, v42
	ds_bpermute_b32 v26, v37, v43
	s_wait_storecnt_dscnt 0x0
	s_barrier_signal -1
	s_barrier_wait -1
	global_inv scope:SCOPE_SE
	v_dual_add_f32 v5, v42, v5 :: v_dual_add_f32 v26, v43, v26
	ds_bpermute_b32 v27, v38, v5
	ds_bpermute_b32 v42, v38, v26
	s_wait_dscnt 0x0
	v_dual_add_f32 v5, v5, v27 :: v_dual_add_f32 v26, v26, v42
	ds_bpermute_b32 v27, v39, v5
	ds_bpermute_b32 v42, v39, v26
	s_wait_dscnt 0x0
	;; [unrolled: 4-line block ×3, first 2 shown]
	v_dual_add_f32 v5, v5, v27 :: v_dual_add_f32 v26, v26, v42
	ds_bpermute_b32 v27, v41, v5
	ds_bpermute_b32 v42, v41, v26
	s_and_saveexec_b32 s6, s4
	s_cbranch_execz .LBB312_24
; %bb.23:                               ;   in Loop: Header=BB312_18 Depth=2
	s_wait_dscnt 0x0
	v_dual_add_f32 v43, v26, v42 :: v_dual_add_f32 v42, v5, v27
	ds_store_b64 v35, v[42:43]
.LBB312_24:                             ;   in Loop: Header=BB312_18 Depth=2
	s_wait_alu 0xfffe
	s_or_b32 exec_lo, exec_lo, s6
	s_wait_dscnt 0x1
	v_dual_mov_b32 v27, 0 :: v_dual_mov_b32 v26, 0
	s_wait_loadcnt_dscnt 0x0
	s_barrier_signal -1
	s_barrier_wait -1
	global_inv scope:SCOPE_SE
	s_and_saveexec_b32 s6, s5
	s_cbranch_execnz .LBB312_52
; %bb.25:                               ;   in Loop: Header=BB312_18 Depth=2
	s_wait_alu 0xfffe
	s_or_b32 exec_lo, exec_lo, s6
	s_and_saveexec_b32 s6, s1
	s_cbranch_execnz .LBB312_53
.LBB312_26:                             ;   in Loop: Header=BB312_18 Depth=2
	s_wait_alu 0xfffe
	s_or_b32 exec_lo, exec_lo, s6
	s_and_saveexec_b32 s6, s1
.LBB312_27:                             ;   in Loop: Header=BB312_18 Depth=2
	v_mov_b32_e32 v5, v4
	ds_store_b64 v34, v[4:5]
.LBB312_28:                             ;   in Loop: Header=BB312_18 Depth=2
	s_wait_alu 0xfffe
	s_or_b32 exec_lo, exec_lo, s6
	ds_bpermute_b32 v5, v37, v28
	ds_bpermute_b32 v42, v37, v29
	s_wait_loadcnt_dscnt 0x0
	s_barrier_signal -1
	s_barrier_wait -1
	global_inv scope:SCOPE_SE
	v_dual_add_f32 v5, v28, v5 :: v_dual_add_f32 v28, v29, v42
	ds_bpermute_b32 v29, v38, v5
	ds_bpermute_b32 v42, v38, v28
	s_wait_dscnt 0x0
	v_dual_add_f32 v5, v5, v29 :: v_dual_add_f32 v28, v28, v42
	ds_bpermute_b32 v29, v39, v5
	ds_bpermute_b32 v42, v39, v28
	s_wait_dscnt 0x0
	;; [unrolled: 4-line block ×3, first 2 shown]
	v_dual_add_f32 v5, v5, v29 :: v_dual_add_f32 v28, v28, v42
	ds_bpermute_b32 v29, v41, v5
	ds_bpermute_b32 v42, v41, v28
	s_and_saveexec_b32 s6, s4
	s_cbranch_execz .LBB312_30
; %bb.29:                               ;   in Loop: Header=BB312_18 Depth=2
	s_wait_dscnt 0x0
	v_dual_add_f32 v43, v28, v42 :: v_dual_add_f32 v42, v5, v29
	ds_store_b64 v35, v[42:43]
.LBB312_30:                             ;   in Loop: Header=BB312_18 Depth=2
	s_wait_alu 0xfffe
	s_or_b32 exec_lo, exec_lo, s6
	s_wait_dscnt 0x1
	v_dual_mov_b32 v29, 0 :: v_dual_mov_b32 v28, 0
	s_wait_loadcnt_dscnt 0x0
	s_barrier_signal -1
	s_barrier_wait -1
	global_inv scope:SCOPE_SE
	s_and_saveexec_b32 s6, s5
	s_cbranch_execnz .LBB312_54
; %bb.31:                               ;   in Loop: Header=BB312_18 Depth=2
	s_wait_alu 0xfffe
	s_or_b32 exec_lo, exec_lo, s6
	s_and_saveexec_b32 s6, s1
	s_cbranch_execnz .LBB312_55
.LBB312_32:                             ;   in Loop: Header=BB312_18 Depth=2
	s_wait_alu 0xfffe
	s_or_b32 exec_lo, exec_lo, s6
	s_and_saveexec_b32 s6, s1
.LBB312_33:                             ;   in Loop: Header=BB312_18 Depth=2
	v_mov_b32_e32 v5, v4
	ds_store_b64 v34, v[4:5]
.LBB312_34:                             ;   in Loop: Header=BB312_18 Depth=2
	s_wait_alu 0xfffe
	s_or_b32 exec_lo, exec_lo, s6
	ds_bpermute_b32 v5, v37, v30
	ds_bpermute_b32 v42, v37, v31
	s_wait_loadcnt_dscnt 0x0
	s_barrier_signal -1
	s_barrier_wait -1
	global_inv scope:SCOPE_SE
	v_dual_add_f32 v5, v30, v5 :: v_dual_add_f32 v30, v31, v42
	ds_bpermute_b32 v31, v38, v5
	ds_bpermute_b32 v42, v38, v30
	s_wait_dscnt 0x0
	v_dual_add_f32 v5, v5, v31 :: v_dual_add_f32 v30, v30, v42
	ds_bpermute_b32 v31, v39, v5
	ds_bpermute_b32 v42, v39, v30
	s_wait_dscnt 0x0
	;; [unrolled: 4-line block ×3, first 2 shown]
	v_dual_add_f32 v5, v5, v31 :: v_dual_add_f32 v30, v30, v42
	ds_bpermute_b32 v31, v41, v5
	ds_bpermute_b32 v42, v41, v30
	s_and_saveexec_b32 s6, s4
	s_cbranch_execz .LBB312_36
; %bb.35:                               ;   in Loop: Header=BB312_18 Depth=2
	s_wait_dscnt 0x0
	v_dual_add_f32 v43, v30, v42 :: v_dual_add_f32 v42, v5, v31
	ds_store_b64 v35, v[42:43]
.LBB312_36:                             ;   in Loop: Header=BB312_18 Depth=2
	s_wait_alu 0xfffe
	s_or_b32 exec_lo, exec_lo, s6
	s_wait_dscnt 0x1
	v_dual_mov_b32 v31, 0 :: v_dual_mov_b32 v30, 0
	s_wait_loadcnt_dscnt 0x0
	s_barrier_signal -1
	s_barrier_wait -1
	global_inv scope:SCOPE_SE
	s_and_saveexec_b32 s6, s5
	s_cbranch_execnz .LBB312_56
; %bb.37:                               ;   in Loop: Header=BB312_18 Depth=2
	s_wait_alu 0xfffe
	s_or_b32 exec_lo, exec_lo, s6
	s_and_saveexec_b32 s6, s1
	s_cbranch_execnz .LBB312_57
.LBB312_38:                             ;   in Loop: Header=BB312_18 Depth=2
	s_wait_alu 0xfffe
	s_or_b32 exec_lo, exec_lo, s6
	s_and_saveexec_b32 s6, s1
.LBB312_39:                             ;   in Loop: Header=BB312_18 Depth=2
	v_mov_b32_e32 v5, v4
	ds_store_b64 v34, v[4:5]
.LBB312_40:                             ;   in Loop: Header=BB312_18 Depth=2
	s_wait_alu 0xfffe
	s_or_b32 exec_lo, exec_lo, s6
	ds_bpermute_b32 v5, v37, v33
	ds_bpermute_b32 v42, v37, v32
	s_wait_loadcnt_dscnt 0x0
	s_barrier_signal -1
	s_barrier_wait -1
	global_inv scope:SCOPE_SE
	v_dual_add_f32 v5, v33, v5 :: v_dual_add_f32 v32, v32, v42
	ds_bpermute_b32 v33, v38, v5
	ds_bpermute_b32 v42, v38, v32
	s_wait_dscnt 0x0
	v_dual_add_f32 v5, v5, v33 :: v_dual_add_f32 v32, v32, v42
	ds_bpermute_b32 v33, v39, v5
	ds_bpermute_b32 v42, v39, v32
	s_wait_dscnt 0x0
	;; [unrolled: 4-line block ×3, first 2 shown]
	v_dual_add_f32 v5, v5, v33 :: v_dual_add_f32 v32, v32, v42
	ds_bpermute_b32 v33, v41, v5
	ds_bpermute_b32 v42, v41, v32
	s_and_saveexec_b32 s6, s4
	s_cbranch_execz .LBB312_42
; %bb.41:                               ;   in Loop: Header=BB312_18 Depth=2
	s_wait_dscnt 0x0
	v_dual_add_f32 v43, v32, v42 :: v_dual_add_f32 v42, v5, v33
	ds_store_b64 v35, v[42:43]
.LBB312_42:                             ;   in Loop: Header=BB312_18 Depth=2
	s_wait_alu 0xfffe
	s_or_b32 exec_lo, exec_lo, s6
	s_wait_dscnt 0x1
	v_dual_mov_b32 v33, 0 :: v_dual_mov_b32 v32, 0
	s_wait_loadcnt_dscnt 0x0
	s_barrier_signal -1
	s_barrier_wait -1
	global_inv scope:SCOPE_SE
	s_and_saveexec_b32 s6, s5
	s_cbranch_execnz .LBB312_58
; %bb.43:                               ;   in Loop: Header=BB312_18 Depth=2
	s_wait_alu 0xfffe
	s_or_b32 exec_lo, exec_lo, s6
	s_and_saveexec_b32 s6, s1
	s_cbranch_execnz .LBB312_59
.LBB312_44:                             ;   in Loop: Header=BB312_18 Depth=2
	s_wait_alu 0xfffe
	s_or_b32 exec_lo, exec_lo, s6
	s_and_saveexec_b32 s6, s0
	s_cbranch_execz .LBB312_17
	s_branch .LBB312_60
.LBB312_45:                             ;   in Loop: Header=BB312_18 Depth=2
	s_mul_u64 s[8:9], s[24:25], s[26:27]
	s_or_b32 s64, s24, 2
	s_wait_alu 0xfffe
	s_lshl_b64 s[8:9], s[8:9], 3
	s_mov_b32 s65, s25
	s_wait_alu 0xfffe
	v_add_co_u32 v30, vcc_lo, v12, s8
	s_wait_alu 0xfffd
	v_add_co_ci_u32_e64 v31, null, s9, v13, vcc_lo
	s_or_b32 s8, s24, 1
	s_mov_b32 s9, s25
	s_clause 0x3
	flat_load_b64 v[44:45], v[16:17]
	flat_load_b64 v[46:47], v[18:19]
	;; [unrolled: 1-line block ×4, first 2 shown]
	s_wait_alu 0xfffe
	s_mul_u64 s[8:9], s[8:9], s[26:27]
	flat_load_b128 v[26:29], v[30:31]
	s_wait_alu 0xfffe
	s_lshl_b64 s[8:9], s[8:9], 3
	s_wait_dscnt 0x5
	flat_load_b128 v[30:33], v[30:31] offset:16
	s_wait_alu 0xfffe
	v_add_co_u32 v42, vcc_lo, v12, s8
	s_wait_alu 0xfffd
	v_add_co_ci_u32_e64 v43, null, s9, v13, vcc_lo
	s_mul_u64 s[8:9], s[64:65], s[26:27]
	s_or_b32 s64, s24, 3
	s_wait_alu 0xfffe
	s_lshl_b64 s[8:9], s[8:9], 3
	s_mul_u64 s[64:65], s[64:65], s[26:27]
	s_wait_alu 0xfffe
	v_add_co_u32 v68, vcc_lo, v12, s8
	s_wait_alu 0xfffd
	v_add_co_ci_u32_e64 v69, null, s9, v13, vcc_lo
	s_lshl_b64 s[8:9], s[64:65], 3
	s_wait_alu 0xfffe
	v_add_co_u32 v72, vcc_lo, v12, s8
	s_wait_alu 0xfffd
	v_add_co_ci_u32_e64 v73, null, s9, v13, vcc_lo
	s_clause 0x5
	flat_load_b128 v[52:55], v[42:43]
	flat_load_b128 v[56:59], v[68:69]
	flat_load_b128 v[60:63], v[72:73]
	flat_load_b128 v[64:67], v[42:43] offset:16
	flat_load_b128 v[68:71], v[68:69] offset:16
	;; [unrolled: 1-line block ×3, first 2 shown]
	s_wait_loadcnt_dscnt 0xa0a
	scratch_store_b128 off, v[44:47], off
	s_wait_loadcnt_dscnt 0x808
	scratch_store_b128 off, v[48:51], off offset:16
	s_wait_loadcnt_dscnt 0x707
	v_dual_mul_f32 v5, v45, v27 :: v_dual_mul_f32 v42, v47, v29
	s_wait_loadcnt_dscnt 0x606
	v_dual_mul_f32 v27, v44, v27 :: v_dual_mul_f32 v76, v51, v33
	v_mul_f32_e32 v29, v46, v29
	s_delay_alu instid0(VALU_DEP_3) | instskip(SKIP_3) | instid1(VALU_DEP_4)
	v_fma_f32 v5, v44, v26, -v5
	v_mul_f32_e32 v43, v49, v31
	v_mul_f32_e32 v31, v48, v31
	;; [unrolled: 1-line block ×3, first 2 shown]
	v_add_f32_e32 v5, 0, v5
	s_wait_loadcnt_dscnt 0x505
	v_mul_f32_e32 v77, v45, v53
	v_mul_f32_e32 v53, v44, v53
	s_wait_loadcnt_dscnt 0x404
	v_mul_f32_e32 v78, v45, v57
	v_mul_f32_e32 v80, v47, v55
	v_fmac_f32_e32 v29, v47, v28
	s_wait_loadcnt_dscnt 0x0
	v_mul_f32_e32 v88, v51, v75
	v_mul_f32_e32 v75, v50, v75
	v_dual_mul_f32 v55, v46, v55 :: v_dual_mul_f32 v84, v49, v69
	v_dual_fmac_f32 v31, v49, v30 :: v_dual_mul_f32 v82, v47, v63
	s_delay_alu instid0(VALU_DEP_3)
	v_fmac_f32_e32 v75, v51, v74
	v_fmac_f32_e32 v27, v45, v26
	v_fma_f32 v26, v46, v28, -v42
	v_fma_f32 v28, v48, v30, -v43
	;; [unrolled: 1-line block ×4, first 2 shown]
	v_mul_f32_e32 v57, v44, v57
	v_dual_add_f32 v5, v5, v26 :: v_dual_mul_f32 v86, v51, v67
	v_fmac_f32_e32 v33, v51, v32
	v_fma_f32 v32, v44, v52, -v77
	v_add_f32_e32 v27, 0, v27
	s_delay_alu instid0(VALU_DEP_4) | instskip(SKIP_4) | instid1(VALU_DEP_4)
	v_add_f32_e32 v5, v5, v28
	v_dual_mul_f32 v69, v48, v69 :: v_dual_add_f32 v42, 0, v42
	v_fmac_f32_e32 v57, v45, v56
	v_fmac_f32_e32 v53, v45, v52
	v_fma_f32 v52, v46, v54, -v80
	v_fmac_f32_e32 v69, v49, v68
	v_mul_f32_e32 v81, v47, v59
	v_dual_mul_f32 v59, v46, v59 :: v_dual_add_f32 v26, v27, v29
	v_mul_f32_e32 v83, v49, v65
	v_fmac_f32_e32 v55, v47, v54
	s_delay_alu instid0(VALU_DEP_4)
	v_fma_f32 v54, v46, v58, -v81
	v_mul_f32_e32 v79, v45, v61
	v_dual_fmac_f32 v59, v47, v58 :: v_dual_add_f32 v32, 0, v32
	v_add_f32_e32 v57, 0, v57
	v_dual_mul_f32 v61, v44, v61 :: v_dual_add_f32 v26, v26, v31
	v_fma_f32 v58, v48, v64, -v83
	s_delay_alu instid0(VALU_DEP_4)
	v_dual_add_f32 v27, v32, v52 :: v_dual_add_f32 v32, v42, v54
	v_fma_f32 v43, v44, v60, -v79
	v_add_f32_e32 v42, v57, v59
	v_fmac_f32_e32 v61, v45, v60
	v_fma_f32 v60, v48, v68, -v84
	v_add_f32_e32 v27, v27, v58
	v_mul_f32_e32 v85, v49, v73
	v_fma_f32 v56, v46, v62, -v82
	v_add_f32_e32 v61, 0, v61
	v_add_f32_e32 v31, v32, v60
	v_mul_f32_e32 v73, v48, v73
	v_add_f32_e32 v53, 0, v53
	v_add_f32_e32 v43, 0, v43
	v_mul_f32_e32 v67, v50, v67
	v_mul_f32_e32 v87, v51, v71
	v_fmac_f32_e32 v73, v49, v72
	v_mul_f32_e32 v63, v46, v63
	v_mul_f32_e32 v71, v50, v71
	v_add_f32_e32 v29, v53, v55
	v_add_f32_e32 v43, v43, v56
	v_fmac_f32_e32 v67, v51, v66
	v_fmac_f32_e32 v63, v47, v62
	v_mul_f32_e32 v65, v48, v65
	v_fmac_f32_e32 v71, v51, v70
	v_fma_f32 v68, v50, v74, -v88
	v_add_f32_e32 v32, v42, v69
	v_add_f32_e32 v52, v61, v63
	v_fmac_f32_e32 v65, v49, v64
	v_fma_f32 v64, v50, v66, -v86
	v_fma_f32 v66, v50, v70, -v87
	v_add_f32_e32 v42, v5, v30
	v_add_f32_e32 v52, v52, v73
	s_delay_alu instid0(VALU_DEP_4) | instskip(SKIP_2) | instid1(VALU_DEP_3)
	v_dual_add_f32 v29, v29, v65 :: v_dual_add_f32 v28, v27, v64
	v_fma_f32 v62, v48, v72, -v85
	v_dual_add_f32 v30, v31, v66 :: v_dual_add_f32 v31, v32, v71
	v_add_f32_e32 v29, v29, v67
	s_delay_alu instid0(VALU_DEP_3) | instskip(SKIP_1) | instid1(VALU_DEP_2)
	v_dual_add_f32 v32, v52, v75 :: v_dual_add_f32 v53, v43, v62
	v_add_f32_e32 v43, v26, v33
	v_add_f32_e32 v33, v53, v68
	s_and_not1_saveexec_b32 s6, s6
	s_cbranch_execz .LBB312_20
.LBB312_46:                             ;   in Loop: Header=BB312_18 Depth=2
	v_dual_mov_b32 v42, 0 :: v_dual_mov_b32 v43, 0
	v_dual_mov_b32 v28, 0 :: v_dual_mov_b32 v29, 0
	;; [unrolled: 1-line block ×3, first 2 shown]
	s_wait_dscnt 0x0
	v_dual_mov_b32 v33, 0 :: v_dual_mov_b32 v32, 0
	s_and_saveexec_b32 s7, s3
	s_cbranch_execz .LBB312_62
; %bb.47:                               ;   in Loop: Header=BB312_18 Depth=2
	s_and_not1_b32 vcc_lo, exec_lo, s62
	s_wait_alu 0xfffe
	s_cbranch_vccnz .LBB312_61
; %bb.48:                               ;   in Loop: Header=BB312_18 Depth=2
	v_dual_mov_b32 v27, v17 :: v_dual_mov_b32 v26, v16
	s_mov_b32 s8, 0
	s_mov_b32 s9, s60
.LBB312_49:                             ;   Parent Loop BB312_3 Depth=1
                                        ;     Parent Loop BB312_18 Depth=2
                                        ; =>    This Inner Loop Header: Depth=3
	flat_load_b64 v[28:29], v[26:27]
	v_add_co_u32 v26, vcc_lo, v26, s44
	s_wait_alu 0xfffd
	v_add_co_ci_u32_e64 v27, null, s45, v27, vcc_lo
	s_wait_alu 0xfffe
	s_add_co_i32 s9, s9, -1
	s_wait_loadcnt_dscnt 0x0
	scratch_store_b64 off, v[28:29], s8
	s_add_co_i32 s8, s8, 8
	s_wait_alu 0xfffe
	s_cmp_eq_u32 s9, 0
	s_cbranch_scc0 .LBB312_49
; %bb.50:                               ;   in Loop: Header=BB312_18 Depth=2
	v_dual_mov_b32 v32, 0 :: v_dual_mov_b32 v27, v25
	v_dual_mov_b32 v26, v24 :: v_dual_mov_b32 v33, 0
	;; [unrolled: 1-line block ×5, first 2 shown]
	s_mov_b32 s8, s63
	s_mov_b32 s9, s60
.LBB312_51:                             ;   Parent Loop BB312_3 Depth=1
                                        ;     Parent Loop BB312_18 Depth=2
                                        ; =>    This Inner Loop Header: Depth=3
	v_add_co_u32 v48, vcc_lo, v26, s52
	s_wait_alu 0xfffd
	v_add_co_ci_u32_e64 v49, null, s53, v27, vcc_lo
	v_add_co_u32 v50, vcc_lo, v26, s50
	scratch_load_b64 v[44:45], off, s8 offset:-4
	flat_load_b64 v[46:47], v[26:27]
	s_wait_alu 0xfffd
	v_add_co_ci_u32_e64 v51, null, s51, v27, vcc_lo
	v_add_co_u32 v52, vcc_lo, v26, s48
	s_wait_alu 0xfffd
	v_add_co_ci_u32_e64 v53, null, s49, v27, vcc_lo
	s_clause 0x2
	flat_load_b64 v[48:49], v[48:49]
	flat_load_b64 v[50:51], v[50:51]
	;; [unrolled: 1-line block ×3, first 2 shown]
	v_add_co_u32 v26, vcc_lo, v26, 8
	s_wait_alu 0xfffd
	v_add_co_ci_u32_e64 v27, null, 0, v27, vcc_lo
	s_wait_alu 0xfffe
	s_add_co_i32 s9, s9, -1
	s_add_co_i32 s8, s8, 8
	s_wait_alu 0xfffe
	s_cmp_lg_u32 s9, 0
	s_wait_loadcnt_dscnt 0x303
	v_mul_f32_e32 v5, v45, v47
	v_mul_f32_e32 v47, v44, v47
	s_delay_alu instid0(VALU_DEP_2) | instskip(NEXT) | instid1(VALU_DEP_2)
	v_fma_f32 v5, v44, v46, -v5
	v_fmac_f32_e32 v47, v45, v46
	s_wait_loadcnt_dscnt 0x202
	v_mul_f32_e32 v46, v45, v49
	s_wait_loadcnt_dscnt 0x101
	v_dual_mul_f32 v49, v44, v49 :: v_dual_mul_f32 v54, v45, v51
	v_mul_f32_e32 v51, v44, v51
	s_wait_loadcnt_dscnt 0x0
	v_mul_f32_e32 v55, v45, v53
	v_mul_f32_e32 v53, v44, v53
	v_add_f32_e32 v42, v42, v5
	v_fma_f32 v5, v44, v48, -v46
	v_fma_f32 v46, v44, v50, -v54
	v_fmac_f32_e32 v51, v45, v50
	v_fma_f32 v44, v44, v52, -v55
	v_fmac_f32_e32 v53, v45, v52
	v_fmac_f32_e32 v49, v45, v48
	v_dual_add_f32 v43, v43, v47 :: v_dual_add_f32 v28, v28, v5
	v_dual_add_f32 v30, v30, v46 :: v_dual_add_f32 v31, v31, v51
	s_delay_alu instid0(VALU_DEP_4) | instskip(NEXT) | instid1(VALU_DEP_4)
	v_dual_add_f32 v33, v33, v44 :: v_dual_add_f32 v32, v32, v53
	v_add_f32_e32 v29, v29, v49
	s_cbranch_scc1 .LBB312_51
	s_branch .LBB312_62
.LBB312_52:                             ;   in Loop: Header=BB312_18 Depth=2
	ds_load_b64 v[26:27], v34
	s_wait_alu 0xfffe
	s_or_b32 exec_lo, exec_lo, s6
	s_and_saveexec_b32 s6, s1
	s_cbranch_execz .LBB312_26
.LBB312_53:                             ;   in Loop: Header=BB312_18 Depth=2
	s_wait_dscnt 0x0
	ds_bpermute_b32 v5, v39, v26
	ds_bpermute_b32 v42, v39, v27
	s_wait_dscnt 0x0
	v_dual_add_f32 v5, v26, v5 :: v_dual_add_f32 v26, v27, v42
	ds_bpermute_b32 v27, v40, v5
	ds_bpermute_b32 v42, v40, v26
	s_wait_dscnt 0x1
	v_add_f32_e32 v5, v5, v27
	s_wait_dscnt 0x0
	v_add_f32_e32 v27, v26, v42
	ds_bpermute_b32 v26, v41, v5
	ds_bpermute_b32 v42, v41, v27
	s_wait_dscnt 0x1
	v_add_f32_e32 v26, v5, v26
	s_wait_dscnt 0x0
	v_add_f32_e32 v27, v27, v42
	s_wait_alu 0xfffe
	s_or_b32 exec_lo, exec_lo, s6
	s_and_saveexec_b32 s6, s1
	s_cbranch_execnz .LBB312_27
	s_branch .LBB312_28
.LBB312_54:                             ;   in Loop: Header=BB312_18 Depth=2
	ds_load_b64 v[28:29], v34
	s_wait_alu 0xfffe
	s_or_b32 exec_lo, exec_lo, s6
	s_and_saveexec_b32 s6, s1
	s_cbranch_execz .LBB312_32
.LBB312_55:                             ;   in Loop: Header=BB312_18 Depth=2
	s_wait_dscnt 0x0
	ds_bpermute_b32 v5, v39, v28
	ds_bpermute_b32 v42, v39, v29
	s_wait_dscnt 0x0
	v_dual_add_f32 v5, v28, v5 :: v_dual_add_f32 v28, v29, v42
	ds_bpermute_b32 v29, v40, v5
	ds_bpermute_b32 v42, v40, v28
	s_wait_dscnt 0x1
	v_add_f32_e32 v5, v5, v29
	s_wait_dscnt 0x0
	v_add_f32_e32 v29, v28, v42
	ds_bpermute_b32 v28, v41, v5
	s_wait_dscnt 0x0
	v_add_f32_e32 v28, v5, v28
	ds_bpermute_b32 v42, v41, v29
	s_wait_dscnt 0x0
	v_add_f32_e32 v29, v29, v42
	s_wait_alu 0xfffe
	s_or_b32 exec_lo, exec_lo, s6
	s_and_saveexec_b32 s6, s1
	s_cbranch_execnz .LBB312_33
	s_branch .LBB312_34
.LBB312_56:                             ;   in Loop: Header=BB312_18 Depth=2
	ds_load_b64 v[30:31], v34
	s_wait_alu 0xfffe
	s_or_b32 exec_lo, exec_lo, s6
	s_and_saveexec_b32 s6, s1
	s_cbranch_execz .LBB312_38
.LBB312_57:                             ;   in Loop: Header=BB312_18 Depth=2
	s_wait_dscnt 0x0
	ds_bpermute_b32 v5, v39, v30
	ds_bpermute_b32 v42, v39, v31
	s_wait_dscnt 0x0
	v_dual_add_f32 v5, v30, v5 :: v_dual_add_f32 v30, v31, v42
	ds_bpermute_b32 v31, v40, v5
	ds_bpermute_b32 v42, v40, v30
	s_wait_dscnt 0x1
	v_add_f32_e32 v5, v5, v31
	s_wait_dscnt 0x0
	v_add_f32_e32 v31, v30, v42
	ds_bpermute_b32 v30, v41, v5
	ds_bpermute_b32 v42, v41, v31
	s_wait_dscnt 0x1
	v_add_f32_e32 v30, v5, v30
	s_wait_dscnt 0x0
	v_add_f32_e32 v31, v31, v42
	s_wait_alu 0xfffe
	s_or_b32 exec_lo, exec_lo, s6
	s_and_saveexec_b32 s6, s1
	s_cbranch_execnz .LBB312_39
	s_branch .LBB312_40
.LBB312_58:                             ;   in Loop: Header=BB312_18 Depth=2
	ds_load_b64 v[32:33], v34
	s_wait_alu 0xfffe
	s_or_b32 exec_lo, exec_lo, s6
	s_and_saveexec_b32 s6, s1
	s_cbranch_execz .LBB312_44
.LBB312_59:                             ;   in Loop: Header=BB312_18 Depth=2
	s_wait_dscnt 0x0
	ds_bpermute_b32 v5, v39, v32
	ds_bpermute_b32 v42, v39, v33
	s_wait_dscnt 0x0
	v_dual_add_f32 v5, v32, v5 :: v_dual_add_f32 v32, v33, v42
	ds_bpermute_b32 v33, v40, v5
	ds_bpermute_b32 v42, v40, v32
	s_wait_dscnt 0x1
	v_add_f32_e32 v5, v5, v33
	s_wait_dscnt 0x0
	v_add_f32_e32 v33, v32, v42
	ds_bpermute_b32 v32, v41, v5
	s_wait_dscnt 0x0
	v_add_f32_e32 v32, v5, v32
	ds_bpermute_b32 v42, v41, v33
	s_wait_dscnt 0x0
	v_add_f32_e32 v33, v33, v42
	s_wait_alu 0xfffe
	s_or_b32 exec_lo, exec_lo, s6
	s_and_saveexec_b32 s6, s0
	s_cbranch_execz .LBB312_17
.LBB312_60:                             ;   in Loop: Header=BB312_18 Depth=2
	v_dual_mul_f32 v5, s15, v27 :: v_dual_mul_f32 v44, s15, v29
	v_mul_f32_e32 v43, s14, v27
	v_mul_f32_e32 v27, s14, v29
	s_or_b32 s64, s24, 1
	s_mov_b32 s65, s25
	s_mul_u64 s[8:9], s[24:25], s[28:29]
	v_fma_f32 v42, v26, s14, -v5
	s_mul_u64 s[64:65], s[64:65], s[28:29]
	v_fmac_f32_e32 v43, s15, v26
	s_wait_alu 0xfffe
	s_lshl_b64 s[8:9], s[8:9], 3
	v_fma_f32 v26, v28, s14, -v44
	v_fmac_f32_e32 v27, s15, v28
	v_mul_f32_e32 v5, s15, v31
	s_lshl_b64 s[64:65], s[64:65], 3
	s_wait_alu 0xfffe
	s_add_nc_u64 s[8:9], s[54:55], s[8:9]
	s_add_nc_u64 s[64:65], s[54:55], s[64:65]
	s_clause 0x1
	global_store_b64 v4, v[42:43], s[8:9]
	global_store_b64 v4, v[26:27], s[64:65]
	v_mul_f32_e32 v27, s14, v31
	v_fma_f32 v26, v30, s14, -v5
	s_wait_dscnt 0x0
	v_mul_f32_e32 v5, s15, v33
	v_mul_f32_e32 v29, s14, v33
	s_or_b32 s8, s24, 2
	s_mov_b32 s9, s25
	s_or_b32 s64, s24, 3
	s_mov_b32 s65, s25
	s_wait_alu 0xfffe
	s_mul_u64 s[8:9], s[8:9], s[28:29]
	s_mul_u64 s[64:65], s[64:65], s[28:29]
	v_fmac_f32_e32 v27, s15, v30
	s_wait_alu 0xfffe
	s_lshl_b64 s[8:9], s[8:9], 3
	v_fma_f32 v28, v32, s14, -v5
	v_fmac_f32_e32 v29, s15, v32
	s_lshl_b64 s[64:65], s[64:65], 3
	s_wait_alu 0xfffe
	s_add_nc_u64 s[8:9], s[54:55], s[8:9]
	s_add_nc_u64 s[64:65], s[54:55], s[64:65]
	s_clause 0x1
	global_store_b64 v4, v[26:27], s[8:9]
	global_store_b64 v4, v[28:29], s[64:65]
	s_branch .LBB312_17
.LBB312_61:                             ;   in Loop: Header=BB312_18 Depth=2
	v_dual_mov_b32 v42, 0 :: v_dual_mov_b32 v43, 0
	v_dual_mov_b32 v28, 0 :: v_dual_mov_b32 v29, 0
	;; [unrolled: 1-line block ×4, first 2 shown]
.LBB312_62:                             ;   in Loop: Header=BB312_18 Depth=2
	s_wait_alu 0xfffe
	s_or_b32 exec_lo, exec_lo, s7
	s_delay_alu instid0(SALU_CYCLE_1)
	s_or_b32 exec_lo, exec_lo, s6
	s_and_saveexec_b32 s6, s1
	s_cbranch_execnz .LBB312_21
	s_branch .LBB312_22
.LBB312_63:                             ;   in Loop: Header=BB312_3 Depth=1
	s_mov_b32 s24, 0
.LBB312_64:                             ;   in Loop: Header=BB312_3 Depth=1
	s_wait_alu 0xfffe
	s_cmp_ge_i32 s24, s13
	s_cbranch_scc1 .LBB312_2
; %bb.65:                               ;   in Loop: Header=BB312_3 Depth=1
	v_cmp_gt_u32_e32 vcc_lo, 24, v36
	v_mad_co_u64_u32 v[16:17], null, s52, s24, v[12:13]
	s_wait_alu 0xfffd
	v_cndmask_b32_e64 v5, 0, 8, vcc_lo
	v_cmp_gt_u32_e32 vcc_lo, 28, v36
	s_delay_alu instid0(VALU_DEP_2) | instskip(SKIP_3) | instid1(VALU_DEP_2)
	v_add_lshl_u32 v26, v5, v36, 2
	s_wait_alu 0xfffd
	v_cndmask_b32_e64 v18, 0, 4, vcc_lo
	v_cmp_gt_u32_e32 vcc_lo, 30, v36
	v_add_lshl_u32 v27, v18, v36, 2
	s_wait_alu 0xfffd
	v_cndmask_b32_e64 v5, 0, 2, vcc_lo
	v_cmp_ne_u32_e32 vcc_lo, 31, v36
	s_delay_alu instid0(VALU_DEP_2)
	v_add_lshl_u32 v28, v5, v36, 2
	v_mov_b32_e32 v5, v17
	s_wait_alu 0xfffd
	v_add_co_ci_u32_e64 v19, null, 0, v36, vcc_lo
	v_add_co_u32 v18, vcc_lo, v14, v0
	s_wait_dscnt 0x0
	v_mad_co_u64_u32 v[24:25], null, s53, s24, v[5:6]
	s_delay_alu instid0(VALU_DEP_3)
	v_lshlrev_b32_e32 v29, 2, v19
	s_wait_alu 0xfffd
	v_add_co_ci_u32_e64 v19, null, v15, v1, vcc_lo
	v_add_co_u32 v20, vcc_lo, v14, v6
	s_wait_alu 0xfffd
	v_add_co_ci_u32_e64 v21, null, v15, v7, vcc_lo
	v_add_co_u32 v22, vcc_lo, v14, v8
	;; [unrolled: 3-line block ×3, first 2 shown]
	s_wait_alu 0xfffd
	v_add_co_ci_u32_e64 v15, null, v15, v11, vcc_lo
	v_mov_b32_e32 v17, v24
	s_branch .LBB312_67
.LBB312_66:                             ;   in Loop: Header=BB312_67 Depth=2
	s_wait_alu 0xfffe
	s_or_b32 exec_lo, exec_lo, s6
	v_add_co_u32 v16, vcc_lo, v16, s52
	s_wait_alu 0xfffd
	v_add_co_ci_u32_e64 v17, null, s53, v17, vcc_lo
	s_add_co_i32 s24, s24, 1
	s_wait_alu 0xfffe
	s_cmp_lt_i32 s24, s13
	s_cbranch_scc0 .LBB312_2
.LBB312_67:                             ;   Parent Loop BB312_3 Depth=1
                                        ; =>  This Loop Header: Depth=2
                                        ;       Child Loop BB312_79 Depth 3
                                        ;       Child Loop BB312_81 Depth 3
                                        ; implicit-def: $vgpr30
                                        ; implicit-def: $vgpr31
	s_and_saveexec_b32 s6, s2
	s_wait_alu 0xfffe
	s_xor_b32 s6, exec_lo, s6
	s_cbranch_execnz .LBB312_76
; %bb.68:                               ;   in Loop: Header=BB312_67 Depth=2
	s_wait_alu 0xfffe
	s_and_not1_saveexec_b32 s6, s6
	s_cbranch_execnz .LBB312_77
.LBB312_69:                             ;   in Loop: Header=BB312_67 Depth=2
	s_wait_alu 0xfffe
	s_or_b32 exec_lo, exec_lo, s6
	s_and_saveexec_b32 s6, s1
.LBB312_70:                             ;   in Loop: Header=BB312_67 Depth=2
	v_mov_b32_e32 v5, v4
	ds_store_b64 v34, v[4:5]
.LBB312_71:                             ;   in Loop: Header=BB312_67 Depth=2
	s_wait_alu 0xfffe
	s_or_b32 exec_lo, exec_lo, s6
	ds_bpermute_b32 v5, v37, v30
	s_wait_dscnt 0x1
	ds_bpermute_b32 v24, v37, v31
	s_wait_storecnt 0x0
	s_wait_loadcnt_dscnt 0x0
	s_barrier_signal -1
	s_barrier_wait -1
	global_inv scope:SCOPE_SE
	v_dual_add_f32 v5, v30, v5 :: v_dual_add_f32 v24, v31, v24
	ds_bpermute_b32 v25, v26, v5
	ds_bpermute_b32 v30, v26, v24
	s_wait_dscnt 0x0
	v_dual_add_f32 v5, v5, v25 :: v_dual_add_f32 v24, v24, v30
	ds_bpermute_b32 v25, v27, v5
	ds_bpermute_b32 v30, v27, v24
	s_wait_dscnt 0x0
	;; [unrolled: 4-line block ×3, first 2 shown]
	v_dual_add_f32 v5, v5, v25 :: v_dual_add_f32 v24, v24, v30
	ds_bpermute_b32 v25, v29, v5
	ds_bpermute_b32 v30, v29, v24
	s_and_saveexec_b32 s6, s4
	s_cbranch_execz .LBB312_73
; %bb.72:                               ;   in Loop: Header=BB312_67 Depth=2
	s_wait_dscnt 0x0
	v_dual_add_f32 v31, v24, v30 :: v_dual_add_f32 v30, v5, v25
	ds_store_b64 v35, v[30:31]
.LBB312_73:                             ;   in Loop: Header=BB312_67 Depth=2
	s_wait_alu 0xfffe
	s_or_b32 exec_lo, exec_lo, s6
	s_wait_dscnt 0x1
	v_dual_mov_b32 v25, 0 :: v_dual_mov_b32 v24, 0
	s_wait_loadcnt_dscnt 0x0
	s_barrier_signal -1
	s_barrier_wait -1
	global_inv scope:SCOPE_SE
	s_and_saveexec_b32 s6, s5
	s_cbranch_execnz .LBB312_83
; %bb.74:                               ;   in Loop: Header=BB312_67 Depth=2
	s_wait_alu 0xfffe
	s_or_b32 exec_lo, exec_lo, s6
	s_and_saveexec_b32 s6, s1
	s_cbranch_execnz .LBB312_84
.LBB312_75:                             ;   in Loop: Header=BB312_67 Depth=2
	s_wait_alu 0xfffe
	s_or_b32 exec_lo, exec_lo, s6
	s_and_saveexec_b32 s6, s0
	s_cbranch_execz .LBB312_66
	s_branch .LBB312_85
.LBB312_76:                             ;   in Loop: Header=BB312_67 Depth=2
	s_mul_u64 s[8:9], s[24:25], s[26:27]
	s_wait_alu 0xfffe
	s_lshl_b64 s[8:9], s[8:9], 3
	s_wait_dscnt 0x0
	s_wait_alu 0xfffe
	v_add_co_u32 v24, vcc_lo, v12, s8
	s_wait_alu 0xfffd
	v_add_co_ci_u32_e64 v25, null, s9, v13, vcc_lo
	s_wait_dscnt 0x0
	flat_load_b128 v[30:33], v[24:25]
	s_clause 0x1
	flat_load_b64 v[38:39], v[18:19]
	flat_load_b64 v[40:41], v[20:21]
	flat_load_b128 v[42:45], v[24:25] offset:16
	s_clause 0x1
	flat_load_b64 v[46:47], v[22:23]
	flat_load_b64 v[48:49], v[14:15]
	s_wait_loadcnt_dscnt 0x303
	scratch_store_b128 off, v[38:41], off
	s_wait_loadcnt_dscnt 0x0
	scratch_store_b128 off, v[46:49], off offset:16
	v_mul_f32_e32 v5, v39, v31
	v_dual_mul_f32 v24, v38, v31 :: v_dual_mul_f32 v25, v41, v33
	v_mul_f32_e32 v31, v40, v33
	s_delay_alu instid0(VALU_DEP_3) | instskip(NEXT) | instid1(VALU_DEP_3)
	v_fma_f32 v5, v38, v30, -v5
	v_fmac_f32_e32 v24, v39, v30
	v_mul_f32_e32 v33, v47, v43
	v_mul_f32_e32 v43, v46, v43
	v_fma_f32 v25, v40, v32, -v25
	v_fmac_f32_e32 v31, v41, v32
	v_dual_add_f32 v24, 0, v24 :: v_dual_add_f32 v5, 0, v5
	v_mul_f32_e32 v30, v49, v45
	v_mul_f32_e32 v32, v48, v45
	v_fma_f32 v33, v46, v42, -v33
	s_delay_alu instid0(VALU_DEP_4) | instskip(SKIP_3) | instid1(VALU_DEP_3)
	v_dual_fmac_f32 v43, v47, v42 :: v_dual_add_f32 v24, v24, v31
	v_add_f32_e32 v5, v5, v25
	v_fma_f32 v25, v48, v44, -v30
	v_fmac_f32_e32 v32, v49, v44
	v_dual_add_f32 v24, v24, v43 :: v_dual_add_f32 v5, v5, v33
	s_delay_alu instid0(VALU_DEP_1)
	v_dual_add_f32 v31, v24, v32 :: v_dual_add_f32 v30, v5, v25
	s_and_not1_saveexec_b32 s6, s6
	s_cbranch_execz .LBB312_69
.LBB312_77:                             ;   in Loop: Header=BB312_67 Depth=2
	v_dual_mov_b32 v30, 0 :: v_dual_mov_b32 v31, 0
	s_and_saveexec_b32 s7, s12
	s_cbranch_execz .LBB312_82
; %bb.78:                               ;   in Loop: Header=BB312_67 Depth=2
	s_wait_dscnt 0x0
	v_dual_mov_b32 v25, v19 :: v_dual_mov_b32 v24, v18
	s_mov_b32 s8, 0
	s_mov_b32 s9, s60
.LBB312_79:                             ;   Parent Loop BB312_3 Depth=1
                                        ;     Parent Loop BB312_67 Depth=2
                                        ; =>    This Inner Loop Header: Depth=3
	flat_load_b64 v[30:31], v[24:25]
	v_add_co_u32 v24, vcc_lo, v24, s44
	s_wait_alu 0xfffd
	v_add_co_ci_u32_e64 v25, null, s45, v25, vcc_lo
	s_wait_alu 0xfffe
	s_add_co_i32 s9, s9, -1
	s_wait_loadcnt_dscnt 0x0
	scratch_store_b64 off, v[30:31], s8
	s_add_co_i32 s8, s8, 8
	s_wait_alu 0xfffe
	s_cmp_eq_u32 s9, 0
	s_cbranch_scc0 .LBB312_79
; %bb.80:                               ;   in Loop: Header=BB312_67 Depth=2
	v_dual_mov_b32 v30, 0 :: v_dual_mov_b32 v25, v17
	v_dual_mov_b32 v24, v16 :: v_dual_mov_b32 v31, 0
	s_mov_b32 s8, s63
	s_mov_b32 s9, s60
.LBB312_81:                             ;   Parent Loop BB312_3 Depth=1
                                        ;     Parent Loop BB312_67 Depth=2
                                        ; =>    This Inner Loop Header: Depth=3
	flat_load_b64 v[32:33], v[24:25]
	scratch_load_b64 v[38:39], off, s8 offset:-4
	v_add_co_u32 v24, vcc_lo, v24, 8
	s_wait_alu 0xfffd
	v_add_co_ci_u32_e64 v25, null, 0, v25, vcc_lo
	s_wait_alu 0xfffe
	s_add_co_i32 s9, s9, -1
	s_add_co_i32 s8, s8, 8
	s_wait_alu 0xfffe
	s_cmp_lg_u32 s9, 0
	s_wait_loadcnt_dscnt 0x0
	v_mul_f32_e32 v5, v39, v33
	v_mul_f32_e32 v33, v38, v33
	s_delay_alu instid0(VALU_DEP_2) | instskip(NEXT) | instid1(VALU_DEP_1)
	v_fma_f32 v5, v38, v32, -v5
	v_dual_fmac_f32 v33, v39, v32 :: v_dual_add_f32 v30, v30, v5
	s_delay_alu instid0(VALU_DEP_1)
	v_add_f32_e32 v31, v31, v33
	s_cbranch_scc1 .LBB312_81
.LBB312_82:                             ;   in Loop: Header=BB312_67 Depth=2
	s_wait_alu 0xfffe
	s_or_b32 exec_lo, exec_lo, s7
	s_delay_alu instid0(SALU_CYCLE_1)
	s_or_b32 exec_lo, exec_lo, s6
	s_and_saveexec_b32 s6, s1
	s_cbranch_execnz .LBB312_70
	s_branch .LBB312_71
.LBB312_83:                             ;   in Loop: Header=BB312_67 Depth=2
	ds_load_b64 v[24:25], v34
	s_wait_alu 0xfffe
	s_or_b32 exec_lo, exec_lo, s6
	s_and_saveexec_b32 s6, s1
	s_cbranch_execz .LBB312_75
.LBB312_84:                             ;   in Loop: Header=BB312_67 Depth=2
	s_wait_dscnt 0x0
	ds_bpermute_b32 v5, v27, v24
	ds_bpermute_b32 v30, v27, v25
	s_wait_dscnt 0x0
	v_dual_add_f32 v5, v24, v5 :: v_dual_add_f32 v24, v25, v30
	ds_bpermute_b32 v25, v28, v5
	ds_bpermute_b32 v30, v28, v24
	s_wait_dscnt 0x1
	v_add_f32_e32 v5, v5, v25
	s_wait_dscnt 0x0
	v_add_f32_e32 v25, v24, v30
	ds_bpermute_b32 v24, v29, v5
	s_wait_dscnt 0x0
	v_add_f32_e32 v24, v5, v24
	ds_bpermute_b32 v30, v29, v25
	s_wait_dscnt 0x0
	v_add_f32_e32 v25, v25, v30
	s_wait_alu 0xfffe
	s_or_b32 exec_lo, exec_lo, s6
	s_and_saveexec_b32 s6, s0
	s_cbranch_execz .LBB312_66
.LBB312_85:                             ;   in Loop: Header=BB312_67 Depth=2
	s_wait_dscnt 0x0
	v_mul_f32_e32 v5, s15, v25
	v_mul_f32_e32 v31, s14, v25
	s_mul_u64 s[8:9], s[24:25], s[28:29]
	s_wait_alu 0xfffe
	s_lshl_b64 s[8:9], s[8:9], 3
	v_fma_f32 v30, v24, s14, -v5
	v_fmac_f32_e32 v31, s15, v24
	s_wait_alu 0xfffe
	s_add_nc_u64 s[8:9], s[54:55], s[8:9]
	global_store_b64 v4, v[30:31], s[8:9]
	s_branch .LBB312_66
.LBB312_86:
	s_endpgm
	.section	.rodata,"a",@progbits
	.p2align	6, 0x0
	.amdhsa_kernel _ZL23rocblas_gemvt_sn_kernelILb0ELi256ELi4ElPK19rocblas_complex_numIfES1_S1_EviiT4_lPKT3_lilS7_lilPT5_i
		.amdhsa_group_segment_fixed_size 256
		.amdhsa_private_segment_fixed_size 48
		.amdhsa_kernarg_size 360
		.amdhsa_user_sgpr_count 2
		.amdhsa_user_sgpr_dispatch_ptr 0
		.amdhsa_user_sgpr_queue_ptr 0
		.amdhsa_user_sgpr_kernarg_segment_ptr 1
		.amdhsa_user_sgpr_dispatch_id 0
		.amdhsa_user_sgpr_private_segment_size 0
		.amdhsa_wavefront_size32 1
		.amdhsa_uses_dynamic_stack 0
		.amdhsa_enable_private_segment 1
		.amdhsa_system_sgpr_workgroup_id_x 1
		.amdhsa_system_sgpr_workgroup_id_y 0
		.amdhsa_system_sgpr_workgroup_id_z 1
		.amdhsa_system_sgpr_workgroup_info 0
		.amdhsa_system_vgpr_workitem_id 0
		.amdhsa_next_free_vgpr 89
		.amdhsa_next_free_sgpr 66
		.amdhsa_reserve_vcc 1
		.amdhsa_float_round_mode_32 0
		.amdhsa_float_round_mode_16_64 0
		.amdhsa_float_denorm_mode_32 3
		.amdhsa_float_denorm_mode_16_64 3
		.amdhsa_fp16_overflow 0
		.amdhsa_workgroup_processor_mode 1
		.amdhsa_memory_ordered 1
		.amdhsa_forward_progress 1
		.amdhsa_inst_pref_size 46
		.amdhsa_round_robin_scheduling 0
		.amdhsa_exception_fp_ieee_invalid_op 0
		.amdhsa_exception_fp_denorm_src 0
		.amdhsa_exception_fp_ieee_div_zero 0
		.amdhsa_exception_fp_ieee_overflow 0
		.amdhsa_exception_fp_ieee_underflow 0
		.amdhsa_exception_fp_ieee_inexact 0
		.amdhsa_exception_int_div_zero 0
	.end_amdhsa_kernel
	.section	.text._ZL23rocblas_gemvt_sn_kernelILb0ELi256ELi4ElPK19rocblas_complex_numIfES1_S1_EviiT4_lPKT3_lilS7_lilPT5_i,"axG",@progbits,_ZL23rocblas_gemvt_sn_kernelILb0ELi256ELi4ElPK19rocblas_complex_numIfES1_S1_EviiT4_lPKT3_lilS7_lilPT5_i,comdat
.Lfunc_end312:
	.size	_ZL23rocblas_gemvt_sn_kernelILb0ELi256ELi4ElPK19rocblas_complex_numIfES1_S1_EviiT4_lPKT3_lilS7_lilPT5_i, .Lfunc_end312-_ZL23rocblas_gemvt_sn_kernelILb0ELi256ELi4ElPK19rocblas_complex_numIfES1_S1_EviiT4_lPKT3_lilS7_lilPT5_i
                                        ; -- End function
	.set _ZL23rocblas_gemvt_sn_kernelILb0ELi256ELi4ElPK19rocblas_complex_numIfES1_S1_EviiT4_lPKT3_lilS7_lilPT5_i.num_vgpr, 89
	.set _ZL23rocblas_gemvt_sn_kernelILb0ELi256ELi4ElPK19rocblas_complex_numIfES1_S1_EviiT4_lPKT3_lilS7_lilPT5_i.num_agpr, 0
	.set _ZL23rocblas_gemvt_sn_kernelILb0ELi256ELi4ElPK19rocblas_complex_numIfES1_S1_EviiT4_lPKT3_lilS7_lilPT5_i.numbered_sgpr, 66
	.set _ZL23rocblas_gemvt_sn_kernelILb0ELi256ELi4ElPK19rocblas_complex_numIfES1_S1_EviiT4_lPKT3_lilS7_lilPT5_i.num_named_barrier, 0
	.set _ZL23rocblas_gemvt_sn_kernelILb0ELi256ELi4ElPK19rocblas_complex_numIfES1_S1_EviiT4_lPKT3_lilS7_lilPT5_i.private_seg_size, 48
	.set _ZL23rocblas_gemvt_sn_kernelILb0ELi256ELi4ElPK19rocblas_complex_numIfES1_S1_EviiT4_lPKT3_lilS7_lilPT5_i.uses_vcc, 1
	.set _ZL23rocblas_gemvt_sn_kernelILb0ELi256ELi4ElPK19rocblas_complex_numIfES1_S1_EviiT4_lPKT3_lilS7_lilPT5_i.uses_flat_scratch, 1
	.set _ZL23rocblas_gemvt_sn_kernelILb0ELi256ELi4ElPK19rocblas_complex_numIfES1_S1_EviiT4_lPKT3_lilS7_lilPT5_i.has_dyn_sized_stack, 0
	.set _ZL23rocblas_gemvt_sn_kernelILb0ELi256ELi4ElPK19rocblas_complex_numIfES1_S1_EviiT4_lPKT3_lilS7_lilPT5_i.has_recursion, 0
	.set _ZL23rocblas_gemvt_sn_kernelILb0ELi256ELi4ElPK19rocblas_complex_numIfES1_S1_EviiT4_lPKT3_lilS7_lilPT5_i.has_indirect_call, 0
	.section	.AMDGPU.csdata,"",@progbits
; Kernel info:
; codeLenInByte = 5780
; TotalNumSgprs: 68
; NumVgprs: 89
; ScratchSize: 48
; MemoryBound: 0
; FloatMode: 240
; IeeeMode: 1
; LDSByteSize: 256 bytes/workgroup (compile time only)
; SGPRBlocks: 0
; VGPRBlocks: 11
; NumSGPRsForWavesPerEU: 68
; NumVGPRsForWavesPerEU: 89
; Occupancy: 16
; WaveLimiterHint : 1
; COMPUTE_PGM_RSRC2:SCRATCH_EN: 1
; COMPUTE_PGM_RSRC2:USER_SGPR: 2
; COMPUTE_PGM_RSRC2:TRAP_HANDLER: 0
; COMPUTE_PGM_RSRC2:TGID_X_EN: 1
; COMPUTE_PGM_RSRC2:TGID_Y_EN: 0
; COMPUTE_PGM_RSRC2:TGID_Z_EN: 1
; COMPUTE_PGM_RSRC2:TIDIG_COMP_CNT: 0
	.section	.text._ZL23rocblas_gemvt_sn_reduceILi256ELi8E19rocblas_complex_numIfES1_KPS1_EviT2_lPT3_lilPT1_i,"axG",@progbits,_ZL23rocblas_gemvt_sn_reduceILi256ELi8E19rocblas_complex_numIfES1_KPS1_EviT2_lPT3_lilPT1_i,comdat
	.globl	_ZL23rocblas_gemvt_sn_reduceILi256ELi8E19rocblas_complex_numIfES1_KPS1_EviT2_lPT3_lilPT1_i ; -- Begin function _ZL23rocblas_gemvt_sn_reduceILi256ELi8E19rocblas_complex_numIfES1_KPS1_EviT2_lPT3_lilPT1_i
	.p2align	8
	.type	_ZL23rocblas_gemvt_sn_reduceILi256ELi8E19rocblas_complex_numIfES1_KPS1_EviT2_lPT3_lilPT1_i,@function
_ZL23rocblas_gemvt_sn_reduceILi256ELi8E19rocblas_complex_numIfES1_KPS1_EviT2_lPT3_lilPT1_i: ; @_ZL23rocblas_gemvt_sn_reduceILi256ELi8E19rocblas_complex_numIfES1_KPS1_EviT2_lPT3_lilPT1_i
; %bb.0:
	s_load_b32 s7, s[0:1], 0x40
	s_lshr_b32 s16, ttmp7, 16
	s_wait_kmcnt 0x0
	s_cmp_ge_u32 s16, s7
	s_cbranch_scc1 .LBB313_21
; %bb.1:
	v_mbcnt_lo_u32_b32 v2, -1, 0
	s_clause 0x5
	s_load_b32 s15, s[0:1], 0x4c
	s_load_b32 s2, s[0:1], 0x54
	s_load_b32 s24, s[0:1], 0x28
	s_load_b96 s[12:14], s[0:1], 0x0
	s_load_b64 s[18:19], s[0:1], 0x38
	s_load_b128 s[8:11], s[0:1], 0x18
	v_and_b32_e32 v3, 31, v0
	v_mov_b32_e32 v1, 0
	s_and_b32 s20, ttmp7, 0xffff
	v_cmp_gt_u32_e32 vcc_lo, 24, v2
	v_lshl_or_b32 v13, v2, 2, 64
	v_cmp_gt_u32_e64 s0, 32, v0
	v_lshlrev_b32_e32 v12, 3, v3
	v_dual_mov_b32 v6, v1 :: v_dual_lshlrev_b32 v11, 3, v0
	v_cndmask_b32_e64 v4, 0, 8, vcc_lo
	v_cmp_gt_u32_e32 vcc_lo, 28, v2
	v_cmp_gt_u32_e64 s4, 8, v0
	v_cmp_eq_u32_e64 s5, 0, v0
	s_mov_b32 s17, 0
	v_add_lshl_u32 v14, v4, v2, 2
	s_wait_alu 0xfffd
	v_cndmask_b32_e64 v4, 0, 4, vcc_lo
	v_cmp_gt_u32_e32 vcc_lo, 30, v2
	s_wait_kmcnt 0x0
	s_ashr_i32 s23, s12, 31
	s_and_b32 s6, s2, 0xffff
	s_lshr_b32 s1, s23, 29
	v_add_lshl_u32 v15, v4, v2, 2
	s_wait_alu 0xfffd
	v_cndmask_b32_e64 v7, 0, 2, vcc_lo
	v_cmp_ne_u32_e32 vcc_lo, 31, v2
	s_add_co_i32 s1, s12, s1
	s_ashr_i32 s25, s24, 31
	s_and_b32 s28, s1, -8
	v_add_lshl_u32 v16, v7, v2, 2
	s_wait_alu 0xfffd
	v_add_co_ci_u32_e64 v8, null, 0, v2, vcc_lo
	v_lshlrev_b32_e32 v2, 6, v0
	s_sub_co_i32 s2, s12, s28
	s_lshl_b32 s29, s6, 3
	s_mov_b32 s22, s12
	v_xad_u32 v5, v0, -1, s12
	v_cmp_gt_u32_e64 s2, s2, v0
	v_lshrrev_b32_e32 v4, 2, v0
	s_cmp_neq_f32 s13, 0
	v_add_co_u32 v0, s12, s18, v2
	s_wait_alu 0xf1ff
	v_add_co_ci_u32_e64 v2, null, s19, 0, s12
	s_cselect_b32 s30, -1, 0
	s_cmp_neq_f32 s14, 0
	v_cmp_eq_u32_e64 s3, 0, v3
	v_add_co_u32 v3, vcc_lo, v0, 60
	s_mov_b32 s21, s17
	v_lshlrev_b64_e32 v[5:6], 3, v[5:6]
	v_cmp_gt_i32_e64 s1, s28, v11
	v_lshlrev_b32_e32 v17, 2, v8
	v_and_b32_e32 v18, 56, v4
	s_wait_alu 0xfffd
	v_add_co_ci_u32_e64 v4, null, 0, v2, vcc_lo
	s_cselect_b32 s31, -1, 0
	s_mul_u64 s[26:27], s[24:25], s[20:21]
	s_mul_i32 s12, s16, s15
	s_lshl_b64 s[24:25], s[22:23], 3
	s_wait_alu 0xfffe
	s_add_co_i32 s12, s20, s12
	s_lshl_b32 s21, s15, 16
	s_or_b32 s30, s30, s31
	s_lshl_b32 s31, s6, 6
	s_lshl_b64 s[10:11], s[10:11], 3
	s_lshl_b64 s[26:27], s[26:27], 3
	s_branch .LBB313_4
.LBB313_2:                              ;   in Loop: Header=BB313_4 Depth=1
	v_add_co_u32 v7, vcc_lo, v0, s26
	s_wait_alu 0xfffd
	v_add_co_ci_u32_e64 v8, null, s27, v2, vcc_lo
	s_wait_dscnt 0x0
	flat_store_b64 v[7:8], v[9:10]
.LBB313_3:                              ;   in Loop: Header=BB313_4 Depth=1
	s_or_b32 exec_lo, exec_lo, s6
	s_add_co_i32 s16, s16, 0x10000
	s_wait_alu 0xfffe
	s_add_co_i32 s12, s12, s21
	s_cmp_lt_u32 s16, s7
	s_cbranch_scc0 .LBB313_21
.LBB313_4:                              ; =>This Loop Header: Depth=1
                                        ;     Child Loop BB313_14 Depth 2
	s_lshl_b64 s[34:35], s[16:17], 3
	v_dual_mov_b32 v0, 0 :: v_dual_mov_b32 v19, 0
	s_wait_alu 0xfffe
	s_add_nc_u64 s[34:35], s[8:9], s[34:35]
	global_load_b64 v[7:8], v1, s[34:35]
	s_and_saveexec_b32 s33, s1
	s_cbranch_execnz .LBB313_13
; %bb.5:                                ;   in Loop: Header=BB313_4 Depth=1
	s_or_b32 exec_lo, exec_lo, s33
	s_and_saveexec_b32 s6, s2
	s_cbranch_execnz .LBB313_16
.LBB313_6:                              ;   in Loop: Header=BB313_4 Depth=1
	s_or_b32 exec_lo, exec_lo, s6
	s_and_saveexec_b32 s6, s0
.LBB313_7:                              ;   in Loop: Header=BB313_4 Depth=1
	v_mov_b32_e32 v2, v1
	ds_store_b64 v12, v[1:2]
.LBB313_8:                              ;   in Loop: Header=BB313_4 Depth=1
	s_or_b32 exec_lo, exec_lo, s6
	s_wait_dscnt 0x0
	ds_bpermute_b32 v9, v13, v0
	ds_bpermute_b32 v2, v13, v19
	s_wait_loadcnt_dscnt 0x0
	s_barrier_signal -1
	s_barrier_wait -1
	global_inv scope:SCOPE_SE
	v_add_f32_e32 v0, v0, v9
	v_add_f32_e32 v2, v19, v2
	ds_bpermute_b32 v10, v14, v0
	ds_bpermute_b32 v9, v14, v2
	s_wait_dscnt 0x1
	v_add_f32_e32 v0, v0, v10
	ds_bpermute_b32 v10, v15, v0
	s_wait_dscnt 0x1
	v_add_f32_e32 v2, v2, v9
	ds_bpermute_b32 v9, v15, v2
	s_wait_dscnt 0x0
	v_dual_add_f32 v2, v2, v9 :: v_dual_add_f32 v9, v0, v10
	ds_bpermute_b32 v0, v16, v2
	ds_bpermute_b32 v10, v16, v9
	s_wait_dscnt 0x1
	v_add_f32_e32 v0, v2, v0
	s_wait_dscnt 0x0
	v_add_f32_e32 v2, v9, v10
	ds_bpermute_b32 v9, v17, v0
	ds_bpermute_b32 v10, v17, v2
	s_and_saveexec_b32 s6, s3
	s_cbranch_execz .LBB313_10
; %bb.9:                                ;   in Loop: Header=BB313_4 Depth=1
	s_wait_dscnt 0x0
	v_dual_add_f32 v10, v2, v10 :: v_dual_add_f32 v9, v0, v9
	ds_store_b64 v18, v[9:10]
.LBB313_10:                             ;   in Loop: Header=BB313_4 Depth=1
	s_or_b32 exec_lo, exec_lo, s6
	s_wait_dscnt 0x0
	v_dual_mov_b32 v10, 0 :: v_dual_mov_b32 v9, 0
	s_wait_loadcnt 0x0
	s_barrier_signal -1
	s_barrier_wait -1
	global_inv scope:SCOPE_SE
	s_and_saveexec_b32 s6, s4
	s_cbranch_execnz .LBB313_17
; %bb.11:                               ;   in Loop: Header=BB313_4 Depth=1
	s_or_b32 exec_lo, exec_lo, s6
	s_and_saveexec_b32 s6, s0
	s_cbranch_execnz .LBB313_18
.LBB313_12:                             ;   in Loop: Header=BB313_4 Depth=1
	s_or_b32 exec_lo, exec_lo, s6
	s_and_saveexec_b32 s6, s5
	s_cbranch_execz .LBB313_3
	s_branch .LBB313_19
.LBB313_13:                             ;   in Loop: Header=BB313_4 Depth=1
	s_wait_dscnt 0x0
	v_mad_co_u64_u32 v[9:10], null, s24, s12, v[3:4]
	v_mov_b32_e32 v2, v11
	s_mov_b32 s34, 0
	s_delay_alu instid0(VALU_DEP_2) | instskip(NEXT) | instid1(VALU_DEP_1)
	v_mov_b32_e32 v0, v10
	v_mad_co_u64_u32 v[19:20], null, s25, s12, v[0:1]
	v_mov_b32_e32 v0, 0
	s_delay_alu instid0(VALU_DEP_2)
	v_dual_mov_b32 v10, v19 :: v_dual_mov_b32 v19, 0
.LBB313_14:                             ;   Parent Loop BB313_4 Depth=1
                                        ; =>  This Inner Loop Header: Depth=2
	s_clause 0x3
	global_load_b128 v[20:23], v[9:10], off offset:-60
	global_load_b128 v[24:27], v[9:10], off offset:-44
	;; [unrolled: 1-line block ×4, first 2 shown]
	v_add_co_u32 v9, vcc_lo, v9, s31
	s_wait_alu 0xfffd
	v_add_co_ci_u32_e64 v10, null, 0, v10, vcc_lo
	s_wait_loadcnt 0x3
	v_dual_add_f32 v19, v19, v20 :: v_dual_add_f32 v0, v0, v21
	s_delay_alu instid0(VALU_DEP_1) | instskip(SKIP_1) | instid1(VALU_DEP_1)
	v_dual_add_f32 v19, v19, v22 :: v_dual_add_f32 v0, v0, v23
	s_wait_loadcnt 0x2
	v_dual_add_f32 v19, v19, v24 :: v_dual_add_f32 v0, v0, v25
	s_delay_alu instid0(VALU_DEP_1) | instskip(SKIP_1) | instid1(VALU_DEP_1)
	v_dual_add_f32 v19, v19, v26 :: v_dual_add_f32 v0, v0, v27
	;; [unrolled: 4-line block ×3, first 2 shown]
	s_wait_loadcnt 0x0
	v_dual_add_f32 v19, v19, v32 :: v_dual_add_nc_u32 v2, s29, v2
	s_delay_alu instid0(VALU_DEP_2) | instskip(NEXT) | instid1(VALU_DEP_2)
	v_add_f32_e32 v0, v0, v33
	v_cmp_le_i32_e64 s6, s28, v2
	s_delay_alu instid0(VALU_DEP_2)
	v_dual_add_f32 v19, v19, v34 :: v_dual_add_f32 v0, v0, v35
	s_wait_alu 0xfffe
	s_or_b32 s34, s6, s34
	s_wait_alu 0xfffe
	s_and_not1_b32 exec_lo, exec_lo, s34
	s_cbranch_execnz .LBB313_14
; %bb.15:                               ;   in Loop: Header=BB313_4 Depth=1
	s_or_b32 exec_lo, exec_lo, s34
	s_delay_alu instid0(SALU_CYCLE_1)
	s_or_b32 exec_lo, exec_lo, s33
	s_and_saveexec_b32 s6, s2
	s_cbranch_execz .LBB313_6
.LBB313_16:                             ;   in Loop: Header=BB313_4 Depth=1
	s_mul_i32 s33, s15, s16
	s_mov_b32 s35, s17
	s_add_co_i32 s34, s33, s20
	s_wait_alu 0xfffe
	s_mul_u64 s[34:35], s[34:35], s[22:23]
	s_wait_alu 0xfffe
	s_lshl_b64 s[34:35], s[34:35], 3
	s_wait_alu 0xfffe
	s_add_nc_u64 s[34:35], s[18:19], s[34:35]
	s_wait_dscnt 0x0
	s_wait_alu 0xfffe
	v_add_co_u32 v9, vcc_lo, s34, v5
	s_wait_alu 0xfffd
	v_add_co_ci_u32_e64 v10, null, s35, v6, vcc_lo
	global_load_b64 v[9:10], v[9:10], off
	s_wait_loadcnt 0x0
	v_dual_add_f32 v19, v19, v9 :: v_dual_add_f32 v0, v0, v10
	s_or_b32 exec_lo, exec_lo, s6
	s_and_saveexec_b32 s6, s0
	s_cbranch_execnz .LBB313_7
	s_branch .LBB313_8
.LBB313_17:                             ;   in Loop: Header=BB313_4 Depth=1
	ds_load_b64 v[9:10], v12
	s_or_b32 exec_lo, exec_lo, s6
	s_and_saveexec_b32 s6, s0
	s_cbranch_execz .LBB313_12
.LBB313_18:                             ;   in Loop: Header=BB313_4 Depth=1
	s_wait_dscnt 0x0
	ds_bpermute_b32 v0, v15, v9
	ds_bpermute_b32 v2, v15, v10
	s_wait_dscnt 0x1
	v_add_f32_e32 v0, v9, v0
	ds_bpermute_b32 v9, v16, v0
	s_wait_dscnt 0x0
	v_add_f32_e32 v0, v0, v9
	ds_bpermute_b32 v9, v17, v0
	s_wait_dscnt 0x0
	v_dual_add_f32 v2, v10, v2 :: v_dual_add_f32 v9, v0, v9
	ds_bpermute_b32 v10, v16, v2
	s_wait_dscnt 0x0
	v_add_f32_e32 v2, v2, v10
	ds_bpermute_b32 v10, v17, v2
	s_wait_dscnt 0x0
	v_add_f32_e32 v10, v2, v10
	s_or_b32 exec_lo, exec_lo, s6
	s_and_saveexec_b32 s6, s5
	s_cbranch_execz .LBB313_3
.LBB313_19:                             ;   in Loop: Header=BB313_4 Depth=1
	v_add_co_u32 v0, vcc_lo, v7, s10
	s_wait_alu 0xfffd
	v_add_co_ci_u32_e64 v2, null, s11, v8, vcc_lo
	s_and_not1_b32 vcc_lo, exec_lo, s30
	s_wait_alu 0xfffe
	s_cbranch_vccnz .LBB313_2
; %bb.20:                               ;   in Loop: Header=BB313_4 Depth=1
	v_add_co_u32 v7, vcc_lo, v0, s26
	s_wait_alu 0xfffd
	v_add_co_ci_u32_e64 v8, null, s27, v2, vcc_lo
	flat_load_b64 v[7:8], v[7:8]
	s_wait_loadcnt_dscnt 0x0
	v_mul_f32_e32 v19, s14, v8
	v_mul_f32_e32 v8, s13, v8
	s_delay_alu instid0(VALU_DEP_1) | instskip(NEXT) | instid1(VALU_DEP_3)
	v_fmac_f32_e32 v8, s14, v7
	v_fma_f32 v19, s13, v7, -v19
	s_delay_alu instid0(VALU_DEP_1)
	v_dual_add_f32 v10, v10, v8 :: v_dual_add_f32 v9, v9, v19
	s_branch .LBB313_2
.LBB313_21:
	s_endpgm
	.section	.rodata,"a",@progbits
	.p2align	6, 0x0
	.amdhsa_kernel _ZL23rocblas_gemvt_sn_reduceILi256ELi8E19rocblas_complex_numIfES1_KPS1_EviT2_lPT3_lilPT1_i
		.amdhsa_group_segment_fixed_size 256
		.amdhsa_private_segment_fixed_size 0
		.amdhsa_kernarg_size 328
		.amdhsa_user_sgpr_count 2
		.amdhsa_user_sgpr_dispatch_ptr 0
		.amdhsa_user_sgpr_queue_ptr 0
		.amdhsa_user_sgpr_kernarg_segment_ptr 1
		.amdhsa_user_sgpr_dispatch_id 0
		.amdhsa_user_sgpr_private_segment_size 0
		.amdhsa_wavefront_size32 1
		.amdhsa_uses_dynamic_stack 0
		.amdhsa_enable_private_segment 0
		.amdhsa_system_sgpr_workgroup_id_x 1
		.amdhsa_system_sgpr_workgroup_id_y 1
		.amdhsa_system_sgpr_workgroup_id_z 1
		.amdhsa_system_sgpr_workgroup_info 0
		.amdhsa_system_vgpr_workitem_id 0
		.amdhsa_next_free_vgpr 36
		.amdhsa_next_free_sgpr 36
		.amdhsa_reserve_vcc 1
		.amdhsa_float_round_mode_32 0
		.amdhsa_float_round_mode_16_64 0
		.amdhsa_float_denorm_mode_32 3
		.amdhsa_float_denorm_mode_16_64 3
		.amdhsa_fp16_overflow 0
		.amdhsa_workgroup_processor_mode 1
		.amdhsa_memory_ordered 1
		.amdhsa_forward_progress 1
		.amdhsa_inst_pref_size 12
		.amdhsa_round_robin_scheduling 0
		.amdhsa_exception_fp_ieee_invalid_op 0
		.amdhsa_exception_fp_denorm_src 0
		.amdhsa_exception_fp_ieee_div_zero 0
		.amdhsa_exception_fp_ieee_overflow 0
		.amdhsa_exception_fp_ieee_underflow 0
		.amdhsa_exception_fp_ieee_inexact 0
		.amdhsa_exception_int_div_zero 0
	.end_amdhsa_kernel
	.section	.text._ZL23rocblas_gemvt_sn_reduceILi256ELi8E19rocblas_complex_numIfES1_KPS1_EviT2_lPT3_lilPT1_i,"axG",@progbits,_ZL23rocblas_gemvt_sn_reduceILi256ELi8E19rocblas_complex_numIfES1_KPS1_EviT2_lPT3_lilPT1_i,comdat
.Lfunc_end313:
	.size	_ZL23rocblas_gemvt_sn_reduceILi256ELi8E19rocblas_complex_numIfES1_KPS1_EviT2_lPT3_lilPT1_i, .Lfunc_end313-_ZL23rocblas_gemvt_sn_reduceILi256ELi8E19rocblas_complex_numIfES1_KPS1_EviT2_lPT3_lilPT1_i
                                        ; -- End function
	.set _ZL23rocblas_gemvt_sn_reduceILi256ELi8E19rocblas_complex_numIfES1_KPS1_EviT2_lPT3_lilPT1_i.num_vgpr, 36
	.set _ZL23rocblas_gemvt_sn_reduceILi256ELi8E19rocblas_complex_numIfES1_KPS1_EviT2_lPT3_lilPT1_i.num_agpr, 0
	.set _ZL23rocblas_gemvt_sn_reduceILi256ELi8E19rocblas_complex_numIfES1_KPS1_EviT2_lPT3_lilPT1_i.numbered_sgpr, 36
	.set _ZL23rocblas_gemvt_sn_reduceILi256ELi8E19rocblas_complex_numIfES1_KPS1_EviT2_lPT3_lilPT1_i.num_named_barrier, 0
	.set _ZL23rocblas_gemvt_sn_reduceILi256ELi8E19rocblas_complex_numIfES1_KPS1_EviT2_lPT3_lilPT1_i.private_seg_size, 0
	.set _ZL23rocblas_gemvt_sn_reduceILi256ELi8E19rocblas_complex_numIfES1_KPS1_EviT2_lPT3_lilPT1_i.uses_vcc, 1
	.set _ZL23rocblas_gemvt_sn_reduceILi256ELi8E19rocblas_complex_numIfES1_KPS1_EviT2_lPT3_lilPT1_i.uses_flat_scratch, 0
	.set _ZL23rocblas_gemvt_sn_reduceILi256ELi8E19rocblas_complex_numIfES1_KPS1_EviT2_lPT3_lilPT1_i.has_dyn_sized_stack, 0
	.set _ZL23rocblas_gemvt_sn_reduceILi256ELi8E19rocblas_complex_numIfES1_KPS1_EviT2_lPT3_lilPT1_i.has_recursion, 0
	.set _ZL23rocblas_gemvt_sn_reduceILi256ELi8E19rocblas_complex_numIfES1_KPS1_EviT2_lPT3_lilPT1_i.has_indirect_call, 0
	.section	.AMDGPU.csdata,"",@progbits
; Kernel info:
; codeLenInByte = 1456
; TotalNumSgprs: 38
; NumVgprs: 36
; ScratchSize: 0
; MemoryBound: 0
; FloatMode: 240
; IeeeMode: 1
; LDSByteSize: 256 bytes/workgroup (compile time only)
; SGPRBlocks: 0
; VGPRBlocks: 4
; NumSGPRsForWavesPerEU: 38
; NumVGPRsForWavesPerEU: 36
; Occupancy: 16
; WaveLimiterHint : 1
; COMPUTE_PGM_RSRC2:SCRATCH_EN: 0
; COMPUTE_PGM_RSRC2:USER_SGPR: 2
; COMPUTE_PGM_RSRC2:TRAP_HANDLER: 0
; COMPUTE_PGM_RSRC2:TGID_X_EN: 1
; COMPUTE_PGM_RSRC2:TGID_Y_EN: 1
; COMPUTE_PGM_RSRC2:TGID_Z_EN: 1
; COMPUTE_PGM_RSRC2:TIDIG_COMP_CNT: 0
	.section	.text._ZL32rocblas_gemvt_warp_reduce_kernelILb0ELi256EiPK19rocblas_complex_numIfES3_KPS1_EviiT3_lPKT2_lT1_lS9_lSA_lS6_lPT4_lSA_li,"axG",@progbits,_ZL32rocblas_gemvt_warp_reduce_kernelILb0ELi256EiPK19rocblas_complex_numIfES3_KPS1_EviiT3_lPKT2_lT1_lS9_lSA_lS6_lPT4_lSA_li,comdat
	.globl	_ZL32rocblas_gemvt_warp_reduce_kernelILb0ELi256EiPK19rocblas_complex_numIfES3_KPS1_EviiT3_lPKT2_lT1_lS9_lSA_lS6_lPT4_lSA_li ; -- Begin function _ZL32rocblas_gemvt_warp_reduce_kernelILb0ELi256EiPK19rocblas_complex_numIfES3_KPS1_EviiT3_lPKT2_lT1_lS9_lSA_lS6_lPT4_lSA_li
	.p2align	8
	.type	_ZL32rocblas_gemvt_warp_reduce_kernelILb0ELi256EiPK19rocblas_complex_numIfES3_KPS1_EviiT3_lPKT2_lT1_lS9_lSA_lS6_lPT4_lSA_li,@function
_ZL32rocblas_gemvt_warp_reduce_kernelILb0ELi256EiPK19rocblas_complex_numIfES3_KPS1_EviiT3_lPKT2_lT1_lS9_lSA_lS6_lPT4_lSA_li: ; @_ZL32rocblas_gemvt_warp_reduce_kernelILb0ELi256EiPK19rocblas_complex_numIfES3_KPS1_EviiT3_lPKT2_lT1_lS9_lSA_lS6_lPT4_lSA_li
; %bb.0:
	s_load_b32 s33, s[0:1], 0x88
	s_lshr_b32 s6, ttmp7, 16
	s_wait_kmcnt 0x0
	s_cmp_ge_u32 s6, s33
	s_cbranch_scc1 .LBB314_36
; %bb.1:
	s_clause 0x6
	s_load_b32 s5, s[0:1], 0x0
	s_load_b256 s[8:15], s[0:1], 0x8
	s_load_b32 s4, s[0:1], 0x78
	s_load_b32 s29, s[0:1], 0x28
	s_load_b128 s[24:27], s[0:1], 0x38
	s_load_b32 s31, s[0:1], 0x48
	s_load_b256 s[16:23], s[0:1], 0x58
	v_lshrrev_b32_e32 v3, 2, v0
	v_dual_mov_b32 v1, 0 :: v_dual_and_b32 v2, 31, v0
	v_mbcnt_lo_u32_b32 v16, -1, 0
	v_cmp_eq_u32_e64 s0, 0, v0
	s_delay_alu instid0(VALU_DEP_4)
	v_and_b32_e32 v14, 56, v3
	v_cmp_gt_u32_e64 s1, 32, v0
	v_cmp_gt_u32_e64 s2, 8, v0
	v_lshl_or_b32 v18, v16, 2, 64
	s_mov_b32 s7, 0
	s_wait_kmcnt 0x0
	s_ashr_i32 s3, s5, 31
	v_cmp_gt_i32_e32 vcc_lo, s5, v0
	s_lshr_b32 s3, s3, 24
	v_lshlrev_b32_e32 v13, 3, v2
	s_add_co_i32 s28, s5, s3
	v_cmp_eq_u32_e64 s3, 0, v2
	s_and_b32 s28, s28, 0xffffff00
	v_cndmask_b32_e32 v4, 0, v0, vcc_lo
	v_or_b32_e32 v3, s28, v0
	v_mul_lo_u32 v15, v0, s31
	s_mul_i32 s30, s4, ttmp9
	s_mul_i32 s34, s29, ttmp9
	v_lshlrev_b32_e32 v17, 3, v4
	v_mul_lo_u32 v2, s31, v3
	v_cmp_gt_i32_e64 s5, s5, v3
	v_cmp_gt_i32_e64 s4, s28, v0
	s_lshl_b32 s38, s31, 8
	s_wait_alu 0xfffe
	s_ashr_i32 s31, s30, 31
	s_ashr_i32 s35, s34, 31
	;; [unrolled: 1-line block ×3, first 2 shown]
	s_lshl_b64 s[14:15], s[14:15], 3
	v_ashrrev_i32_e32 v3, 31, v2
	s_lshl_b64 s[26:27], s[26:27], 3
	s_lshl_b64 s[22:23], s[22:23], 3
	s_wait_alu 0xfffe
	s_lshl_b64 s[30:31], s[30:31], 3
	s_lshl_b64 s[34:35], s[34:35], 3
	v_lshlrev_b64_e32 v[3:4], 3, v[2:3]
	s_lshl_b64 s[36:37], s[28:29], 3
	s_branch .LBB314_5
.LBB314_2:                              ;   in Loop: Header=BB314_5 Depth=1
	v_add_co_u32 v8, vcc_lo, v19, s30
	s_wait_alu 0xfffd
	v_add_co_ci_u32_e64 v9, null, s31, v20, vcc_lo
	flat_store_b64 v[8:9], v[6:7]
.LBB314_3:                              ;   in Loop: Header=BB314_5 Depth=1
	s_or_b32 exec_lo, exec_lo, s42
.LBB314_4:                              ;   in Loop: Header=BB314_5 Depth=1
	s_add_co_i32 s6, s6, 0x10000
	s_delay_alu instid0(SALU_CYCLE_1)
	s_cmp_lt_u32 s6, s33
	s_cbranch_scc0 .LBB314_36
.LBB314_5:                              ; =>This Loop Header: Depth=1
                                        ;     Child Loop BB314_29 Depth 2
	s_mul_u64 s[40:41], s[10:11], s[6:7]
	s_wait_alu 0xfffe
	s_lshl_b64 s[40:41], s[40:41], 3
	s_wait_alu 0xfffe
	s_add_nc_u64 s[40:41], s[8:9], s[40:41]
	s_wait_dscnt 0x0
	global_load_b64 v[5:6], v1, s[40:41]
	s_mul_u64 s[40:41], s[18:19], s[6:7]
	s_wait_alu 0xfffe
	s_lshl_b64 s[40:41], s[40:41], 3
	s_wait_alu 0xfffe
	s_add_nc_u64 s[40:41], s[16:17], s[40:41]
	global_load_b64 v[7:8], v1, s[40:41]
	s_wait_loadcnt 0x1
	v_readfirstlane_b32 s40, v5
	v_readfirstlane_b32 s41, v6
	s_wait_alu 0xfffe
	s_cmp_neq_f32 s40, 0
	s_wait_loadcnt 0x0
	v_readfirstlane_b32 s29, v7
	s_cselect_b32 s39, -1, 0
	s_cmp_neq_f32 s41, 0
	s_cselect_b32 s42, -1, 0
	s_wait_alu 0xfffe
	s_or_b32 s42, s39, s42
	v_readfirstlane_b32 s39, v8
	s_and_b32 vcc_lo, exec_lo, s42
	s_mov_b32 s42, -1
	s_wait_alu 0xfffe
	s_cbranch_vccnz .LBB314_7
; %bb.6:                                ;   in Loop: Header=BB314_5 Depth=1
	s_cmp_neq_f32 s29, 1.0
	s_cselect_b32 s42, -1, 0
	s_cmp_neq_f32 s39, 0
	s_cselect_b32 s43, -1, 0
	s_delay_alu instid0(SALU_CYCLE_1)
	s_or_b32 s42, s42, s43
.LBB314_7:                              ;   in Loop: Header=BB314_5 Depth=1
	s_delay_alu instid0(SALU_CYCLE_1)
	s_and_not1_b32 vcc_lo, exec_lo, s42
	s_wait_alu 0xfffe
	s_cbranch_vccnz .LBB314_4
; %bb.8:                                ;   in Loop: Header=BB314_5 Depth=1
	s_or_b32 s42, s40, s41
	v_mov_b32_e32 v5, 0
	s_bitset0_b32 s42, 31
	v_dual_mov_b32 v6, 0 :: v_dual_mov_b32 v7, 0
	s_cmp_lg_u32 s42, 0
	v_mov_b32_e32 v8, 0
	s_cselect_b32 s43, -1, 0
	s_cmp_eq_u32 s42, 0
	s_cselect_b32 s42, -1, 0
	s_delay_alu instid0(SALU_CYCLE_1)
	s_and_b32 vcc_lo, exec_lo, s42
	s_wait_alu 0xfffe
	s_cbranch_vccnz .LBB314_10
; %bb.9:                                ;   in Loop: Header=BB314_5 Depth=1
	s_lshl_b64 s[44:45], s[6:7], 3
	s_delay_alu instid0(SALU_CYCLE_1)
	s_add_nc_u64 s[44:45], s[12:13], s[44:45]
	global_load_b64 v[7:8], v1, s[44:45]
	s_wait_loadcnt 0x0
	v_add_co_u32 v7, vcc_lo, v7, s14
	s_wait_alu 0xfffd
	v_add_co_ci_u32_e64 v8, null, s15, v8, vcc_lo
.LBB314_10:                             ;   in Loop: Header=BB314_5 Depth=1
	s_and_not1_b32 vcc_lo, exec_lo, s43
	s_wait_alu 0xfffe
	s_cbranch_vccnz .LBB314_12
; %bb.11:                               ;   in Loop: Header=BB314_5 Depth=1
	s_lshl_b64 s[44:45], s[6:7], 3
	s_delay_alu instid0(SALU_CYCLE_1)
	s_add_nc_u64 s[44:45], s[24:25], s[44:45]
	global_load_b64 v[5:6], v1, s[44:45]
	s_wait_loadcnt 0x0
	v_add_co_u32 v5, vcc_lo, v5, s26
	s_wait_alu 0xfffd
	v_add_co_ci_u32_e64 v6, null, s27, v6, vcc_lo
.LBB314_12:                             ;   in Loop: Header=BB314_5 Depth=1
	s_lshl_b64 s[44:45], s[6:7], 3
	s_delay_alu instid0(SALU_CYCLE_1)
	s_add_nc_u64 s[44:45], s[20:21], s[44:45]
	global_load_b64 v[9:10], v1, s[44:45]
	s_wait_loadcnt 0x0
	v_add_co_u32 v19, vcc_lo, v9, s22
	s_wait_alu 0xfffd
	v_add_co_ci_u32_e64 v20, null, s23, v10, vcc_lo
	s_and_not1_b32 vcc_lo, exec_lo, s42
	s_mov_b32 s42, -1
	s_wait_alu 0xfffe
	s_cbranch_vccnz .LBB314_18
; %bb.13:                               ;   in Loop: Header=BB314_5 Depth=1
	s_and_saveexec_b32 s42, s0
	s_cbranch_execz .LBB314_17
; %bb.14:                               ;   in Loop: Header=BB314_5 Depth=1
	s_cmp_neq_f32 s29, 0
	v_dual_mov_b32 v9, 0 :: v_dual_mov_b32 v10, 0
	s_cselect_b32 s43, -1, 0
	s_cmp_neq_f32 s39, 0
	s_cselect_b32 s44, -1, 0
	s_delay_alu instid0(SALU_CYCLE_1) | instskip(NEXT) | instid1(SALU_CYCLE_1)
	s_or_b32 s43, s43, s44
	s_and_not1_b32 vcc_lo, exec_lo, s43
	s_wait_alu 0xfffe
	s_cbranch_vccnz .LBB314_16
; %bb.15:                               ;   in Loop: Header=BB314_5 Depth=1
	v_add_co_u32 v9, vcc_lo, v19, s30
	s_wait_alu 0xfffd
	v_add_co_ci_u32_e64 v10, null, s31, v20, vcc_lo
	flat_load_b64 v[11:12], v[9:10]
	s_wait_loadcnt_dscnt 0x0
	v_mul_f32_e32 v2, s39, v12
	v_mul_f32_e32 v10, s29, v12
	s_delay_alu instid0(VALU_DEP_2) | instskip(NEXT) | instid1(VALU_DEP_2)
	v_fma_f32 v9, s29, v11, -v2
	v_fmac_f32_e32 v10, s39, v11
.LBB314_16:                             ;   in Loop: Header=BB314_5 Depth=1
	v_add_co_u32 v11, vcc_lo, v19, s30
	s_wait_alu 0xfffd
	v_add_co_ci_u32_e64 v12, null, s31, v20, vcc_lo
	flat_store_b64 v[11:12], v[9:10]
.LBB314_17:                             ;   in Loop: Header=BB314_5 Depth=1
	s_or_b32 exec_lo, exec_lo, s42
	s_mov_b32 s42, 0
.LBB314_18:                             ;   in Loop: Header=BB314_5 Depth=1
	s_delay_alu instid0(SALU_CYCLE_1)
	s_and_not1_b32 vcc_lo, exec_lo, s42
	s_wait_alu 0xfffe
	s_cbranch_vccnz .LBB314_4
; %bb.19:                               ;   in Loop: Header=BB314_5 Depth=1
	v_add_co_u32 v2, vcc_lo, v7, v17
	s_wait_alu 0xfffd
	v_add_co_ci_u32_e64 v8, null, 0, v8, vcc_lo
	v_dual_mov_b32 v21, 0 :: v_dual_mov_b32 v22, 0
	s_delay_alu instid0(VALU_DEP_3) | instskip(SKIP_1) | instid1(VALU_DEP_3)
	v_add_co_u32 v7, vcc_lo, v2, s34
	s_wait_alu 0xfffd
	v_add_co_ci_u32_e64 v8, null, s35, v8, vcc_lo
	s_and_saveexec_b32 s42, s4
	s_cbranch_execnz .LBB314_28
; %bb.20:                               ;   in Loop: Header=BB314_5 Depth=1
	s_or_b32 exec_lo, exec_lo, s42
	s_and_saveexec_b32 s42, s5
	s_cbranch_execnz .LBB314_31
.LBB314_21:                             ;   in Loop: Header=BB314_5 Depth=1
	s_or_b32 exec_lo, exec_lo, s42
	s_and_saveexec_b32 s42, s1
.LBB314_22:                             ;   in Loop: Header=BB314_5 Depth=1
	v_mov_b32_e32 v2, v1
	ds_store_b64 v13, v[1:2]
.LBB314_23:                             ;   in Loop: Header=BB314_5 Depth=1
	s_or_b32 exec_lo, exec_lo, s42
	ds_bpermute_b32 v2, v18, v22
	v_cmp_gt_u32_e32 vcc_lo, 24, v16
	ds_bpermute_b32 v5, v18, v21
	s_wait_storecnt_dscnt 0x0
	s_barrier_signal -1
	s_barrier_wait -1
	s_wait_alu 0xfffd
	v_cndmask_b32_e64 v6, 0, 8, vcc_lo
	v_cmp_gt_u32_e32 vcc_lo, 28, v16
	global_inv scope:SCOPE_SE
	v_add_lshl_u32 v6, v6, v16, 2
	v_add_f32_e32 v7, v22, v2
	s_wait_alu 0xfffd
	v_cndmask_b32_e64 v2, 0, 4, vcc_lo
	v_cmp_gt_u32_e32 vcc_lo, 30, v16
	ds_bpermute_b32 v8, v6, v7
	v_add_f32_e32 v5, v21, v5
	v_add_lshl_u32 v2, v2, v16, 2
	s_wait_dscnt 0x0
	v_add_f32_e32 v8, v7, v8
	ds_bpermute_b32 v6, v6, v5
	s_wait_alu 0xfffd
	v_cndmask_b32_e64 v7, 0, 2, vcc_lo
	v_cmp_ne_u32_e32 vcc_lo, 31, v16
	s_delay_alu instid0(VALU_DEP_2)
	v_add_lshl_u32 v7, v7, v16, 2
	s_wait_dscnt 0x0
	v_add_f32_e32 v5, v5, v6
	ds_bpermute_b32 v6, v2, v8
	ds_bpermute_b32 v9, v2, v5
	s_wait_dscnt 0x1
	v_add_f32_e32 v6, v8, v6
	s_wait_alu 0xfffd
	v_add_co_ci_u32_e64 v8, null, 0, v16, vcc_lo
	s_wait_dscnt 0x0
	v_add_f32_e32 v9, v5, v9
	ds_bpermute_b32 v5, v7, v6
	v_lshlrev_b32_e32 v8, 2, v8
	ds_bpermute_b32 v10, v7, v9
	s_wait_dscnt 0x0
	v_dual_add_f32 v5, v6, v5 :: v_dual_add_f32 v6, v9, v10
	ds_bpermute_b32 v9, v8, v5
	ds_bpermute_b32 v10, v8, v6
	s_and_saveexec_b32 s42, s3
	s_cbranch_execz .LBB314_25
; %bb.24:                               ;   in Loop: Header=BB314_5 Depth=1
	s_wait_dscnt 0x0
	v_dual_add_f32 v6, v6, v10 :: v_dual_add_f32 v5, v5, v9
	ds_store_b64 v14, v[5:6]
.LBB314_25:                             ;   in Loop: Header=BB314_5 Depth=1
	s_or_b32 exec_lo, exec_lo, s42
	v_dual_mov_b32 v6, 0 :: v_dual_mov_b32 v5, 0
	s_wait_loadcnt_dscnt 0x0
	s_barrier_signal -1
	s_barrier_wait -1
	global_inv scope:SCOPE_SE
	s_and_saveexec_b32 s42, s2
	s_cbranch_execnz .LBB314_32
; %bb.26:                               ;   in Loop: Header=BB314_5 Depth=1
	s_or_b32 exec_lo, exec_lo, s42
	s_and_saveexec_b32 s42, s1
	s_cbranch_execnz .LBB314_33
.LBB314_27:                             ;   in Loop: Header=BB314_5 Depth=1
	s_or_b32 exec_lo, exec_lo, s42
	s_and_saveexec_b32 s42, s0
	s_cbranch_execz .LBB314_3
	s_branch .LBB314_34
.LBB314_28:                             ;   in Loop: Header=BB314_5 Depth=1
	v_dual_mov_b32 v21, 0 :: v_dual_mov_b32 v12, v8
	v_dual_mov_b32 v9, v15 :: v_dual_mov_b32 v2, v0
	;; [unrolled: 1-line block ×3, first 2 shown]
	s_mov_b32 s43, 0
.LBB314_29:                             ;   Parent Loop BB314_5 Depth=1
                                        ; =>  This Inner Loop Header: Depth=2
	s_delay_alu instid0(VALU_DEP_2) | instskip(NEXT) | instid1(VALU_DEP_3)
	v_ashrrev_i32_e32 v10, 31, v9
	v_add_nc_u32_e32 v2, 0x100, v2
	s_delay_alu instid0(VALU_DEP_2) | instskip(SKIP_1) | instid1(VALU_DEP_2)
	v_lshlrev_b64_e32 v[23:24], 3, v[9:10]
	v_add_nc_u32_e32 v9, s38, v9
	v_add_co_u32 v23, vcc_lo, v5, v23
	s_wait_alu 0xfffd
	s_delay_alu instid0(VALU_DEP_3)
	v_add_co_ci_u32_e64 v24, null, v6, v24, vcc_lo
	flat_load_b64 v[25:26], v[11:12]
	flat_load_b64 v[23:24], v[23:24]
	v_add_co_u32 v11, vcc_lo, 0x800, v11
	s_wait_alu 0xfffd
	v_add_co_ci_u32_e64 v12, null, 0, v12, vcc_lo
	v_cmp_le_i32_e32 vcc_lo, s28, v2
	s_or_b32 s43, vcc_lo, s43
	s_wait_loadcnt_dscnt 0x0
	v_mul_f32_e32 v10, v24, v26
	v_mul_f32_e32 v26, v23, v26
	s_delay_alu instid0(VALU_DEP_2) | instskip(NEXT) | instid1(VALU_DEP_2)
	v_fma_f32 v10, v23, v25, -v10
	v_fmac_f32_e32 v26, v24, v25
	s_delay_alu instid0(VALU_DEP_2) | instskip(NEXT) | instid1(VALU_DEP_2)
	v_add_f32_e32 v22, v22, v10
	v_add_f32_e32 v21, v21, v26
	s_and_not1_b32 exec_lo, exec_lo, s43
	s_cbranch_execnz .LBB314_29
; %bb.30:                               ;   in Loop: Header=BB314_5 Depth=1
	s_or_b32 exec_lo, exec_lo, s43
	s_delay_alu instid0(SALU_CYCLE_1)
	s_or_b32 exec_lo, exec_lo, s42
	s_and_saveexec_b32 s42, s5
	s_cbranch_execz .LBB314_21
.LBB314_31:                             ;   in Loop: Header=BB314_5 Depth=1
	v_add_co_u32 v7, vcc_lo, v7, s36
	s_wait_alu 0xfffd
	v_add_co_ci_u32_e64 v8, null, s37, v8, vcc_lo
	v_add_co_u32 v5, vcc_lo, v5, v3
	s_wait_alu 0xfffd
	v_add_co_ci_u32_e64 v6, null, v6, v4, vcc_lo
	flat_load_b64 v[7:8], v[7:8]
	flat_load_b64 v[5:6], v[5:6]
	s_wait_loadcnt_dscnt 0x0
	v_mul_f32_e32 v2, v6, v8
	v_mul_f32_e32 v8, v5, v8
	s_delay_alu instid0(VALU_DEP_2) | instskip(NEXT) | instid1(VALU_DEP_2)
	v_fma_f32 v2, v5, v7, -v2
	v_fmac_f32_e32 v8, v6, v7
	s_delay_alu instid0(VALU_DEP_1)
	v_dual_add_f32 v22, v22, v2 :: v_dual_add_f32 v21, v21, v8
	s_or_b32 exec_lo, exec_lo, s42
	s_and_saveexec_b32 s42, s1
	s_cbranch_execnz .LBB314_22
	s_branch .LBB314_23
.LBB314_32:                             ;   in Loop: Header=BB314_5 Depth=1
	ds_load_b64 v[5:6], v13
	s_or_b32 exec_lo, exec_lo, s42
	s_and_saveexec_b32 s42, s1
	s_cbranch_execz .LBB314_27
.LBB314_33:                             ;   in Loop: Header=BB314_5 Depth=1
	s_wait_dscnt 0x0
	ds_bpermute_b32 v9, v2, v5
	ds_bpermute_b32 v2, v2, v6
	s_wait_dscnt 0x0
	v_dual_add_f32 v5, v5, v9 :: v_dual_add_f32 v2, v6, v2
	ds_bpermute_b32 v6, v7, v5
	ds_bpermute_b32 v7, v7, v2
	s_wait_dscnt 0x0
	v_dual_add_f32 v5, v5, v6 :: v_dual_add_f32 v2, v2, v7
	;; [unrolled: 4-line block ×3, first 2 shown]
	s_or_b32 exec_lo, exec_lo, s42
	s_and_saveexec_b32 s42, s0
	s_cbranch_execz .LBB314_3
.LBB314_34:                             ;   in Loop: Header=BB314_5 Depth=1
	s_cmp_neq_f32 s29, 0
	s_wait_dscnt 0x0
	v_mul_f32_e32 v7, s40, v6
	v_mul_f32_e32 v2, s41, v6
	s_cselect_b32 s43, -1, 0
	s_cmp_neq_f32 s39, 0
	s_delay_alu instid0(VALU_DEP_2) | instskip(NEXT) | instid1(VALU_DEP_2)
	v_fmac_f32_e32 v7, s41, v5
	v_fma_f32 v6, v5, s40, -v2
	s_cselect_b32 s44, -1, 0
	s_delay_alu instid0(SALU_CYCLE_1) | instskip(NEXT) | instid1(SALU_CYCLE_1)
	s_or_b32 s43, s43, s44
	s_and_not1_b32 vcc_lo, exec_lo, s43
	s_wait_alu 0xfffe
	s_cbranch_vccnz .LBB314_2
; %bb.35:                               ;   in Loop: Header=BB314_5 Depth=1
	v_add_co_u32 v8, vcc_lo, v19, s30
	s_wait_alu 0xfffd
	v_add_co_ci_u32_e64 v9, null, s31, v20, vcc_lo
	flat_load_b64 v[8:9], v[8:9]
	s_wait_loadcnt_dscnt 0x0
	v_mul_f32_e32 v5, s29, v9
	s_delay_alu instid0(VALU_DEP_1) | instskip(NEXT) | instid1(VALU_DEP_1)
	v_dual_mul_f32 v2, s39, v9 :: v_dual_fmac_f32 v5, s39, v8
	v_fma_f32 v2, s29, v8, -v2
	s_delay_alu instid0(VALU_DEP_1)
	v_dual_add_f32 v7, v7, v5 :: v_dual_add_f32 v6, v6, v2
	s_branch .LBB314_2
.LBB314_36:
	s_endpgm
	.section	.rodata,"a",@progbits
	.p2align	6, 0x0
	.amdhsa_kernel _ZL32rocblas_gemvt_warp_reduce_kernelILb0ELi256EiPK19rocblas_complex_numIfES3_KPS1_EviiT3_lPKT2_lT1_lS9_lSA_lS6_lPT4_lSA_li
		.amdhsa_group_segment_fixed_size 256
		.amdhsa_private_segment_fixed_size 0
		.amdhsa_kernarg_size 140
		.amdhsa_user_sgpr_count 2
		.amdhsa_user_sgpr_dispatch_ptr 0
		.amdhsa_user_sgpr_queue_ptr 0
		.amdhsa_user_sgpr_kernarg_segment_ptr 1
		.amdhsa_user_sgpr_dispatch_id 0
		.amdhsa_user_sgpr_private_segment_size 0
		.amdhsa_wavefront_size32 1
		.amdhsa_uses_dynamic_stack 0
		.amdhsa_enable_private_segment 0
		.amdhsa_system_sgpr_workgroup_id_x 1
		.amdhsa_system_sgpr_workgroup_id_y 0
		.amdhsa_system_sgpr_workgroup_id_z 1
		.amdhsa_system_sgpr_workgroup_info 0
		.amdhsa_system_vgpr_workitem_id 0
		.amdhsa_next_free_vgpr 27
		.amdhsa_next_free_sgpr 46
		.amdhsa_reserve_vcc 1
		.amdhsa_float_round_mode_32 0
		.amdhsa_float_round_mode_16_64 0
		.amdhsa_float_denorm_mode_32 3
		.amdhsa_float_denorm_mode_16_64 3
		.amdhsa_fp16_overflow 0
		.amdhsa_workgroup_processor_mode 1
		.amdhsa_memory_ordered 1
		.amdhsa_forward_progress 1
		.amdhsa_inst_pref_size 16
		.amdhsa_round_robin_scheduling 0
		.amdhsa_exception_fp_ieee_invalid_op 0
		.amdhsa_exception_fp_denorm_src 0
		.amdhsa_exception_fp_ieee_div_zero 0
		.amdhsa_exception_fp_ieee_overflow 0
		.amdhsa_exception_fp_ieee_underflow 0
		.amdhsa_exception_fp_ieee_inexact 0
		.amdhsa_exception_int_div_zero 0
	.end_amdhsa_kernel
	.section	.text._ZL32rocblas_gemvt_warp_reduce_kernelILb0ELi256EiPK19rocblas_complex_numIfES3_KPS1_EviiT3_lPKT2_lT1_lS9_lSA_lS6_lPT4_lSA_li,"axG",@progbits,_ZL32rocblas_gemvt_warp_reduce_kernelILb0ELi256EiPK19rocblas_complex_numIfES3_KPS1_EviiT3_lPKT2_lT1_lS9_lSA_lS6_lPT4_lSA_li,comdat
.Lfunc_end314:
	.size	_ZL32rocblas_gemvt_warp_reduce_kernelILb0ELi256EiPK19rocblas_complex_numIfES3_KPS1_EviiT3_lPKT2_lT1_lS9_lSA_lS6_lPT4_lSA_li, .Lfunc_end314-_ZL32rocblas_gemvt_warp_reduce_kernelILb0ELi256EiPK19rocblas_complex_numIfES3_KPS1_EviiT3_lPKT2_lT1_lS9_lSA_lS6_lPT4_lSA_li
                                        ; -- End function
	.set _ZL32rocblas_gemvt_warp_reduce_kernelILb0ELi256EiPK19rocblas_complex_numIfES3_KPS1_EviiT3_lPKT2_lT1_lS9_lSA_lS6_lPT4_lSA_li.num_vgpr, 27
	.set _ZL32rocblas_gemvt_warp_reduce_kernelILb0ELi256EiPK19rocblas_complex_numIfES3_KPS1_EviiT3_lPKT2_lT1_lS9_lSA_lS6_lPT4_lSA_li.num_agpr, 0
	.set _ZL32rocblas_gemvt_warp_reduce_kernelILb0ELi256EiPK19rocblas_complex_numIfES3_KPS1_EviiT3_lPKT2_lT1_lS9_lSA_lS6_lPT4_lSA_li.numbered_sgpr, 46
	.set _ZL32rocblas_gemvt_warp_reduce_kernelILb0ELi256EiPK19rocblas_complex_numIfES3_KPS1_EviiT3_lPKT2_lT1_lS9_lSA_lS6_lPT4_lSA_li.num_named_barrier, 0
	.set _ZL32rocblas_gemvt_warp_reduce_kernelILb0ELi256EiPK19rocblas_complex_numIfES3_KPS1_EviiT3_lPKT2_lT1_lS9_lSA_lS6_lPT4_lSA_li.private_seg_size, 0
	.set _ZL32rocblas_gemvt_warp_reduce_kernelILb0ELi256EiPK19rocblas_complex_numIfES3_KPS1_EviiT3_lPKT2_lT1_lS9_lSA_lS6_lPT4_lSA_li.uses_vcc, 1
	.set _ZL32rocblas_gemvt_warp_reduce_kernelILb0ELi256EiPK19rocblas_complex_numIfES3_KPS1_EviiT3_lPKT2_lT1_lS9_lSA_lS6_lPT4_lSA_li.uses_flat_scratch, 0
	.set _ZL32rocblas_gemvt_warp_reduce_kernelILb0ELi256EiPK19rocblas_complex_numIfES3_KPS1_EviiT3_lPKT2_lT1_lS9_lSA_lS6_lPT4_lSA_li.has_dyn_sized_stack, 0
	.set _ZL32rocblas_gemvt_warp_reduce_kernelILb0ELi256EiPK19rocblas_complex_numIfES3_KPS1_EviiT3_lPKT2_lT1_lS9_lSA_lS6_lPT4_lSA_li.has_recursion, 0
	.set _ZL32rocblas_gemvt_warp_reduce_kernelILb0ELi256EiPK19rocblas_complex_numIfES3_KPS1_EviiT3_lPKT2_lT1_lS9_lSA_lS6_lPT4_lSA_li.has_indirect_call, 0
	.section	.AMDGPU.csdata,"",@progbits
; Kernel info:
; codeLenInByte = 1964
; TotalNumSgprs: 48
; NumVgprs: 27
; ScratchSize: 0
; MemoryBound: 0
; FloatMode: 240
; IeeeMode: 1
; LDSByteSize: 256 bytes/workgroup (compile time only)
; SGPRBlocks: 0
; VGPRBlocks: 3
; NumSGPRsForWavesPerEU: 48
; NumVGPRsForWavesPerEU: 27
; Occupancy: 16
; WaveLimiterHint : 1
; COMPUTE_PGM_RSRC2:SCRATCH_EN: 0
; COMPUTE_PGM_RSRC2:USER_SGPR: 2
; COMPUTE_PGM_RSRC2:TRAP_HANDLER: 0
; COMPUTE_PGM_RSRC2:TGID_X_EN: 1
; COMPUTE_PGM_RSRC2:TGID_Y_EN: 0
; COMPUTE_PGM_RSRC2:TGID_Z_EN: 1
; COMPUTE_PGM_RSRC2:TIDIG_COMP_CNT: 0
	.section	.text._ZL32rocblas_gemvt_warp_reduce_kernelILb0ELi256ElPK19rocblas_complex_numIfES3_KPS1_EviiT3_lPKT2_lT1_lS9_lSA_lS6_lPT4_lSA_li,"axG",@progbits,_ZL32rocblas_gemvt_warp_reduce_kernelILb0ELi256ElPK19rocblas_complex_numIfES3_KPS1_EviiT3_lPKT2_lT1_lS9_lSA_lS6_lPT4_lSA_li,comdat
	.globl	_ZL32rocblas_gemvt_warp_reduce_kernelILb0ELi256ElPK19rocblas_complex_numIfES3_KPS1_EviiT3_lPKT2_lT1_lS9_lSA_lS6_lPT4_lSA_li ; -- Begin function _ZL32rocblas_gemvt_warp_reduce_kernelILb0ELi256ElPK19rocblas_complex_numIfES3_KPS1_EviiT3_lPKT2_lT1_lS9_lSA_lS6_lPT4_lSA_li
	.p2align	8
	.type	_ZL32rocblas_gemvt_warp_reduce_kernelILb0ELi256ElPK19rocblas_complex_numIfES3_KPS1_EviiT3_lPKT2_lT1_lS9_lSA_lS6_lPT4_lSA_li,@function
_ZL32rocblas_gemvt_warp_reduce_kernelILb0ELi256ElPK19rocblas_complex_numIfES3_KPS1_EviiT3_lPKT2_lT1_lS9_lSA_lS6_lPT4_lSA_li: ; @_ZL32rocblas_gemvt_warp_reduce_kernelILb0ELi256ElPK19rocblas_complex_numIfES3_KPS1_EviiT3_lPKT2_lT1_lS9_lSA_lS6_lPT4_lSA_li
; %bb.0:
	s_load_b32 s7, s[0:1], 0x88
	s_lshr_b32 s28, ttmp7, 16
	s_wait_kmcnt 0x0
	s_cmp_ge_u32 s28, s7
	s_cbranch_scc1 .LBB315_36
; %bb.1:
	s_clause 0x6
	s_load_b64 s[36:37], s[0:1], 0x48
	s_load_b32 s6, s[0:1], 0x0
	s_load_b256 s[8:15], s[0:1], 0x8
	s_load_b64 s[34:35], s[0:1], 0x28
	s_load_b128 s[24:27], s[0:1], 0x38
	s_load_b64 s[38:39], s[0:1], 0x78
	s_load_b256 s[16:23], s[0:1], 0x58
	v_dual_mov_b32 v1, 0 :: v_dual_and_b32 v4, 31, v0
	v_lshrrev_b32_e32 v5, 2, v0
	s_mov_b32 s4, ttmp9
	s_ashr_i32 s5, ttmp9, 31
	v_mbcnt_lo_u32_b32 v15, -1, 0
	v_lshlrev_b32_e32 v16, 3, v4
	v_cmp_eq_u32_e64 s3, 0, v4
	v_cmp_eq_u32_e64 s0, 0, v0
	v_cmp_gt_u32_e64 s1, 32, v0
	v_cmp_gt_u32_e64 s2, 8, v0
	v_lshl_or_b32 v19, v15, 2, 64
	s_mov_b32 s29, 0
	s_wait_kmcnt 0x0
	v_mad_co_u64_u32 v[2:3], null, s36, v0, 0
	s_ashr_i32 s30, s6, 31
	v_cmp_gt_i32_e32 vcc_lo, s6, v0
	s_lshr_b32 s30, s30, 24
	v_and_b32_e32 v17, 56, v5
	s_add_co_i32 s30, s6, s30
	s_mul_u64 s[38:39], s[38:39], s[4:5]
	s_and_b32 s30, s30, 0xffffff00
	v_mad_co_u64_u32 v[3:4], null, s37, v0, v[3:4]
	v_or_b32_e32 v7, s30, v0
	s_ashr_i32 s31, s30, 31
	s_mul_u64 s[40:41], s[34:35], s[4:5]
	s_wait_alu 0xfffe
	s_mul_i32 s4, s36, s31
	v_cndmask_b32_e32 v8, 0, v0, vcc_lo
	v_mul_lo_u32 v4, s37, v7
	v_mad_co_u64_u32 v[5:6], null, s36, v7, 0
	v_cmp_gt_i32_e64 s5, s6, v7
	s_delay_alu instid0(VALU_DEP_4)
	v_lshlrev_b32_e32 v18, 3, v8
	s_lshl_b64 s[34:35], s[36:37], 11
	s_lshl_b64 s[14:15], s[14:15], 3
	;; [unrolled: 1-line block ×4, first 2 shown]
	v_add3_u32 v6, v6, s4, v4
	v_lshlrev_b64_e32 v[3:4], 3, v[2:3]
	v_cmp_gt_i32_e64 s4, s30, v0
	s_lshl_b64 s[36:37], s[40:41], 3
	s_lshl_b64 s[38:39], s[38:39], 3
	v_lshlrev_b64_e32 v[5:6], 3, v[5:6]
	s_lshl_b64 s[40:41], s[30:31], 3
	v_or_b32_e32 v3, 4, v3
	s_branch .LBB315_5
.LBB315_2:                              ;   in Loop: Header=BB315_5 Depth=1
	v_add_co_u32 v10, vcc_lo, v20, s38
	s_wait_alu 0xfffd
	v_add_co_ci_u32_e64 v11, null, s39, v21, vcc_lo
	flat_store_b64 v[10:11], v[8:9]
.LBB315_3:                              ;   in Loop: Header=BB315_5 Depth=1
	s_wait_alu 0xfffe
	s_or_b32 exec_lo, exec_lo, s6
.LBB315_4:                              ;   in Loop: Header=BB315_5 Depth=1
	s_add_co_i32 s28, s28, 0x10000
	s_delay_alu instid0(SALU_CYCLE_1)
	s_cmp_lt_u32 s28, s7
	s_cbranch_scc0 .LBB315_36
.LBB315_5:                              ; =>This Loop Header: Depth=1
                                        ;     Child Loop BB315_29 Depth 2
	s_mul_u64 s[42:43], s[10:11], s[28:29]
	s_wait_alu 0xfffe
	s_lshl_b64 s[42:43], s[42:43], 3
	s_wait_alu 0xfffe
	s_add_nc_u64 s[42:43], s[8:9], s[42:43]
	s_wait_dscnt 0x0
	global_load_b64 v[7:8], v1, s[42:43]
	s_mul_u64 s[42:43], s[18:19], s[28:29]
	s_wait_alu 0xfffe
	s_lshl_b64 s[42:43], s[42:43], 3
	s_wait_alu 0xfffe
	s_add_nc_u64 s[42:43], s[16:17], s[42:43]
	global_load_b64 v[9:10], v1, s[42:43]
	s_wait_loadcnt 0x1
	v_readfirstlane_b32 s42, v7
	v_readfirstlane_b32 s43, v8
	s_wait_alu 0xfffe
	s_cmp_neq_f32 s42, 0
	s_wait_loadcnt 0x0
	v_readfirstlane_b32 s31, v9
	s_cselect_b32 s6, -1, 0
	s_cmp_neq_f32 s43, 0
	s_cselect_b32 s33, -1, 0
	s_wait_alu 0xfffe
	s_or_b32 s6, s6, s33
	v_readfirstlane_b32 s33, v10
	s_wait_alu 0xfffe
	s_and_b32 vcc_lo, exec_lo, s6
	s_mov_b32 s6, -1
	s_wait_alu 0xfffe
	s_cbranch_vccnz .LBB315_7
; %bb.6:                                ;   in Loop: Header=BB315_5 Depth=1
	s_cmp_neq_f32 s31, 1.0
	s_cselect_b32 s6, -1, 0
	s_cmp_neq_f32 s33, 0
	s_cselect_b32 s44, -1, 0
	s_wait_alu 0xfffe
	s_or_b32 s6, s6, s44
.LBB315_7:                              ;   in Loop: Header=BB315_5 Depth=1
	s_wait_alu 0xfffe
	s_and_not1_b32 vcc_lo, exec_lo, s6
	s_wait_alu 0xfffe
	s_cbranch_vccnz .LBB315_4
; %bb.8:                                ;   in Loop: Header=BB315_5 Depth=1
	s_or_b32 s6, s42, s43
	v_mov_b32_e32 v7, 0
	s_wait_alu 0xfffe
	s_bitset0_b32 s6, 31
	v_dual_mov_b32 v8, 0 :: v_dual_mov_b32 v9, 0
	s_wait_alu 0xfffe
	s_cmp_lg_u32 s6, 0
	v_mov_b32_e32 v10, 0
	s_cselect_b32 s44, -1, 0
	s_cmp_eq_u32 s6, 0
	s_cselect_b32 s6, -1, 0
	s_wait_alu 0xfffe
	s_and_b32 vcc_lo, exec_lo, s6
	s_wait_alu 0xfffe
	s_cbranch_vccnz .LBB315_10
; %bb.9:                                ;   in Loop: Header=BB315_5 Depth=1
	s_lshl_b64 s[46:47], s[28:29], 3
	s_delay_alu instid0(SALU_CYCLE_1)
	s_add_nc_u64 s[46:47], s[12:13], s[46:47]
	global_load_b64 v[9:10], v1, s[46:47]
	s_wait_loadcnt 0x0
	v_add_co_u32 v9, vcc_lo, v9, s14
	s_wait_alu 0xfffd
	v_add_co_ci_u32_e64 v10, null, s15, v10, vcc_lo
.LBB315_10:                             ;   in Loop: Header=BB315_5 Depth=1
	s_and_not1_b32 vcc_lo, exec_lo, s44
	s_wait_alu 0xfffe
	s_cbranch_vccnz .LBB315_12
; %bb.11:                               ;   in Loop: Header=BB315_5 Depth=1
	s_lshl_b64 s[44:45], s[28:29], 3
	s_delay_alu instid0(SALU_CYCLE_1)
	s_add_nc_u64 s[44:45], s[24:25], s[44:45]
	global_load_b64 v[7:8], v1, s[44:45]
	s_wait_loadcnt 0x0
	v_add_co_u32 v7, vcc_lo, v7, s26
	s_wait_alu 0xfffd
	v_add_co_ci_u32_e64 v8, null, s27, v8, vcc_lo
.LBB315_12:                             ;   in Loop: Header=BB315_5 Depth=1
	s_lshl_b64 s[44:45], s[28:29], 3
	s_delay_alu instid0(SALU_CYCLE_1)
	s_add_nc_u64 s[44:45], s[20:21], s[44:45]
	global_load_b64 v[11:12], v1, s[44:45]
	s_wait_loadcnt 0x0
	v_add_co_u32 v20, vcc_lo, v11, s22
	s_wait_alu 0xfffd
	v_add_co_ci_u32_e64 v21, null, s23, v12, vcc_lo
	s_and_not1_b32 vcc_lo, exec_lo, s6
	s_mov_b32 s6, -1
	s_wait_alu 0xfffe
	s_cbranch_vccnz .LBB315_18
; %bb.13:                               ;   in Loop: Header=BB315_5 Depth=1
	s_and_saveexec_b32 s6, s0
	s_cbranch_execz .LBB315_17
; %bb.14:                               ;   in Loop: Header=BB315_5 Depth=1
	s_cmp_neq_f32 s31, 0
	v_dual_mov_b32 v11, 0 :: v_dual_mov_b32 v12, 0
	s_cselect_b32 s44, -1, 0
	s_cmp_neq_f32 s33, 0
	s_cselect_b32 s45, -1, 0
	s_delay_alu instid0(SALU_CYCLE_1) | instskip(NEXT) | instid1(SALU_CYCLE_1)
	s_or_b32 s44, s44, s45
	s_and_not1_b32 vcc_lo, exec_lo, s44
	s_wait_alu 0xfffe
	s_cbranch_vccnz .LBB315_16
; %bb.15:                               ;   in Loop: Header=BB315_5 Depth=1
	v_add_co_u32 v11, vcc_lo, v20, s38
	s_wait_alu 0xfffd
	v_add_co_ci_u32_e64 v12, null, s39, v21, vcc_lo
	flat_load_b64 v[13:14], v[11:12]
	s_wait_loadcnt_dscnt 0x0
	v_mul_f32_e32 v2, s33, v14
	v_mul_f32_e32 v12, s31, v14
	s_delay_alu instid0(VALU_DEP_2) | instskip(NEXT) | instid1(VALU_DEP_2)
	v_fma_f32 v11, s31, v13, -v2
	v_fmac_f32_e32 v12, s33, v13
.LBB315_16:                             ;   in Loop: Header=BB315_5 Depth=1
	v_add_co_u32 v13, vcc_lo, v20, s38
	s_wait_alu 0xfffd
	v_add_co_ci_u32_e64 v14, null, s39, v21, vcc_lo
	flat_store_b64 v[13:14], v[11:12]
.LBB315_17:                             ;   in Loop: Header=BB315_5 Depth=1
	s_wait_alu 0xfffe
	s_or_b32 exec_lo, exec_lo, s6
	s_mov_b32 s6, 0
.LBB315_18:                             ;   in Loop: Header=BB315_5 Depth=1
	s_wait_alu 0xfffe
	s_and_not1_b32 vcc_lo, exec_lo, s6
	s_wait_alu 0xfffe
	s_cbranch_vccnz .LBB315_4
; %bb.19:                               ;   in Loop: Header=BB315_5 Depth=1
	v_add_co_u32 v2, vcc_lo, v9, v18
	s_wait_alu 0xfffd
	v_add_co_ci_u32_e64 v10, null, 0, v10, vcc_lo
	v_dual_mov_b32 v22, 0 :: v_dual_mov_b32 v23, 0
	s_delay_alu instid0(VALU_DEP_3) | instskip(SKIP_1) | instid1(VALU_DEP_3)
	v_add_co_u32 v9, vcc_lo, v2, s36
	s_wait_alu 0xfffd
	v_add_co_ci_u32_e64 v10, null, s37, v10, vcc_lo
	s_and_saveexec_b32 s44, s4
	s_cbranch_execnz .LBB315_28
; %bb.20:                               ;   in Loop: Header=BB315_5 Depth=1
	s_or_b32 exec_lo, exec_lo, s44
	s_and_saveexec_b32 s6, s5
	s_cbranch_execnz .LBB315_31
.LBB315_21:                             ;   in Loop: Header=BB315_5 Depth=1
	s_wait_alu 0xfffe
	s_or_b32 exec_lo, exec_lo, s6
	s_and_saveexec_b32 s6, s1
.LBB315_22:                             ;   in Loop: Header=BB315_5 Depth=1
	v_mov_b32_e32 v2, v1
	ds_store_b64 v16, v[1:2]
.LBB315_23:                             ;   in Loop: Header=BB315_5 Depth=1
	s_wait_alu 0xfffe
	s_or_b32 exec_lo, exec_lo, s6
	ds_bpermute_b32 v2, v19, v23
	v_cmp_gt_u32_e32 vcc_lo, 24, v15
	ds_bpermute_b32 v7, v19, v22
	s_wait_storecnt_dscnt 0x0
	s_barrier_signal -1
	s_barrier_wait -1
	s_wait_alu 0xfffd
	v_cndmask_b32_e64 v8, 0, 8, vcc_lo
	v_cmp_gt_u32_e32 vcc_lo, 28, v15
	global_inv scope:SCOPE_SE
	v_add_lshl_u32 v8, v8, v15, 2
	v_add_f32_e32 v9, v23, v2
	s_wait_alu 0xfffd
	v_cndmask_b32_e64 v2, 0, 4, vcc_lo
	v_cmp_gt_u32_e32 vcc_lo, 30, v15
	ds_bpermute_b32 v10, v8, v9
	v_add_f32_e32 v7, v22, v7
	v_add_lshl_u32 v2, v2, v15, 2
	s_wait_dscnt 0x0
	v_add_f32_e32 v10, v9, v10
	ds_bpermute_b32 v8, v8, v7
	s_wait_alu 0xfffd
	v_cndmask_b32_e64 v9, 0, 2, vcc_lo
	v_cmp_ne_u32_e32 vcc_lo, 31, v15
	s_delay_alu instid0(VALU_DEP_2)
	v_add_lshl_u32 v9, v9, v15, 2
	s_wait_dscnt 0x0
	v_add_f32_e32 v7, v7, v8
	ds_bpermute_b32 v8, v2, v10
	s_wait_dscnt 0x0
	v_add_f32_e32 v8, v10, v8
	s_wait_alu 0xfffd
	v_add_co_ci_u32_e64 v10, null, 0, v15, vcc_lo
	s_delay_alu instid0(VALU_DEP_1)
	v_lshlrev_b32_e32 v10, 2, v10
	ds_bpermute_b32 v11, v2, v7
	s_wait_dscnt 0x0
	v_add_f32_e32 v11, v7, v11
	ds_bpermute_b32 v7, v9, v8
	ds_bpermute_b32 v12, v9, v11
	s_wait_dscnt 0x0
	v_dual_add_f32 v7, v8, v7 :: v_dual_add_f32 v8, v11, v12
	ds_bpermute_b32 v11, v10, v7
	ds_bpermute_b32 v12, v10, v8
	s_and_saveexec_b32 s6, s3
	s_cbranch_execz .LBB315_25
; %bb.24:                               ;   in Loop: Header=BB315_5 Depth=1
	s_wait_dscnt 0x0
	v_dual_add_f32 v8, v8, v12 :: v_dual_add_f32 v7, v7, v11
	ds_store_b64 v17, v[7:8]
.LBB315_25:                             ;   in Loop: Header=BB315_5 Depth=1
	s_wait_alu 0xfffe
	s_or_b32 exec_lo, exec_lo, s6
	v_dual_mov_b32 v8, 0 :: v_dual_mov_b32 v7, 0
	s_wait_loadcnt_dscnt 0x0
	s_barrier_signal -1
	s_barrier_wait -1
	global_inv scope:SCOPE_SE
	s_and_saveexec_b32 s6, s2
	s_cbranch_execnz .LBB315_32
; %bb.26:                               ;   in Loop: Header=BB315_5 Depth=1
	s_wait_alu 0xfffe
	s_or_b32 exec_lo, exec_lo, s6
	s_and_saveexec_b32 s6, s1
	s_cbranch_execnz .LBB315_33
.LBB315_27:                             ;   in Loop: Header=BB315_5 Depth=1
	s_wait_alu 0xfffe
	s_or_b32 exec_lo, exec_lo, s6
	s_and_saveexec_b32 s6, s0
	s_cbranch_execz .LBB315_3
	s_branch .LBB315_34
.LBB315_28:                             ;   in Loop: Header=BB315_5 Depth=1
	v_add_co_u32 v11, vcc_lo, v7, v3
	v_dual_mov_b32 v14, v10 :: v_dual_mov_b32 v23, 0
	s_wait_alu 0xfffd
	v_add_co_ci_u32_e64 v12, null, v8, v4, vcc_lo
	v_dual_mov_b32 v22, 0 :: v_dual_mov_b32 v13, v9
	v_mov_b32_e32 v2, v0
	s_mov_b32 s45, 0
.LBB315_29:                             ;   Parent Loop BB315_5 Depth=1
                                        ; =>  This Inner Loop Header: Depth=2
	flat_load_b64 v[24:25], v[13:14]
	flat_load_b64 v[26:27], v[11:12] offset:-4
	v_add_nc_u32_e32 v2, 0x100, v2
	v_add_co_u32 v13, vcc_lo, 0x800, v13
	s_wait_alu 0xfffd
	v_add_co_ci_u32_e64 v14, null, 0, v14, vcc_lo
	v_add_co_u32 v11, vcc_lo, v11, s34
	s_wait_alu 0xfffd
	v_add_co_ci_u32_e64 v12, null, s35, v12, vcc_lo
	s_wait_loadcnt_dscnt 0x0
	v_mul_f32_e32 v28, v27, v25
	v_mul_f32_e32 v25, v26, v25
	v_cmp_le_i32_e64 s6, s30, v2
	s_delay_alu instid0(VALU_DEP_3) | instskip(NEXT) | instid1(VALU_DEP_3)
	v_fma_f32 v26, v26, v24, -v28
	v_fmac_f32_e32 v25, v27, v24
	s_or_b32 s45, s6, s45
	s_delay_alu instid0(VALU_DEP_1)
	v_dual_add_f32 v23, v23, v26 :: v_dual_add_f32 v22, v22, v25
	s_and_not1_b32 exec_lo, exec_lo, s45
	s_cbranch_execnz .LBB315_29
; %bb.30:                               ;   in Loop: Header=BB315_5 Depth=1
	s_or_b32 exec_lo, exec_lo, s45
	s_delay_alu instid0(SALU_CYCLE_1)
	s_or_b32 exec_lo, exec_lo, s44
	s_and_saveexec_b32 s6, s5
	s_cbranch_execz .LBB315_21
.LBB315_31:                             ;   in Loop: Header=BB315_5 Depth=1
	v_add_co_u32 v9, vcc_lo, v9, s40
	s_wait_alu 0xfffd
	v_add_co_ci_u32_e64 v10, null, s41, v10, vcc_lo
	v_add_co_u32 v7, vcc_lo, v7, v5
	s_wait_alu 0xfffd
	v_add_co_ci_u32_e64 v8, null, v8, v6, vcc_lo
	flat_load_b64 v[9:10], v[9:10]
	flat_load_b64 v[7:8], v[7:8]
	s_wait_loadcnt_dscnt 0x0
	v_mul_f32_e32 v2, v8, v10
	v_mul_f32_e32 v10, v7, v10
	s_delay_alu instid0(VALU_DEP_2) | instskip(NEXT) | instid1(VALU_DEP_1)
	v_fma_f32 v2, v7, v9, -v2
	v_dual_fmac_f32 v10, v8, v9 :: v_dual_add_f32 v23, v23, v2
	s_delay_alu instid0(VALU_DEP_1)
	v_add_f32_e32 v22, v22, v10
	s_wait_alu 0xfffe
	s_or_b32 exec_lo, exec_lo, s6
	s_and_saveexec_b32 s6, s1
	s_cbranch_execnz .LBB315_22
	s_branch .LBB315_23
.LBB315_32:                             ;   in Loop: Header=BB315_5 Depth=1
	ds_load_b64 v[7:8], v16
	s_wait_alu 0xfffe
	s_or_b32 exec_lo, exec_lo, s6
	s_and_saveexec_b32 s6, s1
	s_cbranch_execz .LBB315_27
.LBB315_33:                             ;   in Loop: Header=BB315_5 Depth=1
	s_wait_dscnt 0x0
	ds_bpermute_b32 v11, v2, v7
	ds_bpermute_b32 v2, v2, v8
	s_wait_dscnt 0x0
	v_dual_add_f32 v7, v7, v11 :: v_dual_add_f32 v2, v8, v2
	ds_bpermute_b32 v8, v9, v7
	ds_bpermute_b32 v9, v9, v2
	s_wait_dscnt 0x0
	v_dual_add_f32 v7, v7, v8 :: v_dual_add_f32 v2, v2, v9
	;; [unrolled: 4-line block ×3, first 2 shown]
	s_wait_alu 0xfffe
	s_or_b32 exec_lo, exec_lo, s6
	s_and_saveexec_b32 s6, s0
	s_cbranch_execz .LBB315_3
.LBB315_34:                             ;   in Loop: Header=BB315_5 Depth=1
	s_cmp_neq_f32 s31, 0
	s_wait_dscnt 0x0
	v_mul_f32_e32 v9, s42, v8
	v_mul_f32_e32 v2, s43, v8
	s_cselect_b32 s44, -1, 0
	s_cmp_neq_f32 s33, 0
	s_delay_alu instid0(VALU_DEP_2) | instskip(NEXT) | instid1(VALU_DEP_2)
	v_fmac_f32_e32 v9, s43, v7
	v_fma_f32 v8, v7, s42, -v2
	s_cselect_b32 s45, -1, 0
	s_delay_alu instid0(SALU_CYCLE_1) | instskip(NEXT) | instid1(SALU_CYCLE_1)
	s_or_b32 s44, s44, s45
	s_and_not1_b32 vcc_lo, exec_lo, s44
	s_wait_alu 0xfffe
	s_cbranch_vccnz .LBB315_2
; %bb.35:                               ;   in Loop: Header=BB315_5 Depth=1
	v_add_co_u32 v10, vcc_lo, v20, s38
	s_wait_alu 0xfffd
	v_add_co_ci_u32_e64 v11, null, s39, v21, vcc_lo
	flat_load_b64 v[10:11], v[10:11]
	s_wait_loadcnt_dscnt 0x0
	v_mul_f32_e32 v7, s31, v11
	s_delay_alu instid0(VALU_DEP_1) | instskip(NEXT) | instid1(VALU_DEP_1)
	v_dual_mul_f32 v2, s33, v11 :: v_dual_fmac_f32 v7, s33, v10
	v_fma_f32 v2, s31, v10, -v2
	s_delay_alu instid0(VALU_DEP_1)
	v_dual_add_f32 v9, v9, v7 :: v_dual_add_f32 v8, v8, v2
	s_branch .LBB315_2
.LBB315_36:
	s_endpgm
	.section	.rodata,"a",@progbits
	.p2align	6, 0x0
	.amdhsa_kernel _ZL32rocblas_gemvt_warp_reduce_kernelILb0ELi256ElPK19rocblas_complex_numIfES3_KPS1_EviiT3_lPKT2_lT1_lS9_lSA_lS6_lPT4_lSA_li
		.amdhsa_group_segment_fixed_size 256
		.amdhsa_private_segment_fixed_size 0
		.amdhsa_kernarg_size 140
		.amdhsa_user_sgpr_count 2
		.amdhsa_user_sgpr_dispatch_ptr 0
		.amdhsa_user_sgpr_queue_ptr 0
		.amdhsa_user_sgpr_kernarg_segment_ptr 1
		.amdhsa_user_sgpr_dispatch_id 0
		.amdhsa_user_sgpr_private_segment_size 0
		.amdhsa_wavefront_size32 1
		.amdhsa_uses_dynamic_stack 0
		.amdhsa_enable_private_segment 0
		.amdhsa_system_sgpr_workgroup_id_x 1
		.amdhsa_system_sgpr_workgroup_id_y 0
		.amdhsa_system_sgpr_workgroup_id_z 1
		.amdhsa_system_sgpr_workgroup_info 0
		.amdhsa_system_vgpr_workitem_id 0
		.amdhsa_next_free_vgpr 29
		.amdhsa_next_free_sgpr 48
		.amdhsa_reserve_vcc 1
		.amdhsa_float_round_mode_32 0
		.amdhsa_float_round_mode_16_64 0
		.amdhsa_float_denorm_mode_32 3
		.amdhsa_float_denorm_mode_16_64 3
		.amdhsa_fp16_overflow 0
		.amdhsa_workgroup_processor_mode 1
		.amdhsa_memory_ordered 1
		.amdhsa_forward_progress 1
		.amdhsa_inst_pref_size 16
		.amdhsa_round_robin_scheduling 0
		.amdhsa_exception_fp_ieee_invalid_op 0
		.amdhsa_exception_fp_denorm_src 0
		.amdhsa_exception_fp_ieee_div_zero 0
		.amdhsa_exception_fp_ieee_overflow 0
		.amdhsa_exception_fp_ieee_underflow 0
		.amdhsa_exception_fp_ieee_inexact 0
		.amdhsa_exception_int_div_zero 0
	.end_amdhsa_kernel
	.section	.text._ZL32rocblas_gemvt_warp_reduce_kernelILb0ELi256ElPK19rocblas_complex_numIfES3_KPS1_EviiT3_lPKT2_lT1_lS9_lSA_lS6_lPT4_lSA_li,"axG",@progbits,_ZL32rocblas_gemvt_warp_reduce_kernelILb0ELi256ElPK19rocblas_complex_numIfES3_KPS1_EviiT3_lPKT2_lT1_lS9_lSA_lS6_lPT4_lSA_li,comdat
.Lfunc_end315:
	.size	_ZL32rocblas_gemvt_warp_reduce_kernelILb0ELi256ElPK19rocblas_complex_numIfES3_KPS1_EviiT3_lPKT2_lT1_lS9_lSA_lS6_lPT4_lSA_li, .Lfunc_end315-_ZL32rocblas_gemvt_warp_reduce_kernelILb0ELi256ElPK19rocblas_complex_numIfES3_KPS1_EviiT3_lPKT2_lT1_lS9_lSA_lS6_lPT4_lSA_li
                                        ; -- End function
	.set _ZL32rocblas_gemvt_warp_reduce_kernelILb0ELi256ElPK19rocblas_complex_numIfES3_KPS1_EviiT3_lPKT2_lT1_lS9_lSA_lS6_lPT4_lSA_li.num_vgpr, 29
	.set _ZL32rocblas_gemvt_warp_reduce_kernelILb0ELi256ElPK19rocblas_complex_numIfES3_KPS1_EviiT3_lPKT2_lT1_lS9_lSA_lS6_lPT4_lSA_li.num_agpr, 0
	.set _ZL32rocblas_gemvt_warp_reduce_kernelILb0ELi256ElPK19rocblas_complex_numIfES3_KPS1_EviiT3_lPKT2_lT1_lS9_lSA_lS6_lPT4_lSA_li.numbered_sgpr, 48
	.set _ZL32rocblas_gemvt_warp_reduce_kernelILb0ELi256ElPK19rocblas_complex_numIfES3_KPS1_EviiT3_lPKT2_lT1_lS9_lSA_lS6_lPT4_lSA_li.num_named_barrier, 0
	.set _ZL32rocblas_gemvt_warp_reduce_kernelILb0ELi256ElPK19rocblas_complex_numIfES3_KPS1_EviiT3_lPKT2_lT1_lS9_lSA_lS6_lPT4_lSA_li.private_seg_size, 0
	.set _ZL32rocblas_gemvt_warp_reduce_kernelILb0ELi256ElPK19rocblas_complex_numIfES3_KPS1_EviiT3_lPKT2_lT1_lS9_lSA_lS6_lPT4_lSA_li.uses_vcc, 1
	.set _ZL32rocblas_gemvt_warp_reduce_kernelILb0ELi256ElPK19rocblas_complex_numIfES3_KPS1_EviiT3_lPKT2_lT1_lS9_lSA_lS6_lPT4_lSA_li.uses_flat_scratch, 0
	.set _ZL32rocblas_gemvt_warp_reduce_kernelILb0ELi256ElPK19rocblas_complex_numIfES3_KPS1_EviiT3_lPKT2_lT1_lS9_lSA_lS6_lPT4_lSA_li.has_dyn_sized_stack, 0
	.set _ZL32rocblas_gemvt_warp_reduce_kernelILb0ELi256ElPK19rocblas_complex_numIfES3_KPS1_EviiT3_lPKT2_lT1_lS9_lSA_lS6_lPT4_lSA_li.has_recursion, 0
	.set _ZL32rocblas_gemvt_warp_reduce_kernelILb0ELi256ElPK19rocblas_complex_numIfES3_KPS1_EviiT3_lPKT2_lT1_lS9_lSA_lS6_lPT4_lSA_li.has_indirect_call, 0
	.section	.AMDGPU.csdata,"",@progbits
; Kernel info:
; codeLenInByte = 2044
; TotalNumSgprs: 50
; NumVgprs: 29
; ScratchSize: 0
; MemoryBound: 0
; FloatMode: 240
; IeeeMode: 1
; LDSByteSize: 256 bytes/workgroup (compile time only)
; SGPRBlocks: 0
; VGPRBlocks: 3
; NumSGPRsForWavesPerEU: 50
; NumVGPRsForWavesPerEU: 29
; Occupancy: 16
; WaveLimiterHint : 1
; COMPUTE_PGM_RSRC2:SCRATCH_EN: 0
; COMPUTE_PGM_RSRC2:USER_SGPR: 2
; COMPUTE_PGM_RSRC2:TRAP_HANDLER: 0
; COMPUTE_PGM_RSRC2:TGID_X_EN: 1
; COMPUTE_PGM_RSRC2:TGID_Y_EN: 0
; COMPUTE_PGM_RSRC2:TGID_Z_EN: 1
; COMPUTE_PGM_RSRC2:TIDIG_COMP_CNT: 0
	.section	.text._ZL32rocblas_gemvt_warp_reduce_kernelILb0ELi256EiPK19rocblas_complex_numIfES1_KPS1_EviiT3_lPKT2_lT1_lS9_lSA_lS6_lPT4_lSA_li,"axG",@progbits,_ZL32rocblas_gemvt_warp_reduce_kernelILb0ELi256EiPK19rocblas_complex_numIfES1_KPS1_EviiT3_lPKT2_lT1_lS9_lSA_lS6_lPT4_lSA_li,comdat
	.globl	_ZL32rocblas_gemvt_warp_reduce_kernelILb0ELi256EiPK19rocblas_complex_numIfES1_KPS1_EviiT3_lPKT2_lT1_lS9_lSA_lS6_lPT4_lSA_li ; -- Begin function _ZL32rocblas_gemvt_warp_reduce_kernelILb0ELi256EiPK19rocblas_complex_numIfES1_KPS1_EviiT3_lPKT2_lT1_lS9_lSA_lS6_lPT4_lSA_li
	.p2align	8
	.type	_ZL32rocblas_gemvt_warp_reduce_kernelILb0ELi256EiPK19rocblas_complex_numIfES1_KPS1_EviiT3_lPKT2_lT1_lS9_lSA_lS6_lPT4_lSA_li,@function
_ZL32rocblas_gemvt_warp_reduce_kernelILb0ELi256EiPK19rocblas_complex_numIfES1_KPS1_EviiT3_lPKT2_lT1_lS9_lSA_lS6_lPT4_lSA_li: ; @_ZL32rocblas_gemvt_warp_reduce_kernelILb0ELi256EiPK19rocblas_complex_numIfES1_KPS1_EviiT3_lPKT2_lT1_lS9_lSA_lS6_lPT4_lSA_li
; %bb.0:
	s_load_b32 s33, s[0:1], 0x88
	s_lshr_b32 s6, ttmp7, 16
	s_wait_kmcnt 0x0
	s_cmp_ge_u32 s6, s33
	s_cbranch_scc1 .LBB316_37
; %bb.1:
	s_clause 0x8
	s_load_b64 s[20:21], s[0:1], 0x8
	s_load_b64 s[22:23], s[0:1], 0x58
	s_load_b32 s24, s[0:1], 0x78
	s_load_b32 s5, s[0:1], 0x0
	s_load_b128 s[8:11], s[0:1], 0x68
	s_load_b128 s[12:15], s[0:1], 0x18
	s_load_b32 s4, s[0:1], 0x28
	s_load_b128 s[16:19], s[0:1], 0x38
	s_load_b32 s25, s[0:1], 0x48
	v_lshrrev_b32_e32 v3, 2, v0
	v_dual_mov_b32 v1, 0 :: v_dual_and_b32 v2, 31, v0
	v_mbcnt_lo_u32_b32 v16, -1, 0
	v_cmp_eq_u32_e64 s0, 0, v0
	s_delay_alu instid0(VALU_DEP_4)
	v_and_b32_e32 v14, 56, v3
	v_cmp_gt_u32_e64 s1, 32, v0
	s_mov_b32 s7, 0
	v_lshl_or_b32 v18, v16, 2, 64
	s_wait_kmcnt 0x0
	s_cmp_neq_f32 s20, 0
	s_mul_i32 s28, s4, ttmp9
	v_cmp_gt_i32_e32 vcc_lo, s5, v0
	s_cselect_b32 s2, -1, 0
	s_cmp_neq_f32 s21, 0
	v_lshlrev_b32_e32 v13, 3, v2
	v_mul_lo_u32 v15, v0, s25
	v_cndmask_b32_e32 v4, 0, v0, vcc_lo
	s_cselect_b32 s3, -1, 0
	s_delay_alu instid0(SALU_CYCLE_1) | instskip(SKIP_1) | instid1(VALU_DEP_1)
	s_or_b32 s30, s2, s3
	s_cmp_neq_f32 s22, 1.0
	v_lshlrev_b32_e32 v17, 3, v4
	v_cmp_gt_u32_e64 s2, 8, v0
	s_cselect_b32 s31, -1, 0
	s_cmp_neq_f32 s23, 0
	s_cselect_b32 s38, -1, 0
	s_or_b32 s3, s20, s21
	s_delay_alu instid0(SALU_CYCLE_1)
	s_and_b32 s26, s3, 0x7fffffff
	v_cmp_eq_u32_e64 s3, 0, v2
	s_cmp_lg_u32 s26, 0
	s_cselect_b32 s34, -1, 0
	s_cmp_eq_u32 s26, 0
	s_mul_i32 s26, s24, ttmp9
	s_cselect_b32 s35, -1, 0
	s_cmp_neq_f32 s22, 0
	s_cselect_b32 s39, -1, 0
	s_ashr_i32 s24, s5, 31
	s_ashr_i32 s27, s26, 31
	s_wait_alu 0xfffe
	s_lshr_b32 s4, s24, 24
	s_ashr_i32 s29, s28, 31
	s_wait_alu 0xfffe
	s_add_co_i32 s4, s5, s4
	s_lshl_b32 s36, s25, 8
	s_wait_alu 0xfffe
	s_and_b32 s24, s4, 0xffffff00
	s_or_b32 s4, s30, s31
	s_wait_alu 0xfffe
	v_or_b32_e32 v3, s24, v0
	s_or_b32 s37, s4, s38
	v_cmp_gt_i32_e64 s4, s24, v0
	s_lshl_b64 s[14:15], s[14:15], 3
	s_lshl_b64 s[18:19], s[18:19], 3
	v_mul_lo_u32 v2, s25, v3
	v_cmp_gt_i32_e64 s5, s5, v3
	s_ashr_i32 s25, s24, 31
	s_lshl_b64 s[10:11], s[10:11], 3
	s_or_b32 s38, s39, s38
	s_lshl_b64 s[26:27], s[26:27], 3
	s_lshl_b64 s[28:29], s[28:29], 3
	s_wait_alu 0xfffe
	s_lshl_b64 s[30:31], s[24:25], 3
	v_ashrrev_i32_e32 v3, 31, v2
	s_delay_alu instid0(VALU_DEP_1)
	v_lshlrev_b64_e32 v[3:4], 3, v[2:3]
	s_branch .LBB316_5
.LBB316_2:                              ;   in Loop: Header=BB316_5 Depth=1
	v_add_co_u32 v8, vcc_lo, v19, s26
	s_wait_alu 0xfffd
	v_add_co_ci_u32_e64 v9, null, s27, v20, vcc_lo
	flat_store_b64 v[8:9], v[6:7]
.LBB316_3:                              ;   in Loop: Header=BB316_5 Depth=1
	s_wait_alu 0xfffe
	s_or_b32 exec_lo, exec_lo, s25
.LBB316_4:                              ;   in Loop: Header=BB316_5 Depth=1
	s_add_co_i32 s6, s6, 0x10000
	s_delay_alu instid0(SALU_CYCLE_1)
	s_cmp_lt_u32 s6, s33
	s_cbranch_scc0 .LBB316_37
.LBB316_5:                              ; =>This Loop Header: Depth=1
                                        ;     Child Loop BB316_30 Depth 2
	s_and_not1_b32 vcc_lo, exec_lo, s37
	s_wait_alu 0xfffe
	s_cbranch_vccnz .LBB316_4
; %bb.6:                                ;   in Loop: Header=BB316_5 Depth=1
	s_and_not1_b32 vcc_lo, exec_lo, s35
	s_wait_alu 0xfffe
	s_cbranch_vccnz .LBB316_8
; %bb.7:                                ;   in Loop: Header=BB316_5 Depth=1
	s_mov_b32 s25, 0
	s_branch .LBB316_9
.LBB316_8:                              ;   in Loop: Header=BB316_5 Depth=1
	s_mov_b32 s25, -1
.LBB316_9:                              ;   in Loop: Header=BB316_5 Depth=1
	s_wait_dscnt 0x0
	v_mov_b32_e32 v5, 0
	v_dual_mov_b32 v6, 0 :: v_dual_mov_b32 v7, 0
	v_mov_b32_e32 v8, 0
	s_wait_alu 0xfffe
	s_and_not1_b32 vcc_lo, exec_lo, s25
	s_wait_alu 0xfffe
	s_cbranch_vccnz .LBB316_11
; %bb.10:                               ;   in Loop: Header=BB316_5 Depth=1
	s_lshl_b64 s[40:41], s[6:7], 3
	s_delay_alu instid0(SALU_CYCLE_1)
	s_add_nc_u64 s[40:41], s[12:13], s[40:41]
	global_load_b64 v[7:8], v1, s[40:41]
	s_wait_loadcnt 0x0
	v_add_co_u32 v7, vcc_lo, v7, s14
	s_wait_alu 0xfffd
	v_add_co_ci_u32_e64 v8, null, s15, v8, vcc_lo
.LBB316_11:                             ;   in Loop: Header=BB316_5 Depth=1
	s_and_not1_b32 vcc_lo, exec_lo, s34
	s_wait_alu 0xfffe
	s_cbranch_vccnz .LBB316_13
; %bb.12:                               ;   in Loop: Header=BB316_5 Depth=1
	s_lshl_b64 s[40:41], s[6:7], 3
	s_delay_alu instid0(SALU_CYCLE_1)
	s_add_nc_u64 s[40:41], s[16:17], s[40:41]
	global_load_b64 v[5:6], v1, s[40:41]
	s_wait_loadcnt 0x0
	v_add_co_u32 v5, vcc_lo, v5, s18
	s_wait_alu 0xfffd
	v_add_co_ci_u32_e64 v6, null, s19, v6, vcc_lo
.LBB316_13:                             ;   in Loop: Header=BB316_5 Depth=1
	s_lshl_b64 s[40:41], s[6:7], 3
	s_mov_b32 s25, -1
	s_add_nc_u64 s[40:41], s[8:9], s[40:41]
	global_load_b64 v[9:10], v1, s[40:41]
	s_wait_loadcnt 0x0
	v_add_co_u32 v19, vcc_lo, v9, s10
	s_wait_alu 0xfffd
	v_add_co_ci_u32_e64 v20, null, s11, v10, vcc_lo
	s_and_not1_b32 vcc_lo, exec_lo, s35
	s_wait_alu 0xfffe
	s_cbranch_vccnz .LBB316_19
; %bb.14:                               ;   in Loop: Header=BB316_5 Depth=1
	s_and_saveexec_b32 s25, s0
	s_cbranch_execz .LBB316_18
; %bb.15:                               ;   in Loop: Header=BB316_5 Depth=1
	v_dual_mov_b32 v9, 0 :: v_dual_mov_b32 v10, 0
	s_and_not1_b32 vcc_lo, exec_lo, s38
	s_wait_alu 0xfffe
	s_cbranch_vccnz .LBB316_17
; %bb.16:                               ;   in Loop: Header=BB316_5 Depth=1
	v_add_co_u32 v9, vcc_lo, v19, s26
	s_wait_alu 0xfffd
	v_add_co_ci_u32_e64 v10, null, s27, v20, vcc_lo
	flat_load_b64 v[11:12], v[9:10]
	s_wait_loadcnt_dscnt 0x0
	v_mul_f32_e32 v2, s23, v12
	v_mul_f32_e32 v10, s22, v12
	s_delay_alu instid0(VALU_DEP_2) | instskip(NEXT) | instid1(VALU_DEP_2)
	v_fma_f32 v9, s22, v11, -v2
	v_fmac_f32_e32 v10, s23, v11
.LBB316_17:                             ;   in Loop: Header=BB316_5 Depth=1
	v_add_co_u32 v11, vcc_lo, v19, s26
	s_wait_alu 0xfffd
	v_add_co_ci_u32_e64 v12, null, s27, v20, vcc_lo
	flat_store_b64 v[11:12], v[9:10]
.LBB316_18:                             ;   in Loop: Header=BB316_5 Depth=1
	s_wait_alu 0xfffe
	s_or_b32 exec_lo, exec_lo, s25
	s_mov_b32 s25, 0
.LBB316_19:                             ;   in Loop: Header=BB316_5 Depth=1
	s_wait_alu 0xfffe
	s_and_not1_b32 vcc_lo, exec_lo, s25
	s_wait_alu 0xfffe
	s_cbranch_vccnz .LBB316_4
; %bb.20:                               ;   in Loop: Header=BB316_5 Depth=1
	v_add_co_u32 v2, vcc_lo, v7, v17
	s_wait_alu 0xfffd
	v_add_co_ci_u32_e64 v8, null, 0, v8, vcc_lo
	v_dual_mov_b32 v21, 0 :: v_dual_mov_b32 v22, 0
	s_delay_alu instid0(VALU_DEP_3) | instskip(SKIP_1) | instid1(VALU_DEP_3)
	v_add_co_u32 v7, vcc_lo, v2, s28
	s_wait_alu 0xfffd
	v_add_co_ci_u32_e64 v8, null, s29, v8, vcc_lo
	s_and_saveexec_b32 s25, s4
	s_cbranch_execnz .LBB316_29
; %bb.21:                               ;   in Loop: Header=BB316_5 Depth=1
	s_wait_alu 0xfffe
	s_or_b32 exec_lo, exec_lo, s25
	s_and_saveexec_b32 s25, s5
	s_cbranch_execnz .LBB316_32
.LBB316_22:                             ;   in Loop: Header=BB316_5 Depth=1
	s_wait_alu 0xfffe
	s_or_b32 exec_lo, exec_lo, s25
	s_and_saveexec_b32 s25, s1
.LBB316_23:                             ;   in Loop: Header=BB316_5 Depth=1
	v_mov_b32_e32 v2, v1
	ds_store_b64 v13, v[1:2]
.LBB316_24:                             ;   in Loop: Header=BB316_5 Depth=1
	s_wait_alu 0xfffe
	s_or_b32 exec_lo, exec_lo, s25
	ds_bpermute_b32 v2, v18, v22
	v_cmp_gt_u32_e32 vcc_lo, 24, v16
	ds_bpermute_b32 v5, v18, v21
	s_wait_storecnt_dscnt 0x0
	s_barrier_signal -1
	s_barrier_wait -1
	s_wait_alu 0xfffd
	v_cndmask_b32_e64 v6, 0, 8, vcc_lo
	v_cmp_gt_u32_e32 vcc_lo, 28, v16
	global_inv scope:SCOPE_SE
	v_add_lshl_u32 v6, v6, v16, 2
	v_add_f32_e32 v7, v22, v2
	s_wait_alu 0xfffd
	v_cndmask_b32_e64 v2, 0, 4, vcc_lo
	v_cmp_gt_u32_e32 vcc_lo, 30, v16
	ds_bpermute_b32 v8, v6, v7
	v_add_f32_e32 v5, v21, v5
	v_add_lshl_u32 v2, v2, v16, 2
	s_wait_dscnt 0x0
	v_add_f32_e32 v8, v7, v8
	ds_bpermute_b32 v6, v6, v5
	s_wait_alu 0xfffd
	v_cndmask_b32_e64 v7, 0, 2, vcc_lo
	v_cmp_ne_u32_e32 vcc_lo, 31, v16
	s_delay_alu instid0(VALU_DEP_2)
	v_add_lshl_u32 v7, v7, v16, 2
	s_wait_dscnt 0x0
	v_add_f32_e32 v5, v5, v6
	ds_bpermute_b32 v6, v2, v8
	ds_bpermute_b32 v9, v2, v5
	s_wait_dscnt 0x1
	v_add_f32_e32 v6, v8, v6
	s_wait_alu 0xfffd
	v_add_co_ci_u32_e64 v8, null, 0, v16, vcc_lo
	s_wait_dscnt 0x0
	v_add_f32_e32 v9, v5, v9
	ds_bpermute_b32 v5, v7, v6
	v_lshlrev_b32_e32 v8, 2, v8
	ds_bpermute_b32 v10, v7, v9
	s_wait_dscnt 0x0
	v_dual_add_f32 v5, v6, v5 :: v_dual_add_f32 v6, v9, v10
	ds_bpermute_b32 v9, v8, v5
	ds_bpermute_b32 v10, v8, v6
	s_and_saveexec_b32 s25, s3
	s_cbranch_execz .LBB316_26
; %bb.25:                               ;   in Loop: Header=BB316_5 Depth=1
	s_wait_dscnt 0x0
	v_dual_add_f32 v6, v6, v10 :: v_dual_add_f32 v5, v5, v9
	ds_store_b64 v14, v[5:6]
.LBB316_26:                             ;   in Loop: Header=BB316_5 Depth=1
	s_wait_alu 0xfffe
	s_or_b32 exec_lo, exec_lo, s25
	v_dual_mov_b32 v6, 0 :: v_dual_mov_b32 v5, 0
	s_wait_loadcnt_dscnt 0x0
	s_barrier_signal -1
	s_barrier_wait -1
	global_inv scope:SCOPE_SE
	s_and_saveexec_b32 s25, s2
	s_cbranch_execnz .LBB316_33
; %bb.27:                               ;   in Loop: Header=BB316_5 Depth=1
	s_wait_alu 0xfffe
	s_or_b32 exec_lo, exec_lo, s25
	s_and_saveexec_b32 s25, s1
	s_cbranch_execnz .LBB316_34
.LBB316_28:                             ;   in Loop: Header=BB316_5 Depth=1
	s_wait_alu 0xfffe
	s_or_b32 exec_lo, exec_lo, s25
	s_and_saveexec_b32 s25, s0
	s_cbranch_execz .LBB316_3
	s_branch .LBB316_35
.LBB316_29:                             ;   in Loop: Header=BB316_5 Depth=1
	v_dual_mov_b32 v21, 0 :: v_dual_mov_b32 v12, v8
	v_dual_mov_b32 v9, v15 :: v_dual_mov_b32 v2, v0
	;; [unrolled: 1-line block ×3, first 2 shown]
	s_mov_b32 s39, 0
.LBB316_30:                             ;   Parent Loop BB316_5 Depth=1
                                        ; =>  This Inner Loop Header: Depth=2
	s_delay_alu instid0(VALU_DEP_2) | instskip(NEXT) | instid1(VALU_DEP_3)
	v_ashrrev_i32_e32 v10, 31, v9
	v_add_nc_u32_e32 v2, 0x100, v2
	s_delay_alu instid0(VALU_DEP_2) | instskip(SKIP_1) | instid1(VALU_DEP_2)
	v_lshlrev_b64_e32 v[23:24], 3, v[9:10]
	v_add_nc_u32_e32 v9, s36, v9
	v_add_co_u32 v23, vcc_lo, v5, v23
	s_wait_alu 0xfffd
	s_delay_alu instid0(VALU_DEP_3)
	v_add_co_ci_u32_e64 v24, null, v6, v24, vcc_lo
	flat_load_b64 v[25:26], v[11:12]
	flat_load_b64 v[23:24], v[23:24]
	v_add_co_u32 v11, vcc_lo, 0x800, v11
	s_wait_alu 0xfffd
	v_add_co_ci_u32_e64 v12, null, 0, v12, vcc_lo
	v_cmp_le_i32_e32 vcc_lo, s24, v2
	s_or_b32 s39, vcc_lo, s39
	s_wait_loadcnt_dscnt 0x0
	v_mul_f32_e32 v10, v24, v26
	v_mul_f32_e32 v26, v23, v26
	s_delay_alu instid0(VALU_DEP_2) | instskip(NEXT) | instid1(VALU_DEP_2)
	v_fma_f32 v10, v23, v25, -v10
	v_fmac_f32_e32 v26, v24, v25
	s_delay_alu instid0(VALU_DEP_2) | instskip(NEXT) | instid1(VALU_DEP_2)
	v_add_f32_e32 v22, v22, v10
	v_add_f32_e32 v21, v21, v26
	s_and_not1_b32 exec_lo, exec_lo, s39
	s_cbranch_execnz .LBB316_30
; %bb.31:                               ;   in Loop: Header=BB316_5 Depth=1
	s_or_b32 exec_lo, exec_lo, s39
	s_wait_alu 0xfffe
	s_or_b32 exec_lo, exec_lo, s25
	s_and_saveexec_b32 s25, s5
	s_cbranch_execz .LBB316_22
.LBB316_32:                             ;   in Loop: Header=BB316_5 Depth=1
	v_add_co_u32 v7, vcc_lo, v7, s30
	s_wait_alu 0xfffd
	v_add_co_ci_u32_e64 v8, null, s31, v8, vcc_lo
	v_add_co_u32 v5, vcc_lo, v5, v3
	s_wait_alu 0xfffd
	v_add_co_ci_u32_e64 v6, null, v6, v4, vcc_lo
	flat_load_b64 v[7:8], v[7:8]
	flat_load_b64 v[5:6], v[5:6]
	s_wait_loadcnt_dscnt 0x0
	v_mul_f32_e32 v2, v6, v8
	v_mul_f32_e32 v8, v5, v8
	s_delay_alu instid0(VALU_DEP_2) | instskip(NEXT) | instid1(VALU_DEP_2)
	v_fma_f32 v2, v5, v7, -v2
	v_fmac_f32_e32 v8, v6, v7
	s_delay_alu instid0(VALU_DEP_1)
	v_dual_add_f32 v22, v22, v2 :: v_dual_add_f32 v21, v21, v8
	s_wait_alu 0xfffe
	s_or_b32 exec_lo, exec_lo, s25
	s_and_saveexec_b32 s25, s1
	s_cbranch_execnz .LBB316_23
	s_branch .LBB316_24
.LBB316_33:                             ;   in Loop: Header=BB316_5 Depth=1
	ds_load_b64 v[5:6], v13
	s_wait_alu 0xfffe
	s_or_b32 exec_lo, exec_lo, s25
	s_and_saveexec_b32 s25, s1
	s_cbranch_execz .LBB316_28
.LBB316_34:                             ;   in Loop: Header=BB316_5 Depth=1
	s_wait_dscnt 0x0
	ds_bpermute_b32 v9, v2, v5
	ds_bpermute_b32 v2, v2, v6
	s_wait_dscnt 0x0
	v_dual_add_f32 v5, v5, v9 :: v_dual_add_f32 v2, v6, v2
	ds_bpermute_b32 v6, v7, v5
	ds_bpermute_b32 v7, v7, v2
	s_wait_dscnt 0x0
	v_dual_add_f32 v5, v5, v6 :: v_dual_add_f32 v2, v2, v7
	ds_bpermute_b32 v6, v8, v5
	ds_bpermute_b32 v7, v8, v2
	s_wait_dscnt 0x0
	v_dual_add_f32 v5, v5, v6 :: v_dual_add_f32 v6, v2, v7
	s_wait_alu 0xfffe
	s_or_b32 exec_lo, exec_lo, s25
	s_and_saveexec_b32 s25, s0
	s_cbranch_execz .LBB316_3
.LBB316_35:                             ;   in Loop: Header=BB316_5 Depth=1
	s_wait_dscnt 0x0
	v_mul_f32_e32 v7, s20, v6
	v_mul_f32_e32 v2, s21, v6
	s_and_not1_b32 vcc_lo, exec_lo, s38
	s_delay_alu instid0(VALU_DEP_2) | instskip(NEXT) | instid1(VALU_DEP_2)
	v_fmac_f32_e32 v7, s21, v5
	v_fma_f32 v6, v5, s20, -v2
	s_wait_alu 0xfffe
	s_cbranch_vccnz .LBB316_2
; %bb.36:                               ;   in Loop: Header=BB316_5 Depth=1
	v_add_co_u32 v8, vcc_lo, v19, s26
	s_wait_alu 0xfffd
	v_add_co_ci_u32_e64 v9, null, s27, v20, vcc_lo
	flat_load_b64 v[8:9], v[8:9]
	s_wait_loadcnt_dscnt 0x0
	v_mul_f32_e32 v5, s22, v9
	s_delay_alu instid0(VALU_DEP_1) | instskip(NEXT) | instid1(VALU_DEP_1)
	v_dual_mul_f32 v2, s23, v9 :: v_dual_fmac_f32 v5, s23, v8
	v_fma_f32 v2, s22, v8, -v2
	s_delay_alu instid0(VALU_DEP_1)
	v_dual_add_f32 v7, v7, v5 :: v_dual_add_f32 v6, v6, v2
	s_branch .LBB316_2
.LBB316_37:
	s_endpgm
	.section	.rodata,"a",@progbits
	.p2align	6, 0x0
	.amdhsa_kernel _ZL32rocblas_gemvt_warp_reduce_kernelILb0ELi256EiPK19rocblas_complex_numIfES1_KPS1_EviiT3_lPKT2_lT1_lS9_lSA_lS6_lPT4_lSA_li
		.amdhsa_group_segment_fixed_size 256
		.amdhsa_private_segment_fixed_size 0
		.amdhsa_kernarg_size 140
		.amdhsa_user_sgpr_count 2
		.amdhsa_user_sgpr_dispatch_ptr 0
		.amdhsa_user_sgpr_queue_ptr 0
		.amdhsa_user_sgpr_kernarg_segment_ptr 1
		.amdhsa_user_sgpr_dispatch_id 0
		.amdhsa_user_sgpr_private_segment_size 0
		.amdhsa_wavefront_size32 1
		.amdhsa_uses_dynamic_stack 0
		.amdhsa_enable_private_segment 0
		.amdhsa_system_sgpr_workgroup_id_x 1
		.amdhsa_system_sgpr_workgroup_id_y 0
		.amdhsa_system_sgpr_workgroup_id_z 1
		.amdhsa_system_sgpr_workgroup_info 0
		.amdhsa_system_vgpr_workitem_id 0
		.amdhsa_next_free_vgpr 27
		.amdhsa_next_free_sgpr 42
		.amdhsa_reserve_vcc 1
		.amdhsa_float_round_mode_32 0
		.amdhsa_float_round_mode_16_64 0
		.amdhsa_float_denorm_mode_32 3
		.amdhsa_float_denorm_mode_16_64 3
		.amdhsa_fp16_overflow 0
		.amdhsa_workgroup_processor_mode 1
		.amdhsa_memory_ordered 1
		.amdhsa_forward_progress 1
		.amdhsa_inst_pref_size 15
		.amdhsa_round_robin_scheduling 0
		.amdhsa_exception_fp_ieee_invalid_op 0
		.amdhsa_exception_fp_denorm_src 0
		.amdhsa_exception_fp_ieee_div_zero 0
		.amdhsa_exception_fp_ieee_overflow 0
		.amdhsa_exception_fp_ieee_underflow 0
		.amdhsa_exception_fp_ieee_inexact 0
		.amdhsa_exception_int_div_zero 0
	.end_amdhsa_kernel
	.section	.text._ZL32rocblas_gemvt_warp_reduce_kernelILb0ELi256EiPK19rocblas_complex_numIfES1_KPS1_EviiT3_lPKT2_lT1_lS9_lSA_lS6_lPT4_lSA_li,"axG",@progbits,_ZL32rocblas_gemvt_warp_reduce_kernelILb0ELi256EiPK19rocblas_complex_numIfES1_KPS1_EviiT3_lPKT2_lT1_lS9_lSA_lS6_lPT4_lSA_li,comdat
.Lfunc_end316:
	.size	_ZL32rocblas_gemvt_warp_reduce_kernelILb0ELi256EiPK19rocblas_complex_numIfES1_KPS1_EviiT3_lPKT2_lT1_lS9_lSA_lS6_lPT4_lSA_li, .Lfunc_end316-_ZL32rocblas_gemvt_warp_reduce_kernelILb0ELi256EiPK19rocblas_complex_numIfES1_KPS1_EviiT3_lPKT2_lT1_lS9_lSA_lS6_lPT4_lSA_li
                                        ; -- End function
	.set _ZL32rocblas_gemvt_warp_reduce_kernelILb0ELi256EiPK19rocblas_complex_numIfES1_KPS1_EviiT3_lPKT2_lT1_lS9_lSA_lS6_lPT4_lSA_li.num_vgpr, 27
	.set _ZL32rocblas_gemvt_warp_reduce_kernelILb0ELi256EiPK19rocblas_complex_numIfES1_KPS1_EviiT3_lPKT2_lT1_lS9_lSA_lS6_lPT4_lSA_li.num_agpr, 0
	.set _ZL32rocblas_gemvt_warp_reduce_kernelILb0ELi256EiPK19rocblas_complex_numIfES1_KPS1_EviiT3_lPKT2_lT1_lS9_lSA_lS6_lPT4_lSA_li.numbered_sgpr, 42
	.set _ZL32rocblas_gemvt_warp_reduce_kernelILb0ELi256EiPK19rocblas_complex_numIfES1_KPS1_EviiT3_lPKT2_lT1_lS9_lSA_lS6_lPT4_lSA_li.num_named_barrier, 0
	.set _ZL32rocblas_gemvt_warp_reduce_kernelILb0ELi256EiPK19rocblas_complex_numIfES1_KPS1_EviiT3_lPKT2_lT1_lS9_lSA_lS6_lPT4_lSA_li.private_seg_size, 0
	.set _ZL32rocblas_gemvt_warp_reduce_kernelILb0ELi256EiPK19rocblas_complex_numIfES1_KPS1_EviiT3_lPKT2_lT1_lS9_lSA_lS6_lPT4_lSA_li.uses_vcc, 1
	.set _ZL32rocblas_gemvt_warp_reduce_kernelILb0ELi256EiPK19rocblas_complex_numIfES1_KPS1_EviiT3_lPKT2_lT1_lS9_lSA_lS6_lPT4_lSA_li.uses_flat_scratch, 0
	.set _ZL32rocblas_gemvt_warp_reduce_kernelILb0ELi256EiPK19rocblas_complex_numIfES1_KPS1_EviiT3_lPKT2_lT1_lS9_lSA_lS6_lPT4_lSA_li.has_dyn_sized_stack, 0
	.set _ZL32rocblas_gemvt_warp_reduce_kernelILb0ELi256EiPK19rocblas_complex_numIfES1_KPS1_EviiT3_lPKT2_lT1_lS9_lSA_lS6_lPT4_lSA_li.has_recursion, 0
	.set _ZL32rocblas_gemvt_warp_reduce_kernelILb0ELi256EiPK19rocblas_complex_numIfES1_KPS1_EviiT3_lPKT2_lT1_lS9_lSA_lS6_lPT4_lSA_li.has_indirect_call, 0
	.section	.AMDGPU.csdata,"",@progbits
; Kernel info:
; codeLenInByte = 1920
; TotalNumSgprs: 44
; NumVgprs: 27
; ScratchSize: 0
; MemoryBound: 0
; FloatMode: 240
; IeeeMode: 1
; LDSByteSize: 256 bytes/workgroup (compile time only)
; SGPRBlocks: 0
; VGPRBlocks: 3
; NumSGPRsForWavesPerEU: 44
; NumVGPRsForWavesPerEU: 27
; Occupancy: 16
; WaveLimiterHint : 1
; COMPUTE_PGM_RSRC2:SCRATCH_EN: 0
; COMPUTE_PGM_RSRC2:USER_SGPR: 2
; COMPUTE_PGM_RSRC2:TRAP_HANDLER: 0
; COMPUTE_PGM_RSRC2:TGID_X_EN: 1
; COMPUTE_PGM_RSRC2:TGID_Y_EN: 0
; COMPUTE_PGM_RSRC2:TGID_Z_EN: 1
; COMPUTE_PGM_RSRC2:TIDIG_COMP_CNT: 0
	.section	.text._ZL32rocblas_gemvt_warp_reduce_kernelILb0ELi256ElPK19rocblas_complex_numIfES1_KPS1_EviiT3_lPKT2_lT1_lS9_lSA_lS6_lPT4_lSA_li,"axG",@progbits,_ZL32rocblas_gemvt_warp_reduce_kernelILb0ELi256ElPK19rocblas_complex_numIfES1_KPS1_EviiT3_lPKT2_lT1_lS9_lSA_lS6_lPT4_lSA_li,comdat
	.globl	_ZL32rocblas_gemvt_warp_reduce_kernelILb0ELi256ElPK19rocblas_complex_numIfES1_KPS1_EviiT3_lPKT2_lT1_lS9_lSA_lS6_lPT4_lSA_li ; -- Begin function _ZL32rocblas_gemvt_warp_reduce_kernelILb0ELi256ElPK19rocblas_complex_numIfES1_KPS1_EviiT3_lPKT2_lT1_lS9_lSA_lS6_lPT4_lSA_li
	.p2align	8
	.type	_ZL32rocblas_gemvt_warp_reduce_kernelILb0ELi256ElPK19rocblas_complex_numIfES1_KPS1_EviiT3_lPKT2_lT1_lS9_lSA_lS6_lPT4_lSA_li,@function
_ZL32rocblas_gemvt_warp_reduce_kernelILb0ELi256ElPK19rocblas_complex_numIfES1_KPS1_EviiT3_lPKT2_lT1_lS9_lSA_lS6_lPT4_lSA_li: ; @_ZL32rocblas_gemvt_warp_reduce_kernelILb0ELi256ElPK19rocblas_complex_numIfES1_KPS1_EviiT3_lPKT2_lT1_lS9_lSA_lS6_lPT4_lSA_li
; %bb.0:
	s_load_b32 s33, s[0:1], 0x88
	s_lshr_b32 s20, ttmp7, 16
	s_wait_kmcnt 0x0
	s_cmp_ge_u32 s20, s33
	s_cbranch_scc1 .LBB317_37
; %bb.1:
	s_clause 0x8
	s_load_b64 s[22:23], s[0:1], 0x8
	s_load_b64 s[6:7], s[0:1], 0x48
	;; [unrolled: 1-line block ×3, first 2 shown]
	s_load_b32 s40, s[0:1], 0x0
	s_load_b128 s[8:11], s[0:1], 0x38
	s_load_b128 s[12:15], s[0:1], 0x68
	;; [unrolled: 1-line block ×3, first 2 shown]
	s_load_b64 s[30:31], s[0:1], 0x28
	s_load_b64 s[34:35], s[0:1], 0x78
	v_and_b32_e32 v5, 31, v0
	v_lshrrev_b32_e32 v6, 2, v0
	v_mov_b32_e32 v1, 0
	v_mbcnt_lo_u32_b32 v17, -1, 0
	s_mov_b32 s4, ttmp9
	v_lshlrev_b32_e32 v15, 3, v5
	v_and_b32_e32 v16, 56, v6
	v_cmp_eq_u32_e64 s0, 0, v0
	v_lshl_or_b32 v19, v17, 2, 64
	s_mov_b32 s21, 0
	s_wait_kmcnt 0x0
	s_cmp_neq_f32 s22, 0
	v_mad_co_u64_u32 v[2:3], null, s6, v0, 0
	v_cmp_gt_i32_e32 vcc_lo, s40, v0
	s_cselect_b32 s1, -1, 0
	s_cmp_neq_f32 s23, 0
	v_cndmask_b32_e32 v7, 0, v0, vcc_lo
	s_cselect_b32 s2, -1, 0
	s_delay_alu instid0(VALU_DEP_3)
	v_mad_co_u64_u32 v[3:4], null, s7, v0, v[3:4]
	s_or_b32 s26, s1, s2
	s_cmp_neq_f32 s24, 1.0
	v_cmp_gt_u32_e64 s1, 32, v0
	v_cmp_gt_u32_e64 s2, 8, v0
	v_lshlrev_b32_e32 v18, 3, v7
	s_cselect_b32 s27, -1, 0
	s_cmp_neq_f32 s25, 0
	v_lshlrev_b64_e32 v[3:4], 3, v[2:3]
	s_cselect_b32 s41, -1, 0
	s_or_b32 s3, s22, s23
	s_delay_alu instid0(SALU_CYCLE_1)
	s_and_b32 s5, s3, 0x7fffffff
	v_cmp_eq_u32_e64 s3, 0, v5
	s_cmp_lg_u32 s5, 0
	v_or_b32_e32 v3, 4, v3
	s_cselect_b32 s38, -1, 0
	s_cmp_eq_u32 s5, 0
	s_cselect_b32 s39, -1, 0
	s_cmp_neq_f32 s24, 0
	s_cselect_b32 s42, -1, 0
	s_ashr_i32 s5, s40, 31
	s_or_b32 s27, s26, s27
	s_lshr_b32 s28, s5, 24
	s_ashr_i32 s5, ttmp9, 31
	s_add_co_i32 s28, s40, s28
	s_mul_u64 s[34:35], s[34:35], s[4:5]
	s_and_b32 s26, s28, 0xffffff00
	s_lshl_b64 s[28:29], s[6:7], 11
	v_or_b32_e32 v2, s26, v0
	s_mul_u64 s[36:37], s[30:31], s[4:5]
	v_cmp_gt_i32_e64 s4, s26, v0
	s_lshl_b64 s[18:19], s[18:19], 3
	s_lshl_b64 s[10:11], s[10:11], 3
	v_mul_lo_u32 v8, s7, v2
	v_mad_co_u64_u32 v[5:6], null, s6, v2, 0
	s_wait_alu 0xfffe
	s_or_b32 s7, s27, s41
	s_ashr_i32 s27, s26, 31
	v_cmp_gt_i32_e64 s5, s40, v2
	s_wait_alu 0xfffe
	s_mul_i32 s6, s6, s27
	s_lshl_b64 s[14:15], s[14:15], 3
	s_or_b32 s40, s42, s41
	s_wait_alu 0xfffe
	v_add3_u32 v6, v6, s6, v8
	s_lshl_b64 s[30:31], s[34:35], 3
	s_lshl_b64 s[34:35], s[36:37], 3
	;; [unrolled: 1-line block ×3, first 2 shown]
	s_delay_alu instid0(VALU_DEP_1)
	v_lshlrev_b64_e32 v[5:6], 3, v[5:6]
	s_branch .LBB317_5
.LBB317_2:                              ;   in Loop: Header=BB317_5 Depth=1
	v_add_co_u32 v10, vcc_lo, v20, s30
	s_wait_alu 0xfffd
	v_add_co_ci_u32_e64 v11, null, s31, v21, vcc_lo
	flat_store_b64 v[10:11], v[8:9]
.LBB317_3:                              ;   in Loop: Header=BB317_5 Depth=1
	s_wait_alu 0xfffe
	s_or_b32 exec_lo, exec_lo, s6
.LBB317_4:                              ;   in Loop: Header=BB317_5 Depth=1
	s_add_co_i32 s20, s20, 0x10000
	s_delay_alu instid0(SALU_CYCLE_1)
	s_cmp_lt_u32 s20, s33
	s_cbranch_scc0 .LBB317_37
.LBB317_5:                              ; =>This Loop Header: Depth=1
                                        ;     Child Loop BB317_30 Depth 2
	s_and_not1_b32 vcc_lo, exec_lo, s7
	s_wait_alu 0xfffe
	s_cbranch_vccnz .LBB317_4
; %bb.6:                                ;   in Loop: Header=BB317_5 Depth=1
	s_and_not1_b32 vcc_lo, exec_lo, s39
	s_wait_alu 0xfffe
	s_cbranch_vccnz .LBB317_8
; %bb.7:                                ;   in Loop: Header=BB317_5 Depth=1
	s_mov_b32 s6, 0
	s_branch .LBB317_9
.LBB317_8:                              ;   in Loop: Header=BB317_5 Depth=1
	s_mov_b32 s6, -1
.LBB317_9:                              ;   in Loop: Header=BB317_5 Depth=1
	s_wait_dscnt 0x0
	v_mov_b32_e32 v7, 0
	v_dual_mov_b32 v8, 0 :: v_dual_mov_b32 v9, 0
	v_mov_b32_e32 v10, 0
	s_wait_alu 0xfffe
	s_and_not1_b32 vcc_lo, exec_lo, s6
	s_wait_alu 0xfffe
	s_cbranch_vccnz .LBB317_11
; %bb.10:                               ;   in Loop: Header=BB317_5 Depth=1
	s_lshl_b64 s[42:43], s[20:21], 3
	s_delay_alu instid0(SALU_CYCLE_1)
	s_add_nc_u64 s[42:43], s[16:17], s[42:43]
	global_load_b64 v[9:10], v1, s[42:43]
	s_wait_loadcnt 0x0
	v_add_co_u32 v9, vcc_lo, v9, s18
	s_wait_alu 0xfffd
	v_add_co_ci_u32_e64 v10, null, s19, v10, vcc_lo
.LBB317_11:                             ;   in Loop: Header=BB317_5 Depth=1
	s_and_not1_b32 vcc_lo, exec_lo, s38
	s_wait_alu 0xfffe
	s_cbranch_vccnz .LBB317_13
; %bb.12:                               ;   in Loop: Header=BB317_5 Depth=1
	s_lshl_b64 s[42:43], s[20:21], 3
	s_delay_alu instid0(SALU_CYCLE_1)
	s_add_nc_u64 s[42:43], s[8:9], s[42:43]
	global_load_b64 v[7:8], v1, s[42:43]
	s_wait_loadcnt 0x0
	v_add_co_u32 v7, vcc_lo, v7, s10
	s_wait_alu 0xfffd
	v_add_co_ci_u32_e64 v8, null, s11, v8, vcc_lo
.LBB317_13:                             ;   in Loop: Header=BB317_5 Depth=1
	s_lshl_b64 s[42:43], s[20:21], 3
	s_mov_b32 s6, -1
	s_add_nc_u64 s[42:43], s[12:13], s[42:43]
	global_load_b64 v[11:12], v1, s[42:43]
	s_wait_loadcnt 0x0
	v_add_co_u32 v20, vcc_lo, v11, s14
	s_wait_alu 0xfffd
	v_add_co_ci_u32_e64 v21, null, s15, v12, vcc_lo
	s_and_not1_b32 vcc_lo, exec_lo, s39
	s_wait_alu 0xfffe
	s_cbranch_vccnz .LBB317_19
; %bb.14:                               ;   in Loop: Header=BB317_5 Depth=1
	s_and_saveexec_b32 s6, s0
	s_cbranch_execz .LBB317_18
; %bb.15:                               ;   in Loop: Header=BB317_5 Depth=1
	v_dual_mov_b32 v11, 0 :: v_dual_mov_b32 v12, 0
	s_and_not1_b32 vcc_lo, exec_lo, s40
	s_wait_alu 0xfffe
	s_cbranch_vccnz .LBB317_17
; %bb.16:                               ;   in Loop: Header=BB317_5 Depth=1
	v_add_co_u32 v11, vcc_lo, v20, s30
	s_wait_alu 0xfffd
	v_add_co_ci_u32_e64 v12, null, s31, v21, vcc_lo
	flat_load_b64 v[13:14], v[11:12]
	s_wait_loadcnt_dscnt 0x0
	v_mul_f32_e32 v2, s25, v14
	v_mul_f32_e32 v12, s24, v14
	s_delay_alu instid0(VALU_DEP_2) | instskip(NEXT) | instid1(VALU_DEP_2)
	v_fma_f32 v11, s24, v13, -v2
	v_fmac_f32_e32 v12, s25, v13
.LBB317_17:                             ;   in Loop: Header=BB317_5 Depth=1
	v_add_co_u32 v13, vcc_lo, v20, s30
	s_wait_alu 0xfffd
	v_add_co_ci_u32_e64 v14, null, s31, v21, vcc_lo
	flat_store_b64 v[13:14], v[11:12]
.LBB317_18:                             ;   in Loop: Header=BB317_5 Depth=1
	s_wait_alu 0xfffe
	s_or_b32 exec_lo, exec_lo, s6
	s_mov_b32 s6, 0
.LBB317_19:                             ;   in Loop: Header=BB317_5 Depth=1
	s_wait_alu 0xfffe
	s_and_not1_b32 vcc_lo, exec_lo, s6
	s_wait_alu 0xfffe
	s_cbranch_vccnz .LBB317_4
; %bb.20:                               ;   in Loop: Header=BB317_5 Depth=1
	v_add_co_u32 v2, vcc_lo, v9, v18
	s_wait_alu 0xfffd
	v_add_co_ci_u32_e64 v10, null, 0, v10, vcc_lo
	v_dual_mov_b32 v22, 0 :: v_dual_mov_b32 v23, 0
	s_delay_alu instid0(VALU_DEP_3) | instskip(SKIP_1) | instid1(VALU_DEP_3)
	v_add_co_u32 v9, vcc_lo, v2, s34
	s_wait_alu 0xfffd
	v_add_co_ci_u32_e64 v10, null, s35, v10, vcc_lo
	s_and_saveexec_b32 s27, s4
	s_cbranch_execnz .LBB317_29
; %bb.21:                               ;   in Loop: Header=BB317_5 Depth=1
	s_wait_alu 0xfffe
	s_or_b32 exec_lo, exec_lo, s27
	s_and_saveexec_b32 s6, s5
	s_cbranch_execnz .LBB317_32
.LBB317_22:                             ;   in Loop: Header=BB317_5 Depth=1
	s_wait_alu 0xfffe
	s_or_b32 exec_lo, exec_lo, s6
	s_and_saveexec_b32 s6, s1
.LBB317_23:                             ;   in Loop: Header=BB317_5 Depth=1
	v_mov_b32_e32 v2, v1
	ds_store_b64 v15, v[1:2]
.LBB317_24:                             ;   in Loop: Header=BB317_5 Depth=1
	s_wait_alu 0xfffe
	s_or_b32 exec_lo, exec_lo, s6
	ds_bpermute_b32 v2, v19, v23
	v_cmp_gt_u32_e32 vcc_lo, 24, v17
	ds_bpermute_b32 v7, v19, v22
	s_wait_storecnt_dscnt 0x0
	s_barrier_signal -1
	s_barrier_wait -1
	s_wait_alu 0xfffd
	v_cndmask_b32_e64 v8, 0, 8, vcc_lo
	v_cmp_gt_u32_e32 vcc_lo, 28, v17
	global_inv scope:SCOPE_SE
	v_add_lshl_u32 v8, v8, v17, 2
	v_add_f32_e32 v9, v23, v2
	s_wait_alu 0xfffd
	v_cndmask_b32_e64 v2, 0, 4, vcc_lo
	v_cmp_gt_u32_e32 vcc_lo, 30, v17
	ds_bpermute_b32 v10, v8, v9
	v_add_f32_e32 v7, v22, v7
	v_add_lshl_u32 v2, v2, v17, 2
	s_wait_dscnt 0x0
	v_add_f32_e32 v10, v9, v10
	ds_bpermute_b32 v8, v8, v7
	s_wait_alu 0xfffd
	v_cndmask_b32_e64 v9, 0, 2, vcc_lo
	v_cmp_ne_u32_e32 vcc_lo, 31, v17
	s_delay_alu instid0(VALU_DEP_2)
	v_add_lshl_u32 v9, v9, v17, 2
	s_wait_dscnt 0x0
	v_add_f32_e32 v7, v7, v8
	ds_bpermute_b32 v8, v2, v10
	s_wait_dscnt 0x0
	v_add_f32_e32 v8, v10, v8
	s_wait_alu 0xfffd
	v_add_co_ci_u32_e64 v10, null, 0, v17, vcc_lo
	s_delay_alu instid0(VALU_DEP_1)
	v_lshlrev_b32_e32 v10, 2, v10
	ds_bpermute_b32 v11, v2, v7
	s_wait_dscnt 0x0
	v_add_f32_e32 v11, v7, v11
	ds_bpermute_b32 v7, v9, v8
	ds_bpermute_b32 v12, v9, v11
	s_wait_dscnt 0x0
	v_dual_add_f32 v7, v8, v7 :: v_dual_add_f32 v8, v11, v12
	ds_bpermute_b32 v11, v10, v7
	ds_bpermute_b32 v12, v10, v8
	s_and_saveexec_b32 s6, s3
	s_cbranch_execz .LBB317_26
; %bb.25:                               ;   in Loop: Header=BB317_5 Depth=1
	s_wait_dscnt 0x0
	v_dual_add_f32 v8, v8, v12 :: v_dual_add_f32 v7, v7, v11
	ds_store_b64 v16, v[7:8]
.LBB317_26:                             ;   in Loop: Header=BB317_5 Depth=1
	s_wait_alu 0xfffe
	s_or_b32 exec_lo, exec_lo, s6
	v_dual_mov_b32 v8, 0 :: v_dual_mov_b32 v7, 0
	s_wait_loadcnt_dscnt 0x0
	s_barrier_signal -1
	s_barrier_wait -1
	global_inv scope:SCOPE_SE
	s_and_saveexec_b32 s6, s2
	s_cbranch_execnz .LBB317_33
; %bb.27:                               ;   in Loop: Header=BB317_5 Depth=1
	s_wait_alu 0xfffe
	s_or_b32 exec_lo, exec_lo, s6
	s_and_saveexec_b32 s6, s1
	s_cbranch_execnz .LBB317_34
.LBB317_28:                             ;   in Loop: Header=BB317_5 Depth=1
	s_wait_alu 0xfffe
	s_or_b32 exec_lo, exec_lo, s6
	s_and_saveexec_b32 s6, s0
	s_cbranch_execz .LBB317_3
	s_branch .LBB317_35
.LBB317_29:                             ;   in Loop: Header=BB317_5 Depth=1
	v_add_co_u32 v11, vcc_lo, v7, v3
	v_dual_mov_b32 v14, v10 :: v_dual_mov_b32 v23, 0
	s_wait_alu 0xfffd
	v_add_co_ci_u32_e64 v12, null, v8, v4, vcc_lo
	v_dual_mov_b32 v22, 0 :: v_dual_mov_b32 v13, v9
	v_mov_b32_e32 v2, v0
	s_mov_b32 s41, 0
.LBB317_30:                             ;   Parent Loop BB317_5 Depth=1
                                        ; =>  This Inner Loop Header: Depth=2
	flat_load_b64 v[24:25], v[13:14]
	flat_load_b64 v[26:27], v[11:12] offset:-4
	v_add_nc_u32_e32 v2, 0x100, v2
	v_add_co_u32 v13, vcc_lo, 0x800, v13
	s_wait_alu 0xfffd
	v_add_co_ci_u32_e64 v14, null, 0, v14, vcc_lo
	v_add_co_u32 v11, vcc_lo, v11, s28
	s_wait_alu 0xfffd
	v_add_co_ci_u32_e64 v12, null, s29, v12, vcc_lo
	s_wait_loadcnt_dscnt 0x0
	v_mul_f32_e32 v28, v27, v25
	v_mul_f32_e32 v25, v26, v25
	v_cmp_le_i32_e64 s6, s26, v2
	s_delay_alu instid0(VALU_DEP_3) | instskip(NEXT) | instid1(VALU_DEP_3)
	v_fma_f32 v26, v26, v24, -v28
	v_fmac_f32_e32 v25, v27, v24
	s_wait_alu 0xfffe
	s_or_b32 s41, s6, s41
	s_delay_alu instid0(VALU_DEP_1)
	v_dual_add_f32 v23, v23, v26 :: v_dual_add_f32 v22, v22, v25
	s_wait_alu 0xfffe
	s_and_not1_b32 exec_lo, exec_lo, s41
	s_cbranch_execnz .LBB317_30
; %bb.31:                               ;   in Loop: Header=BB317_5 Depth=1
	s_or_b32 exec_lo, exec_lo, s41
	s_delay_alu instid0(SALU_CYCLE_1)
	s_or_b32 exec_lo, exec_lo, s27
	s_and_saveexec_b32 s6, s5
	s_cbranch_execz .LBB317_22
.LBB317_32:                             ;   in Loop: Header=BB317_5 Depth=1
	v_add_co_u32 v9, vcc_lo, v9, s36
	s_wait_alu 0xfffd
	v_add_co_ci_u32_e64 v10, null, s37, v10, vcc_lo
	v_add_co_u32 v7, vcc_lo, v7, v5
	s_wait_alu 0xfffd
	v_add_co_ci_u32_e64 v8, null, v8, v6, vcc_lo
	flat_load_b64 v[9:10], v[9:10]
	flat_load_b64 v[7:8], v[7:8]
	s_wait_loadcnt_dscnt 0x0
	v_mul_f32_e32 v2, v8, v10
	v_mul_f32_e32 v10, v7, v10
	s_delay_alu instid0(VALU_DEP_2) | instskip(NEXT) | instid1(VALU_DEP_1)
	v_fma_f32 v2, v7, v9, -v2
	v_dual_fmac_f32 v10, v8, v9 :: v_dual_add_f32 v23, v23, v2
	s_delay_alu instid0(VALU_DEP_1)
	v_add_f32_e32 v22, v22, v10
	s_wait_alu 0xfffe
	s_or_b32 exec_lo, exec_lo, s6
	s_and_saveexec_b32 s6, s1
	s_cbranch_execnz .LBB317_23
	s_branch .LBB317_24
.LBB317_33:                             ;   in Loop: Header=BB317_5 Depth=1
	ds_load_b64 v[7:8], v15
	s_wait_alu 0xfffe
	s_or_b32 exec_lo, exec_lo, s6
	s_and_saveexec_b32 s6, s1
	s_cbranch_execz .LBB317_28
.LBB317_34:                             ;   in Loop: Header=BB317_5 Depth=1
	s_wait_dscnt 0x0
	ds_bpermute_b32 v11, v2, v7
	ds_bpermute_b32 v2, v2, v8
	s_wait_dscnt 0x0
	v_dual_add_f32 v7, v7, v11 :: v_dual_add_f32 v2, v8, v2
	ds_bpermute_b32 v8, v9, v7
	ds_bpermute_b32 v9, v9, v2
	s_wait_dscnt 0x0
	v_dual_add_f32 v7, v7, v8 :: v_dual_add_f32 v2, v2, v9
	;; [unrolled: 4-line block ×3, first 2 shown]
	s_wait_alu 0xfffe
	s_or_b32 exec_lo, exec_lo, s6
	s_and_saveexec_b32 s6, s0
	s_cbranch_execz .LBB317_3
.LBB317_35:                             ;   in Loop: Header=BB317_5 Depth=1
	s_wait_dscnt 0x0
	v_mul_f32_e32 v9, s22, v8
	v_mul_f32_e32 v2, s23, v8
	s_and_not1_b32 vcc_lo, exec_lo, s40
	s_delay_alu instid0(VALU_DEP_2) | instskip(NEXT) | instid1(VALU_DEP_2)
	v_fmac_f32_e32 v9, s23, v7
	v_fma_f32 v8, v7, s22, -v2
	s_wait_alu 0xfffe
	s_cbranch_vccnz .LBB317_2
; %bb.36:                               ;   in Loop: Header=BB317_5 Depth=1
	v_add_co_u32 v10, vcc_lo, v20, s30
	s_wait_alu 0xfffd
	v_add_co_ci_u32_e64 v11, null, s31, v21, vcc_lo
	flat_load_b64 v[10:11], v[10:11]
	s_wait_loadcnt_dscnt 0x0
	v_mul_f32_e32 v7, s24, v11
	s_delay_alu instid0(VALU_DEP_1) | instskip(NEXT) | instid1(VALU_DEP_1)
	v_dual_mul_f32 v2, s25, v11 :: v_dual_fmac_f32 v7, s25, v10
	v_fma_f32 v2, s24, v10, -v2
	s_delay_alu instid0(VALU_DEP_1)
	v_dual_add_f32 v9, v9, v7 :: v_dual_add_f32 v8, v8, v2
	s_branch .LBB317_2
.LBB317_37:
	s_endpgm
	.section	.rodata,"a",@progbits
	.p2align	6, 0x0
	.amdhsa_kernel _ZL32rocblas_gemvt_warp_reduce_kernelILb0ELi256ElPK19rocblas_complex_numIfES1_KPS1_EviiT3_lPKT2_lT1_lS9_lSA_lS6_lPT4_lSA_li
		.amdhsa_group_segment_fixed_size 256
		.amdhsa_private_segment_fixed_size 0
		.amdhsa_kernarg_size 140
		.amdhsa_user_sgpr_count 2
		.amdhsa_user_sgpr_dispatch_ptr 0
		.amdhsa_user_sgpr_queue_ptr 0
		.amdhsa_user_sgpr_kernarg_segment_ptr 1
		.amdhsa_user_sgpr_dispatch_id 0
		.amdhsa_user_sgpr_private_segment_size 0
		.amdhsa_wavefront_size32 1
		.amdhsa_uses_dynamic_stack 0
		.amdhsa_enable_private_segment 0
		.amdhsa_system_sgpr_workgroup_id_x 1
		.amdhsa_system_sgpr_workgroup_id_y 0
		.amdhsa_system_sgpr_workgroup_id_z 1
		.amdhsa_system_sgpr_workgroup_info 0
		.amdhsa_system_vgpr_workitem_id 0
		.amdhsa_next_free_vgpr 29
		.amdhsa_next_free_sgpr 44
		.amdhsa_reserve_vcc 1
		.amdhsa_float_round_mode_32 0
		.amdhsa_float_round_mode_16_64 0
		.amdhsa_float_denorm_mode_32 3
		.amdhsa_float_denorm_mode_16_64 3
		.amdhsa_fp16_overflow 0
		.amdhsa_workgroup_processor_mode 1
		.amdhsa_memory_ordered 1
		.amdhsa_forward_progress 1
		.amdhsa_inst_pref_size 16
		.amdhsa_round_robin_scheduling 0
		.amdhsa_exception_fp_ieee_invalid_op 0
		.amdhsa_exception_fp_denorm_src 0
		.amdhsa_exception_fp_ieee_div_zero 0
		.amdhsa_exception_fp_ieee_overflow 0
		.amdhsa_exception_fp_ieee_underflow 0
		.amdhsa_exception_fp_ieee_inexact 0
		.amdhsa_exception_int_div_zero 0
	.end_amdhsa_kernel
	.section	.text._ZL32rocblas_gemvt_warp_reduce_kernelILb0ELi256ElPK19rocblas_complex_numIfES1_KPS1_EviiT3_lPKT2_lT1_lS9_lSA_lS6_lPT4_lSA_li,"axG",@progbits,_ZL32rocblas_gemvt_warp_reduce_kernelILb0ELi256ElPK19rocblas_complex_numIfES1_KPS1_EviiT3_lPKT2_lT1_lS9_lSA_lS6_lPT4_lSA_li,comdat
.Lfunc_end317:
	.size	_ZL32rocblas_gemvt_warp_reduce_kernelILb0ELi256ElPK19rocblas_complex_numIfES1_KPS1_EviiT3_lPKT2_lT1_lS9_lSA_lS6_lPT4_lSA_li, .Lfunc_end317-_ZL32rocblas_gemvt_warp_reduce_kernelILb0ELi256ElPK19rocblas_complex_numIfES1_KPS1_EviiT3_lPKT2_lT1_lS9_lSA_lS6_lPT4_lSA_li
                                        ; -- End function
	.set _ZL32rocblas_gemvt_warp_reduce_kernelILb0ELi256ElPK19rocblas_complex_numIfES1_KPS1_EviiT3_lPKT2_lT1_lS9_lSA_lS6_lPT4_lSA_li.num_vgpr, 29
	.set _ZL32rocblas_gemvt_warp_reduce_kernelILb0ELi256ElPK19rocblas_complex_numIfES1_KPS1_EviiT3_lPKT2_lT1_lS9_lSA_lS6_lPT4_lSA_li.num_agpr, 0
	.set _ZL32rocblas_gemvt_warp_reduce_kernelILb0ELi256ElPK19rocblas_complex_numIfES1_KPS1_EviiT3_lPKT2_lT1_lS9_lSA_lS6_lPT4_lSA_li.numbered_sgpr, 44
	.set _ZL32rocblas_gemvt_warp_reduce_kernelILb0ELi256ElPK19rocblas_complex_numIfES1_KPS1_EviiT3_lPKT2_lT1_lS9_lSA_lS6_lPT4_lSA_li.num_named_barrier, 0
	.set _ZL32rocblas_gemvt_warp_reduce_kernelILb0ELi256ElPK19rocblas_complex_numIfES1_KPS1_EviiT3_lPKT2_lT1_lS9_lSA_lS6_lPT4_lSA_li.private_seg_size, 0
	.set _ZL32rocblas_gemvt_warp_reduce_kernelILb0ELi256ElPK19rocblas_complex_numIfES1_KPS1_EviiT3_lPKT2_lT1_lS9_lSA_lS6_lPT4_lSA_li.uses_vcc, 1
	.set _ZL32rocblas_gemvt_warp_reduce_kernelILb0ELi256ElPK19rocblas_complex_numIfES1_KPS1_EviiT3_lPKT2_lT1_lS9_lSA_lS6_lPT4_lSA_li.uses_flat_scratch, 0
	.set _ZL32rocblas_gemvt_warp_reduce_kernelILb0ELi256ElPK19rocblas_complex_numIfES1_KPS1_EviiT3_lPKT2_lT1_lS9_lSA_lS6_lPT4_lSA_li.has_dyn_sized_stack, 0
	.set _ZL32rocblas_gemvt_warp_reduce_kernelILb0ELi256ElPK19rocblas_complex_numIfES1_KPS1_EviiT3_lPKT2_lT1_lS9_lSA_lS6_lPT4_lSA_li.has_recursion, 0
	.set _ZL32rocblas_gemvt_warp_reduce_kernelILb0ELi256ElPK19rocblas_complex_numIfES1_KPS1_EviiT3_lPKT2_lT1_lS9_lSA_lS6_lPT4_lSA_li.has_indirect_call, 0
	.section	.AMDGPU.csdata,"",@progbits
; Kernel info:
; codeLenInByte = 1948
; TotalNumSgprs: 46
; NumVgprs: 29
; ScratchSize: 0
; MemoryBound: 0
; FloatMode: 240
; IeeeMode: 1
; LDSByteSize: 256 bytes/workgroup (compile time only)
; SGPRBlocks: 0
; VGPRBlocks: 3
; NumSGPRsForWavesPerEU: 46
; NumVGPRsForWavesPerEU: 29
; Occupancy: 16
; WaveLimiterHint : 1
; COMPUTE_PGM_RSRC2:SCRATCH_EN: 0
; COMPUTE_PGM_RSRC2:USER_SGPR: 2
; COMPUTE_PGM_RSRC2:TRAP_HANDLER: 0
; COMPUTE_PGM_RSRC2:TGID_X_EN: 1
; COMPUTE_PGM_RSRC2:TGID_Y_EN: 0
; COMPUTE_PGM_RSRC2:TGID_Z_EN: 1
; COMPUTE_PGM_RSRC2:TIDIG_COMP_CNT: 0
	.section	.text._ZL20rocblas_gemvt_kernelILb0ELi256EPK19rocblas_complex_numIfES3_KPS1_EviiT2_lPKT1_lilS9_lilS6_lPT3_lili,"axG",@progbits,_ZL20rocblas_gemvt_kernelILb0ELi256EPK19rocblas_complex_numIfES3_KPS1_EviiT2_lPKT1_lilS9_lilS6_lPT3_lili,comdat
	.globl	_ZL20rocblas_gemvt_kernelILb0ELi256EPK19rocblas_complex_numIfES3_KPS1_EviiT2_lPKT1_lilS9_lilS6_lPT3_lili ; -- Begin function _ZL20rocblas_gemvt_kernelILb0ELi256EPK19rocblas_complex_numIfES3_KPS1_EviiT2_lPKT1_lilS9_lilS6_lPT3_lili
	.p2align	8
	.type	_ZL20rocblas_gemvt_kernelILb0ELi256EPK19rocblas_complex_numIfES3_KPS1_EviiT2_lPKT1_lilS9_lilS6_lPT3_lili,@function
_ZL20rocblas_gemvt_kernelILb0ELi256EPK19rocblas_complex_numIfES3_KPS1_EviiT2_lPKT1_lilS9_lilS6_lPT3_lili: ; @_ZL20rocblas_gemvt_kernelILb0ELi256EPK19rocblas_complex_numIfES3_KPS1_EviiT2_lPKT1_lilS9_lilS6_lPT3_lili
; %bb.0:
	s_load_b32 s9, s[0:1], 0x88
	s_lshr_b32 s10, ttmp7, 16
	s_wait_kmcnt 0x0
	s_cmp_ge_u32 s10, s9
	s_cbranch_scc1 .LBB318_43
; %bb.1:
	s_clause 0x6
	s_load_b32 s4, s[0:1], 0x28
	s_load_b32 s36, s[0:1], 0x48
	;; [unrolled: 1-line block ×4, first 2 shown]
	s_load_b128 s[28:31], s[0:1], 0x38
	s_load_b256 s[12:19], s[0:1], 0x8
	s_load_b256 s[20:27], s[0:1], 0x58
	s_mov_b32 s2, ttmp9
	s_ashr_i32 s3, ttmp9, 31
	v_cmp_eq_u32_e64 s0, 0, v0
	v_dual_mov_b32 v15, 0 :: v_dual_lshlrev_b32 v16, 3, v0
	v_cmp_gt_u32_e64 s1, 0x80, v0
	s_mov_b32 s11, 0
	s_wait_kmcnt 0x0
	s_ashr_i32 s5, s4, 31
	v_mad_co_i64_i32 v[1:2], null, s36, v0, 0
	s_ashr_i32 s33, s8, 31
	s_ashr_i32 s7, s6, 31
	s_lshr_b32 s33, s33, 24
	v_cmp_gt_i32_e32 vcc_lo, s8, v0
	s_add_co_i32 s33, s8, s33
	s_mul_u64 s[38:39], s[6:7], s[2:3]
	s_and_b32 s34, s33, 0xffffff00
	s_mul_u64 s[40:41], s[4:5], s[2:3]
	v_or_b32_e32 v3, s34, v0
	v_lshlrev_b64_e32 v[1:2], 3, v[1:2]
	v_cndmask_b32_e32 v5, 0, v0, vcc_lo
	s_ashr_i32 s37, s36, 31
	s_cmp_gt_i32 s8, 0xff
	v_cmp_gt_i32_e64 s2, s8, v3
	v_mad_co_i64_i32 v[3:4], null, s36, v3, 0
	v_cmp_gt_u32_e64 s3, 64, v0
	v_cmp_gt_u32_e64 s4, 32, v0
	;; [unrolled: 1-line block ×6, first 2 shown]
	v_lshlrev_b64_e32 v[3:4], 3, v[3:4]
	v_or_b32_e32 v1, 4, v1
	v_lshlrev_b32_e32 v0, 3, v5
	s_cselect_b32 s33, -1, 0
	s_ashr_i32 s35, s34, 31
	s_wait_alu 0xfffe
	s_lshl_b64 s[36:37], s[36:37], 11
	s_lshl_b64 s[18:19], s[18:19], 3
	s_lshl_b64 s[30:31], s[30:31], 3
	s_lshl_b64 s[26:27], s[26:27], 3
	s_lshl_b64 s[38:39], s[38:39], 3
	s_lshl_b64 s[40:41], s[40:41], 3
	s_lshl_b64 s[42:43], s[34:35], 3
	s_branch .LBB318_5
.LBB318_2:                              ;   in Loop: Header=BB318_5 Depth=1
	v_add_co_u32 v7, vcc_lo, v17, s38
	s_wait_alu 0xfffd
	v_add_co_ci_u32_e64 v8, null, s39, v18, vcc_lo
	flat_store_b64 v[7:8], v[5:6]
.LBB318_3:                              ;   in Loop: Header=BB318_5 Depth=1
	s_wait_alu 0xfffe
	s_or_b32 exec_lo, exec_lo, s47
.LBB318_4:                              ;   in Loop: Header=BB318_5 Depth=1
	s_add_co_i32 s10, s10, 0x10000
	s_delay_alu instid0(SALU_CYCLE_1)
	s_cmp_lt_u32 s10, s9
	s_cbranch_scc0 .LBB318_43
.LBB318_5:                              ; =>This Loop Header: Depth=1
                                        ;     Child Loop BB318_21 Depth 2
	s_mul_u64 s[44:45], s[14:15], s[10:11]
	s_wait_alu 0xfffe
	s_lshl_b64 s[44:45], s[44:45], 3
	s_wait_alu 0xfffe
	s_add_nc_u64 s[44:45], s[12:13], s[44:45]
	global_load_b64 v[5:6], v15, s[44:45]
	s_mul_u64 s[44:45], s[22:23], s[10:11]
	s_wait_alu 0xfffe
	s_lshl_b64 s[44:45], s[44:45], 3
	s_wait_alu 0xfffe
	s_add_nc_u64 s[44:45], s[20:21], s[44:45]
	global_load_b64 v[7:8], v15, s[44:45]
	s_wait_loadcnt 0x1
	v_readfirstlane_b32 s45, v5
	v_readfirstlane_b32 s46, v6
	s_wait_alu 0xfffe
	s_cmp_neq_f32 s45, 0
	s_wait_loadcnt 0x0
	v_readfirstlane_b32 s35, v7
	s_cselect_b32 s44, -1, 0
	s_cmp_neq_f32 s46, 0
	s_cselect_b32 s47, -1, 0
	s_wait_alu 0xfffe
	s_or_b32 s47, s44, s47
	v_readfirstlane_b32 s44, v8
	s_wait_alu 0xfffe
	s_and_b32 vcc_lo, exec_lo, s47
	s_mov_b32 s47, -1
	s_wait_alu 0xfffe
	s_cbranch_vccnz .LBB318_7
; %bb.6:                                ;   in Loop: Header=BB318_5 Depth=1
	s_cmp_neq_f32 s35, 1.0
	s_cselect_b32 s47, -1, 0
	s_cmp_neq_f32 s44, 0
	s_cselect_b32 s48, -1, 0
	s_wait_alu 0xfffe
	s_or_b32 s47, s47, s48
.LBB318_7:                              ;   in Loop: Header=BB318_5 Depth=1
	s_wait_alu 0xfffe
	s_and_not1_b32 vcc_lo, exec_lo, s47
	s_wait_alu 0xfffe
	s_cbranch_vccnz .LBB318_4
; %bb.8:                                ;   in Loop: Header=BB318_5 Depth=1
	s_or_b32 s47, s45, s46
	v_mov_b32_e32 v5, 0
	s_wait_alu 0xfffe
	s_bitset0_b32 s47, 31
	v_dual_mov_b32 v6, 0 :: v_dual_mov_b32 v7, 0
	s_wait_alu 0xfffe
	s_cmp_lg_u32 s47, 0
	v_mov_b32_e32 v8, 0
	s_cselect_b32 s48, -1, 0
	s_cmp_eq_u32 s47, 0
	s_cselect_b32 s47, -1, 0
	s_wait_alu 0xfffe
	s_and_b32 vcc_lo, exec_lo, s47
	s_wait_alu 0xfffe
	s_cbranch_vccnz .LBB318_10
; %bb.9:                                ;   in Loop: Header=BB318_5 Depth=1
	s_lshl_b64 s[50:51], s[10:11], 3
	s_delay_alu instid0(SALU_CYCLE_1)
	s_add_nc_u64 s[50:51], s[16:17], s[50:51]
	global_load_b64 v[7:8], v15, s[50:51]
	s_wait_loadcnt 0x0
	v_add_co_u32 v7, vcc_lo, v7, s18
	s_wait_alu 0xfffd
	v_add_co_ci_u32_e64 v8, null, s19, v8, vcc_lo
.LBB318_10:                             ;   in Loop: Header=BB318_5 Depth=1
	s_and_not1_b32 vcc_lo, exec_lo, s48
	s_wait_alu 0xfffe
	s_cbranch_vccnz .LBB318_12
; %bb.11:                               ;   in Loop: Header=BB318_5 Depth=1
	s_lshl_b64 s[48:49], s[10:11], 3
	s_delay_alu instid0(SALU_CYCLE_1)
	s_add_nc_u64 s[48:49], s[28:29], s[48:49]
	global_load_b64 v[5:6], v15, s[48:49]
	s_wait_loadcnt 0x0
	v_add_co_u32 v5, vcc_lo, v5, s30
	s_wait_alu 0xfffd
	v_add_co_ci_u32_e64 v6, null, s31, v6, vcc_lo
.LBB318_12:                             ;   in Loop: Header=BB318_5 Depth=1
	s_lshl_b64 s[48:49], s[10:11], 3
	s_delay_alu instid0(SALU_CYCLE_1)
	s_add_nc_u64 s[48:49], s[24:25], s[48:49]
	global_load_b64 v[9:10], v15, s[48:49]
	s_wait_loadcnt 0x0
	v_add_co_u32 v17, vcc_lo, v9, s26
	s_wait_alu 0xfffd
	v_add_co_ci_u32_e64 v18, null, s27, v10, vcc_lo
	s_and_not1_b32 vcc_lo, exec_lo, s47
	s_mov_b32 s47, -1
	s_wait_alu 0xfffe
	s_cbranch_vccnz .LBB318_18
; %bb.13:                               ;   in Loop: Header=BB318_5 Depth=1
	s_and_saveexec_b32 s47, s0
	s_cbranch_execz .LBB318_17
; %bb.14:                               ;   in Loop: Header=BB318_5 Depth=1
	s_cmp_neq_f32 s35, 0
	v_dual_mov_b32 v9, 0 :: v_dual_mov_b32 v10, 0
	s_cselect_b32 s48, -1, 0
	s_cmp_neq_f32 s44, 0
	s_cselect_b32 s49, -1, 0
	s_delay_alu instid0(SALU_CYCLE_1) | instskip(NEXT) | instid1(SALU_CYCLE_1)
	s_or_b32 s48, s48, s49
	s_and_not1_b32 vcc_lo, exec_lo, s48
	s_wait_alu 0xfffe
	s_cbranch_vccnz .LBB318_16
; %bb.15:                               ;   in Loop: Header=BB318_5 Depth=1
	v_add_co_u32 v9, vcc_lo, v17, s38
	s_wait_alu 0xfffd
	v_add_co_ci_u32_e64 v10, null, s39, v18, vcc_lo
	flat_load_b64 v[11:12], v[9:10]
	s_wait_loadcnt_dscnt 0x0
	v_mul_f32_e32 v10, s35, v12
	s_delay_alu instid0(VALU_DEP_1) | instskip(NEXT) | instid1(VALU_DEP_1)
	v_dual_mul_f32 v9, s44, v12 :: v_dual_fmac_f32 v10, s44, v11
	v_fma_f32 v9, s35, v11, -v9
.LBB318_16:                             ;   in Loop: Header=BB318_5 Depth=1
	v_add_co_u32 v11, vcc_lo, v17, s38
	s_wait_alu 0xfffd
	v_add_co_ci_u32_e64 v12, null, s39, v18, vcc_lo
	flat_store_b64 v[11:12], v[9:10]
.LBB318_17:                             ;   in Loop: Header=BB318_5 Depth=1
	s_wait_alu 0xfffe
	s_or_b32 exec_lo, exec_lo, s47
	s_mov_b32 s47, 0
.LBB318_18:                             ;   in Loop: Header=BB318_5 Depth=1
	s_wait_alu 0xfffe
	s_and_not1_b32 vcc_lo, exec_lo, s47
	s_wait_alu 0xfffe
	s_cbranch_vccnz .LBB318_4
; %bb.19:                               ;   in Loop: Header=BB318_5 Depth=1
	v_add_co_u32 v7, vcc_lo, v7, v0
	s_wait_alu 0xfffd
	v_add_co_ci_u32_e64 v10, null, 0, v8, vcc_lo
	v_mov_b32_e32 v8, 0
	s_delay_alu instid0(VALU_DEP_3) | instskip(SKIP_1) | instid1(VALU_DEP_3)
	v_add_co_u32 v9, vcc_lo, v7, s40
	s_wait_alu 0xfffd
	v_add_co_ci_u32_e64 v10, null, s41, v10, vcc_lo
	s_delay_alu instid0(VALU_DEP_3)
	v_mov_b32_e32 v7, v8
	s_and_not1_b32 vcc_lo, exec_lo, s33
	s_wait_alu 0xfffe
	s_cbranch_vccnz .LBB318_22
; %bb.20:                               ;   in Loop: Header=BB318_5 Depth=1
	v_mov_b32_e32 v8, 0
	v_add_co_u32 v11, vcc_lo, v5, v1
	v_mov_b32_e32 v14, v10
	s_wait_alu 0xfffd
	v_add_co_ci_u32_e64 v12, null, v6, v2, vcc_lo
	v_mov_b32_e32 v13, v9
	v_mov_b32_e32 v7, v8
	s_mov_b32 s47, 0
.LBB318_21:                             ;   Parent Loop BB318_5 Depth=1
                                        ; =>  This Inner Loop Header: Depth=2
	flat_load_b64 v[19:20], v[13:14]
	flat_load_b64 v[21:22], v[11:12] offset:-4
	v_add_co_u32 v11, vcc_lo, v11, s36
	s_wait_alu 0xfffd
	v_add_co_ci_u32_e64 v12, null, s37, v12, vcc_lo
	v_add_co_u32 v13, vcc_lo, 0x800, v13
	s_wait_alu 0xfffd
	v_add_co_ci_u32_e64 v14, null, 0, v14, vcc_lo
	s_wait_alu 0xfffe
	s_addk_co_i32 s47, 0x100
	s_wait_alu 0xfffe
	s_cmp_ge_i32 s47, s34
	s_wait_loadcnt_dscnt 0x0
	v_mul_f32_e32 v23, v22, v20
	v_mul_f32_e32 v20, v21, v20
	s_delay_alu instid0(VALU_DEP_2) | instskip(NEXT) | instid1(VALU_DEP_1)
	v_fma_f32 v21, v21, v19, -v23
	v_dual_add_f32 v7, v7, v21 :: v_dual_fmac_f32 v20, v22, v19
	s_delay_alu instid0(VALU_DEP_1)
	v_add_f32_e32 v8, v8, v20
	s_cbranch_scc0 .LBB318_21
.LBB318_22:                             ;   in Loop: Header=BB318_5 Depth=1
	s_and_saveexec_b32 s47, s2
	s_cbranch_execz .LBB318_24
; %bb.23:                               ;   in Loop: Header=BB318_5 Depth=1
	v_add_co_u32 v9, vcc_lo, v9, s42
	s_wait_alu 0xfffd
	v_add_co_ci_u32_e64 v10, null, s43, v10, vcc_lo
	v_add_co_u32 v5, vcc_lo, v5, v3
	s_wait_alu 0xfffd
	v_add_co_ci_u32_e64 v6, null, v6, v4, vcc_lo
	flat_load_b64 v[9:10], v[9:10]
	flat_load_b64 v[5:6], v[5:6]
	s_wait_loadcnt_dscnt 0x0
	v_mul_f32_e32 v11, v6, v10
	v_mul_f32_e32 v10, v5, v10
	s_delay_alu instid0(VALU_DEP_2) | instskip(NEXT) | instid1(VALU_DEP_1)
	v_fma_f32 v5, v5, v9, -v11
	v_add_f32_e32 v7, v7, v5
	s_delay_alu instid0(VALU_DEP_3) | instskip(NEXT) | instid1(VALU_DEP_1)
	v_fmac_f32_e32 v10, v6, v9
	v_add_f32_e32 v8, v8, v10
.LBB318_24:                             ;   in Loop: Header=BB318_5 Depth=1
	s_wait_alu 0xfffe
	s_or_b32 exec_lo, exec_lo, s47
	ds_store_b64 v16, v[7:8]
	s_wait_storecnt_dscnt 0x0
	s_barrier_signal -1
	s_barrier_wait -1
	global_inv scope:SCOPE_SE
	s_and_saveexec_b32 s47, s1
	s_cbranch_execz .LBB318_26
; %bb.25:                               ;   in Loop: Header=BB318_5 Depth=1
	ds_load_2addr_stride64_b64 v[5:8], v16 offset1:2
	s_wait_dscnt 0x0
	v_dual_add_f32 v5, v7, v5 :: v_dual_add_f32 v6, v8, v6
	ds_store_b64 v16, v[5:6]
.LBB318_26:                             ;   in Loop: Header=BB318_5 Depth=1
	s_wait_alu 0xfffe
	s_or_b32 exec_lo, exec_lo, s47
	s_wait_loadcnt_dscnt 0x0
	s_barrier_signal -1
	s_barrier_wait -1
	global_inv scope:SCOPE_SE
	s_and_saveexec_b32 s47, s3
	s_cbranch_execz .LBB318_28
; %bb.27:                               ;   in Loop: Header=BB318_5 Depth=1
	ds_load_2addr_stride64_b64 v[5:8], v16 offset1:1
	s_wait_dscnt 0x0
	v_dual_add_f32 v5, v7, v5 :: v_dual_add_f32 v6, v8, v6
	ds_store_b64 v16, v[5:6]
.LBB318_28:                             ;   in Loop: Header=BB318_5 Depth=1
	s_wait_alu 0xfffe
	s_or_b32 exec_lo, exec_lo, s47
	s_wait_loadcnt_dscnt 0x0
	s_barrier_signal -1
	s_barrier_wait -1
	global_inv scope:SCOPE_SE
	s_and_saveexec_b32 s47, s4
	s_cbranch_execz .LBB318_30
; %bb.29:                               ;   in Loop: Header=BB318_5 Depth=1
	ds_load_2addr_b64 v[5:8], v16 offset1:32
	s_wait_dscnt 0x0
	v_dual_add_f32 v5, v7, v5 :: v_dual_add_f32 v6, v8, v6
	ds_store_b64 v16, v[5:6]
.LBB318_30:                             ;   in Loop: Header=BB318_5 Depth=1
	s_wait_alu 0xfffe
	s_or_b32 exec_lo, exec_lo, s47
	s_wait_loadcnt_dscnt 0x0
	s_barrier_signal -1
	s_barrier_wait -1
	global_inv scope:SCOPE_SE
	s_and_saveexec_b32 s47, s5
	s_cbranch_execz .LBB318_32
; %bb.31:                               ;   in Loop: Header=BB318_5 Depth=1
	ds_load_2addr_b64 v[5:8], v16 offset1:16
	s_wait_dscnt 0x0
	v_dual_add_f32 v5, v7, v5 :: v_dual_add_f32 v6, v8, v6
	ds_store_b64 v16, v[5:6]
.LBB318_32:                             ;   in Loop: Header=BB318_5 Depth=1
	;; [unrolled: 14-line block ×5, first 2 shown]
	s_wait_alu 0xfffe
	s_or_b32 exec_lo, exec_lo, s47
	s_wait_loadcnt_dscnt 0x0
	s_barrier_signal -1
	s_barrier_wait -1
	global_inv scope:SCOPE_SE
	s_and_saveexec_b32 s47, s0
	s_cbranch_execz .LBB318_40
; %bb.39:                               ;   in Loop: Header=BB318_5 Depth=1
	ds_load_b128 v[5:8], v15
	s_wait_dscnt 0x0
	v_dual_add_f32 v5, v7, v5 :: v_dual_add_f32 v6, v8, v6
	ds_store_b64 v15, v[5:6]
.LBB318_40:                             ;   in Loop: Header=BB318_5 Depth=1
	s_wait_alu 0xfffe
	s_or_b32 exec_lo, exec_lo, s47
	s_wait_loadcnt_dscnt 0x0
	s_barrier_signal -1
	s_barrier_wait -1
	global_inv scope:SCOPE_SE
	s_and_saveexec_b32 s47, s0
	s_cbranch_execz .LBB318_3
; %bb.41:                               ;   in Loop: Header=BB318_5 Depth=1
	ds_load_b64 v[7:8], v15
	s_cmp_neq_f32 s35, 0
	s_cselect_b32 s48, -1, 0
	s_cmp_neq_f32 s44, 0
	s_cselect_b32 s49, -1, 0
	s_delay_alu instid0(SALU_CYCLE_1) | instskip(NEXT) | instid1(SALU_CYCLE_1)
	s_or_b32 s48, s48, s49
	s_and_not1_b32 vcc_lo, exec_lo, s48
	s_wait_dscnt 0x0
	v_mul_f32_e32 v6, s45, v8
	s_delay_alu instid0(VALU_DEP_1) | instskip(NEXT) | instid1(VALU_DEP_1)
	v_dual_mul_f32 v5, s46, v8 :: v_dual_fmac_f32 v6, s46, v7
	v_xor_b32_e32 v5, 0x80000000, v5
	s_delay_alu instid0(VALU_DEP_1)
	v_fmac_f32_e32 v5, s45, v7
	s_wait_alu 0xfffe
	s_cbranch_vccnz .LBB318_2
; %bb.42:                               ;   in Loop: Header=BB318_5 Depth=1
	v_add_co_u32 v7, vcc_lo, v17, s38
	s_wait_alu 0xfffd
	v_add_co_ci_u32_e64 v8, null, s39, v18, vcc_lo
	flat_load_b64 v[7:8], v[7:8]
	s_wait_loadcnt_dscnt 0x0
	v_mul_f32_e32 v9, s44, v8
	v_mul_f32_e32 v8, s35, v8
	s_delay_alu instid0(VALU_DEP_1) | instskip(NEXT) | instid1(VALU_DEP_3)
	v_fmac_f32_e32 v8, s44, v7
	v_fma_f32 v9, s35, v7, -v9
	s_delay_alu instid0(VALU_DEP_1)
	v_dual_add_f32 v6, v6, v8 :: v_dual_add_f32 v5, v5, v9
	s_branch .LBB318_2
.LBB318_43:
	s_endpgm
	.section	.rodata,"a",@progbits
	.p2align	6, 0x0
	.amdhsa_kernel _ZL20rocblas_gemvt_kernelILb0ELi256EPK19rocblas_complex_numIfES3_KPS1_EviiT2_lPKT1_lilS9_lilS6_lPT3_lili
		.amdhsa_group_segment_fixed_size 2048
		.amdhsa_private_segment_fixed_size 0
		.amdhsa_kernarg_size 140
		.amdhsa_user_sgpr_count 2
		.amdhsa_user_sgpr_dispatch_ptr 0
		.amdhsa_user_sgpr_queue_ptr 0
		.amdhsa_user_sgpr_kernarg_segment_ptr 1
		.amdhsa_user_sgpr_dispatch_id 0
		.amdhsa_user_sgpr_private_segment_size 0
		.amdhsa_wavefront_size32 1
		.amdhsa_uses_dynamic_stack 0
		.amdhsa_enable_private_segment 0
		.amdhsa_system_sgpr_workgroup_id_x 1
		.amdhsa_system_sgpr_workgroup_id_y 0
		.amdhsa_system_sgpr_workgroup_id_z 1
		.amdhsa_system_sgpr_workgroup_info 0
		.amdhsa_system_vgpr_workitem_id 0
		.amdhsa_next_free_vgpr 24
		.amdhsa_next_free_sgpr 52
		.amdhsa_reserve_vcc 1
		.amdhsa_float_round_mode_32 0
		.amdhsa_float_round_mode_16_64 0
		.amdhsa_float_denorm_mode_32 3
		.amdhsa_float_denorm_mode_16_64 3
		.amdhsa_fp16_overflow 0
		.amdhsa_workgroup_processor_mode 1
		.amdhsa_memory_ordered 1
		.amdhsa_forward_progress 1
		.amdhsa_inst_pref_size 17
		.amdhsa_round_robin_scheduling 0
		.amdhsa_exception_fp_ieee_invalid_op 0
		.amdhsa_exception_fp_denorm_src 0
		.amdhsa_exception_fp_ieee_div_zero 0
		.amdhsa_exception_fp_ieee_overflow 0
		.amdhsa_exception_fp_ieee_underflow 0
		.amdhsa_exception_fp_ieee_inexact 0
		.amdhsa_exception_int_div_zero 0
	.end_amdhsa_kernel
	.section	.text._ZL20rocblas_gemvt_kernelILb0ELi256EPK19rocblas_complex_numIfES3_KPS1_EviiT2_lPKT1_lilS9_lilS6_lPT3_lili,"axG",@progbits,_ZL20rocblas_gemvt_kernelILb0ELi256EPK19rocblas_complex_numIfES3_KPS1_EviiT2_lPKT1_lilS9_lilS6_lPT3_lili,comdat
.Lfunc_end318:
	.size	_ZL20rocblas_gemvt_kernelILb0ELi256EPK19rocblas_complex_numIfES3_KPS1_EviiT2_lPKT1_lilS9_lilS6_lPT3_lili, .Lfunc_end318-_ZL20rocblas_gemvt_kernelILb0ELi256EPK19rocblas_complex_numIfES3_KPS1_EviiT2_lPKT1_lilS9_lilS6_lPT3_lili
                                        ; -- End function
	.set _ZL20rocblas_gemvt_kernelILb0ELi256EPK19rocblas_complex_numIfES3_KPS1_EviiT2_lPKT1_lilS9_lilS6_lPT3_lili.num_vgpr, 24
	.set _ZL20rocblas_gemvt_kernelILb0ELi256EPK19rocblas_complex_numIfES3_KPS1_EviiT2_lPKT1_lilS9_lilS6_lPT3_lili.num_agpr, 0
	.set _ZL20rocblas_gemvt_kernelILb0ELi256EPK19rocblas_complex_numIfES3_KPS1_EviiT2_lPKT1_lilS9_lilS6_lPT3_lili.numbered_sgpr, 52
	.set _ZL20rocblas_gemvt_kernelILb0ELi256EPK19rocblas_complex_numIfES3_KPS1_EviiT2_lPKT1_lilS9_lilS6_lPT3_lili.num_named_barrier, 0
	.set _ZL20rocblas_gemvt_kernelILb0ELi256EPK19rocblas_complex_numIfES3_KPS1_EviiT2_lPKT1_lilS9_lilS6_lPT3_lili.private_seg_size, 0
	.set _ZL20rocblas_gemvt_kernelILb0ELi256EPK19rocblas_complex_numIfES3_KPS1_EviiT2_lPKT1_lilS9_lilS6_lPT3_lili.uses_vcc, 1
	.set _ZL20rocblas_gemvt_kernelILb0ELi256EPK19rocblas_complex_numIfES3_KPS1_EviiT2_lPKT1_lilS9_lilS6_lPT3_lili.uses_flat_scratch, 0
	.set _ZL20rocblas_gemvt_kernelILb0ELi256EPK19rocblas_complex_numIfES3_KPS1_EviiT2_lPKT1_lilS9_lilS6_lPT3_lili.has_dyn_sized_stack, 0
	.set _ZL20rocblas_gemvt_kernelILb0ELi256EPK19rocblas_complex_numIfES3_KPS1_EviiT2_lPKT1_lilS9_lilS6_lPT3_lili.has_recursion, 0
	.set _ZL20rocblas_gemvt_kernelILb0ELi256EPK19rocblas_complex_numIfES3_KPS1_EviiT2_lPKT1_lilS9_lilS6_lPT3_lili.has_indirect_call, 0
	.section	.AMDGPU.csdata,"",@progbits
; Kernel info:
; codeLenInByte = 2064
; TotalNumSgprs: 54
; NumVgprs: 24
; ScratchSize: 0
; MemoryBound: 0
; FloatMode: 240
; IeeeMode: 1
; LDSByteSize: 2048 bytes/workgroup (compile time only)
; SGPRBlocks: 0
; VGPRBlocks: 2
; NumSGPRsForWavesPerEU: 54
; NumVGPRsForWavesPerEU: 24
; Occupancy: 16
; WaveLimiterHint : 1
; COMPUTE_PGM_RSRC2:SCRATCH_EN: 0
; COMPUTE_PGM_RSRC2:USER_SGPR: 2
; COMPUTE_PGM_RSRC2:TRAP_HANDLER: 0
; COMPUTE_PGM_RSRC2:TGID_X_EN: 1
; COMPUTE_PGM_RSRC2:TGID_Y_EN: 0
; COMPUTE_PGM_RSRC2:TGID_Z_EN: 1
; COMPUTE_PGM_RSRC2:TIDIG_COMP_CNT: 0
	.section	.text._ZL20rocblas_gemvt_kernelILb0ELi256EPK19rocblas_complex_numIfES1_KPS1_EviiT2_lPKT1_lilS9_lilS6_lPT3_lili,"axG",@progbits,_ZL20rocblas_gemvt_kernelILb0ELi256EPK19rocblas_complex_numIfES1_KPS1_EviiT2_lPKT1_lilS9_lilS6_lPT3_lili,comdat
	.globl	_ZL20rocblas_gemvt_kernelILb0ELi256EPK19rocblas_complex_numIfES1_KPS1_EviiT2_lPKT1_lilS9_lilS6_lPT3_lili ; -- Begin function _ZL20rocblas_gemvt_kernelILb0ELi256EPK19rocblas_complex_numIfES1_KPS1_EviiT2_lPKT1_lilS9_lilS6_lPT3_lili
	.p2align	8
	.type	_ZL20rocblas_gemvt_kernelILb0ELi256EPK19rocblas_complex_numIfES1_KPS1_EviiT2_lPKT1_lilS9_lilS6_lPT3_lili,@function
_ZL20rocblas_gemvt_kernelILb0ELi256EPK19rocblas_complex_numIfES1_KPS1_EviiT2_lPKT1_lilS9_lilS6_lPT3_lili: ; @_ZL20rocblas_gemvt_kernelILb0ELi256EPK19rocblas_complex_numIfES1_KPS1_EviiT2_lPKT1_lilS9_lilS6_lPT3_lili
; %bb.0:
	s_load_b32 s33, s[0:1], 0x88
	s_lshr_b32 s10, ttmp7, 16
	s_wait_kmcnt 0x0
	s_cmp_ge_u32 s10, s33
	s_cbranch_scc1 .LBB319_44
; %bb.1:
	s_clause 0x8
	s_load_b32 s28, s[0:1], 0x28
	s_load_b32 s34, s[0:1], 0x48
	;; [unrolled: 1-line block ×3, first 2 shown]
	s_load_b64 s[24:25], s[0:1], 0x8
	s_load_b64 s[26:27], s[0:1], 0x58
	s_load_b128 s[12:15], s[0:1], 0x18
	s_load_b128 s[16:19], s[0:1], 0x38
	s_load_b32 s43, s[0:1], 0x0
	s_load_b128 s[20:23], s[0:1], 0x68
	s_mov_b32 s8, ttmp9
	v_cmp_eq_u32_e64 s0, 0, v0
	v_dual_mov_b32 v15, 0 :: v_dual_lshlrev_b32 v16, 3, v0
	v_cmp_gt_u32_e64 s3, 32, v0
	v_cmp_gt_u32_e64 s4, 16, v0
	;; [unrolled: 1-line block ×3, first 2 shown]
	s_mov_b32 s11, 0
	s_wait_kmcnt 0x0
	s_ashr_i32 s29, s28, 31
	s_ashr_i32 s35, s34, 31
	;; [unrolled: 1-line block ×3, first 2 shown]
	s_cmp_neq_f32 s24, 0
	v_mad_co_i64_i32 v[1:2], null, s34, v0, 0
	v_cmp_gt_i32_e32 vcc_lo, s43, v0
	s_cselect_b32 s1, -1, 0
	s_cmp_neq_f32 s25, 0
	v_cndmask_b32_e32 v5, 0, v0, vcc_lo
	s_cselect_b32 s2, -1, 0
	s_delay_alu instid0(VALU_DEP_3)
	v_lshlrev_b64_e32 v[1:2], 3, v[1:2]
	s_or_b32 s44, s1, s2
	s_cmp_neq_f32 s26, 1.0
	v_cmp_gt_u32_e64 s1, 0x80, v0
	v_cmp_gt_u32_e64 s2, 64, v0
	s_cselect_b32 s45, -1, 0
	s_cmp_neq_f32 s27, 0
	v_or_b32_e32 v1, 4, v1
	s_cselect_b32 s46, -1, 0
	s_or_b32 s6, s24, s25
	s_delay_alu instid0(SALU_CYCLE_1)
	s_and_b32 s7, s6, 0x7fffffff
	v_cmp_gt_u32_e64 s6, 4, v0
	s_cmp_lg_u32 s7, 0
	s_cselect_b32 s40, -1, 0
	s_cmp_eq_u32 s7, 0
	v_cmp_gt_u32_e64 s7, 2, v0
	s_cselect_b32 s41, -1, 0
	s_cmp_neq_f32 s26, 0
	s_cselect_b32 s36, -1, 0
	s_ashr_i32 s37, s43, 31
	s_ashr_i32 s9, ttmp9, 31
	s_lshr_b32 s38, s37, 24
	s_or_b32 s42, s36, s46
	s_mul_u64 s[36:37], s[30:31], s[8:9]
	s_add_co_i32 s30, s43, s38
	s_mul_u64 s[38:39], s[28:29], s[8:9]
	s_and_b32 s28, s30, 0xffffff00
	s_cmp_gt_i32 s43, 0xff
	v_or_b32_e32 v0, s28, v0
	s_cselect_b32 s9, -1, 0
	s_ashr_i32 s29, s28, 31
	s_or_b32 s44, s44, s45
	s_lshl_b64 s[30:31], s[34:35], 11
	v_mad_co_i64_i32 v[3:4], null, s34, v0, 0
	v_cmp_gt_i32_e64 s8, s43, v0
	v_lshlrev_b32_e32 v0, 3, v5
	s_or_b32 s43, s44, s46
	s_lshl_b64 s[14:15], s[14:15], 3
	s_lshl_b64 s[18:19], s[18:19], 3
	;; [unrolled: 1-line block ×3, first 2 shown]
	v_lshlrev_b64_e32 v[3:4], 3, v[3:4]
	s_lshl_b64 s[34:35], s[36:37], 3
	s_lshl_b64 s[36:37], s[38:39], 3
	s_wait_alu 0xfffe
	s_lshl_b64 s[38:39], s[28:29], 3
	s_branch .LBB319_5
.LBB319_2:                              ;   in Loop: Header=BB319_5 Depth=1
	v_add_co_u32 v7, vcc_lo, v17, s34
	s_wait_alu 0xfffd
	v_add_co_ci_u32_e64 v8, null, s35, v18, vcc_lo
	flat_store_b64 v[7:8], v[5:6]
.LBB319_3:                              ;   in Loop: Header=BB319_5 Depth=1
	s_wait_alu 0xfffe
	s_or_b32 exec_lo, exec_lo, s29
.LBB319_4:                              ;   in Loop: Header=BB319_5 Depth=1
	s_add_co_i32 s10, s10, 0x10000
	s_delay_alu instid0(SALU_CYCLE_1)
	s_cmp_lt_u32 s10, s33
	s_cbranch_scc0 .LBB319_44
.LBB319_5:                              ; =>This Loop Header: Depth=1
                                        ;     Child Loop BB319_22 Depth 2
	s_and_not1_b32 vcc_lo, exec_lo, s43
	s_wait_alu 0xfffe
	s_cbranch_vccnz .LBB319_4
; %bb.6:                                ;   in Loop: Header=BB319_5 Depth=1
	s_and_not1_b32 vcc_lo, exec_lo, s41
	s_wait_alu 0xfffe
	s_cbranch_vccnz .LBB319_8
; %bb.7:                                ;   in Loop: Header=BB319_5 Depth=1
	s_mov_b32 s29, 0
	s_branch .LBB319_9
.LBB319_8:                              ;   in Loop: Header=BB319_5 Depth=1
	s_mov_b32 s29, -1
.LBB319_9:                              ;   in Loop: Header=BB319_5 Depth=1
	v_mov_b32_e32 v5, 0
	v_dual_mov_b32 v6, 0 :: v_dual_mov_b32 v7, 0
	v_mov_b32_e32 v8, 0
	s_wait_alu 0xfffe
	s_and_not1_b32 vcc_lo, exec_lo, s29
	s_wait_alu 0xfffe
	s_cbranch_vccnz .LBB319_11
; %bb.10:                               ;   in Loop: Header=BB319_5 Depth=1
	s_lshl_b64 s[44:45], s[10:11], 3
	s_delay_alu instid0(SALU_CYCLE_1)
	s_add_nc_u64 s[44:45], s[12:13], s[44:45]
	global_load_b64 v[7:8], v15, s[44:45]
	s_wait_loadcnt 0x0
	v_add_co_u32 v7, vcc_lo, v7, s14
	s_wait_alu 0xfffd
	v_add_co_ci_u32_e64 v8, null, s15, v8, vcc_lo
.LBB319_11:                             ;   in Loop: Header=BB319_5 Depth=1
	s_and_not1_b32 vcc_lo, exec_lo, s40
	s_wait_alu 0xfffe
	s_cbranch_vccnz .LBB319_13
; %bb.12:                               ;   in Loop: Header=BB319_5 Depth=1
	s_lshl_b64 s[44:45], s[10:11], 3
	s_delay_alu instid0(SALU_CYCLE_1)
	s_add_nc_u64 s[44:45], s[16:17], s[44:45]
	global_load_b64 v[5:6], v15, s[44:45]
	s_wait_loadcnt 0x0
	v_add_co_u32 v5, vcc_lo, v5, s18
	s_wait_alu 0xfffd
	v_add_co_ci_u32_e64 v6, null, s19, v6, vcc_lo
.LBB319_13:                             ;   in Loop: Header=BB319_5 Depth=1
	s_lshl_b64 s[44:45], s[10:11], 3
	s_mov_b32 s29, -1
	s_add_nc_u64 s[44:45], s[20:21], s[44:45]
	global_load_b64 v[9:10], v15, s[44:45]
	s_wait_loadcnt 0x0
	v_add_co_u32 v17, vcc_lo, v9, s22
	s_wait_alu 0xfffd
	v_add_co_ci_u32_e64 v18, null, s23, v10, vcc_lo
	s_and_not1_b32 vcc_lo, exec_lo, s41
	s_wait_alu 0xfffe
	s_cbranch_vccnz .LBB319_19
; %bb.14:                               ;   in Loop: Header=BB319_5 Depth=1
	s_and_saveexec_b32 s29, s0
	s_cbranch_execz .LBB319_18
; %bb.15:                               ;   in Loop: Header=BB319_5 Depth=1
	v_dual_mov_b32 v9, 0 :: v_dual_mov_b32 v10, 0
	s_and_not1_b32 vcc_lo, exec_lo, s42
	s_wait_alu 0xfffe
	s_cbranch_vccnz .LBB319_17
; %bb.16:                               ;   in Loop: Header=BB319_5 Depth=1
	v_add_co_u32 v9, vcc_lo, v17, s34
	s_wait_alu 0xfffd
	v_add_co_ci_u32_e64 v10, null, s35, v18, vcc_lo
	flat_load_b64 v[11:12], v[9:10]
	s_wait_loadcnt_dscnt 0x0
	v_mul_f32_e32 v10, s26, v12
	s_delay_alu instid0(VALU_DEP_1) | instskip(NEXT) | instid1(VALU_DEP_1)
	v_dual_mul_f32 v9, s27, v12 :: v_dual_fmac_f32 v10, s27, v11
	v_fma_f32 v9, s26, v11, -v9
.LBB319_17:                             ;   in Loop: Header=BB319_5 Depth=1
	v_add_co_u32 v11, vcc_lo, v17, s34
	s_wait_alu 0xfffd
	v_add_co_ci_u32_e64 v12, null, s35, v18, vcc_lo
	flat_store_b64 v[11:12], v[9:10]
.LBB319_18:                             ;   in Loop: Header=BB319_5 Depth=1
	s_wait_alu 0xfffe
	s_or_b32 exec_lo, exec_lo, s29
	s_mov_b32 s29, 0
.LBB319_19:                             ;   in Loop: Header=BB319_5 Depth=1
	s_wait_alu 0xfffe
	s_and_not1_b32 vcc_lo, exec_lo, s29
	s_wait_alu 0xfffe
	s_cbranch_vccnz .LBB319_4
; %bb.20:                               ;   in Loop: Header=BB319_5 Depth=1
	v_add_co_u32 v7, vcc_lo, v7, v0
	s_wait_alu 0xfffd
	v_add_co_ci_u32_e64 v10, null, 0, v8, vcc_lo
	v_mov_b32_e32 v8, 0
	s_delay_alu instid0(VALU_DEP_3) | instskip(SKIP_1) | instid1(VALU_DEP_3)
	v_add_co_u32 v9, vcc_lo, v7, s36
	s_wait_alu 0xfffd
	v_add_co_ci_u32_e64 v10, null, s37, v10, vcc_lo
	s_delay_alu instid0(VALU_DEP_3)
	v_mov_b32_e32 v7, v8
	s_and_not1_b32 vcc_lo, exec_lo, s9
	s_wait_alu 0xfffe
	s_cbranch_vccnz .LBB319_23
; %bb.21:                               ;   in Loop: Header=BB319_5 Depth=1
	v_mov_b32_e32 v8, 0
	v_add_co_u32 v11, vcc_lo, v5, v1
	v_mov_b32_e32 v14, v10
	s_wait_alu 0xfffd
	v_add_co_ci_u32_e64 v12, null, v6, v2, vcc_lo
	v_mov_b32_e32 v13, v9
	v_mov_b32_e32 v7, v8
	s_mov_b32 s29, 0
.LBB319_22:                             ;   Parent Loop BB319_5 Depth=1
                                        ; =>  This Inner Loop Header: Depth=2
	flat_load_b64 v[19:20], v[13:14]
	flat_load_b64 v[21:22], v[11:12] offset:-4
	v_add_co_u32 v11, vcc_lo, v11, s30
	s_wait_alu 0xfffd
	v_add_co_ci_u32_e64 v12, null, s31, v12, vcc_lo
	v_add_co_u32 v13, vcc_lo, 0x800, v13
	s_wait_alu 0xfffd
	v_add_co_ci_u32_e64 v14, null, 0, v14, vcc_lo
	s_wait_alu 0xfffe
	s_addk_co_i32 s29, 0x100
	s_wait_alu 0xfffe
	s_cmp_ge_i32 s29, s28
	s_wait_loadcnt_dscnt 0x0
	v_mul_f32_e32 v23, v22, v20
	v_mul_f32_e32 v20, v21, v20
	s_delay_alu instid0(VALU_DEP_2) | instskip(NEXT) | instid1(VALU_DEP_1)
	v_fma_f32 v21, v21, v19, -v23
	v_dual_add_f32 v7, v7, v21 :: v_dual_fmac_f32 v20, v22, v19
	s_delay_alu instid0(VALU_DEP_1)
	v_add_f32_e32 v8, v8, v20
	s_cbranch_scc0 .LBB319_22
.LBB319_23:                             ;   in Loop: Header=BB319_5 Depth=1
	s_and_saveexec_b32 s29, s8
	s_cbranch_execz .LBB319_25
; %bb.24:                               ;   in Loop: Header=BB319_5 Depth=1
	v_add_co_u32 v9, vcc_lo, v9, s38
	s_wait_alu 0xfffd
	v_add_co_ci_u32_e64 v10, null, s39, v10, vcc_lo
	v_add_co_u32 v5, vcc_lo, v5, v3
	s_wait_alu 0xfffd
	v_add_co_ci_u32_e64 v6, null, v6, v4, vcc_lo
	flat_load_b64 v[9:10], v[9:10]
	flat_load_b64 v[5:6], v[5:6]
	s_wait_loadcnt_dscnt 0x0
	v_mul_f32_e32 v11, v6, v10
	v_mul_f32_e32 v10, v5, v10
	s_delay_alu instid0(VALU_DEP_2) | instskip(NEXT) | instid1(VALU_DEP_1)
	v_fma_f32 v5, v5, v9, -v11
	v_add_f32_e32 v7, v7, v5
	s_delay_alu instid0(VALU_DEP_3) | instskip(NEXT) | instid1(VALU_DEP_1)
	v_fmac_f32_e32 v10, v6, v9
	v_add_f32_e32 v8, v8, v10
.LBB319_25:                             ;   in Loop: Header=BB319_5 Depth=1
	s_wait_alu 0xfffe
	s_or_b32 exec_lo, exec_lo, s29
	ds_store_b64 v16, v[7:8]
	s_wait_storecnt_dscnt 0x0
	s_barrier_signal -1
	s_barrier_wait -1
	global_inv scope:SCOPE_SE
	s_and_saveexec_b32 s29, s1
	s_cbranch_execz .LBB319_27
; %bb.26:                               ;   in Loop: Header=BB319_5 Depth=1
	ds_load_2addr_stride64_b64 v[5:8], v16 offset1:2
	s_wait_dscnt 0x0
	v_dual_add_f32 v5, v7, v5 :: v_dual_add_f32 v6, v8, v6
	ds_store_b64 v16, v[5:6]
.LBB319_27:                             ;   in Loop: Header=BB319_5 Depth=1
	s_wait_alu 0xfffe
	s_or_b32 exec_lo, exec_lo, s29
	s_wait_loadcnt_dscnt 0x0
	s_barrier_signal -1
	s_barrier_wait -1
	global_inv scope:SCOPE_SE
	s_and_saveexec_b32 s29, s2
	s_cbranch_execz .LBB319_29
; %bb.28:                               ;   in Loop: Header=BB319_5 Depth=1
	ds_load_2addr_stride64_b64 v[5:8], v16 offset1:1
	s_wait_dscnt 0x0
	v_dual_add_f32 v5, v7, v5 :: v_dual_add_f32 v6, v8, v6
	ds_store_b64 v16, v[5:6]
.LBB319_29:                             ;   in Loop: Header=BB319_5 Depth=1
	s_wait_alu 0xfffe
	s_or_b32 exec_lo, exec_lo, s29
	s_wait_loadcnt_dscnt 0x0
	s_barrier_signal -1
	s_barrier_wait -1
	global_inv scope:SCOPE_SE
	s_and_saveexec_b32 s29, s3
	s_cbranch_execz .LBB319_31
; %bb.30:                               ;   in Loop: Header=BB319_5 Depth=1
	ds_load_2addr_b64 v[5:8], v16 offset1:32
	s_wait_dscnt 0x0
	v_dual_add_f32 v5, v7, v5 :: v_dual_add_f32 v6, v8, v6
	ds_store_b64 v16, v[5:6]
.LBB319_31:                             ;   in Loop: Header=BB319_5 Depth=1
	s_wait_alu 0xfffe
	s_or_b32 exec_lo, exec_lo, s29
	s_wait_loadcnt_dscnt 0x0
	s_barrier_signal -1
	s_barrier_wait -1
	global_inv scope:SCOPE_SE
	s_and_saveexec_b32 s29, s4
	s_cbranch_execz .LBB319_33
; %bb.32:                               ;   in Loop: Header=BB319_5 Depth=1
	ds_load_2addr_b64 v[5:8], v16 offset1:16
	s_wait_dscnt 0x0
	v_dual_add_f32 v5, v7, v5 :: v_dual_add_f32 v6, v8, v6
	ds_store_b64 v16, v[5:6]
.LBB319_33:                             ;   in Loop: Header=BB319_5 Depth=1
	;; [unrolled: 14-line block ×5, first 2 shown]
	s_wait_alu 0xfffe
	s_or_b32 exec_lo, exec_lo, s29
	s_wait_loadcnt_dscnt 0x0
	s_barrier_signal -1
	s_barrier_wait -1
	global_inv scope:SCOPE_SE
	s_and_saveexec_b32 s29, s0
	s_cbranch_execz .LBB319_41
; %bb.40:                               ;   in Loop: Header=BB319_5 Depth=1
	ds_load_b128 v[5:8], v15
	s_wait_dscnt 0x0
	v_dual_add_f32 v5, v7, v5 :: v_dual_add_f32 v6, v8, v6
	ds_store_b64 v15, v[5:6]
.LBB319_41:                             ;   in Loop: Header=BB319_5 Depth=1
	s_wait_alu 0xfffe
	s_or_b32 exec_lo, exec_lo, s29
	s_wait_loadcnt_dscnt 0x0
	s_barrier_signal -1
	s_barrier_wait -1
	global_inv scope:SCOPE_SE
	s_and_saveexec_b32 s29, s0
	s_cbranch_execz .LBB319_3
; %bb.42:                               ;   in Loop: Header=BB319_5 Depth=1
	ds_load_b64 v[7:8], v15
	s_and_not1_b32 vcc_lo, exec_lo, s42
	s_wait_dscnt 0x0
	v_mul_f32_e32 v6, s24, v8
	s_delay_alu instid0(VALU_DEP_1) | instskip(NEXT) | instid1(VALU_DEP_1)
	v_dual_mul_f32 v5, s25, v8 :: v_dual_fmac_f32 v6, s25, v7
	v_xor_b32_e32 v5, 0x80000000, v5
	s_delay_alu instid0(VALU_DEP_1)
	v_fmac_f32_e32 v5, s24, v7
	s_wait_alu 0xfffe
	s_cbranch_vccnz .LBB319_2
; %bb.43:                               ;   in Loop: Header=BB319_5 Depth=1
	v_add_co_u32 v7, vcc_lo, v17, s34
	s_wait_alu 0xfffd
	v_add_co_ci_u32_e64 v8, null, s35, v18, vcc_lo
	flat_load_b64 v[7:8], v[7:8]
	s_wait_loadcnt_dscnt 0x0
	v_mul_f32_e32 v9, s27, v8
	v_mul_f32_e32 v8, s26, v8
	s_delay_alu instid0(VALU_DEP_1) | instskip(NEXT) | instid1(VALU_DEP_3)
	v_fmac_f32_e32 v8, s27, v7
	v_fma_f32 v9, s26, v7, -v9
	s_delay_alu instid0(VALU_DEP_1)
	v_dual_add_f32 v6, v6, v8 :: v_dual_add_f32 v5, v5, v9
	s_branch .LBB319_2
.LBB319_44:
	s_endpgm
	.section	.rodata,"a",@progbits
	.p2align	6, 0x0
	.amdhsa_kernel _ZL20rocblas_gemvt_kernelILb0ELi256EPK19rocblas_complex_numIfES1_KPS1_EviiT2_lPKT1_lilS9_lilS6_lPT3_lili
		.amdhsa_group_segment_fixed_size 2048
		.amdhsa_private_segment_fixed_size 0
		.amdhsa_kernarg_size 140
		.amdhsa_user_sgpr_count 2
		.amdhsa_user_sgpr_dispatch_ptr 0
		.amdhsa_user_sgpr_queue_ptr 0
		.amdhsa_user_sgpr_kernarg_segment_ptr 1
		.amdhsa_user_sgpr_dispatch_id 0
		.amdhsa_user_sgpr_private_segment_size 0
		.amdhsa_wavefront_size32 1
		.amdhsa_uses_dynamic_stack 0
		.amdhsa_enable_private_segment 0
		.amdhsa_system_sgpr_workgroup_id_x 1
		.amdhsa_system_sgpr_workgroup_id_y 0
		.amdhsa_system_sgpr_workgroup_id_z 1
		.amdhsa_system_sgpr_workgroup_info 0
		.amdhsa_system_vgpr_workitem_id 0
		.amdhsa_next_free_vgpr 24
		.amdhsa_next_free_sgpr 47
		.amdhsa_reserve_vcc 1
		.amdhsa_float_round_mode_32 0
		.amdhsa_float_round_mode_16_64 0
		.amdhsa_float_denorm_mode_32 3
		.amdhsa_float_denorm_mode_16_64 3
		.amdhsa_fp16_overflow 0
		.amdhsa_workgroup_processor_mode 1
		.amdhsa_memory_ordered 1
		.amdhsa_forward_progress 1
		.amdhsa_inst_pref_size 16
		.amdhsa_round_robin_scheduling 0
		.amdhsa_exception_fp_ieee_invalid_op 0
		.amdhsa_exception_fp_denorm_src 0
		.amdhsa_exception_fp_ieee_div_zero 0
		.amdhsa_exception_fp_ieee_overflow 0
		.amdhsa_exception_fp_ieee_underflow 0
		.amdhsa_exception_fp_ieee_inexact 0
		.amdhsa_exception_int_div_zero 0
	.end_amdhsa_kernel
	.section	.text._ZL20rocblas_gemvt_kernelILb0ELi256EPK19rocblas_complex_numIfES1_KPS1_EviiT2_lPKT1_lilS9_lilS6_lPT3_lili,"axG",@progbits,_ZL20rocblas_gemvt_kernelILb0ELi256EPK19rocblas_complex_numIfES1_KPS1_EviiT2_lPKT1_lilS9_lilS6_lPT3_lili,comdat
.Lfunc_end319:
	.size	_ZL20rocblas_gemvt_kernelILb0ELi256EPK19rocblas_complex_numIfES1_KPS1_EviiT2_lPKT1_lilS9_lilS6_lPT3_lili, .Lfunc_end319-_ZL20rocblas_gemvt_kernelILb0ELi256EPK19rocblas_complex_numIfES1_KPS1_EviiT2_lPKT1_lilS9_lilS6_lPT3_lili
                                        ; -- End function
	.set _ZL20rocblas_gemvt_kernelILb0ELi256EPK19rocblas_complex_numIfES1_KPS1_EviiT2_lPKT1_lilS9_lilS6_lPT3_lili.num_vgpr, 24
	.set _ZL20rocblas_gemvt_kernelILb0ELi256EPK19rocblas_complex_numIfES1_KPS1_EviiT2_lPKT1_lilS9_lilS6_lPT3_lili.num_agpr, 0
	.set _ZL20rocblas_gemvt_kernelILb0ELi256EPK19rocblas_complex_numIfES1_KPS1_EviiT2_lPKT1_lilS9_lilS6_lPT3_lili.numbered_sgpr, 47
	.set _ZL20rocblas_gemvt_kernelILb0ELi256EPK19rocblas_complex_numIfES1_KPS1_EviiT2_lPKT1_lilS9_lilS6_lPT3_lili.num_named_barrier, 0
	.set _ZL20rocblas_gemvt_kernelILb0ELi256EPK19rocblas_complex_numIfES1_KPS1_EviiT2_lPKT1_lilS9_lilS6_lPT3_lili.private_seg_size, 0
	.set _ZL20rocblas_gemvt_kernelILb0ELi256EPK19rocblas_complex_numIfES1_KPS1_EviiT2_lPKT1_lilS9_lilS6_lPT3_lili.uses_vcc, 1
	.set _ZL20rocblas_gemvt_kernelILb0ELi256EPK19rocblas_complex_numIfES1_KPS1_EviiT2_lPKT1_lilS9_lilS6_lPT3_lili.uses_flat_scratch, 0
	.set _ZL20rocblas_gemvt_kernelILb0ELi256EPK19rocblas_complex_numIfES1_KPS1_EviiT2_lPKT1_lilS9_lilS6_lPT3_lili.has_dyn_sized_stack, 0
	.set _ZL20rocblas_gemvt_kernelILb0ELi256EPK19rocblas_complex_numIfES1_KPS1_EviiT2_lPKT1_lilS9_lilS6_lPT3_lili.has_recursion, 0
	.set _ZL20rocblas_gemvt_kernelILb0ELi256EPK19rocblas_complex_numIfES1_KPS1_EviiT2_lPKT1_lilS9_lilS6_lPT3_lili.has_indirect_call, 0
	.section	.AMDGPU.csdata,"",@progbits
; Kernel info:
; codeLenInByte = 1948
; TotalNumSgprs: 49
; NumVgprs: 24
; ScratchSize: 0
; MemoryBound: 0
; FloatMode: 240
; IeeeMode: 1
; LDSByteSize: 2048 bytes/workgroup (compile time only)
; SGPRBlocks: 0
; VGPRBlocks: 2
; NumSGPRsForWavesPerEU: 49
; NumVGPRsForWavesPerEU: 24
; Occupancy: 16
; WaveLimiterHint : 1
; COMPUTE_PGM_RSRC2:SCRATCH_EN: 0
; COMPUTE_PGM_RSRC2:USER_SGPR: 2
; COMPUTE_PGM_RSRC2:TRAP_HANDLER: 0
; COMPUTE_PGM_RSRC2:TGID_X_EN: 1
; COMPUTE_PGM_RSRC2:TGID_Y_EN: 0
; COMPUTE_PGM_RSRC2:TGID_Z_EN: 1
; COMPUTE_PGM_RSRC2:TIDIG_COMP_CNT: 0
	.section	.text._ZL32rocblas_gemvt_warp_reduce_kernelILb0ELi1024EiPK19rocblas_complex_numIfES3_KPS1_EviiT3_lPKT2_lT1_lS9_lSA_lS6_lPT4_lSA_li,"axG",@progbits,_ZL32rocblas_gemvt_warp_reduce_kernelILb0ELi1024EiPK19rocblas_complex_numIfES3_KPS1_EviiT3_lPKT2_lT1_lS9_lSA_lS6_lPT4_lSA_li,comdat
	.globl	_ZL32rocblas_gemvt_warp_reduce_kernelILb0ELi1024EiPK19rocblas_complex_numIfES3_KPS1_EviiT3_lPKT2_lT1_lS9_lSA_lS6_lPT4_lSA_li ; -- Begin function _ZL32rocblas_gemvt_warp_reduce_kernelILb0ELi1024EiPK19rocblas_complex_numIfES3_KPS1_EviiT3_lPKT2_lT1_lS9_lSA_lS6_lPT4_lSA_li
	.p2align	8
	.type	_ZL32rocblas_gemvt_warp_reduce_kernelILb0ELi1024EiPK19rocblas_complex_numIfES3_KPS1_EviiT3_lPKT2_lT1_lS9_lSA_lS6_lPT4_lSA_li,@function
_ZL32rocblas_gemvt_warp_reduce_kernelILb0ELi1024EiPK19rocblas_complex_numIfES3_KPS1_EviiT3_lPKT2_lT1_lS9_lSA_lS6_lPT4_lSA_li: ; @_ZL32rocblas_gemvt_warp_reduce_kernelILb0ELi1024EiPK19rocblas_complex_numIfES3_KPS1_EviiT3_lPKT2_lT1_lS9_lSA_lS6_lPT4_lSA_li
; %bb.0:
	s_load_b32 s5, s[0:1], 0x88
	s_lshr_b32 s6, ttmp7, 16
	s_wait_kmcnt 0x0
	s_cmp_ge_u32 s6, s5
	s_cbranch_scc1 .LBB320_36
; %bb.1:
	s_clause 0x6
	s_load_b32 s4, s[0:1], 0x0
	s_load_b32 s3, s[0:1], 0x78
	s_load_b256 s[8:15], s[0:1], 0x8
	s_load_b32 s29, s[0:1], 0x28
	s_load_b128 s[24:27], s[0:1], 0x38
	s_load_b32 s31, s[0:1], 0x48
	s_load_b256 s[16:23], s[0:1], 0x58
	v_lshrrev_b32_e32 v3, 2, v0
	v_dual_mov_b32 v1, 0 :: v_dual_and_b32 v2, 31, v0
	v_mbcnt_lo_u32_b32 v16, -1, 0
	v_cmp_eq_u32_e64 s0, 0, v0
	s_delay_alu instid0(VALU_DEP_4)
	v_and_b32_e32 v14, 0xf8, v3
	v_cmp_gt_u32_e64 s1, 32, v0
	s_mov_b32 s7, 0
	v_lshl_or_b32 v18, v16, 2, 64
	s_wait_kmcnt 0x0
	s_ashr_i32 s2, s4, 31
	v_cmp_gt_i32_e32 vcc_lo, s4, v0
	s_lshr_b32 s2, s2, 22
	v_lshlrev_b32_e32 v13, 3, v2
	s_add_co_i32 s28, s4, s2
	v_cmp_eq_u32_e64 s2, 0, v2
	s_and_b32 s28, s28, 0xfffffc00
	v_cndmask_b32_e32 v4, 0, v0, vcc_lo
	v_or_b32_e32 v3, s28, v0
	v_mul_lo_u32 v15, v0, s31
	s_mul_i32 s30, s3, ttmp9
	s_mul_i32 s34, s29, ttmp9
	v_lshlrev_b32_e32 v17, 3, v4
	v_mul_lo_u32 v2, s31, v3
	v_cmp_gt_i32_e64 s4, s4, v3
	v_cmp_gt_i32_e64 s3, s28, v0
	s_lshl_b32 s33, s31, 10
	s_wait_alu 0xfffe
	s_ashr_i32 s31, s30, 31
	s_ashr_i32 s35, s34, 31
	;; [unrolled: 1-line block ×3, first 2 shown]
	s_lshl_b64 s[14:15], s[14:15], 3
	v_ashrrev_i32_e32 v3, 31, v2
	s_lshl_b64 s[26:27], s[26:27], 3
	s_lshl_b64 s[22:23], s[22:23], 3
	s_wait_alu 0xfffe
	s_lshl_b64 s[30:31], s[30:31], 3
	s_lshl_b64 s[34:35], s[34:35], 3
	v_lshlrev_b64_e32 v[3:4], 3, v[2:3]
	s_lshl_b64 s[36:37], s[28:29], 3
	s_branch .LBB320_5
.LBB320_2:                              ;   in Loop: Header=BB320_5 Depth=1
	v_add_co_u32 v8, vcc_lo, v19, s30
	s_wait_alu 0xfffd
	v_add_co_ci_u32_e64 v9, null, s31, v20, vcc_lo
	flat_store_b64 v[8:9], v[6:7]
.LBB320_3:                              ;   in Loop: Header=BB320_5 Depth=1
	s_wait_alu 0xfffe
	s_or_b32 exec_lo, exec_lo, s41
.LBB320_4:                              ;   in Loop: Header=BB320_5 Depth=1
	s_add_co_i32 s6, s6, 0x10000
	s_delay_alu instid0(SALU_CYCLE_1)
	s_cmp_lt_u32 s6, s5
	s_cbranch_scc0 .LBB320_36
.LBB320_5:                              ; =>This Loop Header: Depth=1
                                        ;     Child Loop BB320_29 Depth 2
	s_mul_u64 s[38:39], s[10:11], s[6:7]
	s_wait_alu 0xfffe
	s_lshl_b64 s[38:39], s[38:39], 3
	s_wait_alu 0xfffe
	s_add_nc_u64 s[38:39], s[8:9], s[38:39]
	s_wait_dscnt 0x0
	global_load_b64 v[5:6], v1, s[38:39]
	s_mul_u64 s[38:39], s[18:19], s[6:7]
	s_wait_alu 0xfffe
	s_lshl_b64 s[38:39], s[38:39], 3
	s_wait_alu 0xfffe
	s_add_nc_u64 s[38:39], s[16:17], s[38:39]
	global_load_b64 v[7:8], v1, s[38:39]
	s_wait_loadcnt 0x1
	v_readfirstlane_b32 s39, v5
	v_readfirstlane_b32 s40, v6
	s_wait_alu 0xfffe
	s_cmp_neq_f32 s39, 0
	s_wait_loadcnt 0x0
	v_readfirstlane_b32 s29, v7
	s_cselect_b32 s38, -1, 0
	s_cmp_neq_f32 s40, 0
	s_cselect_b32 s41, -1, 0
	s_wait_alu 0xfffe
	s_or_b32 s41, s38, s41
	v_readfirstlane_b32 s38, v8
	s_wait_alu 0xfffe
	s_and_b32 vcc_lo, exec_lo, s41
	s_mov_b32 s41, -1
	s_wait_alu 0xfffe
	s_cbranch_vccnz .LBB320_7
; %bb.6:                                ;   in Loop: Header=BB320_5 Depth=1
	s_cmp_neq_f32 s29, 1.0
	s_cselect_b32 s41, -1, 0
	s_cmp_neq_f32 s38, 0
	s_cselect_b32 s42, -1, 0
	s_wait_alu 0xfffe
	s_or_b32 s41, s41, s42
.LBB320_7:                              ;   in Loop: Header=BB320_5 Depth=1
	s_wait_alu 0xfffe
	s_and_not1_b32 vcc_lo, exec_lo, s41
	s_wait_alu 0xfffe
	s_cbranch_vccnz .LBB320_4
; %bb.8:                                ;   in Loop: Header=BB320_5 Depth=1
	s_or_b32 s41, s39, s40
	v_mov_b32_e32 v5, 0
	s_wait_alu 0xfffe
	s_bitset0_b32 s41, 31
	v_dual_mov_b32 v6, 0 :: v_dual_mov_b32 v7, 0
	s_wait_alu 0xfffe
	s_cmp_lg_u32 s41, 0
	v_mov_b32_e32 v8, 0
	s_cselect_b32 s42, -1, 0
	s_cmp_eq_u32 s41, 0
	s_cselect_b32 s41, -1, 0
	s_wait_alu 0xfffe
	s_and_b32 vcc_lo, exec_lo, s41
	s_wait_alu 0xfffe
	s_cbranch_vccnz .LBB320_10
; %bb.9:                                ;   in Loop: Header=BB320_5 Depth=1
	s_lshl_b64 s[44:45], s[6:7], 3
	s_delay_alu instid0(SALU_CYCLE_1)
	s_add_nc_u64 s[44:45], s[12:13], s[44:45]
	global_load_b64 v[7:8], v1, s[44:45]
	s_wait_loadcnt 0x0
	v_add_co_u32 v7, vcc_lo, v7, s14
	s_wait_alu 0xfffd
	v_add_co_ci_u32_e64 v8, null, s15, v8, vcc_lo
.LBB320_10:                             ;   in Loop: Header=BB320_5 Depth=1
	s_and_not1_b32 vcc_lo, exec_lo, s42
	s_wait_alu 0xfffe
	s_cbranch_vccnz .LBB320_12
; %bb.11:                               ;   in Loop: Header=BB320_5 Depth=1
	s_lshl_b64 s[42:43], s[6:7], 3
	s_delay_alu instid0(SALU_CYCLE_1)
	s_add_nc_u64 s[42:43], s[24:25], s[42:43]
	global_load_b64 v[5:6], v1, s[42:43]
	s_wait_loadcnt 0x0
	v_add_co_u32 v5, vcc_lo, v5, s26
	s_wait_alu 0xfffd
	v_add_co_ci_u32_e64 v6, null, s27, v6, vcc_lo
.LBB320_12:                             ;   in Loop: Header=BB320_5 Depth=1
	s_lshl_b64 s[42:43], s[6:7], 3
	s_delay_alu instid0(SALU_CYCLE_1)
	s_add_nc_u64 s[42:43], s[20:21], s[42:43]
	global_load_b64 v[9:10], v1, s[42:43]
	s_wait_loadcnt 0x0
	v_add_co_u32 v19, vcc_lo, v9, s22
	s_wait_alu 0xfffd
	v_add_co_ci_u32_e64 v20, null, s23, v10, vcc_lo
	s_and_not1_b32 vcc_lo, exec_lo, s41
	s_mov_b32 s41, -1
	s_wait_alu 0xfffe
	s_cbranch_vccnz .LBB320_18
; %bb.13:                               ;   in Loop: Header=BB320_5 Depth=1
	s_and_saveexec_b32 s41, s0
	s_cbranch_execz .LBB320_17
; %bb.14:                               ;   in Loop: Header=BB320_5 Depth=1
	s_cmp_neq_f32 s29, 0
	v_dual_mov_b32 v9, 0 :: v_dual_mov_b32 v10, 0
	s_cselect_b32 s42, -1, 0
	s_cmp_neq_f32 s38, 0
	s_cselect_b32 s43, -1, 0
	s_delay_alu instid0(SALU_CYCLE_1) | instskip(NEXT) | instid1(SALU_CYCLE_1)
	s_or_b32 s42, s42, s43
	s_and_not1_b32 vcc_lo, exec_lo, s42
	s_wait_alu 0xfffe
	s_cbranch_vccnz .LBB320_16
; %bb.15:                               ;   in Loop: Header=BB320_5 Depth=1
	v_add_co_u32 v9, vcc_lo, v19, s30
	s_wait_alu 0xfffd
	v_add_co_ci_u32_e64 v10, null, s31, v20, vcc_lo
	flat_load_b64 v[11:12], v[9:10]
	s_wait_loadcnt_dscnt 0x0
	v_mul_f32_e32 v2, s38, v12
	v_mul_f32_e32 v10, s29, v12
	s_delay_alu instid0(VALU_DEP_2) | instskip(NEXT) | instid1(VALU_DEP_2)
	v_fma_f32 v9, s29, v11, -v2
	v_fmac_f32_e32 v10, s38, v11
.LBB320_16:                             ;   in Loop: Header=BB320_5 Depth=1
	v_add_co_u32 v11, vcc_lo, v19, s30
	s_wait_alu 0xfffd
	v_add_co_ci_u32_e64 v12, null, s31, v20, vcc_lo
	flat_store_b64 v[11:12], v[9:10]
.LBB320_17:                             ;   in Loop: Header=BB320_5 Depth=1
	s_wait_alu 0xfffe
	s_or_b32 exec_lo, exec_lo, s41
	s_mov_b32 s41, 0
.LBB320_18:                             ;   in Loop: Header=BB320_5 Depth=1
	s_wait_alu 0xfffe
	s_and_not1_b32 vcc_lo, exec_lo, s41
	s_wait_alu 0xfffe
	s_cbranch_vccnz .LBB320_4
; %bb.19:                               ;   in Loop: Header=BB320_5 Depth=1
	v_add_co_u32 v2, vcc_lo, v7, v17
	s_wait_alu 0xfffd
	v_add_co_ci_u32_e64 v8, null, 0, v8, vcc_lo
	v_dual_mov_b32 v21, 0 :: v_dual_mov_b32 v22, 0
	s_delay_alu instid0(VALU_DEP_3) | instskip(SKIP_1) | instid1(VALU_DEP_3)
	v_add_co_u32 v7, vcc_lo, v2, s34
	s_wait_alu 0xfffd
	v_add_co_ci_u32_e64 v8, null, s35, v8, vcc_lo
	s_and_saveexec_b32 s41, s3
	s_cbranch_execnz .LBB320_28
; %bb.20:                               ;   in Loop: Header=BB320_5 Depth=1
	s_wait_alu 0xfffe
	s_or_b32 exec_lo, exec_lo, s41
	s_and_saveexec_b32 s41, s4
	s_cbranch_execnz .LBB320_31
.LBB320_21:                             ;   in Loop: Header=BB320_5 Depth=1
	s_wait_alu 0xfffe
	s_or_b32 exec_lo, exec_lo, s41
	s_and_saveexec_b32 s41, s1
.LBB320_22:                             ;   in Loop: Header=BB320_5 Depth=1
	v_mov_b32_e32 v2, v1
	ds_store_b64 v13, v[1:2]
.LBB320_23:                             ;   in Loop: Header=BB320_5 Depth=1
	s_wait_alu 0xfffe
	s_or_b32 exec_lo, exec_lo, s41
	ds_bpermute_b32 v5, v18, v22
	ds_bpermute_b32 v6, v18, v21
	v_cmp_gt_u32_e32 vcc_lo, 24, v16
	s_wait_storecnt_dscnt 0x0
	s_barrier_signal -1
	s_barrier_wait -1
	global_inv scope:SCOPE_SE
	s_wait_alu 0xfffd
	v_cndmask_b32_e64 v2, 0, 8, vcc_lo
	v_cmp_gt_u32_e32 vcc_lo, 28, v16
	s_delay_alu instid0(VALU_DEP_2) | instskip(SKIP_3) | instid1(VALU_DEP_2)
	v_add_lshl_u32 v2, v2, v16, 2
	s_wait_alu 0xfffd
	v_cndmask_b32_e64 v7, 0, 4, vcc_lo
	v_cmp_gt_u32_e32 vcc_lo, 30, v16
	v_add_lshl_u32 v7, v7, v16, 2
	v_dual_add_f32 v5, v22, v5 :: v_dual_add_f32 v6, v21, v6
	ds_bpermute_b32 v8, v2, v5
	ds_bpermute_b32 v9, v2, v6
	s_wait_dscnt 0x0
	v_dual_add_f32 v5, v5, v8 :: v_dual_add_f32 v6, v6, v9
	s_wait_alu 0xfffd
	v_cndmask_b32_e64 v8, 0, 2, vcc_lo
	v_cmp_ne_u32_e32 vcc_lo, 31, v16
	ds_bpermute_b32 v9, v7, v5
	ds_bpermute_b32 v10, v7, v6
	v_add_lshl_u32 v8, v8, v16, 2
	s_wait_dscnt 0x0
	v_dual_add_f32 v5, v5, v9 :: v_dual_add_f32 v6, v6, v10
	s_wait_alu 0xfffd
	v_add_co_ci_u32_e64 v9, null, 0, v16, vcc_lo
	ds_bpermute_b32 v10, v8, v5
	ds_bpermute_b32 v11, v8, v6
	v_lshlrev_b32_e32 v9, 2, v9
	s_wait_dscnt 0x0
	v_dual_add_f32 v5, v5, v10 :: v_dual_add_f32 v6, v6, v11
	ds_bpermute_b32 v10, v9, v5
	ds_bpermute_b32 v11, v9, v6
	s_and_saveexec_b32 s41, s2
	s_cbranch_execz .LBB320_25
; %bb.24:                               ;   in Loop: Header=BB320_5 Depth=1
	s_wait_dscnt 0x0
	v_dual_add_f32 v6, v6, v11 :: v_dual_add_f32 v5, v5, v10
	ds_store_b64 v14, v[5:6]
.LBB320_25:                             ;   in Loop: Header=BB320_5 Depth=1
	s_wait_alu 0xfffe
	s_or_b32 exec_lo, exec_lo, s41
	v_dual_mov_b32 v6, 0 :: v_dual_mov_b32 v5, 0
	s_wait_loadcnt_dscnt 0x0
	s_barrier_signal -1
	s_barrier_wait -1
	global_inv scope:SCOPE_SE
	s_and_saveexec_b32 s41, s1
	s_cbranch_execnz .LBB320_32
; %bb.26:                               ;   in Loop: Header=BB320_5 Depth=1
	s_wait_alu 0xfffe
	s_or_b32 exec_lo, exec_lo, s41
	s_and_saveexec_b32 s41, s1
	s_cbranch_execnz .LBB320_33
.LBB320_27:                             ;   in Loop: Header=BB320_5 Depth=1
	s_wait_alu 0xfffe
	s_or_b32 exec_lo, exec_lo, s41
	s_and_saveexec_b32 s41, s0
	s_cbranch_execz .LBB320_3
	s_branch .LBB320_34
.LBB320_28:                             ;   in Loop: Header=BB320_5 Depth=1
	v_dual_mov_b32 v21, 0 :: v_dual_mov_b32 v10, v8
	v_dual_mov_b32 v9, v7 :: v_dual_mov_b32 v2, v0
	;; [unrolled: 1-line block ×3, first 2 shown]
	s_mov_b32 s42, 0
.LBB320_29:                             ;   Parent Loop BB320_5 Depth=1
                                        ; =>  This Inner Loop Header: Depth=2
	s_delay_alu instid0(VALU_DEP_1) | instskip(NEXT) | instid1(VALU_DEP_3)
	v_ashrrev_i32_e32 v12, 31, v11
	v_add_nc_u32_e32 v2, 0x400, v2
	s_delay_alu instid0(VALU_DEP_2) | instskip(SKIP_1) | instid1(VALU_DEP_2)
	v_lshlrev_b64_e32 v[23:24], 3, v[11:12]
	v_add_nc_u32_e32 v11, s33, v11
	v_add_co_u32 v23, vcc_lo, v5, v23
	s_wait_alu 0xfffd
	s_delay_alu instid0(VALU_DEP_3)
	v_add_co_ci_u32_e64 v24, null, v6, v24, vcc_lo
	flat_load_b64 v[25:26], v[9:10]
	flat_load_b64 v[23:24], v[23:24]
	v_add_co_u32 v9, vcc_lo, 0x2000, v9
	s_wait_alu 0xfffd
	v_add_co_ci_u32_e64 v10, null, 0, v10, vcc_lo
	v_cmp_le_i32_e32 vcc_lo, s28, v2
	s_or_b32 s42, vcc_lo, s42
	s_wait_loadcnt_dscnt 0x0
	v_mul_f32_e32 v12, v24, v26
	v_mul_f32_e32 v26, v23, v26
	s_delay_alu instid0(VALU_DEP_2) | instskip(NEXT) | instid1(VALU_DEP_2)
	v_fma_f32 v12, v23, v25, -v12
	v_fmac_f32_e32 v26, v24, v25
	s_delay_alu instid0(VALU_DEP_1)
	v_dual_add_f32 v22, v22, v12 :: v_dual_add_f32 v21, v21, v26
	s_and_not1_b32 exec_lo, exec_lo, s42
	s_cbranch_execnz .LBB320_29
; %bb.30:                               ;   in Loop: Header=BB320_5 Depth=1
	s_or_b32 exec_lo, exec_lo, s42
	s_wait_alu 0xfffe
	s_or_b32 exec_lo, exec_lo, s41
	s_and_saveexec_b32 s41, s4
	s_cbranch_execz .LBB320_21
.LBB320_31:                             ;   in Loop: Header=BB320_5 Depth=1
	v_add_co_u32 v7, vcc_lo, v7, s36
	s_wait_alu 0xfffd
	v_add_co_ci_u32_e64 v8, null, s37, v8, vcc_lo
	v_add_co_u32 v5, vcc_lo, v5, v3
	s_wait_alu 0xfffd
	v_add_co_ci_u32_e64 v6, null, v6, v4, vcc_lo
	flat_load_b64 v[7:8], v[7:8]
	flat_load_b64 v[5:6], v[5:6]
	s_wait_loadcnt_dscnt 0x0
	v_mul_f32_e32 v2, v6, v8
	v_mul_f32_e32 v8, v5, v8
	s_delay_alu instid0(VALU_DEP_2) | instskip(NEXT) | instid1(VALU_DEP_2)
	v_fma_f32 v2, v5, v7, -v2
	v_fmac_f32_e32 v8, v6, v7
	s_delay_alu instid0(VALU_DEP_1)
	v_dual_add_f32 v22, v22, v2 :: v_dual_add_f32 v21, v21, v8
	s_wait_alu 0xfffe
	s_or_b32 exec_lo, exec_lo, s41
	s_and_saveexec_b32 s41, s1
	s_cbranch_execnz .LBB320_22
	s_branch .LBB320_23
.LBB320_32:                             ;   in Loop: Header=BB320_5 Depth=1
	ds_load_b64 v[5:6], v13
	s_wait_alu 0xfffe
	s_or_b32 exec_lo, exec_lo, s41
	s_and_saveexec_b32 s41, s1
	s_cbranch_execz .LBB320_27
.LBB320_33:                             ;   in Loop: Header=BB320_5 Depth=1
	s_wait_dscnt 0x0
	ds_bpermute_b32 v10, v18, v5
	ds_bpermute_b32 v11, v18, v6
	s_wait_dscnt 0x0
	v_dual_add_f32 v5, v5, v10 :: v_dual_add_f32 v6, v6, v11
	ds_bpermute_b32 v10, v2, v5
	ds_bpermute_b32 v2, v2, v6
	s_wait_dscnt 0x0
	v_add_f32_e32 v2, v6, v2
	v_add_f32_e32 v5, v5, v10
	ds_bpermute_b32 v6, v7, v5
	ds_bpermute_b32 v7, v7, v2
	s_wait_dscnt 0x0
	v_add_f32_e32 v2, v2, v7
	ds_bpermute_b32 v7, v8, v2
	s_wait_dscnt 0x0
	v_dual_add_f32 v5, v5, v6 :: v_dual_add_f32 v2, v2, v7
	ds_bpermute_b32 v6, v8, v5
	ds_bpermute_b32 v7, v9, v2
	s_wait_dscnt 0x1
	v_add_f32_e32 v5, v5, v6
	ds_bpermute_b32 v6, v9, v5
	s_wait_dscnt 0x0
	v_dual_add_f32 v5, v5, v6 :: v_dual_add_f32 v6, v2, v7
	s_wait_alu 0xfffe
	s_or_b32 exec_lo, exec_lo, s41
	s_and_saveexec_b32 s41, s0
	s_cbranch_execz .LBB320_3
.LBB320_34:                             ;   in Loop: Header=BB320_5 Depth=1
	s_cmp_neq_f32 s29, 0
	s_wait_dscnt 0x0
	v_mul_f32_e32 v7, s39, v6
	v_mul_f32_e32 v2, s40, v6
	s_cselect_b32 s42, -1, 0
	s_cmp_neq_f32 s38, 0
	s_delay_alu instid0(VALU_DEP_2) | instskip(NEXT) | instid1(VALU_DEP_2)
	v_fmac_f32_e32 v7, s40, v5
	v_fma_f32 v6, v5, s39, -v2
	s_cselect_b32 s43, -1, 0
	s_delay_alu instid0(SALU_CYCLE_1) | instskip(NEXT) | instid1(SALU_CYCLE_1)
	s_or_b32 s42, s42, s43
	s_and_not1_b32 vcc_lo, exec_lo, s42
	s_wait_alu 0xfffe
	s_cbranch_vccnz .LBB320_2
; %bb.35:                               ;   in Loop: Header=BB320_5 Depth=1
	v_add_co_u32 v8, vcc_lo, v19, s30
	s_wait_alu 0xfffd
	v_add_co_ci_u32_e64 v9, null, s31, v20, vcc_lo
	flat_load_b64 v[8:9], v[8:9]
	s_wait_loadcnt_dscnt 0x0
	v_mul_f32_e32 v5, s29, v9
	s_delay_alu instid0(VALU_DEP_1) | instskip(NEXT) | instid1(VALU_DEP_1)
	v_dual_mul_f32 v2, s38, v9 :: v_dual_fmac_f32 v5, s38, v8
	v_fma_f32 v2, s29, v8, -v2
	s_delay_alu instid0(VALU_DEP_1)
	v_dual_add_f32 v7, v7, v5 :: v_dual_add_f32 v6, v6, v2
	s_branch .LBB320_2
.LBB320_36:
	s_endpgm
	.section	.rodata,"a",@progbits
	.p2align	6, 0x0
	.amdhsa_kernel _ZL32rocblas_gemvt_warp_reduce_kernelILb0ELi1024EiPK19rocblas_complex_numIfES3_KPS1_EviiT3_lPKT2_lT1_lS9_lSA_lS6_lPT4_lSA_li
		.amdhsa_group_segment_fixed_size 256
		.amdhsa_private_segment_fixed_size 0
		.amdhsa_kernarg_size 140
		.amdhsa_user_sgpr_count 2
		.amdhsa_user_sgpr_dispatch_ptr 0
		.amdhsa_user_sgpr_queue_ptr 0
		.amdhsa_user_sgpr_kernarg_segment_ptr 1
		.amdhsa_user_sgpr_dispatch_id 0
		.amdhsa_user_sgpr_private_segment_size 0
		.amdhsa_wavefront_size32 1
		.amdhsa_uses_dynamic_stack 0
		.amdhsa_enable_private_segment 0
		.amdhsa_system_sgpr_workgroup_id_x 1
		.amdhsa_system_sgpr_workgroup_id_y 0
		.amdhsa_system_sgpr_workgroup_id_z 1
		.amdhsa_system_sgpr_workgroup_info 0
		.amdhsa_system_vgpr_workitem_id 0
		.amdhsa_next_free_vgpr 27
		.amdhsa_next_free_sgpr 46
		.amdhsa_reserve_vcc 1
		.amdhsa_float_round_mode_32 0
		.amdhsa_float_round_mode_16_64 0
		.amdhsa_float_denorm_mode_32 3
		.amdhsa_float_denorm_mode_16_64 3
		.amdhsa_fp16_overflow 0
		.amdhsa_workgroup_processor_mode 1
		.amdhsa_memory_ordered 1
		.amdhsa_forward_progress 1
		.amdhsa_inst_pref_size 17
		.amdhsa_round_robin_scheduling 0
		.amdhsa_exception_fp_ieee_invalid_op 0
		.amdhsa_exception_fp_denorm_src 0
		.amdhsa_exception_fp_ieee_div_zero 0
		.amdhsa_exception_fp_ieee_overflow 0
		.amdhsa_exception_fp_ieee_underflow 0
		.amdhsa_exception_fp_ieee_inexact 0
		.amdhsa_exception_int_div_zero 0
	.end_amdhsa_kernel
	.section	.text._ZL32rocblas_gemvt_warp_reduce_kernelILb0ELi1024EiPK19rocblas_complex_numIfES3_KPS1_EviiT3_lPKT2_lT1_lS9_lSA_lS6_lPT4_lSA_li,"axG",@progbits,_ZL32rocblas_gemvt_warp_reduce_kernelILb0ELi1024EiPK19rocblas_complex_numIfES3_KPS1_EviiT3_lPKT2_lT1_lS9_lSA_lS6_lPT4_lSA_li,comdat
.Lfunc_end320:
	.size	_ZL32rocblas_gemvt_warp_reduce_kernelILb0ELi1024EiPK19rocblas_complex_numIfES3_KPS1_EviiT3_lPKT2_lT1_lS9_lSA_lS6_lPT4_lSA_li, .Lfunc_end320-_ZL32rocblas_gemvt_warp_reduce_kernelILb0ELi1024EiPK19rocblas_complex_numIfES3_KPS1_EviiT3_lPKT2_lT1_lS9_lSA_lS6_lPT4_lSA_li
                                        ; -- End function
	.set _ZL32rocblas_gemvt_warp_reduce_kernelILb0ELi1024EiPK19rocblas_complex_numIfES3_KPS1_EviiT3_lPKT2_lT1_lS9_lSA_lS6_lPT4_lSA_li.num_vgpr, 27
	.set _ZL32rocblas_gemvt_warp_reduce_kernelILb0ELi1024EiPK19rocblas_complex_numIfES3_KPS1_EviiT3_lPKT2_lT1_lS9_lSA_lS6_lPT4_lSA_li.num_agpr, 0
	.set _ZL32rocblas_gemvt_warp_reduce_kernelILb0ELi1024EiPK19rocblas_complex_numIfES3_KPS1_EviiT3_lPKT2_lT1_lS9_lSA_lS6_lPT4_lSA_li.numbered_sgpr, 46
	.set _ZL32rocblas_gemvt_warp_reduce_kernelILb0ELi1024EiPK19rocblas_complex_numIfES3_KPS1_EviiT3_lPKT2_lT1_lS9_lSA_lS6_lPT4_lSA_li.num_named_barrier, 0
	.set _ZL32rocblas_gemvt_warp_reduce_kernelILb0ELi1024EiPK19rocblas_complex_numIfES3_KPS1_EviiT3_lPKT2_lT1_lS9_lSA_lS6_lPT4_lSA_li.private_seg_size, 0
	.set _ZL32rocblas_gemvt_warp_reduce_kernelILb0ELi1024EiPK19rocblas_complex_numIfES3_KPS1_EviiT3_lPKT2_lT1_lS9_lSA_lS6_lPT4_lSA_li.uses_vcc, 1
	.set _ZL32rocblas_gemvt_warp_reduce_kernelILb0ELi1024EiPK19rocblas_complex_numIfES3_KPS1_EviiT3_lPKT2_lT1_lS9_lSA_lS6_lPT4_lSA_li.uses_flat_scratch, 0
	.set _ZL32rocblas_gemvt_warp_reduce_kernelILb0ELi1024EiPK19rocblas_complex_numIfES3_KPS1_EviiT3_lPKT2_lT1_lS9_lSA_lS6_lPT4_lSA_li.has_dyn_sized_stack, 0
	.set _ZL32rocblas_gemvt_warp_reduce_kernelILb0ELi1024EiPK19rocblas_complex_numIfES3_KPS1_EviiT3_lPKT2_lT1_lS9_lSA_lS6_lPT4_lSA_li.has_recursion, 0
	.set _ZL32rocblas_gemvt_warp_reduce_kernelILb0ELi1024EiPK19rocblas_complex_numIfES3_KPS1_EviiT3_lPKT2_lT1_lS9_lSA_lS6_lPT4_lSA_li.has_indirect_call, 0
	.section	.AMDGPU.csdata,"",@progbits
; Kernel info:
; codeLenInByte = 2068
; TotalNumSgprs: 48
; NumVgprs: 27
; ScratchSize: 0
; MemoryBound: 0
; FloatMode: 240
; IeeeMode: 1
; LDSByteSize: 256 bytes/workgroup (compile time only)
; SGPRBlocks: 0
; VGPRBlocks: 3
; NumSGPRsForWavesPerEU: 48
; NumVGPRsForWavesPerEU: 27
; Occupancy: 16
; WaveLimiterHint : 1
; COMPUTE_PGM_RSRC2:SCRATCH_EN: 0
; COMPUTE_PGM_RSRC2:USER_SGPR: 2
; COMPUTE_PGM_RSRC2:TRAP_HANDLER: 0
; COMPUTE_PGM_RSRC2:TGID_X_EN: 1
; COMPUTE_PGM_RSRC2:TGID_Y_EN: 0
; COMPUTE_PGM_RSRC2:TGID_Z_EN: 1
; COMPUTE_PGM_RSRC2:TIDIG_COMP_CNT: 0
	.section	.text._ZL32rocblas_gemvt_warp_reduce_kernelILb0ELi1024ElPK19rocblas_complex_numIfES3_KPS1_EviiT3_lPKT2_lT1_lS9_lSA_lS6_lPT4_lSA_li,"axG",@progbits,_ZL32rocblas_gemvt_warp_reduce_kernelILb0ELi1024ElPK19rocblas_complex_numIfES3_KPS1_EviiT3_lPKT2_lT1_lS9_lSA_lS6_lPT4_lSA_li,comdat
	.globl	_ZL32rocblas_gemvt_warp_reduce_kernelILb0ELi1024ElPK19rocblas_complex_numIfES3_KPS1_EviiT3_lPKT2_lT1_lS9_lSA_lS6_lPT4_lSA_li ; -- Begin function _ZL32rocblas_gemvt_warp_reduce_kernelILb0ELi1024ElPK19rocblas_complex_numIfES3_KPS1_EviiT3_lPKT2_lT1_lS9_lSA_lS6_lPT4_lSA_li
	.p2align	8
	.type	_ZL32rocblas_gemvt_warp_reduce_kernelILb0ELi1024ElPK19rocblas_complex_numIfES3_KPS1_EviiT3_lPKT2_lT1_lS9_lSA_lS6_lPT4_lSA_li,@function
_ZL32rocblas_gemvt_warp_reduce_kernelILb0ELi1024ElPK19rocblas_complex_numIfES3_KPS1_EviiT3_lPKT2_lT1_lS9_lSA_lS6_lPT4_lSA_li: ; @_ZL32rocblas_gemvt_warp_reduce_kernelILb0ELi1024ElPK19rocblas_complex_numIfES3_KPS1_EviiT3_lPKT2_lT1_lS9_lSA_lS6_lPT4_lSA_li
; %bb.0:
	s_load_b32 s33, s[0:1], 0x88
	s_lshr_b32 s6, ttmp7, 16
	s_wait_kmcnt 0x0
	s_cmp_ge_u32 s6, s33
	s_cbranch_scc1 .LBB321_36
; %bb.1:
	s_clause 0x6
	s_load_b64 s[34:35], s[0:1], 0x48
	s_load_b32 s40, s[0:1], 0x0
	s_load_b256 s[8:15], s[0:1], 0x8
	s_load_b64 s[30:31], s[0:1], 0x28
	s_load_b128 s[24:27], s[0:1], 0x38
	s_load_b64 s[36:37], s[0:1], 0x78
	s_load_b256 s[16:23], s[0:1], 0x58
	v_dual_mov_b32 v1, 0 :: v_dual_and_b32 v4, 31, v0
	v_lshrrev_b32_e32 v5, 2, v0
	v_mbcnt_lo_u32_b32 v15, -1, 0
	s_mov_b32 s4, ttmp9
	s_ashr_i32 s5, ttmp9, 31
	v_lshlrev_b32_e32 v16, 3, v4
	v_cmp_eq_u32_e64 s2, 0, v4
	v_cmp_eq_u32_e64 s0, 0, v0
	v_cmp_gt_u32_e64 s1, 32, v0
	v_lshl_or_b32 v19, v15, 2, 64
	s_mov_b32 s7, 0
	s_wait_kmcnt 0x0
	v_mad_co_u64_u32 v[2:3], null, s34, v0, 0
	s_ashr_i32 s3, s40, 31
	v_cmp_gt_i32_e32 vcc_lo, s40, v0
	s_lshr_b32 s3, s3, 22
	v_and_b32_e32 v17, 0xf8, v5
	s_add_co_i32 s3, s40, s3
	s_mul_u64 s[36:37], s[36:37], s[4:5]
	s_and_b32 s28, s3, 0xfffffc00
	v_mad_co_u64_u32 v[3:4], null, s35, v0, v[3:4]
	v_or_b32_e32 v7, s28, v0
	s_ashr_i32 s29, s28, 31
	v_cndmask_b32_e32 v8, 0, v0, vcc_lo
	s_wait_alu 0xfffe
	s_mul_i32 s3, s34, s29
	s_mul_u64 s[38:39], s[30:31], s[4:5]
	v_mul_lo_u32 v4, s35, v7
	v_mad_co_u64_u32 v[5:6], null, s34, v7, 0
	v_lshlrev_b32_e32 v18, 3, v8
	v_cmp_gt_i32_e64 s4, s40, v7
	s_lshl_b64 s[30:31], s[34:35], 13
	s_lshl_b64 s[14:15], s[14:15], 3
	;; [unrolled: 1-line block ×4, first 2 shown]
	v_add3_u32 v6, v6, s3, v4
	v_lshlrev_b64_e32 v[3:4], 3, v[2:3]
	v_cmp_gt_i32_e64 s3, s28, v0
	s_lshl_b64 s[34:35], s[38:39], 3
	s_lshl_b64 s[36:37], s[36:37], 3
	v_lshlrev_b64_e32 v[5:6], 3, v[5:6]
	s_lshl_b64 s[38:39], s[28:29], 3
	v_or_b32_e32 v3, 4, v3
	s_branch .LBB321_5
.LBB321_2:                              ;   in Loop: Header=BB321_5 Depth=1
	v_add_co_u32 v10, vcc_lo, v20, s36
	s_wait_alu 0xfffd
	v_add_co_ci_u32_e64 v11, null, s37, v21, vcc_lo
	flat_store_b64 v[10:11], v[8:9]
.LBB321_3:                              ;   in Loop: Header=BB321_5 Depth=1
	s_or_b32 exec_lo, exec_lo, s5
.LBB321_4:                              ;   in Loop: Header=BB321_5 Depth=1
	s_add_co_i32 s6, s6, 0x10000
	s_delay_alu instid0(SALU_CYCLE_1)
	s_cmp_lt_u32 s6, s33
	s_cbranch_scc0 .LBB321_36
.LBB321_5:                              ; =>This Loop Header: Depth=1
                                        ;     Child Loop BB321_29 Depth 2
	s_mul_u64 s[40:41], s[10:11], s[6:7]
	s_wait_alu 0xfffe
	s_lshl_b64 s[40:41], s[40:41], 3
	s_wait_alu 0xfffe
	s_add_nc_u64 s[40:41], s[8:9], s[40:41]
	s_wait_dscnt 0x0
	global_load_b64 v[7:8], v1, s[40:41]
	s_mul_u64 s[40:41], s[18:19], s[6:7]
	s_wait_alu 0xfffe
	s_lshl_b64 s[40:41], s[40:41], 3
	s_wait_alu 0xfffe
	s_add_nc_u64 s[40:41], s[16:17], s[40:41]
	global_load_b64 v[9:10], v1, s[40:41]
	s_wait_loadcnt 0x1
	v_readfirstlane_b32 s41, v7
	v_readfirstlane_b32 s42, v8
	s_wait_alu 0xfffe
	s_cmp_neq_f32 s41, 0
	s_wait_loadcnt 0x0
	v_readfirstlane_b32 s29, v9
	s_cselect_b32 s5, -1, 0
	s_cmp_neq_f32 s42, 0
	s_cselect_b32 s40, -1, 0
	s_wait_alu 0xfffe
	s_or_b32 s5, s5, s40
	v_readfirstlane_b32 s40, v10
	s_and_b32 vcc_lo, exec_lo, s5
	s_mov_b32 s5, -1
	s_wait_alu 0xfffe
	s_cbranch_vccnz .LBB321_7
; %bb.6:                                ;   in Loop: Header=BB321_5 Depth=1
	s_cmp_neq_f32 s29, 1.0
	s_cselect_b32 s5, -1, 0
	s_cmp_neq_f32 s40, 0
	s_cselect_b32 s43, -1, 0
	s_wait_alu 0xfffe
	s_or_b32 s5, s5, s43
.LBB321_7:                              ;   in Loop: Header=BB321_5 Depth=1
	s_delay_alu instid0(SALU_CYCLE_1)
	s_and_not1_b32 vcc_lo, exec_lo, s5
	s_wait_alu 0xfffe
	s_cbranch_vccnz .LBB321_4
; %bb.8:                                ;   in Loop: Header=BB321_5 Depth=1
	s_or_b32 s5, s41, s42
	v_mov_b32_e32 v7, 0
	s_bitset0_b32 s5, 31
	v_dual_mov_b32 v8, 0 :: v_dual_mov_b32 v9, 0
	s_cmp_lg_u32 s5, 0
	v_mov_b32_e32 v10, 0
	s_cselect_b32 s43, -1, 0
	s_cmp_eq_u32 s5, 0
	s_cselect_b32 s5, -1, 0
	s_delay_alu instid0(SALU_CYCLE_1)
	s_and_b32 vcc_lo, exec_lo, s5
	s_wait_alu 0xfffe
	s_cbranch_vccnz .LBB321_10
; %bb.9:                                ;   in Loop: Header=BB321_5 Depth=1
	s_lshl_b64 s[44:45], s[6:7], 3
	s_delay_alu instid0(SALU_CYCLE_1)
	s_add_nc_u64 s[44:45], s[12:13], s[44:45]
	global_load_b64 v[9:10], v1, s[44:45]
	s_wait_loadcnt 0x0
	v_add_co_u32 v9, vcc_lo, v9, s14
	s_wait_alu 0xfffd
	v_add_co_ci_u32_e64 v10, null, s15, v10, vcc_lo
.LBB321_10:                             ;   in Loop: Header=BB321_5 Depth=1
	s_and_not1_b32 vcc_lo, exec_lo, s43
	s_wait_alu 0xfffe
	s_cbranch_vccnz .LBB321_12
; %bb.11:                               ;   in Loop: Header=BB321_5 Depth=1
	s_lshl_b64 s[44:45], s[6:7], 3
	s_delay_alu instid0(SALU_CYCLE_1)
	s_add_nc_u64 s[44:45], s[24:25], s[44:45]
	global_load_b64 v[7:8], v1, s[44:45]
	s_wait_loadcnt 0x0
	v_add_co_u32 v7, vcc_lo, v7, s26
	s_wait_alu 0xfffd
	v_add_co_ci_u32_e64 v8, null, s27, v8, vcc_lo
.LBB321_12:                             ;   in Loop: Header=BB321_5 Depth=1
	s_lshl_b64 s[44:45], s[6:7], 3
	s_delay_alu instid0(SALU_CYCLE_1)
	s_add_nc_u64 s[44:45], s[20:21], s[44:45]
	global_load_b64 v[11:12], v1, s[44:45]
	s_wait_loadcnt 0x0
	v_add_co_u32 v20, vcc_lo, v11, s22
	s_wait_alu 0xfffd
	v_add_co_ci_u32_e64 v21, null, s23, v12, vcc_lo
	s_and_not1_b32 vcc_lo, exec_lo, s5
	s_mov_b32 s5, -1
	s_wait_alu 0xfffe
	s_cbranch_vccnz .LBB321_18
; %bb.13:                               ;   in Loop: Header=BB321_5 Depth=1
	s_and_saveexec_b32 s5, s0
	s_cbranch_execz .LBB321_17
; %bb.14:                               ;   in Loop: Header=BB321_5 Depth=1
	s_cmp_neq_f32 s29, 0
	v_dual_mov_b32 v11, 0 :: v_dual_mov_b32 v12, 0
	s_cselect_b32 s43, -1, 0
	s_cmp_neq_f32 s40, 0
	s_cselect_b32 s44, -1, 0
	s_wait_alu 0xfffe
	s_or_b32 s43, s43, s44
	s_wait_alu 0xfffe
	s_and_not1_b32 vcc_lo, exec_lo, s43
	s_wait_alu 0xfffe
	s_cbranch_vccnz .LBB321_16
; %bb.15:                               ;   in Loop: Header=BB321_5 Depth=1
	v_add_co_u32 v11, vcc_lo, v20, s36
	s_wait_alu 0xfffd
	v_add_co_ci_u32_e64 v12, null, s37, v21, vcc_lo
	flat_load_b64 v[13:14], v[11:12]
	s_wait_loadcnt_dscnt 0x0
	v_mul_f32_e32 v2, s40, v14
	v_mul_f32_e32 v12, s29, v14
	s_delay_alu instid0(VALU_DEP_2) | instskip(NEXT) | instid1(VALU_DEP_2)
	v_fma_f32 v11, s29, v13, -v2
	v_fmac_f32_e32 v12, s40, v13
.LBB321_16:                             ;   in Loop: Header=BB321_5 Depth=1
	v_add_co_u32 v13, vcc_lo, v20, s36
	s_wait_alu 0xfffd
	v_add_co_ci_u32_e64 v14, null, s37, v21, vcc_lo
	flat_store_b64 v[13:14], v[11:12]
.LBB321_17:                             ;   in Loop: Header=BB321_5 Depth=1
	s_or_b32 exec_lo, exec_lo, s5
	s_mov_b32 s5, 0
.LBB321_18:                             ;   in Loop: Header=BB321_5 Depth=1
	s_delay_alu instid0(SALU_CYCLE_1)
	s_and_not1_b32 vcc_lo, exec_lo, s5
	s_wait_alu 0xfffe
	s_cbranch_vccnz .LBB321_4
; %bb.19:                               ;   in Loop: Header=BB321_5 Depth=1
	v_add_co_u32 v2, vcc_lo, v9, v18
	s_wait_alu 0xfffd
	v_add_co_ci_u32_e64 v10, null, 0, v10, vcc_lo
	v_dual_mov_b32 v22, 0 :: v_dual_mov_b32 v23, 0
	s_delay_alu instid0(VALU_DEP_3) | instskip(SKIP_1) | instid1(VALU_DEP_3)
	v_add_co_u32 v9, vcc_lo, v2, s34
	s_wait_alu 0xfffd
	v_add_co_ci_u32_e64 v10, null, s35, v10, vcc_lo
	s_and_saveexec_b32 s43, s3
	s_cbranch_execnz .LBB321_28
; %bb.20:                               ;   in Loop: Header=BB321_5 Depth=1
	s_wait_alu 0xfffe
	s_or_b32 exec_lo, exec_lo, s43
	s_and_saveexec_b32 s5, s4
	s_cbranch_execnz .LBB321_31
.LBB321_21:                             ;   in Loop: Header=BB321_5 Depth=1
	s_or_b32 exec_lo, exec_lo, s5
	s_and_saveexec_b32 s5, s1
.LBB321_22:                             ;   in Loop: Header=BB321_5 Depth=1
	v_mov_b32_e32 v2, v1
	ds_store_b64 v16, v[1:2]
.LBB321_23:                             ;   in Loop: Header=BB321_5 Depth=1
	s_or_b32 exec_lo, exec_lo, s5
	ds_bpermute_b32 v7, v19, v23
	ds_bpermute_b32 v8, v19, v22
	v_cmp_gt_u32_e32 vcc_lo, 24, v15
	s_wait_storecnt_dscnt 0x0
	s_barrier_signal -1
	s_barrier_wait -1
	global_inv scope:SCOPE_SE
	s_wait_alu 0xfffd
	v_cndmask_b32_e64 v2, 0, 8, vcc_lo
	v_cmp_gt_u32_e32 vcc_lo, 28, v15
	s_delay_alu instid0(VALU_DEP_2) | instskip(SKIP_3) | instid1(VALU_DEP_2)
	v_add_lshl_u32 v2, v2, v15, 2
	s_wait_alu 0xfffd
	v_cndmask_b32_e64 v9, 0, 4, vcc_lo
	v_cmp_gt_u32_e32 vcc_lo, 30, v15
	v_add_lshl_u32 v9, v9, v15, 2
	v_dual_add_f32 v7, v23, v7 :: v_dual_add_f32 v8, v22, v8
	ds_bpermute_b32 v10, v2, v7
	ds_bpermute_b32 v11, v2, v8
	s_wait_dscnt 0x0
	v_dual_add_f32 v7, v7, v10 :: v_dual_add_f32 v8, v8, v11
	s_wait_alu 0xfffd
	v_cndmask_b32_e64 v10, 0, 2, vcc_lo
	v_cmp_ne_u32_e32 vcc_lo, 31, v15
	ds_bpermute_b32 v11, v9, v7
	ds_bpermute_b32 v12, v9, v8
	v_add_lshl_u32 v10, v10, v15, 2
	s_wait_dscnt 0x0
	v_dual_add_f32 v7, v7, v11 :: v_dual_add_f32 v8, v8, v12
	s_wait_alu 0xfffd
	v_add_co_ci_u32_e64 v11, null, 0, v15, vcc_lo
	ds_bpermute_b32 v12, v10, v7
	ds_bpermute_b32 v13, v10, v8
	v_lshlrev_b32_e32 v11, 2, v11
	s_wait_dscnt 0x0
	v_dual_add_f32 v7, v7, v12 :: v_dual_add_f32 v8, v8, v13
	ds_bpermute_b32 v12, v11, v7
	ds_bpermute_b32 v13, v11, v8
	s_and_saveexec_b32 s5, s2
	s_cbranch_execz .LBB321_25
; %bb.24:                               ;   in Loop: Header=BB321_5 Depth=1
	s_wait_dscnt 0x0
	v_dual_add_f32 v8, v8, v13 :: v_dual_add_f32 v7, v7, v12
	ds_store_b64 v17, v[7:8]
.LBB321_25:                             ;   in Loop: Header=BB321_5 Depth=1
	s_or_b32 exec_lo, exec_lo, s5
	v_dual_mov_b32 v8, 0 :: v_dual_mov_b32 v7, 0
	s_wait_loadcnt_dscnt 0x0
	s_barrier_signal -1
	s_barrier_wait -1
	global_inv scope:SCOPE_SE
	s_and_saveexec_b32 s5, s1
	s_cbranch_execnz .LBB321_32
; %bb.26:                               ;   in Loop: Header=BB321_5 Depth=1
	s_or_b32 exec_lo, exec_lo, s5
	s_and_saveexec_b32 s5, s1
	s_cbranch_execnz .LBB321_33
.LBB321_27:                             ;   in Loop: Header=BB321_5 Depth=1
	s_or_b32 exec_lo, exec_lo, s5
	s_and_saveexec_b32 s5, s0
	s_cbranch_execz .LBB321_3
	s_branch .LBB321_34
.LBB321_28:                             ;   in Loop: Header=BB321_5 Depth=1
	v_add_co_u32 v11, vcc_lo, v7, v3
	v_dual_mov_b32 v14, v10 :: v_dual_mov_b32 v23, 0
	s_wait_alu 0xfffd
	v_add_co_ci_u32_e64 v12, null, v8, v4, vcc_lo
	v_dual_mov_b32 v22, 0 :: v_dual_mov_b32 v13, v9
	v_mov_b32_e32 v2, v0
	s_mov_b32 s44, 0
.LBB321_29:                             ;   Parent Loop BB321_5 Depth=1
                                        ; =>  This Inner Loop Header: Depth=2
	flat_load_b64 v[24:25], v[13:14]
	flat_load_b64 v[26:27], v[11:12] offset:-4
	v_add_nc_u32_e32 v2, 0x400, v2
	v_add_co_u32 v13, vcc_lo, 0x2000, v13
	s_wait_alu 0xfffd
	v_add_co_ci_u32_e64 v14, null, 0, v14, vcc_lo
	v_add_co_u32 v11, vcc_lo, v11, s30
	s_wait_alu 0xfffd
	v_add_co_ci_u32_e64 v12, null, s31, v12, vcc_lo
	s_wait_loadcnt_dscnt 0x0
	v_mul_f32_e32 v28, v27, v25
	v_mul_f32_e32 v25, v26, v25
	v_cmp_le_i32_e64 s5, s28, v2
	s_delay_alu instid0(VALU_DEP_3) | instskip(NEXT) | instid1(VALU_DEP_3)
	v_fma_f32 v26, v26, v24, -v28
	v_fmac_f32_e32 v25, v27, v24
	s_or_b32 s44, s5, s44
	s_delay_alu instid0(VALU_DEP_1)
	v_dual_add_f32 v23, v23, v26 :: v_dual_add_f32 v22, v22, v25
	s_and_not1_b32 exec_lo, exec_lo, s44
	s_cbranch_execnz .LBB321_29
; %bb.30:                               ;   in Loop: Header=BB321_5 Depth=1
	s_or_b32 exec_lo, exec_lo, s44
	s_wait_alu 0xfffe
	s_or_b32 exec_lo, exec_lo, s43
	s_and_saveexec_b32 s5, s4
	s_cbranch_execz .LBB321_21
.LBB321_31:                             ;   in Loop: Header=BB321_5 Depth=1
	v_add_co_u32 v9, vcc_lo, v9, s38
	s_wait_alu 0xfffd
	v_add_co_ci_u32_e64 v10, null, s39, v10, vcc_lo
	v_add_co_u32 v7, vcc_lo, v7, v5
	s_wait_alu 0xfffd
	v_add_co_ci_u32_e64 v8, null, v8, v6, vcc_lo
	flat_load_b64 v[9:10], v[9:10]
	flat_load_b64 v[7:8], v[7:8]
	s_wait_loadcnt_dscnt 0x0
	v_mul_f32_e32 v2, v8, v10
	v_mul_f32_e32 v10, v7, v10
	s_delay_alu instid0(VALU_DEP_2) | instskip(NEXT) | instid1(VALU_DEP_1)
	v_fma_f32 v2, v7, v9, -v2
	v_dual_fmac_f32 v10, v8, v9 :: v_dual_add_f32 v23, v23, v2
	s_delay_alu instid0(VALU_DEP_1)
	v_add_f32_e32 v22, v22, v10
	s_or_b32 exec_lo, exec_lo, s5
	s_and_saveexec_b32 s5, s1
	s_cbranch_execnz .LBB321_22
	s_branch .LBB321_23
.LBB321_32:                             ;   in Loop: Header=BB321_5 Depth=1
	ds_load_b64 v[7:8], v16
	s_or_b32 exec_lo, exec_lo, s5
	s_and_saveexec_b32 s5, s1
	s_cbranch_execz .LBB321_27
.LBB321_33:                             ;   in Loop: Header=BB321_5 Depth=1
	s_wait_dscnt 0x0
	ds_bpermute_b32 v12, v19, v7
	ds_bpermute_b32 v13, v19, v8
	s_wait_dscnt 0x0
	v_dual_add_f32 v7, v7, v12 :: v_dual_add_f32 v8, v8, v13
	ds_bpermute_b32 v12, v2, v7
	ds_bpermute_b32 v2, v2, v8
	s_wait_dscnt 0x0
	v_dual_add_f32 v7, v7, v12 :: v_dual_add_f32 v2, v8, v2
	;; [unrolled: 4-line block ×5, first 2 shown]
	s_or_b32 exec_lo, exec_lo, s5
	s_and_saveexec_b32 s5, s0
	s_cbranch_execz .LBB321_3
.LBB321_34:                             ;   in Loop: Header=BB321_5 Depth=1
	s_cmp_neq_f32 s29, 0
	s_wait_dscnt 0x0
	v_mul_f32_e32 v9, s41, v8
	v_mul_f32_e32 v2, s42, v8
	s_cselect_b32 s43, -1, 0
	s_cmp_neq_f32 s40, 0
	s_delay_alu instid0(VALU_DEP_2) | instskip(NEXT) | instid1(VALU_DEP_2)
	v_fmac_f32_e32 v9, s42, v7
	v_fma_f32 v8, v7, s41, -v2
	s_cselect_b32 s44, -1, 0
	s_wait_alu 0xfffe
	s_or_b32 s43, s43, s44
	s_wait_alu 0xfffe
	s_and_not1_b32 vcc_lo, exec_lo, s43
	s_wait_alu 0xfffe
	s_cbranch_vccnz .LBB321_2
; %bb.35:                               ;   in Loop: Header=BB321_5 Depth=1
	v_add_co_u32 v10, vcc_lo, v20, s36
	s_wait_alu 0xfffd
	v_add_co_ci_u32_e64 v11, null, s37, v21, vcc_lo
	flat_load_b64 v[10:11], v[10:11]
	s_wait_loadcnt_dscnt 0x0
	v_mul_f32_e32 v7, s29, v11
	s_delay_alu instid0(VALU_DEP_1) | instskip(NEXT) | instid1(VALU_DEP_1)
	v_dual_mul_f32 v2, s40, v11 :: v_dual_fmac_f32 v7, s40, v10
	v_fma_f32 v2, s29, v10, -v2
	s_delay_alu instid0(VALU_DEP_1)
	v_dual_add_f32 v9, v9, v7 :: v_dual_add_f32 v8, v8, v2
	s_branch .LBB321_2
.LBB321_36:
	s_endpgm
	.section	.rodata,"a",@progbits
	.p2align	6, 0x0
	.amdhsa_kernel _ZL32rocblas_gemvt_warp_reduce_kernelILb0ELi1024ElPK19rocblas_complex_numIfES3_KPS1_EviiT3_lPKT2_lT1_lS9_lSA_lS6_lPT4_lSA_li
		.amdhsa_group_segment_fixed_size 256
		.amdhsa_private_segment_fixed_size 0
		.amdhsa_kernarg_size 140
		.amdhsa_user_sgpr_count 2
		.amdhsa_user_sgpr_dispatch_ptr 0
		.amdhsa_user_sgpr_queue_ptr 0
		.amdhsa_user_sgpr_kernarg_segment_ptr 1
		.amdhsa_user_sgpr_dispatch_id 0
		.amdhsa_user_sgpr_private_segment_size 0
		.amdhsa_wavefront_size32 1
		.amdhsa_uses_dynamic_stack 0
		.amdhsa_enable_private_segment 0
		.amdhsa_system_sgpr_workgroup_id_x 1
		.amdhsa_system_sgpr_workgroup_id_y 0
		.amdhsa_system_sgpr_workgroup_id_z 1
		.amdhsa_system_sgpr_workgroup_info 0
		.amdhsa_system_vgpr_workitem_id 0
		.amdhsa_next_free_vgpr 29
		.amdhsa_next_free_sgpr 46
		.amdhsa_reserve_vcc 1
		.amdhsa_float_round_mode_32 0
		.amdhsa_float_round_mode_16_64 0
		.amdhsa_float_denorm_mode_32 3
		.amdhsa_float_denorm_mode_16_64 3
		.amdhsa_fp16_overflow 0
		.amdhsa_workgroup_processor_mode 1
		.amdhsa_memory_ordered 1
		.amdhsa_forward_progress 1
		.amdhsa_inst_pref_size 16
		.amdhsa_round_robin_scheduling 0
		.amdhsa_exception_fp_ieee_invalid_op 0
		.amdhsa_exception_fp_denorm_src 0
		.amdhsa_exception_fp_ieee_div_zero 0
		.amdhsa_exception_fp_ieee_overflow 0
		.amdhsa_exception_fp_ieee_underflow 0
		.amdhsa_exception_fp_ieee_inexact 0
		.amdhsa_exception_int_div_zero 0
	.end_amdhsa_kernel
	.section	.text._ZL32rocblas_gemvt_warp_reduce_kernelILb0ELi1024ElPK19rocblas_complex_numIfES3_KPS1_EviiT3_lPKT2_lT1_lS9_lSA_lS6_lPT4_lSA_li,"axG",@progbits,_ZL32rocblas_gemvt_warp_reduce_kernelILb0ELi1024ElPK19rocblas_complex_numIfES3_KPS1_EviiT3_lPKT2_lT1_lS9_lSA_lS6_lPT4_lSA_li,comdat
.Lfunc_end321:
	.size	_ZL32rocblas_gemvt_warp_reduce_kernelILb0ELi1024ElPK19rocblas_complex_numIfES3_KPS1_EviiT3_lPKT2_lT1_lS9_lSA_lS6_lPT4_lSA_li, .Lfunc_end321-_ZL32rocblas_gemvt_warp_reduce_kernelILb0ELi1024ElPK19rocblas_complex_numIfES3_KPS1_EviiT3_lPKT2_lT1_lS9_lSA_lS6_lPT4_lSA_li
                                        ; -- End function
	.set _ZL32rocblas_gemvt_warp_reduce_kernelILb0ELi1024ElPK19rocblas_complex_numIfES3_KPS1_EviiT3_lPKT2_lT1_lS9_lSA_lS6_lPT4_lSA_li.num_vgpr, 29
	.set _ZL32rocblas_gemvt_warp_reduce_kernelILb0ELi1024ElPK19rocblas_complex_numIfES3_KPS1_EviiT3_lPKT2_lT1_lS9_lSA_lS6_lPT4_lSA_li.num_agpr, 0
	.set _ZL32rocblas_gemvt_warp_reduce_kernelILb0ELi1024ElPK19rocblas_complex_numIfES3_KPS1_EviiT3_lPKT2_lT1_lS9_lSA_lS6_lPT4_lSA_li.numbered_sgpr, 46
	.set _ZL32rocblas_gemvt_warp_reduce_kernelILb0ELi1024ElPK19rocblas_complex_numIfES3_KPS1_EviiT3_lPKT2_lT1_lS9_lSA_lS6_lPT4_lSA_li.num_named_barrier, 0
	.set _ZL32rocblas_gemvt_warp_reduce_kernelILb0ELi1024ElPK19rocblas_complex_numIfES3_KPS1_EviiT3_lPKT2_lT1_lS9_lSA_lS6_lPT4_lSA_li.private_seg_size, 0
	.set _ZL32rocblas_gemvt_warp_reduce_kernelILb0ELi1024ElPK19rocblas_complex_numIfES3_KPS1_EviiT3_lPKT2_lT1_lS9_lSA_lS6_lPT4_lSA_li.uses_vcc, 1
	.set _ZL32rocblas_gemvt_warp_reduce_kernelILb0ELi1024ElPK19rocblas_complex_numIfES3_KPS1_EviiT3_lPKT2_lT1_lS9_lSA_lS6_lPT4_lSA_li.uses_flat_scratch, 0
	.set _ZL32rocblas_gemvt_warp_reduce_kernelILb0ELi1024ElPK19rocblas_complex_numIfES3_KPS1_EviiT3_lPKT2_lT1_lS9_lSA_lS6_lPT4_lSA_li.has_dyn_sized_stack, 0
	.set _ZL32rocblas_gemvt_warp_reduce_kernelILb0ELi1024ElPK19rocblas_complex_numIfES3_KPS1_EviiT3_lPKT2_lT1_lS9_lSA_lS6_lPT4_lSA_li.has_recursion, 0
	.set _ZL32rocblas_gemvt_warp_reduce_kernelILb0ELi1024ElPK19rocblas_complex_numIfES3_KPS1_EviiT3_lPKT2_lT1_lS9_lSA_lS6_lPT4_lSA_li.has_indirect_call, 0
	.section	.AMDGPU.csdata,"",@progbits
; Kernel info:
; codeLenInByte = 2040
; TotalNumSgprs: 48
; NumVgprs: 29
; ScratchSize: 0
; MemoryBound: 0
; FloatMode: 240
; IeeeMode: 1
; LDSByteSize: 256 bytes/workgroup (compile time only)
; SGPRBlocks: 0
; VGPRBlocks: 3
; NumSGPRsForWavesPerEU: 48
; NumVGPRsForWavesPerEU: 29
; Occupancy: 16
; WaveLimiterHint : 1
; COMPUTE_PGM_RSRC2:SCRATCH_EN: 0
; COMPUTE_PGM_RSRC2:USER_SGPR: 2
; COMPUTE_PGM_RSRC2:TRAP_HANDLER: 0
; COMPUTE_PGM_RSRC2:TGID_X_EN: 1
; COMPUTE_PGM_RSRC2:TGID_Y_EN: 0
; COMPUTE_PGM_RSRC2:TGID_Z_EN: 1
; COMPUTE_PGM_RSRC2:TIDIG_COMP_CNT: 0
	.section	.text._ZL32rocblas_gemvt_warp_reduce_kernelILb0ELi1024EiPK19rocblas_complex_numIfES1_KPS1_EviiT3_lPKT2_lT1_lS9_lSA_lS6_lPT4_lSA_li,"axG",@progbits,_ZL32rocblas_gemvt_warp_reduce_kernelILb0ELi1024EiPK19rocblas_complex_numIfES1_KPS1_EviiT3_lPKT2_lT1_lS9_lSA_lS6_lPT4_lSA_li,comdat
	.globl	_ZL32rocblas_gemvt_warp_reduce_kernelILb0ELi1024EiPK19rocblas_complex_numIfES1_KPS1_EviiT3_lPKT2_lT1_lS9_lSA_lS6_lPT4_lSA_li ; -- Begin function _ZL32rocblas_gemvt_warp_reduce_kernelILb0ELi1024EiPK19rocblas_complex_numIfES1_KPS1_EviiT3_lPKT2_lT1_lS9_lSA_lS6_lPT4_lSA_li
	.p2align	8
	.type	_ZL32rocblas_gemvt_warp_reduce_kernelILb0ELi1024EiPK19rocblas_complex_numIfES1_KPS1_EviiT3_lPKT2_lT1_lS9_lSA_lS6_lPT4_lSA_li,@function
_ZL32rocblas_gemvt_warp_reduce_kernelILb0ELi1024EiPK19rocblas_complex_numIfES1_KPS1_EviiT3_lPKT2_lT1_lS9_lSA_lS6_lPT4_lSA_li: ; @_ZL32rocblas_gemvt_warp_reduce_kernelILb0ELi1024EiPK19rocblas_complex_numIfES1_KPS1_EviiT3_lPKT2_lT1_lS9_lSA_lS6_lPT4_lSA_li
; %bb.0:
	s_load_b32 s5, s[0:1], 0x88
	s_lshr_b32 s6, ttmp7, 16
	s_wait_kmcnt 0x0
	s_cmp_ge_u32 s6, s5
	s_cbranch_scc1 .LBB322_37
; %bb.1:
	s_clause 0x8
	s_load_b64 s[20:21], s[0:1], 0x8
	s_load_b64 s[22:23], s[0:1], 0x58
	s_load_b32 s4, s[0:1], 0x0
	s_load_b32 s24, s[0:1], 0x78
	s_load_b128 s[8:11], s[0:1], 0x68
	s_load_b128 s[12:15], s[0:1], 0x18
	s_load_b32 s3, s[0:1], 0x28
	s_load_b128 s[16:19], s[0:1], 0x38
	s_load_b32 s25, s[0:1], 0x48
	v_lshrrev_b32_e32 v3, 2, v0
	v_dual_mov_b32 v1, 0 :: v_dual_and_b32 v2, 31, v0
	v_mbcnt_lo_u32_b32 v16, -1, 0
	v_cmp_eq_u32_e64 s0, 0, v0
	s_delay_alu instid0(VALU_DEP_4) | instskip(SKIP_1) | instid1(VALU_DEP_4)
	v_and_b32_e32 v14, 0xf8, v3
	v_cmp_gt_u32_e64 s1, 32, v0
	v_lshl_or_b32 v18, v16, 2, 64
	s_wait_kmcnt 0x0
	s_cmp_neq_f32 s20, 0
	v_cmp_gt_i32_e32 vcc_lo, s4, v0
	v_lshlrev_b32_e32 v13, 3, v2
	s_cselect_b32 s2, -1, 0
	s_cmp_neq_f32 s21, 0
	s_mul_i32 s28, s3, ttmp9
	v_cndmask_b32_e32 v4, 0, v0, vcc_lo
	v_mul_lo_u32 v15, v0, s25
	s_cselect_b32 s7, -1, 0
	s_delay_alu instid0(SALU_CYCLE_1)
	s_or_b32 s30, s2, s7
	s_cmp_neq_f32 s22, 1.0
	v_lshlrev_b32_e32 v17, 3, v4
	s_mov_b32 s7, 0
	s_cselect_b32 s31, -1, 0
	s_cmp_neq_f32 s23, 0
	s_cselect_b32 s37, -1, 0
	s_or_b32 s2, s20, s21
	s_delay_alu instid0(SALU_CYCLE_1)
	s_and_b32 s26, s2, 0x7fffffff
	v_cmp_eq_u32_e64 s2, 0, v2
	s_cmp_lg_u32 s26, 0
	s_cselect_b32 s33, -1, 0
	s_cmp_eq_u32 s26, 0
	s_mul_i32 s26, s24, ttmp9
	s_cselect_b32 s34, -1, 0
	s_cmp_neq_f32 s22, 0
	s_cselect_b32 s38, -1, 0
	s_ashr_i32 s24, s4, 31
	s_ashr_i32 s27, s26, 31
	s_wait_alu 0xfffe
	s_lshr_b32 s3, s24, 22
	s_ashr_i32 s29, s28, 31
	s_add_co_i32 s3, s4, s3
	s_lshl_b32 s35, s25, 10
	s_and_b32 s24, s3, 0xfffffc00
	s_or_b32 s3, s30, s31
	s_wait_alu 0xfffe
	v_or_b32_e32 v3, s24, v0
	s_or_b32 s36, s3, s37
	v_cmp_gt_i32_e64 s3, s24, v0
	s_lshl_b64 s[14:15], s[14:15], 3
	s_lshl_b64 s[18:19], s[18:19], 3
	v_mul_lo_u32 v2, s25, v3
	v_cmp_gt_i32_e64 s4, s4, v3
	s_ashr_i32 s25, s24, 31
	s_lshl_b64 s[10:11], s[10:11], 3
	s_or_b32 s37, s38, s37
	s_lshl_b64 s[26:27], s[26:27], 3
	s_lshl_b64 s[28:29], s[28:29], 3
	s_wait_alu 0xfffe
	s_lshl_b64 s[30:31], s[24:25], 3
	v_ashrrev_i32_e32 v3, 31, v2
	s_delay_alu instid0(VALU_DEP_1)
	v_lshlrev_b64_e32 v[3:4], 3, v[2:3]
	s_branch .LBB322_5
.LBB322_2:                              ;   in Loop: Header=BB322_5 Depth=1
	v_add_co_u32 v8, vcc_lo, v19, s26
	s_wait_alu 0xfffd
	v_add_co_ci_u32_e64 v9, null, s27, v20, vcc_lo
	flat_store_b64 v[8:9], v[6:7]
.LBB322_3:                              ;   in Loop: Header=BB322_5 Depth=1
	s_wait_alu 0xfffe
	s_or_b32 exec_lo, exec_lo, s25
.LBB322_4:                              ;   in Loop: Header=BB322_5 Depth=1
	s_add_co_i32 s6, s6, 0x10000
	s_delay_alu instid0(SALU_CYCLE_1)
	s_cmp_lt_u32 s6, s5
	s_cbranch_scc0 .LBB322_37
.LBB322_5:                              ; =>This Loop Header: Depth=1
                                        ;     Child Loop BB322_30 Depth 2
	s_and_not1_b32 vcc_lo, exec_lo, s36
	s_wait_alu 0xfffe
	s_cbranch_vccnz .LBB322_4
; %bb.6:                                ;   in Loop: Header=BB322_5 Depth=1
	s_and_not1_b32 vcc_lo, exec_lo, s34
	s_wait_alu 0xfffe
	s_cbranch_vccnz .LBB322_8
; %bb.7:                                ;   in Loop: Header=BB322_5 Depth=1
	s_mov_b32 s25, 0
	s_branch .LBB322_9
.LBB322_8:                              ;   in Loop: Header=BB322_5 Depth=1
	s_mov_b32 s25, -1
.LBB322_9:                              ;   in Loop: Header=BB322_5 Depth=1
	s_wait_dscnt 0x0
	v_mov_b32_e32 v5, 0
	v_dual_mov_b32 v6, 0 :: v_dual_mov_b32 v7, 0
	v_mov_b32_e32 v8, 0
	s_wait_alu 0xfffe
	s_and_not1_b32 vcc_lo, exec_lo, s25
	s_wait_alu 0xfffe
	s_cbranch_vccnz .LBB322_11
; %bb.10:                               ;   in Loop: Header=BB322_5 Depth=1
	s_lshl_b64 s[38:39], s[6:7], 3
	s_delay_alu instid0(SALU_CYCLE_1)
	s_add_nc_u64 s[38:39], s[12:13], s[38:39]
	global_load_b64 v[7:8], v1, s[38:39]
	s_wait_loadcnt 0x0
	v_add_co_u32 v7, vcc_lo, v7, s14
	s_wait_alu 0xfffd
	v_add_co_ci_u32_e64 v8, null, s15, v8, vcc_lo
.LBB322_11:                             ;   in Loop: Header=BB322_5 Depth=1
	s_and_not1_b32 vcc_lo, exec_lo, s33
	s_wait_alu 0xfffe
	s_cbranch_vccnz .LBB322_13
; %bb.12:                               ;   in Loop: Header=BB322_5 Depth=1
	s_lshl_b64 s[38:39], s[6:7], 3
	s_delay_alu instid0(SALU_CYCLE_1)
	s_add_nc_u64 s[38:39], s[16:17], s[38:39]
	global_load_b64 v[5:6], v1, s[38:39]
	s_wait_loadcnt 0x0
	v_add_co_u32 v5, vcc_lo, v5, s18
	s_wait_alu 0xfffd
	v_add_co_ci_u32_e64 v6, null, s19, v6, vcc_lo
.LBB322_13:                             ;   in Loop: Header=BB322_5 Depth=1
	s_lshl_b64 s[38:39], s[6:7], 3
	s_mov_b32 s25, -1
	s_add_nc_u64 s[38:39], s[8:9], s[38:39]
	global_load_b64 v[9:10], v1, s[38:39]
	s_wait_loadcnt 0x0
	v_add_co_u32 v19, vcc_lo, v9, s10
	s_wait_alu 0xfffd
	v_add_co_ci_u32_e64 v20, null, s11, v10, vcc_lo
	s_and_not1_b32 vcc_lo, exec_lo, s34
	s_wait_alu 0xfffe
	s_cbranch_vccnz .LBB322_19
; %bb.14:                               ;   in Loop: Header=BB322_5 Depth=1
	s_and_saveexec_b32 s25, s0
	s_cbranch_execz .LBB322_18
; %bb.15:                               ;   in Loop: Header=BB322_5 Depth=1
	v_dual_mov_b32 v9, 0 :: v_dual_mov_b32 v10, 0
	s_and_not1_b32 vcc_lo, exec_lo, s37
	s_wait_alu 0xfffe
	s_cbranch_vccnz .LBB322_17
; %bb.16:                               ;   in Loop: Header=BB322_5 Depth=1
	v_add_co_u32 v9, vcc_lo, v19, s26
	s_wait_alu 0xfffd
	v_add_co_ci_u32_e64 v10, null, s27, v20, vcc_lo
	flat_load_b64 v[11:12], v[9:10]
	s_wait_loadcnt_dscnt 0x0
	v_mul_f32_e32 v2, s23, v12
	v_mul_f32_e32 v10, s22, v12
	s_delay_alu instid0(VALU_DEP_2) | instskip(NEXT) | instid1(VALU_DEP_2)
	v_fma_f32 v9, s22, v11, -v2
	v_fmac_f32_e32 v10, s23, v11
.LBB322_17:                             ;   in Loop: Header=BB322_5 Depth=1
	v_add_co_u32 v11, vcc_lo, v19, s26
	s_wait_alu 0xfffd
	v_add_co_ci_u32_e64 v12, null, s27, v20, vcc_lo
	flat_store_b64 v[11:12], v[9:10]
.LBB322_18:                             ;   in Loop: Header=BB322_5 Depth=1
	s_wait_alu 0xfffe
	s_or_b32 exec_lo, exec_lo, s25
	s_mov_b32 s25, 0
.LBB322_19:                             ;   in Loop: Header=BB322_5 Depth=1
	s_wait_alu 0xfffe
	s_and_not1_b32 vcc_lo, exec_lo, s25
	s_wait_alu 0xfffe
	s_cbranch_vccnz .LBB322_4
; %bb.20:                               ;   in Loop: Header=BB322_5 Depth=1
	v_add_co_u32 v2, vcc_lo, v7, v17
	s_wait_alu 0xfffd
	v_add_co_ci_u32_e64 v8, null, 0, v8, vcc_lo
	v_dual_mov_b32 v21, 0 :: v_dual_mov_b32 v22, 0
	s_delay_alu instid0(VALU_DEP_3) | instskip(SKIP_1) | instid1(VALU_DEP_3)
	v_add_co_u32 v7, vcc_lo, v2, s28
	s_wait_alu 0xfffd
	v_add_co_ci_u32_e64 v8, null, s29, v8, vcc_lo
	s_and_saveexec_b32 s25, s3
	s_cbranch_execnz .LBB322_29
; %bb.21:                               ;   in Loop: Header=BB322_5 Depth=1
	s_wait_alu 0xfffe
	s_or_b32 exec_lo, exec_lo, s25
	s_and_saveexec_b32 s25, s4
	s_cbranch_execnz .LBB322_32
.LBB322_22:                             ;   in Loop: Header=BB322_5 Depth=1
	s_wait_alu 0xfffe
	s_or_b32 exec_lo, exec_lo, s25
	s_and_saveexec_b32 s25, s1
.LBB322_23:                             ;   in Loop: Header=BB322_5 Depth=1
	v_mov_b32_e32 v2, v1
	ds_store_b64 v13, v[1:2]
.LBB322_24:                             ;   in Loop: Header=BB322_5 Depth=1
	s_wait_alu 0xfffe
	s_or_b32 exec_lo, exec_lo, s25
	ds_bpermute_b32 v5, v18, v22
	ds_bpermute_b32 v6, v18, v21
	v_cmp_gt_u32_e32 vcc_lo, 24, v16
	s_wait_storecnt_dscnt 0x0
	s_barrier_signal -1
	s_barrier_wait -1
	global_inv scope:SCOPE_SE
	s_wait_alu 0xfffd
	v_cndmask_b32_e64 v2, 0, 8, vcc_lo
	v_cmp_gt_u32_e32 vcc_lo, 28, v16
	s_delay_alu instid0(VALU_DEP_2) | instskip(SKIP_3) | instid1(VALU_DEP_2)
	v_add_lshl_u32 v2, v2, v16, 2
	s_wait_alu 0xfffd
	v_cndmask_b32_e64 v7, 0, 4, vcc_lo
	v_cmp_gt_u32_e32 vcc_lo, 30, v16
	v_add_lshl_u32 v7, v7, v16, 2
	v_dual_add_f32 v5, v22, v5 :: v_dual_add_f32 v6, v21, v6
	ds_bpermute_b32 v8, v2, v5
	ds_bpermute_b32 v9, v2, v6
	s_wait_dscnt 0x0
	v_dual_add_f32 v5, v5, v8 :: v_dual_add_f32 v6, v6, v9
	s_wait_alu 0xfffd
	v_cndmask_b32_e64 v8, 0, 2, vcc_lo
	v_cmp_ne_u32_e32 vcc_lo, 31, v16
	ds_bpermute_b32 v9, v7, v5
	ds_bpermute_b32 v10, v7, v6
	v_add_lshl_u32 v8, v8, v16, 2
	s_wait_dscnt 0x0
	v_dual_add_f32 v5, v5, v9 :: v_dual_add_f32 v6, v6, v10
	s_wait_alu 0xfffd
	v_add_co_ci_u32_e64 v9, null, 0, v16, vcc_lo
	ds_bpermute_b32 v10, v8, v5
	ds_bpermute_b32 v11, v8, v6
	v_lshlrev_b32_e32 v9, 2, v9
	s_wait_dscnt 0x0
	v_dual_add_f32 v5, v5, v10 :: v_dual_add_f32 v6, v6, v11
	ds_bpermute_b32 v10, v9, v5
	ds_bpermute_b32 v11, v9, v6
	s_and_saveexec_b32 s25, s2
	s_cbranch_execz .LBB322_26
; %bb.25:                               ;   in Loop: Header=BB322_5 Depth=1
	s_wait_dscnt 0x0
	v_dual_add_f32 v6, v6, v11 :: v_dual_add_f32 v5, v5, v10
	ds_store_b64 v14, v[5:6]
.LBB322_26:                             ;   in Loop: Header=BB322_5 Depth=1
	s_wait_alu 0xfffe
	s_or_b32 exec_lo, exec_lo, s25
	v_dual_mov_b32 v6, 0 :: v_dual_mov_b32 v5, 0
	s_wait_loadcnt_dscnt 0x0
	s_barrier_signal -1
	s_barrier_wait -1
	global_inv scope:SCOPE_SE
	s_and_saveexec_b32 s25, s1
	s_cbranch_execnz .LBB322_33
; %bb.27:                               ;   in Loop: Header=BB322_5 Depth=1
	s_wait_alu 0xfffe
	s_or_b32 exec_lo, exec_lo, s25
	s_and_saveexec_b32 s25, s1
	s_cbranch_execnz .LBB322_34
.LBB322_28:                             ;   in Loop: Header=BB322_5 Depth=1
	s_wait_alu 0xfffe
	s_or_b32 exec_lo, exec_lo, s25
	s_and_saveexec_b32 s25, s0
	s_cbranch_execz .LBB322_3
	s_branch .LBB322_35
.LBB322_29:                             ;   in Loop: Header=BB322_5 Depth=1
	v_dual_mov_b32 v21, 0 :: v_dual_mov_b32 v10, v8
	v_dual_mov_b32 v9, v7 :: v_dual_mov_b32 v2, v0
	;; [unrolled: 1-line block ×3, first 2 shown]
	s_mov_b32 s38, 0
.LBB322_30:                             ;   Parent Loop BB322_5 Depth=1
                                        ; =>  This Inner Loop Header: Depth=2
	s_delay_alu instid0(VALU_DEP_1) | instskip(NEXT) | instid1(VALU_DEP_3)
	v_ashrrev_i32_e32 v12, 31, v11
	v_add_nc_u32_e32 v2, 0x400, v2
	s_delay_alu instid0(VALU_DEP_2) | instskip(SKIP_1) | instid1(VALU_DEP_2)
	v_lshlrev_b64_e32 v[23:24], 3, v[11:12]
	v_add_nc_u32_e32 v11, s35, v11
	v_add_co_u32 v23, vcc_lo, v5, v23
	s_wait_alu 0xfffd
	s_delay_alu instid0(VALU_DEP_3)
	v_add_co_ci_u32_e64 v24, null, v6, v24, vcc_lo
	flat_load_b64 v[25:26], v[9:10]
	flat_load_b64 v[23:24], v[23:24]
	v_add_co_u32 v9, vcc_lo, 0x2000, v9
	s_wait_alu 0xfffd
	v_add_co_ci_u32_e64 v10, null, 0, v10, vcc_lo
	v_cmp_le_i32_e32 vcc_lo, s24, v2
	s_or_b32 s38, vcc_lo, s38
	s_wait_loadcnt_dscnt 0x0
	v_mul_f32_e32 v12, v24, v26
	v_mul_f32_e32 v26, v23, v26
	s_delay_alu instid0(VALU_DEP_2) | instskip(NEXT) | instid1(VALU_DEP_2)
	v_fma_f32 v12, v23, v25, -v12
	v_fmac_f32_e32 v26, v24, v25
	s_delay_alu instid0(VALU_DEP_1)
	v_dual_add_f32 v22, v22, v12 :: v_dual_add_f32 v21, v21, v26
	s_and_not1_b32 exec_lo, exec_lo, s38
	s_cbranch_execnz .LBB322_30
; %bb.31:                               ;   in Loop: Header=BB322_5 Depth=1
	s_or_b32 exec_lo, exec_lo, s38
	s_wait_alu 0xfffe
	s_or_b32 exec_lo, exec_lo, s25
	s_and_saveexec_b32 s25, s4
	s_cbranch_execz .LBB322_22
.LBB322_32:                             ;   in Loop: Header=BB322_5 Depth=1
	v_add_co_u32 v7, vcc_lo, v7, s30
	s_wait_alu 0xfffd
	v_add_co_ci_u32_e64 v8, null, s31, v8, vcc_lo
	v_add_co_u32 v5, vcc_lo, v5, v3
	s_wait_alu 0xfffd
	v_add_co_ci_u32_e64 v6, null, v6, v4, vcc_lo
	flat_load_b64 v[7:8], v[7:8]
	flat_load_b64 v[5:6], v[5:6]
	s_wait_loadcnt_dscnt 0x0
	v_mul_f32_e32 v2, v6, v8
	v_mul_f32_e32 v8, v5, v8
	s_delay_alu instid0(VALU_DEP_2) | instskip(NEXT) | instid1(VALU_DEP_2)
	v_fma_f32 v2, v5, v7, -v2
	v_fmac_f32_e32 v8, v6, v7
	s_delay_alu instid0(VALU_DEP_1)
	v_dual_add_f32 v22, v22, v2 :: v_dual_add_f32 v21, v21, v8
	s_wait_alu 0xfffe
	s_or_b32 exec_lo, exec_lo, s25
	s_and_saveexec_b32 s25, s1
	s_cbranch_execnz .LBB322_23
	s_branch .LBB322_24
.LBB322_33:                             ;   in Loop: Header=BB322_5 Depth=1
	ds_load_b64 v[5:6], v13
	s_wait_alu 0xfffe
	s_or_b32 exec_lo, exec_lo, s25
	s_and_saveexec_b32 s25, s1
	s_cbranch_execz .LBB322_28
.LBB322_34:                             ;   in Loop: Header=BB322_5 Depth=1
	s_wait_dscnt 0x0
	ds_bpermute_b32 v10, v18, v5
	ds_bpermute_b32 v11, v18, v6
	s_wait_dscnt 0x0
	v_dual_add_f32 v5, v5, v10 :: v_dual_add_f32 v6, v6, v11
	ds_bpermute_b32 v10, v2, v5
	ds_bpermute_b32 v2, v2, v6
	s_wait_dscnt 0x0
	v_add_f32_e32 v2, v6, v2
	v_add_f32_e32 v5, v5, v10
	ds_bpermute_b32 v6, v7, v5
	ds_bpermute_b32 v7, v7, v2
	s_wait_dscnt 0x0
	v_add_f32_e32 v2, v2, v7
	ds_bpermute_b32 v7, v8, v2
	s_wait_dscnt 0x0
	v_dual_add_f32 v5, v5, v6 :: v_dual_add_f32 v2, v2, v7
	ds_bpermute_b32 v6, v8, v5
	ds_bpermute_b32 v7, v9, v2
	s_wait_dscnt 0x1
	v_add_f32_e32 v5, v5, v6
	ds_bpermute_b32 v6, v9, v5
	s_wait_dscnt 0x0
	v_dual_add_f32 v5, v5, v6 :: v_dual_add_f32 v6, v2, v7
	s_wait_alu 0xfffe
	s_or_b32 exec_lo, exec_lo, s25
	s_and_saveexec_b32 s25, s0
	s_cbranch_execz .LBB322_3
.LBB322_35:                             ;   in Loop: Header=BB322_5 Depth=1
	s_wait_dscnt 0x0
	v_mul_f32_e32 v7, s20, v6
	v_mul_f32_e32 v2, s21, v6
	s_and_not1_b32 vcc_lo, exec_lo, s37
	s_delay_alu instid0(VALU_DEP_2) | instskip(NEXT) | instid1(VALU_DEP_2)
	v_fmac_f32_e32 v7, s21, v5
	v_fma_f32 v6, v5, s20, -v2
	s_wait_alu 0xfffe
	s_cbranch_vccnz .LBB322_2
; %bb.36:                               ;   in Loop: Header=BB322_5 Depth=1
	v_add_co_u32 v8, vcc_lo, v19, s26
	s_wait_alu 0xfffd
	v_add_co_ci_u32_e64 v9, null, s27, v20, vcc_lo
	flat_load_b64 v[8:9], v[8:9]
	s_wait_loadcnt_dscnt 0x0
	v_mul_f32_e32 v5, s22, v9
	s_delay_alu instid0(VALU_DEP_1) | instskip(NEXT) | instid1(VALU_DEP_1)
	v_dual_mul_f32 v2, s23, v9 :: v_dual_fmac_f32 v5, s23, v8
	v_fma_f32 v2, s22, v8, -v2
	s_delay_alu instid0(VALU_DEP_1)
	v_dual_add_f32 v7, v7, v5 :: v_dual_add_f32 v6, v6, v2
	s_branch .LBB322_2
.LBB322_37:
	s_endpgm
	.section	.rodata,"a",@progbits
	.p2align	6, 0x0
	.amdhsa_kernel _ZL32rocblas_gemvt_warp_reduce_kernelILb0ELi1024EiPK19rocblas_complex_numIfES1_KPS1_EviiT3_lPKT2_lT1_lS9_lSA_lS6_lPT4_lSA_li
		.amdhsa_group_segment_fixed_size 256
		.amdhsa_private_segment_fixed_size 0
		.amdhsa_kernarg_size 140
		.amdhsa_user_sgpr_count 2
		.amdhsa_user_sgpr_dispatch_ptr 0
		.amdhsa_user_sgpr_queue_ptr 0
		.amdhsa_user_sgpr_kernarg_segment_ptr 1
		.amdhsa_user_sgpr_dispatch_id 0
		.amdhsa_user_sgpr_private_segment_size 0
		.amdhsa_wavefront_size32 1
		.amdhsa_uses_dynamic_stack 0
		.amdhsa_enable_private_segment 0
		.amdhsa_system_sgpr_workgroup_id_x 1
		.amdhsa_system_sgpr_workgroup_id_y 0
		.amdhsa_system_sgpr_workgroup_id_z 1
		.amdhsa_system_sgpr_workgroup_info 0
		.amdhsa_system_vgpr_workitem_id 0
		.amdhsa_next_free_vgpr 27
		.amdhsa_next_free_sgpr 40
		.amdhsa_reserve_vcc 1
		.amdhsa_float_round_mode_32 0
		.amdhsa_float_round_mode_16_64 0
		.amdhsa_float_denorm_mode_32 3
		.amdhsa_float_denorm_mode_16_64 3
		.amdhsa_fp16_overflow 0
		.amdhsa_workgroup_processor_mode 1
		.amdhsa_memory_ordered 1
		.amdhsa_forward_progress 1
		.amdhsa_inst_pref_size 16
		.amdhsa_round_robin_scheduling 0
		.amdhsa_exception_fp_ieee_invalid_op 0
		.amdhsa_exception_fp_denorm_src 0
		.amdhsa_exception_fp_ieee_div_zero 0
		.amdhsa_exception_fp_ieee_overflow 0
		.amdhsa_exception_fp_ieee_underflow 0
		.amdhsa_exception_fp_ieee_inexact 0
		.amdhsa_exception_int_div_zero 0
	.end_amdhsa_kernel
	.section	.text._ZL32rocblas_gemvt_warp_reduce_kernelILb0ELi1024EiPK19rocblas_complex_numIfES1_KPS1_EviiT3_lPKT2_lT1_lS9_lSA_lS6_lPT4_lSA_li,"axG",@progbits,_ZL32rocblas_gemvt_warp_reduce_kernelILb0ELi1024EiPK19rocblas_complex_numIfES1_KPS1_EviiT3_lPKT2_lT1_lS9_lSA_lS6_lPT4_lSA_li,comdat
.Lfunc_end322:
	.size	_ZL32rocblas_gemvt_warp_reduce_kernelILb0ELi1024EiPK19rocblas_complex_numIfES1_KPS1_EviiT3_lPKT2_lT1_lS9_lSA_lS6_lPT4_lSA_li, .Lfunc_end322-_ZL32rocblas_gemvt_warp_reduce_kernelILb0ELi1024EiPK19rocblas_complex_numIfES1_KPS1_EviiT3_lPKT2_lT1_lS9_lSA_lS6_lPT4_lSA_li
                                        ; -- End function
	.set _ZL32rocblas_gemvt_warp_reduce_kernelILb0ELi1024EiPK19rocblas_complex_numIfES1_KPS1_EviiT3_lPKT2_lT1_lS9_lSA_lS6_lPT4_lSA_li.num_vgpr, 27
	.set _ZL32rocblas_gemvt_warp_reduce_kernelILb0ELi1024EiPK19rocblas_complex_numIfES1_KPS1_EviiT3_lPKT2_lT1_lS9_lSA_lS6_lPT4_lSA_li.num_agpr, 0
	.set _ZL32rocblas_gemvt_warp_reduce_kernelILb0ELi1024EiPK19rocblas_complex_numIfES1_KPS1_EviiT3_lPKT2_lT1_lS9_lSA_lS6_lPT4_lSA_li.numbered_sgpr, 40
	.set _ZL32rocblas_gemvt_warp_reduce_kernelILb0ELi1024EiPK19rocblas_complex_numIfES1_KPS1_EviiT3_lPKT2_lT1_lS9_lSA_lS6_lPT4_lSA_li.num_named_barrier, 0
	.set _ZL32rocblas_gemvt_warp_reduce_kernelILb0ELi1024EiPK19rocblas_complex_numIfES1_KPS1_EviiT3_lPKT2_lT1_lS9_lSA_lS6_lPT4_lSA_li.private_seg_size, 0
	.set _ZL32rocblas_gemvt_warp_reduce_kernelILb0ELi1024EiPK19rocblas_complex_numIfES1_KPS1_EviiT3_lPKT2_lT1_lS9_lSA_lS6_lPT4_lSA_li.uses_vcc, 1
	.set _ZL32rocblas_gemvt_warp_reduce_kernelILb0ELi1024EiPK19rocblas_complex_numIfES1_KPS1_EviiT3_lPKT2_lT1_lS9_lSA_lS6_lPT4_lSA_li.uses_flat_scratch, 0
	.set _ZL32rocblas_gemvt_warp_reduce_kernelILb0ELi1024EiPK19rocblas_complex_numIfES1_KPS1_EviiT3_lPKT2_lT1_lS9_lSA_lS6_lPT4_lSA_li.has_dyn_sized_stack, 0
	.set _ZL32rocblas_gemvt_warp_reduce_kernelILb0ELi1024EiPK19rocblas_complex_numIfES1_KPS1_EviiT3_lPKT2_lT1_lS9_lSA_lS6_lPT4_lSA_li.has_recursion, 0
	.set _ZL32rocblas_gemvt_warp_reduce_kernelILb0ELi1024EiPK19rocblas_complex_numIfES1_KPS1_EviiT3_lPKT2_lT1_lS9_lSA_lS6_lPT4_lSA_li.has_indirect_call, 0
	.section	.AMDGPU.csdata,"",@progbits
; Kernel info:
; codeLenInByte = 1960
; TotalNumSgprs: 42
; NumVgprs: 27
; ScratchSize: 0
; MemoryBound: 0
; FloatMode: 240
; IeeeMode: 1
; LDSByteSize: 256 bytes/workgroup (compile time only)
; SGPRBlocks: 0
; VGPRBlocks: 3
; NumSGPRsForWavesPerEU: 42
; NumVGPRsForWavesPerEU: 27
; Occupancy: 16
; WaveLimiterHint : 1
; COMPUTE_PGM_RSRC2:SCRATCH_EN: 0
; COMPUTE_PGM_RSRC2:USER_SGPR: 2
; COMPUTE_PGM_RSRC2:TRAP_HANDLER: 0
; COMPUTE_PGM_RSRC2:TGID_X_EN: 1
; COMPUTE_PGM_RSRC2:TGID_Y_EN: 0
; COMPUTE_PGM_RSRC2:TGID_Z_EN: 1
; COMPUTE_PGM_RSRC2:TIDIG_COMP_CNT: 0
	.section	.text._ZL32rocblas_gemvt_warp_reduce_kernelILb0ELi1024ElPK19rocblas_complex_numIfES1_KPS1_EviiT3_lPKT2_lT1_lS9_lSA_lS6_lPT4_lSA_li,"axG",@progbits,_ZL32rocblas_gemvt_warp_reduce_kernelILb0ELi1024ElPK19rocblas_complex_numIfES1_KPS1_EviiT3_lPKT2_lT1_lS9_lSA_lS6_lPT4_lSA_li,comdat
	.globl	_ZL32rocblas_gemvt_warp_reduce_kernelILb0ELi1024ElPK19rocblas_complex_numIfES1_KPS1_EviiT3_lPKT2_lT1_lS9_lSA_lS6_lPT4_lSA_li ; -- Begin function _ZL32rocblas_gemvt_warp_reduce_kernelILb0ELi1024ElPK19rocblas_complex_numIfES1_KPS1_EviiT3_lPKT2_lT1_lS9_lSA_lS6_lPT4_lSA_li
	.p2align	8
	.type	_ZL32rocblas_gemvt_warp_reduce_kernelILb0ELi1024ElPK19rocblas_complex_numIfES1_KPS1_EviiT3_lPKT2_lT1_lS9_lSA_lS6_lPT4_lSA_li,@function
_ZL32rocblas_gemvt_warp_reduce_kernelILb0ELi1024ElPK19rocblas_complex_numIfES1_KPS1_EviiT3_lPKT2_lT1_lS9_lSA_lS6_lPT4_lSA_li: ; @_ZL32rocblas_gemvt_warp_reduce_kernelILb0ELi1024ElPK19rocblas_complex_numIfES1_KPS1_EviiT3_lPKT2_lT1_lS9_lSA_lS6_lPT4_lSA_li
; %bb.0:
	s_load_b32 s33, s[0:1], 0x88
	s_lshr_b32 s6, ttmp7, 16
	s_wait_kmcnt 0x0
	s_cmp_ge_u32 s6, s33
	s_cbranch_scc1 .LBB323_37
; %bb.1:
	s_clause 0x8
	s_load_b64 s[20:21], s[0:1], 0x8
	s_load_b64 s[28:29], s[0:1], 0x48
	;; [unrolled: 1-line block ×3, first 2 shown]
	s_load_b32 s39, s[0:1], 0x0
	s_load_b128 s[8:11], s[0:1], 0x38
	s_load_b128 s[12:15], s[0:1], 0x68
	;; [unrolled: 1-line block ×3, first 2 shown]
	s_load_b64 s[30:31], s[0:1], 0x28
	s_load_b64 s[34:35], s[0:1], 0x78
	v_and_b32_e32 v5, 31, v0
	v_lshrrev_b32_e32 v6, 2, v0
	v_mov_b32_e32 v1, 0
	s_mov_b32 s4, ttmp9
	v_mbcnt_lo_u32_b32 v17, -1, 0
	v_lshlrev_b32_e32 v15, 3, v5
	v_and_b32_e32 v16, 0xf8, v6
	v_cmp_eq_u32_e64 s0, 0, v0
	s_mov_b32 s7, 0
	v_lshl_or_b32 v19, v17, 2, 64
	s_wait_kmcnt 0x0
	s_cmp_neq_f32 s20, 0
	v_mad_co_u64_u32 v[2:3], null, s28, v0, 0
	v_cmp_gt_i32_e32 vcc_lo, s39, v0
	s_cselect_b32 s1, -1, 0
	s_cmp_neq_f32 s21, 0
	v_cndmask_b32_e32 v7, 0, v0, vcc_lo
	s_cselect_b32 s2, -1, 0
	s_delay_alu instid0(VALU_DEP_3)
	v_mad_co_u64_u32 v[3:4], null, s29, v0, v[3:4]
	s_or_b32 s3, s1, s2
	s_cmp_neq_f32 s22, 1.0
	v_cmp_gt_u32_e64 s1, 32, v0
	v_lshlrev_b32_e32 v18, 3, v7
	s_cselect_b32 s24, -1, 0
	s_cmp_neq_f32 s23, 0
	v_lshlrev_b64_e32 v[3:4], 3, v[2:3]
	s_cselect_b32 s40, -1, 0
	s_or_b32 s2, s20, s21
	s_delay_alu instid0(SALU_CYCLE_1)
	s_and_b32 s5, s2, 0x7fffffff
	v_cmp_eq_u32_e64 s2, 0, v5
	s_cmp_lg_u32 s5, 0
	v_or_b32_e32 v3, 4, v3
	s_cselect_b32 s36, -1, 0
	s_cmp_eq_u32 s5, 0
	s_cselect_b32 s37, -1, 0
	s_cmp_neq_f32 s22, 0
	s_cselect_b32 s41, -1, 0
	s_ashr_i32 s5, s39, 31
	s_or_b32 s3, s3, s24
	s_lshr_b32 s25, s5, 22
	s_ashr_i32 s5, ttmp9, 31
	s_add_co_i32 s25, s39, s25
	s_mul_u64 s[34:35], s[34:35], s[4:5]
	s_and_b32 s24, s25, 0xfffffc00
	s_mul_u64 s[30:31], s[30:31], s[4:5]
	v_or_b32_e32 v2, s24, v0
	s_ashr_i32 s25, s24, 31
	s_or_b32 s38, s3, s40
	s_wait_alu 0xfffe
	s_mul_i32 s5, s28, s25
	v_cmp_gt_i32_e64 s3, s24, v0
	v_mul_lo_u32 v8, s29, v2
	v_mad_co_u64_u32 v[5:6], null, s28, v2, 0
	v_cmp_gt_i32_e64 s4, s39, v2
	s_lshl_b64 s[26:27], s[28:29], 13
	s_lshl_b64 s[18:19], s[18:19], 3
	;; [unrolled: 1-line block ×4, first 2 shown]
	s_or_b32 s39, s41, s40
	v_add3_u32 v6, v6, s5, v8
	s_lshl_b64 s[28:29], s[34:35], 3
	s_lshl_b64 s[30:31], s[30:31], 3
	;; [unrolled: 1-line block ×3, first 2 shown]
	s_delay_alu instid0(VALU_DEP_1)
	v_lshlrev_b64_e32 v[5:6], 3, v[5:6]
	s_branch .LBB323_5
.LBB323_2:                              ;   in Loop: Header=BB323_5 Depth=1
	v_add_co_u32 v10, vcc_lo, v20, s28
	s_wait_alu 0xfffd
	v_add_co_ci_u32_e64 v11, null, s29, v21, vcc_lo
	flat_store_b64 v[10:11], v[8:9]
.LBB323_3:                              ;   in Loop: Header=BB323_5 Depth=1
	s_wait_alu 0xfffe
	s_or_b32 exec_lo, exec_lo, s5
.LBB323_4:                              ;   in Loop: Header=BB323_5 Depth=1
	s_add_co_i32 s6, s6, 0x10000
	s_delay_alu instid0(SALU_CYCLE_1)
	s_cmp_lt_u32 s6, s33
	s_cbranch_scc0 .LBB323_37
.LBB323_5:                              ; =>This Loop Header: Depth=1
                                        ;     Child Loop BB323_30 Depth 2
	s_and_not1_b32 vcc_lo, exec_lo, s38
	s_wait_alu 0xfffe
	s_cbranch_vccnz .LBB323_4
; %bb.6:                                ;   in Loop: Header=BB323_5 Depth=1
	s_and_not1_b32 vcc_lo, exec_lo, s37
	s_wait_alu 0xfffe
	s_cbranch_vccnz .LBB323_8
; %bb.7:                                ;   in Loop: Header=BB323_5 Depth=1
	s_mov_b32 s5, 0
	s_branch .LBB323_9
.LBB323_8:                              ;   in Loop: Header=BB323_5 Depth=1
	s_mov_b32 s5, -1
.LBB323_9:                              ;   in Loop: Header=BB323_5 Depth=1
	s_wait_dscnt 0x0
	v_mov_b32_e32 v7, 0
	v_dual_mov_b32 v8, 0 :: v_dual_mov_b32 v9, 0
	v_mov_b32_e32 v10, 0
	s_wait_alu 0xfffe
	s_and_not1_b32 vcc_lo, exec_lo, s5
	s_wait_alu 0xfffe
	s_cbranch_vccnz .LBB323_11
; %bb.10:                               ;   in Loop: Header=BB323_5 Depth=1
	s_lshl_b64 s[40:41], s[6:7], 3
	s_delay_alu instid0(SALU_CYCLE_1)
	s_add_nc_u64 s[40:41], s[16:17], s[40:41]
	global_load_b64 v[9:10], v1, s[40:41]
	s_wait_loadcnt 0x0
	v_add_co_u32 v9, vcc_lo, v9, s18
	s_wait_alu 0xfffd
	v_add_co_ci_u32_e64 v10, null, s19, v10, vcc_lo
.LBB323_11:                             ;   in Loop: Header=BB323_5 Depth=1
	s_and_not1_b32 vcc_lo, exec_lo, s36
	s_wait_alu 0xfffe
	s_cbranch_vccnz .LBB323_13
; %bb.12:                               ;   in Loop: Header=BB323_5 Depth=1
	s_lshl_b64 s[40:41], s[6:7], 3
	s_delay_alu instid0(SALU_CYCLE_1)
	s_add_nc_u64 s[40:41], s[8:9], s[40:41]
	global_load_b64 v[7:8], v1, s[40:41]
	s_wait_loadcnt 0x0
	v_add_co_u32 v7, vcc_lo, v7, s10
	s_wait_alu 0xfffd
	v_add_co_ci_u32_e64 v8, null, s11, v8, vcc_lo
.LBB323_13:                             ;   in Loop: Header=BB323_5 Depth=1
	s_lshl_b64 s[40:41], s[6:7], 3
	s_mov_b32 s5, -1
	s_add_nc_u64 s[40:41], s[12:13], s[40:41]
	global_load_b64 v[11:12], v1, s[40:41]
	s_wait_loadcnt 0x0
	v_add_co_u32 v20, vcc_lo, v11, s14
	s_wait_alu 0xfffd
	v_add_co_ci_u32_e64 v21, null, s15, v12, vcc_lo
	s_and_not1_b32 vcc_lo, exec_lo, s37
	s_wait_alu 0xfffe
	s_cbranch_vccnz .LBB323_19
; %bb.14:                               ;   in Loop: Header=BB323_5 Depth=1
	s_and_saveexec_b32 s5, s0
	s_cbranch_execz .LBB323_18
; %bb.15:                               ;   in Loop: Header=BB323_5 Depth=1
	v_dual_mov_b32 v11, 0 :: v_dual_mov_b32 v12, 0
	s_and_not1_b32 vcc_lo, exec_lo, s39
	s_wait_alu 0xfffe
	s_cbranch_vccnz .LBB323_17
; %bb.16:                               ;   in Loop: Header=BB323_5 Depth=1
	v_add_co_u32 v11, vcc_lo, v20, s28
	s_wait_alu 0xfffd
	v_add_co_ci_u32_e64 v12, null, s29, v21, vcc_lo
	flat_load_b64 v[13:14], v[11:12]
	s_wait_loadcnt_dscnt 0x0
	v_mul_f32_e32 v2, s23, v14
	v_mul_f32_e32 v12, s22, v14
	s_delay_alu instid0(VALU_DEP_2) | instskip(NEXT) | instid1(VALU_DEP_2)
	v_fma_f32 v11, s22, v13, -v2
	v_fmac_f32_e32 v12, s23, v13
.LBB323_17:                             ;   in Loop: Header=BB323_5 Depth=1
	v_add_co_u32 v13, vcc_lo, v20, s28
	s_wait_alu 0xfffd
	v_add_co_ci_u32_e64 v14, null, s29, v21, vcc_lo
	flat_store_b64 v[13:14], v[11:12]
.LBB323_18:                             ;   in Loop: Header=BB323_5 Depth=1
	s_wait_alu 0xfffe
	s_or_b32 exec_lo, exec_lo, s5
	s_mov_b32 s5, 0
.LBB323_19:                             ;   in Loop: Header=BB323_5 Depth=1
	s_wait_alu 0xfffe
	s_and_not1_b32 vcc_lo, exec_lo, s5
	s_wait_alu 0xfffe
	s_cbranch_vccnz .LBB323_4
; %bb.20:                               ;   in Loop: Header=BB323_5 Depth=1
	v_add_co_u32 v2, vcc_lo, v9, v18
	s_wait_alu 0xfffd
	v_add_co_ci_u32_e64 v10, null, 0, v10, vcc_lo
	v_dual_mov_b32 v22, 0 :: v_dual_mov_b32 v23, 0
	s_delay_alu instid0(VALU_DEP_3) | instskip(SKIP_1) | instid1(VALU_DEP_3)
	v_add_co_u32 v9, vcc_lo, v2, s30
	s_wait_alu 0xfffd
	v_add_co_ci_u32_e64 v10, null, s31, v10, vcc_lo
	s_and_saveexec_b32 s25, s3
	s_cbranch_execnz .LBB323_29
; %bb.21:                               ;   in Loop: Header=BB323_5 Depth=1
	s_wait_alu 0xfffe
	s_or_b32 exec_lo, exec_lo, s25
	s_and_saveexec_b32 s5, s4
	s_cbranch_execnz .LBB323_32
.LBB323_22:                             ;   in Loop: Header=BB323_5 Depth=1
	s_wait_alu 0xfffe
	s_or_b32 exec_lo, exec_lo, s5
	s_and_saveexec_b32 s5, s1
.LBB323_23:                             ;   in Loop: Header=BB323_5 Depth=1
	v_mov_b32_e32 v2, v1
	ds_store_b64 v15, v[1:2]
.LBB323_24:                             ;   in Loop: Header=BB323_5 Depth=1
	s_wait_alu 0xfffe
	s_or_b32 exec_lo, exec_lo, s5
	ds_bpermute_b32 v7, v19, v23
	ds_bpermute_b32 v8, v19, v22
	v_cmp_gt_u32_e32 vcc_lo, 24, v17
	s_wait_storecnt_dscnt 0x0
	s_barrier_signal -1
	s_barrier_wait -1
	global_inv scope:SCOPE_SE
	s_wait_alu 0xfffd
	v_cndmask_b32_e64 v2, 0, 8, vcc_lo
	v_cmp_gt_u32_e32 vcc_lo, 28, v17
	s_delay_alu instid0(VALU_DEP_2) | instskip(SKIP_3) | instid1(VALU_DEP_2)
	v_add_lshl_u32 v2, v2, v17, 2
	s_wait_alu 0xfffd
	v_cndmask_b32_e64 v9, 0, 4, vcc_lo
	v_cmp_gt_u32_e32 vcc_lo, 30, v17
	v_add_lshl_u32 v9, v9, v17, 2
	v_dual_add_f32 v7, v23, v7 :: v_dual_add_f32 v8, v22, v8
	ds_bpermute_b32 v10, v2, v7
	ds_bpermute_b32 v11, v2, v8
	s_wait_dscnt 0x0
	v_dual_add_f32 v7, v7, v10 :: v_dual_add_f32 v8, v8, v11
	s_wait_alu 0xfffd
	v_cndmask_b32_e64 v10, 0, 2, vcc_lo
	v_cmp_ne_u32_e32 vcc_lo, 31, v17
	ds_bpermute_b32 v11, v9, v7
	ds_bpermute_b32 v12, v9, v8
	v_add_lshl_u32 v10, v10, v17, 2
	s_wait_dscnt 0x0
	v_dual_add_f32 v7, v7, v11 :: v_dual_add_f32 v8, v8, v12
	s_wait_alu 0xfffd
	v_add_co_ci_u32_e64 v11, null, 0, v17, vcc_lo
	ds_bpermute_b32 v12, v10, v7
	ds_bpermute_b32 v13, v10, v8
	v_lshlrev_b32_e32 v11, 2, v11
	s_wait_dscnt 0x0
	v_dual_add_f32 v7, v7, v12 :: v_dual_add_f32 v8, v8, v13
	ds_bpermute_b32 v12, v11, v7
	ds_bpermute_b32 v13, v11, v8
	s_and_saveexec_b32 s5, s2
	s_cbranch_execz .LBB323_26
; %bb.25:                               ;   in Loop: Header=BB323_5 Depth=1
	s_wait_dscnt 0x0
	v_dual_add_f32 v8, v8, v13 :: v_dual_add_f32 v7, v7, v12
	ds_store_b64 v16, v[7:8]
.LBB323_26:                             ;   in Loop: Header=BB323_5 Depth=1
	s_wait_alu 0xfffe
	s_or_b32 exec_lo, exec_lo, s5
	v_dual_mov_b32 v8, 0 :: v_dual_mov_b32 v7, 0
	s_wait_loadcnt_dscnt 0x0
	s_barrier_signal -1
	s_barrier_wait -1
	global_inv scope:SCOPE_SE
	s_and_saveexec_b32 s5, s1
	s_cbranch_execnz .LBB323_33
; %bb.27:                               ;   in Loop: Header=BB323_5 Depth=1
	s_wait_alu 0xfffe
	s_or_b32 exec_lo, exec_lo, s5
	s_and_saveexec_b32 s5, s1
	s_cbranch_execnz .LBB323_34
.LBB323_28:                             ;   in Loop: Header=BB323_5 Depth=1
	s_wait_alu 0xfffe
	s_or_b32 exec_lo, exec_lo, s5
	s_and_saveexec_b32 s5, s0
	s_cbranch_execz .LBB323_3
	s_branch .LBB323_35
.LBB323_29:                             ;   in Loop: Header=BB323_5 Depth=1
	v_add_co_u32 v11, vcc_lo, v7, v3
	v_dual_mov_b32 v14, v10 :: v_dual_mov_b32 v23, 0
	s_wait_alu 0xfffd
	v_add_co_ci_u32_e64 v12, null, v8, v4, vcc_lo
	v_dual_mov_b32 v22, 0 :: v_dual_mov_b32 v13, v9
	v_mov_b32_e32 v2, v0
	s_mov_b32 s40, 0
.LBB323_30:                             ;   Parent Loop BB323_5 Depth=1
                                        ; =>  This Inner Loop Header: Depth=2
	flat_load_b64 v[24:25], v[13:14]
	flat_load_b64 v[26:27], v[11:12] offset:-4
	v_add_nc_u32_e32 v2, 0x400, v2
	v_add_co_u32 v13, vcc_lo, 0x2000, v13
	s_wait_alu 0xfffd
	v_add_co_ci_u32_e64 v14, null, 0, v14, vcc_lo
	v_add_co_u32 v11, vcc_lo, v11, s26
	s_wait_alu 0xfffd
	v_add_co_ci_u32_e64 v12, null, s27, v12, vcc_lo
	s_wait_loadcnt_dscnt 0x0
	v_mul_f32_e32 v28, v27, v25
	v_mul_f32_e32 v25, v26, v25
	v_cmp_le_i32_e64 s5, s24, v2
	s_delay_alu instid0(VALU_DEP_3) | instskip(NEXT) | instid1(VALU_DEP_3)
	v_fma_f32 v26, v26, v24, -v28
	v_fmac_f32_e32 v25, v27, v24
	s_or_b32 s40, s5, s40
	s_delay_alu instid0(VALU_DEP_1)
	v_dual_add_f32 v23, v23, v26 :: v_dual_add_f32 v22, v22, v25
	s_and_not1_b32 exec_lo, exec_lo, s40
	s_cbranch_execnz .LBB323_30
; %bb.31:                               ;   in Loop: Header=BB323_5 Depth=1
	s_or_b32 exec_lo, exec_lo, s40
	s_wait_alu 0xfffe
	s_or_b32 exec_lo, exec_lo, s25
	s_and_saveexec_b32 s5, s4
	s_cbranch_execz .LBB323_22
.LBB323_32:                             ;   in Loop: Header=BB323_5 Depth=1
	v_add_co_u32 v9, vcc_lo, v9, s34
	s_wait_alu 0xfffd
	v_add_co_ci_u32_e64 v10, null, s35, v10, vcc_lo
	v_add_co_u32 v7, vcc_lo, v7, v5
	s_wait_alu 0xfffd
	v_add_co_ci_u32_e64 v8, null, v8, v6, vcc_lo
	flat_load_b64 v[9:10], v[9:10]
	flat_load_b64 v[7:8], v[7:8]
	s_wait_loadcnt_dscnt 0x0
	v_mul_f32_e32 v2, v8, v10
	v_mul_f32_e32 v10, v7, v10
	s_delay_alu instid0(VALU_DEP_2) | instskip(NEXT) | instid1(VALU_DEP_1)
	v_fma_f32 v2, v7, v9, -v2
	v_dual_fmac_f32 v10, v8, v9 :: v_dual_add_f32 v23, v23, v2
	s_delay_alu instid0(VALU_DEP_1)
	v_add_f32_e32 v22, v22, v10
	s_wait_alu 0xfffe
	s_or_b32 exec_lo, exec_lo, s5
	s_and_saveexec_b32 s5, s1
	s_cbranch_execnz .LBB323_23
	s_branch .LBB323_24
.LBB323_33:                             ;   in Loop: Header=BB323_5 Depth=1
	ds_load_b64 v[7:8], v15
	s_wait_alu 0xfffe
	s_or_b32 exec_lo, exec_lo, s5
	s_and_saveexec_b32 s5, s1
	s_cbranch_execz .LBB323_28
.LBB323_34:                             ;   in Loop: Header=BB323_5 Depth=1
	s_wait_dscnt 0x0
	ds_bpermute_b32 v12, v19, v7
	ds_bpermute_b32 v13, v19, v8
	s_wait_dscnt 0x0
	v_dual_add_f32 v7, v7, v12 :: v_dual_add_f32 v8, v8, v13
	ds_bpermute_b32 v12, v2, v7
	ds_bpermute_b32 v2, v2, v8
	s_wait_dscnt 0x0
	v_dual_add_f32 v7, v7, v12 :: v_dual_add_f32 v2, v8, v2
	;; [unrolled: 4-line block ×5, first 2 shown]
	s_wait_alu 0xfffe
	s_or_b32 exec_lo, exec_lo, s5
	s_and_saveexec_b32 s5, s0
	s_cbranch_execz .LBB323_3
.LBB323_35:                             ;   in Loop: Header=BB323_5 Depth=1
	s_wait_dscnt 0x0
	v_mul_f32_e32 v9, s20, v8
	v_mul_f32_e32 v2, s21, v8
	s_and_not1_b32 vcc_lo, exec_lo, s39
	s_delay_alu instid0(VALU_DEP_2) | instskip(NEXT) | instid1(VALU_DEP_2)
	v_fmac_f32_e32 v9, s21, v7
	v_fma_f32 v8, v7, s20, -v2
	s_wait_alu 0xfffe
	s_cbranch_vccnz .LBB323_2
; %bb.36:                               ;   in Loop: Header=BB323_5 Depth=1
	v_add_co_u32 v10, vcc_lo, v20, s28
	s_wait_alu 0xfffd
	v_add_co_ci_u32_e64 v11, null, s29, v21, vcc_lo
	flat_load_b64 v[10:11], v[10:11]
	s_wait_loadcnt_dscnt 0x0
	v_mul_f32_e32 v7, s22, v11
	s_delay_alu instid0(VALU_DEP_1) | instskip(NEXT) | instid1(VALU_DEP_1)
	v_dual_mul_f32 v2, s23, v11 :: v_dual_fmac_f32 v7, s23, v10
	v_fma_f32 v2, s22, v10, -v2
	s_delay_alu instid0(VALU_DEP_1)
	v_dual_add_f32 v9, v9, v7 :: v_dual_add_f32 v8, v8, v2
	s_branch .LBB323_2
.LBB323_37:
	s_endpgm
	.section	.rodata,"a",@progbits
	.p2align	6, 0x0
	.amdhsa_kernel _ZL32rocblas_gemvt_warp_reduce_kernelILb0ELi1024ElPK19rocblas_complex_numIfES1_KPS1_EviiT3_lPKT2_lT1_lS9_lSA_lS6_lPT4_lSA_li
		.amdhsa_group_segment_fixed_size 256
		.amdhsa_private_segment_fixed_size 0
		.amdhsa_kernarg_size 140
		.amdhsa_user_sgpr_count 2
		.amdhsa_user_sgpr_dispatch_ptr 0
		.amdhsa_user_sgpr_queue_ptr 0
		.amdhsa_user_sgpr_kernarg_segment_ptr 1
		.amdhsa_user_sgpr_dispatch_id 0
		.amdhsa_user_sgpr_private_segment_size 0
		.amdhsa_wavefront_size32 1
		.amdhsa_uses_dynamic_stack 0
		.amdhsa_enable_private_segment 0
		.amdhsa_system_sgpr_workgroup_id_x 1
		.amdhsa_system_sgpr_workgroup_id_y 0
		.amdhsa_system_sgpr_workgroup_id_z 1
		.amdhsa_system_sgpr_workgroup_info 0
		.amdhsa_system_vgpr_workitem_id 0
		.amdhsa_next_free_vgpr 29
		.amdhsa_next_free_sgpr 42
		.amdhsa_reserve_vcc 1
		.amdhsa_float_round_mode_32 0
		.amdhsa_float_round_mode_16_64 0
		.amdhsa_float_denorm_mode_32 3
		.amdhsa_float_denorm_mode_16_64 3
		.amdhsa_fp16_overflow 0
		.amdhsa_workgroup_processor_mode 1
		.amdhsa_memory_ordered 1
		.amdhsa_forward_progress 1
		.amdhsa_inst_pref_size 16
		.amdhsa_round_robin_scheduling 0
		.amdhsa_exception_fp_ieee_invalid_op 0
		.amdhsa_exception_fp_denorm_src 0
		.amdhsa_exception_fp_ieee_div_zero 0
		.amdhsa_exception_fp_ieee_overflow 0
		.amdhsa_exception_fp_ieee_underflow 0
		.amdhsa_exception_fp_ieee_inexact 0
		.amdhsa_exception_int_div_zero 0
	.end_amdhsa_kernel
	.section	.text._ZL32rocblas_gemvt_warp_reduce_kernelILb0ELi1024ElPK19rocblas_complex_numIfES1_KPS1_EviiT3_lPKT2_lT1_lS9_lSA_lS6_lPT4_lSA_li,"axG",@progbits,_ZL32rocblas_gemvt_warp_reduce_kernelILb0ELi1024ElPK19rocblas_complex_numIfES1_KPS1_EviiT3_lPKT2_lT1_lS9_lSA_lS6_lPT4_lSA_li,comdat
.Lfunc_end323:
	.size	_ZL32rocblas_gemvt_warp_reduce_kernelILb0ELi1024ElPK19rocblas_complex_numIfES1_KPS1_EviiT3_lPKT2_lT1_lS9_lSA_lS6_lPT4_lSA_li, .Lfunc_end323-_ZL32rocblas_gemvt_warp_reduce_kernelILb0ELi1024ElPK19rocblas_complex_numIfES1_KPS1_EviiT3_lPKT2_lT1_lS9_lSA_lS6_lPT4_lSA_li
                                        ; -- End function
	.set _ZL32rocblas_gemvt_warp_reduce_kernelILb0ELi1024ElPK19rocblas_complex_numIfES1_KPS1_EviiT3_lPKT2_lT1_lS9_lSA_lS6_lPT4_lSA_li.num_vgpr, 29
	.set _ZL32rocblas_gemvt_warp_reduce_kernelILb0ELi1024ElPK19rocblas_complex_numIfES1_KPS1_EviiT3_lPKT2_lT1_lS9_lSA_lS6_lPT4_lSA_li.num_agpr, 0
	.set _ZL32rocblas_gemvt_warp_reduce_kernelILb0ELi1024ElPK19rocblas_complex_numIfES1_KPS1_EviiT3_lPKT2_lT1_lS9_lSA_lS6_lPT4_lSA_li.numbered_sgpr, 42
	.set _ZL32rocblas_gemvt_warp_reduce_kernelILb0ELi1024ElPK19rocblas_complex_numIfES1_KPS1_EviiT3_lPKT2_lT1_lS9_lSA_lS6_lPT4_lSA_li.num_named_barrier, 0
	.set _ZL32rocblas_gemvt_warp_reduce_kernelILb0ELi1024ElPK19rocblas_complex_numIfES1_KPS1_EviiT3_lPKT2_lT1_lS9_lSA_lS6_lPT4_lSA_li.private_seg_size, 0
	.set _ZL32rocblas_gemvt_warp_reduce_kernelILb0ELi1024ElPK19rocblas_complex_numIfES1_KPS1_EviiT3_lPKT2_lT1_lS9_lSA_lS6_lPT4_lSA_li.uses_vcc, 1
	.set _ZL32rocblas_gemvt_warp_reduce_kernelILb0ELi1024ElPK19rocblas_complex_numIfES1_KPS1_EviiT3_lPKT2_lT1_lS9_lSA_lS6_lPT4_lSA_li.uses_flat_scratch, 0
	.set _ZL32rocblas_gemvt_warp_reduce_kernelILb0ELi1024ElPK19rocblas_complex_numIfES1_KPS1_EviiT3_lPKT2_lT1_lS9_lSA_lS6_lPT4_lSA_li.has_dyn_sized_stack, 0
	.set _ZL32rocblas_gemvt_warp_reduce_kernelILb0ELi1024ElPK19rocblas_complex_numIfES1_KPS1_EviiT3_lPKT2_lT1_lS9_lSA_lS6_lPT4_lSA_li.has_recursion, 0
	.set _ZL32rocblas_gemvt_warp_reduce_kernelILb0ELi1024ElPK19rocblas_complex_numIfES1_KPS1_EviiT3_lPKT2_lT1_lS9_lSA_lS6_lPT4_lSA_li.has_indirect_call, 0
	.section	.AMDGPU.csdata,"",@progbits
; Kernel info:
; codeLenInByte = 1972
; TotalNumSgprs: 44
; NumVgprs: 29
; ScratchSize: 0
; MemoryBound: 0
; FloatMode: 240
; IeeeMode: 1
; LDSByteSize: 256 bytes/workgroup (compile time only)
; SGPRBlocks: 0
; VGPRBlocks: 3
; NumSGPRsForWavesPerEU: 44
; NumVGPRsForWavesPerEU: 29
; Occupancy: 16
; WaveLimiterHint : 1
; COMPUTE_PGM_RSRC2:SCRATCH_EN: 0
; COMPUTE_PGM_RSRC2:USER_SGPR: 2
; COMPUTE_PGM_RSRC2:TRAP_HANDLER: 0
; COMPUTE_PGM_RSRC2:TGID_X_EN: 1
; COMPUTE_PGM_RSRC2:TGID_Y_EN: 0
; COMPUTE_PGM_RSRC2:TGID_Z_EN: 1
; COMPUTE_PGM_RSRC2:TIDIG_COMP_CNT: 0
	.section	.text._ZL22rocblas_gemvtsm_kernelILb1ELi256EPK19rocblas_complex_numIfES3_KPS1_EviiT2_lPKT1_lilS9_lilS6_lPT3_lil,"axG",@progbits,_ZL22rocblas_gemvtsm_kernelILb1ELi256EPK19rocblas_complex_numIfES3_KPS1_EviiT2_lPKT1_lilS9_lilS6_lPT3_lil,comdat
	.globl	_ZL22rocblas_gemvtsm_kernelILb1ELi256EPK19rocblas_complex_numIfES3_KPS1_EviiT2_lPKT1_lilS9_lilS6_lPT3_lil ; -- Begin function _ZL22rocblas_gemvtsm_kernelILb1ELi256EPK19rocblas_complex_numIfES3_KPS1_EviiT2_lPKT1_lilS9_lilS6_lPT3_lil
	.p2align	8
	.type	_ZL22rocblas_gemvtsm_kernelILb1ELi256EPK19rocblas_complex_numIfES3_KPS1_EviiT2_lPKT1_lilS9_lilS6_lPT3_lil,@function
_ZL22rocblas_gemvtsm_kernelILb1ELi256EPK19rocblas_complex_numIfES3_KPS1_EviiT2_lPKT1_lilS9_lilS6_lPT3_lil: ; @_ZL22rocblas_gemvtsm_kernelILb1ELi256EPK19rocblas_complex_numIfES3_KPS1_EviiT2_lPKT1_lilS9_lilS6_lPT3_lil
; %bb.0:
	s_clause 0x1
	s_load_b256 s[12:19], s[0:1], 0x8
	s_load_b256 s[4:11], s[0:1], 0x58
	s_mov_b32 s22, ttmp9
	s_mov_b32 s23, 0
	s_wait_kmcnt 0x0
	s_mul_u64 s[2:3], s[14:15], s[22:23]
	s_delay_alu instid0(SALU_CYCLE_1) | instskip(NEXT) | instid1(SALU_CYCLE_1)
	s_lshl_b64 s[2:3], s[2:3], 3
	s_add_nc_u64 s[2:3], s[12:13], s[2:3]
	s_load_b64 s[14:15], s[2:3], 0x0
	s_mul_u64 s[2:3], s[6:7], s[22:23]
	s_delay_alu instid0(SALU_CYCLE_1) | instskip(NEXT) | instid1(SALU_CYCLE_1)
	s_lshl_b64 s[2:3], s[2:3], 3
	s_add_nc_u64 s[2:3], s[4:5], s[2:3]
	s_load_b64 s[2:3], s[2:3], 0x0
	s_wait_kmcnt 0x0
	s_cmp_neq_f32 s14, 0
	s_cselect_b32 s4, -1, 0
	s_cmp_neq_f32 s15, 0
	s_cselect_b32 s5, -1, 0
	s_delay_alu instid0(SALU_CYCLE_1) | instskip(NEXT) | instid1(SALU_CYCLE_1)
	s_or_b32 s4, s4, s5
	s_and_b32 vcc_lo, exec_lo, s4
	s_mov_b32 s4, -1
	s_cbranch_vccnz .LBB324_2
; %bb.1:
	s_cmp_neq_f32 s2, 1.0
	s_cselect_b32 s4, -1, 0
	s_cmp_neq_f32 s3, 0
	s_cselect_b32 s5, -1, 0
	s_delay_alu instid0(SALU_CYCLE_1)
	s_or_b32 s4, s4, s5
.LBB324_2:
	s_delay_alu instid0(SALU_CYCLE_1)
	s_and_not1_b32 vcc_lo, exec_lo, s4
	s_cbranch_vccnz .LBB324_40
; %bb.3:
	s_or_b32 s4, s14, s15
	s_mov_b64 s[20:21], 0
	s_and_b32 s5, s4, 0x7fffffff
	s_mov_b64 s[12:13], 0
	s_cmp_lg_u32 s5, 0
	s_cselect_b32 s4, -1, 0
	s_cmp_eq_u32 s5, 0
	s_cselect_b32 s7, -1, 0
	s_delay_alu instid0(SALU_CYCLE_1)
	s_and_b32 vcc_lo, exec_lo, s7
	s_cbranch_vccnz .LBB324_5
; %bb.4:
	s_lshl_b64 s[12:13], s[22:23], 3
	s_delay_alu instid0(SALU_CYCLE_1)
	s_add_nc_u64 s[12:13], s[16:17], s[12:13]
	s_lshl_b64 s[16:17], s[18:19], 3
	s_load_b64 s[12:13], s[12:13], 0x0
	s_wait_kmcnt 0x0
	s_add_nc_u64 s[12:13], s[12:13], s[16:17]
.LBB324_5:
	s_and_not1_b32 vcc_lo, exec_lo, s4
	s_cbranch_vccnz .LBB324_7
; %bb.6:
	s_load_b128 s[16:19], s[0:1], 0x38
	s_lshl_b64 s[4:5], s[22:23], 3
	s_wait_kmcnt 0x0
	s_add_nc_u64 s[4:5], s[16:17], s[4:5]
	s_lshl_b64 s[16:17], s[18:19], 3
	s_load_b64 s[4:5], s[4:5], 0x0
	s_wait_kmcnt 0x0
	s_add_nc_u64 s[20:21], s[4:5], s[16:17]
.LBB324_7:
	s_lshl_b64 s[4:5], s[22:23], 3
	s_and_not1_b32 vcc_lo, exec_lo, s7
	s_add_nc_u64 s[8:9], s[8:9], s[4:5]
	s_clause 0x1
	s_load_b64 s[4:5], s[0:1], 0x0
	s_load_b32 s6, s[0:1], 0x78
	s_load_b64 s[8:9], s[8:9], 0x0
	s_mov_b32 s7, -1
	s_cbranch_vccnz .LBB324_22
; %bb.8:
	s_cmp_neq_f32 s2, 0
	s_cselect_b32 s7, -1, 0
	s_cmp_neq_f32 s3, 0
	s_cselect_b32 s16, -1, 0
	s_delay_alu instid0(SALU_CYCLE_1)
	s_or_b32 s7, s7, s16
	s_wait_kmcnt 0x0
	s_cmp_gt_i32 s5, 0
	s_cselect_b32 s18, -1, 0
	s_and_b32 vcc_lo, exec_lo, s7
	s_mov_b32 s7, -1
	s_cbranch_vccnz .LBB324_15
; %bb.9:
	s_and_not1_b32 vcc_lo, exec_lo, s18
	s_cbranch_vccnz .LBB324_14
; %bb.10:
	v_mad_co_i64_i32 v[1:2], null, s6, v0, 0
	s_lshl_b64 s[16:17], s[10:11], 3
	v_mov_b32_e32 v3, 0
	s_add_nc_u64 s[16:17], s[8:9], s[16:17]
	s_ashr_i32 s7, s6, 31
	v_lshlrev_b64_e32 v[1:2], 3, v[1:2]
	s_delay_alu instid0(VALU_DEP_1) | instskip(NEXT) | instid1(VALU_DEP_1)
	v_add_co_u32 v1, vcc_lo, s16, v1
	v_add_co_ci_u32_e64 v2, null, s17, v2, vcc_lo
	s_wait_alu 0xfffe
	s_lshl_b64 s[16:17], s[6:7], 11
	s_delay_alu instid0(VALU_DEP_2)
	v_add_co_u32 v1, vcc_lo, v1, 4
	s_wait_alu 0xfffd
	v_add_co_ci_u32_e64 v2, null, 0, v2, vcc_lo
	s_mov_b32 s7, 0
	s_branch .LBB324_12
.LBB324_11:                             ;   in Loop: Header=BB324_12 Depth=1
	s_or_b32 exec_lo, exec_lo, s19
	v_add_co_u32 v1, vcc_lo, v1, s16
	s_wait_alu 0xfffd
	v_add_co_ci_u32_e64 v2, null, s17, v2, vcc_lo
	s_addk_co_i32 s7, 0x100
	s_wait_alu 0xfffe
	s_cmp_ge_i32 s7, s5
	s_cbranch_scc1 .LBB324_14
.LBB324_12:                             ; =>This Inner Loop Header: Depth=1
	s_wait_alu 0xfffe
	v_add_nc_u32_e32 v4, s7, v0
	s_mov_b32 s19, exec_lo
	s_delay_alu instid0(VALU_DEP_1)
	v_cmpx_gt_i32_e64 s5, v4
	s_cbranch_execz .LBB324_11
; %bb.13:                               ;   in Loop: Header=BB324_12 Depth=1
	v_mov_b32_e32 v4, v3
	flat_store_b64 v[1:2], v[3:4] offset:-4
	s_branch .LBB324_11
.LBB324_14:
	s_mov_b32 s7, 0
.LBB324_15:
	s_wait_alu 0xfffe
	s_and_not1_b32 vcc_lo, exec_lo, s7
	s_wait_alu 0xfffe
	s_cbranch_vccnz .LBB324_21
; %bb.16:
	s_and_not1_b32 vcc_lo, exec_lo, s18
	s_wait_alu 0xfffe
	s_cbranch_vccnz .LBB324_21
; %bb.17:
	v_mad_co_i64_i32 v[1:2], null, s6, v0, 0
	s_lshl_b64 s[16:17], s[10:11], 3
	s_ashr_i32 s7, s6, 31
	s_wait_alu 0xfffe
	s_add_nc_u64 s[16:17], s[8:9], s[16:17]
	v_lshlrev_b64_e32 v[1:2], 3, v[1:2]
	s_wait_alu 0xfffe
	s_delay_alu instid0(VALU_DEP_1) | instskip(SKIP_1) | instid1(VALU_DEP_2)
	v_add_co_u32 v1, vcc_lo, s16, v1
	s_wait_alu 0xfffd
	v_add_co_ci_u32_e64 v2, null, s17, v2, vcc_lo
	s_lshl_b64 s[16:17], s[6:7], 11
	v_add_co_u32 v1, vcc_lo, v1, 4
	s_wait_alu 0xfffd
	v_add_co_ci_u32_e64 v2, null, 0, v2, vcc_lo
	s_mov_b32 s7, 0
	s_branch .LBB324_19
.LBB324_18:                             ;   in Loop: Header=BB324_19 Depth=1
	s_or_b32 exec_lo, exec_lo, s18
	v_add_co_u32 v1, vcc_lo, v1, s16
	s_wait_alu 0xfffd
	v_add_co_ci_u32_e64 v2, null, s17, v2, vcc_lo
	s_addk_co_i32 s7, 0x100
	s_wait_alu 0xfffe
	s_cmp_ge_i32 s7, s5
	s_cbranch_scc1 .LBB324_21
.LBB324_19:                             ; =>This Inner Loop Header: Depth=1
	s_wait_alu 0xfffe
	v_add_nc_u32_e32 v3, s7, v0
	s_mov_b32 s18, exec_lo
	s_delay_alu instid0(VALU_DEP_1)
	v_cmpx_gt_i32_e64 s5, v3
	s_cbranch_execz .LBB324_18
; %bb.20:                               ;   in Loop: Header=BB324_19 Depth=1
	flat_load_b64 v[3:4], v[1:2] offset:-4
	s_wait_loadcnt_dscnt 0x0
	v_mul_f32_e32 v5, s2, v4
	s_delay_alu instid0(VALU_DEP_1) | instskip(NEXT) | instid1(VALU_DEP_1)
	v_dual_mul_f32 v6, s3, v4 :: v_dual_fmac_f32 v5, s3, v3
	v_fma_f32 v4, s2, v3, -v6
	flat_store_b64 v[1:2], v[4:5] offset:-4
	s_branch .LBB324_18
.LBB324_21:
	s_mov_b32 s7, 0
.LBB324_22:
	s_wait_alu 0xfffe
	s_and_not1_b32 vcc_lo, exec_lo, s7
	s_wait_alu 0xfffe
	s_cbranch_vccnz .LBB324_40
; %bb.23:
	s_mov_b32 s7, exec_lo
	s_wait_kmcnt 0x0
	v_cmpx_gt_i32_e64 s4, v0
	s_cbranch_execz .LBB324_25
; %bb.24:
	s_load_b32 s16, s[0:1], 0x48
	s_wait_kmcnt 0x0
	v_mad_co_i64_i32 v[1:2], null, s16, v0, 0
	s_delay_alu instid0(VALU_DEP_1) | instskip(NEXT) | instid1(VALU_DEP_1)
	v_lshlrev_b64_e32 v[1:2], 3, v[1:2]
	v_add_co_u32 v1, vcc_lo, s20, v1
	s_wait_alu 0xfffd
	s_delay_alu instid0(VALU_DEP_2) | instskip(SKIP_3) | instid1(VALU_DEP_1)
	v_add_co_ci_u32_e64 v2, null, s21, v2, vcc_lo
	flat_load_b64 v[1:2], v[1:2]
	s_wait_loadcnt_dscnt 0x0
	v_mul_f32_e32 v3, s14, v2
	v_dual_mul_f32 v4, s15, v2 :: v_dual_fmac_f32 v3, s15, v1
	s_delay_alu instid0(VALU_DEP_1)
	v_fma_f32 v2, v1, s14, -v4
	v_lshlrev_b32_e32 v1, 3, v0
	ds_store_b64 v1, v[2:3]
.LBB324_25:
	s_wait_alu 0xfffe
	s_or_b32 exec_lo, exec_lo, s7
	s_cmp_lt_i32 s5, 1
	s_wait_storecnt_dscnt 0x0
	s_barrier_signal -1
	s_barrier_wait -1
	global_inv scope:SCOPE_SE
	s_cbranch_scc1 .LBB324_40
; %bb.26:
	s_load_b32 s18, s[0:1], 0x28
	s_lshl_b64 s[10:11], s[10:11], 3
	s_ashr_i32 s7, s6, 31
	s_add_nc_u64 s[8:9], s[8:9], s[10:11]
	s_mov_b32 s1, 0
	s_wait_kmcnt 0x0
	v_mad_co_i64_i32 v[1:2], null, s18, v0, 0
	s_ashr_i32 s19, s18, 31
	s_cmp_neq_f32 s2, 0
	s_cselect_b32 s0, -1, 0
	v_lshlrev_b64_e32 v[1:2], 3, v[1:2]
	s_cmp_neq_f32 s3, 0
	s_cselect_b32 s10, -1, 0
	s_delay_alu instid0(VALU_DEP_1)
	v_add_co_u32 v9, vcc_lo, s12, v1
	s_or_b32 s14, s0, s10
	s_cmp_gt_i32 s4, 0
	s_wait_alu 0xfffd
	v_add_co_ci_u32_e64 v10, null, s13, v2, vcc_lo
	s_cselect_b32 s15, -1, 0
	s_and_b32 s0, s4, 7
	s_cmp_gt_u32 s4, 7
	v_add_co_u32 v1, vcc_lo, v9, 60
	s_cselect_b32 s16, -1, 0
	s_and_b32 s4, s4, 0x7ffffff8
	s_wait_alu 0xfffd
	v_add_co_ci_u32_e64 v2, null, 0, v10, vcc_lo
	s_cmp_lg_u32 s0, 0
	s_cselect_b32 s17, -1, 0
	s_wait_alu 0xfffe
	s_lshl_b64 s[10:11], s[18:19], 11
	s_lshl_b32 s18, s0, 3
	s_mov_b32 s19, 0
	s_branch .LBB324_29
.LBB324_27:                             ;   in Loop: Header=BB324_29 Depth=1
	v_add_co_u32 v3, vcc_lo, s8, v3
	s_wait_alu 0xfffd
	v_add_co_ci_u32_e64 v4, null, s9, v4, vcc_lo
	flat_store_b64 v[3:4], v[5:6]
.LBB324_28:                             ;   in Loop: Header=BB324_29 Depth=1
	s_wait_alu 0xfffe
	s_or_b32 exec_lo, exec_lo, s20
	v_add_co_u32 v1, vcc_lo, v1, s10
	s_wait_alu 0xfffd
	v_add_co_ci_u32_e64 v2, null, s11, v2, vcc_lo
	v_add_co_u32 v9, vcc_lo, v9, s10
	s_wait_alu 0xfffd
	v_add_co_ci_u32_e64 v10, null, s11, v10, vcc_lo
	s_addk_co_i32 s19, 0x100
	s_wait_alu 0xfffe
	s_cmp_ge_i32 s19, s5
	s_cbranch_scc1 .LBB324_40
.LBB324_29:                             ; =>This Loop Header: Depth=1
                                        ;     Child Loop BB324_35 Depth 2
                                        ;     Child Loop BB324_39 Depth 2
	s_wait_alu 0xfffe
	v_add_nc_u32_e32 v3, s19, v0
	s_mov_b32 s20, exec_lo
	s_delay_alu instid0(VALU_DEP_1)
	v_cmpx_gt_i32_e64 s5, v3
	s_cbranch_execz .LBB324_28
; %bb.30:                               ;   in Loop: Header=BB324_29 Depth=1
	v_mad_co_u64_u32 v[6:7], null, v3, s6, 0
	s_and_not1_b32 vcc_lo, exec_lo, s14
	v_mov_b32_e32 v4, v7
	s_delay_alu instid0(VALU_DEP_1) | instskip(SKIP_1) | instid1(VALU_DEP_2)
	v_mad_co_u64_u32 v[3:4], null, v3, s7, v[4:5]
	v_mov_b32_e32 v5, 0
	v_mov_b32_e32 v7, v3
	s_delay_alu instid0(VALU_DEP_1)
	v_lshlrev_b64_e32 v[3:4], 3, v[6:7]
	v_mov_b32_e32 v6, 0
	s_wait_alu 0xfffe
	s_cbranch_vccnz .LBB324_32
; %bb.31:                               ;   in Loop: Header=BB324_29 Depth=1
	s_delay_alu instid0(VALU_DEP_2)
	v_add_co_u32 v5, vcc_lo, s8, v3
	s_wait_alu 0xfffd
	v_add_co_ci_u32_e64 v6, null, s9, v4, vcc_lo
	flat_load_b64 v[7:8], v[5:6]
	s_wait_loadcnt_dscnt 0x0
	v_mul_f32_e32 v6, s2, v8
	s_delay_alu instid0(VALU_DEP_1) | instskip(NEXT) | instid1(VALU_DEP_1)
	v_dual_mul_f32 v5, s3, v8 :: v_dual_fmac_f32 v6, s3, v7
	v_fma_f32 v5, s2, v7, -v5
.LBB324_32:                             ;   in Loop: Header=BB324_29 Depth=1
	s_and_not1_b32 vcc_lo, exec_lo, s15
	s_wait_alu 0xfffe
	s_cbranch_vccnz .LBB324_27
; %bb.33:                               ;   in Loop: Header=BB324_29 Depth=1
	s_and_not1_b32 vcc_lo, exec_lo, s16
	s_mov_b32 s0, 0
	s_wait_alu 0xfffe
	s_cbranch_vccnz .LBB324_37
; %bb.34:                               ;   in Loop: Header=BB324_29 Depth=1
	v_dual_mov_b32 v8, v2 :: v_dual_mov_b32 v7, v1
	s_mov_b32 s12, 0
.LBB324_35:                             ;   Parent Loop BB324_29 Depth=1
                                        ; =>  This Inner Loop Header: Depth=2
	s_clause 0x3
	flat_load_b128 v[11:14], v[7:8] offset:-60
	flat_load_b128 v[15:18], v[7:8] offset:-44
	;; [unrolled: 1-line block ×4, first 2 shown]
	v_mov_b32_e32 v39, s0
	v_add_co_u32 v7, vcc_lo, v7, 64
	s_wait_alu 0xfffd
	v_add_co_ci_u32_e64 v8, null, 0, v8, vcc_lo
	ds_load_b128 v[27:30], v39
	ds_load_b128 v[31:34], v39 offset:16
	ds_load_b128 v[35:38], v39 offset:32
	;; [unrolled: 1-line block ×3, first 2 shown]
	s_wait_alu 0xfffe
	s_add_co_i32 s12, s12, 8
	s_add_co_i32 s0, s0, 64
	s_wait_alu 0xfffe
	s_cmp_eq_u32 s4, s12
	s_wait_loadcnt_dscnt 0x303
	v_dual_mul_f32 v43, v12, v28 :: v_dual_mul_f32 v44, v14, v30
	s_wait_loadcnt_dscnt 0x101
	v_mul_f32_e32 v48, v22, v38
	v_dual_mul_f32 v14, v14, v29 :: v_dual_mul_f32 v45, v16, v32
	s_delay_alu instid0(VALU_DEP_3) | instskip(SKIP_3) | instid1(VALU_DEP_3)
	v_dual_fmac_f32 v43, v11, v27 :: v_dual_mul_f32 v46, v18, v34
	v_dual_mul_f32 v47, v20, v36 :: v_dual_mul_f32 v18, v18, v33
	s_wait_loadcnt_dscnt 0x0
	v_dual_mul_f32 v49, v24, v40 :: v_dual_mul_f32 v22, v22, v37
	v_add_f32_e32 v5, v5, v43
	v_fmac_f32_e32 v44, v13, v29
	v_dual_mul_f32 v50, v26, v42 :: v_dual_fmac_f32 v45, v15, v31
	s_delay_alu instid0(VALU_DEP_4) | instskip(NEXT) | instid1(VALU_DEP_3)
	v_fmac_f32_e32 v49, v23, v39
	v_dual_mul_f32 v16, v16, v31 :: v_dual_add_f32 v5, v5, v44
	v_mul_f32_e32 v12, v12, v27
	v_mul_f32_e32 v20, v20, v35
	v_fmac_f32_e32 v46, v17, v33
	v_dual_mul_f32 v26, v26, v41 :: v_dual_fmac_f32 v47, v19, v35
	v_dual_add_f32 v5, v5, v45 :: v_dual_mul_f32 v24, v24, v39
	v_fma_f32 v11, v11, v28, -v12
	v_fma_f32 v12, v13, v30, -v14
	v_fmac_f32_e32 v48, v21, v37
	s_delay_alu instid0(VALU_DEP_4) | instskip(SKIP_1) | instid1(VALU_DEP_2)
	v_add_f32_e32 v5, v5, v46
	v_fmac_f32_e32 v50, v25, v41
	v_add_f32_e32 v5, v5, v47
	v_add_f32_e32 v6, v6, v11
	v_fma_f32 v11, v15, v32, -v16
	s_delay_alu instid0(VALU_DEP_3) | instskip(NEXT) | instid1(VALU_DEP_3)
	v_add_f32_e32 v5, v5, v48
	v_add_f32_e32 v6, v6, v12
	v_fma_f32 v12, v17, v34, -v18
	s_delay_alu instid0(VALU_DEP_2) | instskip(SKIP_1) | instid1(VALU_DEP_2)
	v_dual_add_f32 v5, v5, v49 :: v_dual_add_f32 v6, v6, v11
	v_fma_f32 v11, v19, v36, -v20
	v_dual_add_f32 v5, v5, v50 :: v_dual_add_f32 v6, v6, v12
	v_fma_f32 v12, v21, v38, -v22
	s_delay_alu instid0(VALU_DEP_2) | instskip(SKIP_1) | instid1(VALU_DEP_2)
	v_add_f32_e32 v6, v6, v11
	v_fma_f32 v11, v23, v40, -v24
	v_add_f32_e32 v6, v6, v12
	v_fma_f32 v12, v25, v42, -v26
	s_delay_alu instid0(VALU_DEP_2) | instskip(NEXT) | instid1(VALU_DEP_1)
	v_add_f32_e32 v6, v6, v11
	v_add_f32_e32 v6, v6, v12
	s_cbranch_scc0 .LBB324_35
; %bb.36:                               ;   in Loop: Header=BB324_29 Depth=1
	s_mov_b32 s0, s4
.LBB324_37:                             ;   in Loop: Header=BB324_29 Depth=1
	s_and_not1_b32 vcc_lo, exec_lo, s17
	s_wait_alu 0xfffe
	s_cbranch_vccnz .LBB324_27
; %bb.38:                               ;   in Loop: Header=BB324_29 Depth=1
	s_lshl_b64 s[12:13], s[0:1], 3
	s_lshl_b32 s0, s0, 3
	s_wait_alu 0xfffe
	v_add_co_u32 v7, vcc_lo, v9, s12
	s_wait_alu 0xfffd
	v_add_co_ci_u32_e64 v8, null, s13, v10, vcc_lo
	s_mov_b64 s[12:13], 0
.LBB324_39:                             ;   Parent Loop BB324_29 Depth=1
                                        ; =>  This Inner Loop Header: Depth=2
	s_wait_alu 0xfffe
	v_add_co_u32 v11, vcc_lo, v7, s12
	s_wait_alu 0xfffd
	v_add_co_ci_u32_e64 v12, null, s13, v8, vcc_lo
	v_mov_b32_e32 v13, s0
	s_add_nc_u64 s[12:13], s[12:13], 8
	s_add_co_i32 s0, s0, 8
	flat_load_b64 v[11:12], v[11:12]
	s_wait_alu 0xfffe
	s_cmp_lg_u32 s18, s12
	ds_load_b64 v[13:14], v13
	s_wait_loadcnt_dscnt 0x0
	v_mul_f32_e32 v15, v12, v14
	s_delay_alu instid0(VALU_DEP_1) | instskip(NEXT) | instid1(VALU_DEP_1)
	v_fmac_f32_e32 v15, v11, v13
	v_dual_mul_f32 v12, v12, v13 :: v_dual_add_f32 v5, v5, v15
	s_delay_alu instid0(VALU_DEP_1) | instskip(NEXT) | instid1(VALU_DEP_1)
	v_fma_f32 v11, v11, v14, -v12
	v_add_f32_e32 v6, v6, v11
	s_cbranch_scc1 .LBB324_39
	s_branch .LBB324_27
.LBB324_40:
	s_endpgm
	.section	.rodata,"a",@progbits
	.p2align	6, 0x0
	.amdhsa_kernel _ZL22rocblas_gemvtsm_kernelILb1ELi256EPK19rocblas_complex_numIfES3_KPS1_EviiT2_lPKT1_lilS9_lilS6_lPT3_lil
		.amdhsa_group_segment_fixed_size 512
		.amdhsa_private_segment_fixed_size 0
		.amdhsa_kernarg_size 136
		.amdhsa_user_sgpr_count 2
		.amdhsa_user_sgpr_dispatch_ptr 0
		.amdhsa_user_sgpr_queue_ptr 0
		.amdhsa_user_sgpr_kernarg_segment_ptr 1
		.amdhsa_user_sgpr_dispatch_id 0
		.amdhsa_user_sgpr_private_segment_size 0
		.amdhsa_wavefront_size32 1
		.amdhsa_uses_dynamic_stack 0
		.amdhsa_enable_private_segment 0
		.amdhsa_system_sgpr_workgroup_id_x 1
		.amdhsa_system_sgpr_workgroup_id_y 0
		.amdhsa_system_sgpr_workgroup_id_z 0
		.amdhsa_system_sgpr_workgroup_info 0
		.amdhsa_system_vgpr_workitem_id 0
		.amdhsa_next_free_vgpr 51
		.amdhsa_next_free_sgpr 24
		.amdhsa_reserve_vcc 1
		.amdhsa_float_round_mode_32 0
		.amdhsa_float_round_mode_16_64 0
		.amdhsa_float_denorm_mode_32 3
		.amdhsa_float_denorm_mode_16_64 3
		.amdhsa_fp16_overflow 0
		.amdhsa_workgroup_processor_mode 1
		.amdhsa_memory_ordered 1
		.amdhsa_forward_progress 1
		.amdhsa_inst_pref_size 16
		.amdhsa_round_robin_scheduling 0
		.amdhsa_exception_fp_ieee_invalid_op 0
		.amdhsa_exception_fp_denorm_src 0
		.amdhsa_exception_fp_ieee_div_zero 0
		.amdhsa_exception_fp_ieee_overflow 0
		.amdhsa_exception_fp_ieee_underflow 0
		.amdhsa_exception_fp_ieee_inexact 0
		.amdhsa_exception_int_div_zero 0
	.end_amdhsa_kernel
	.section	.text._ZL22rocblas_gemvtsm_kernelILb1ELi256EPK19rocblas_complex_numIfES3_KPS1_EviiT2_lPKT1_lilS9_lilS6_lPT3_lil,"axG",@progbits,_ZL22rocblas_gemvtsm_kernelILb1ELi256EPK19rocblas_complex_numIfES3_KPS1_EviiT2_lPKT1_lilS9_lilS6_lPT3_lil,comdat
.Lfunc_end324:
	.size	_ZL22rocblas_gemvtsm_kernelILb1ELi256EPK19rocblas_complex_numIfES3_KPS1_EviiT2_lPKT1_lilS9_lilS6_lPT3_lil, .Lfunc_end324-_ZL22rocblas_gemvtsm_kernelILb1ELi256EPK19rocblas_complex_numIfES3_KPS1_EviiT2_lPKT1_lilS9_lilS6_lPT3_lil
                                        ; -- End function
	.set _ZL22rocblas_gemvtsm_kernelILb1ELi256EPK19rocblas_complex_numIfES3_KPS1_EviiT2_lPKT1_lilS9_lilS6_lPT3_lil.num_vgpr, 51
	.set _ZL22rocblas_gemvtsm_kernelILb1ELi256EPK19rocblas_complex_numIfES3_KPS1_EviiT2_lPKT1_lilS9_lilS6_lPT3_lil.num_agpr, 0
	.set _ZL22rocblas_gemvtsm_kernelILb1ELi256EPK19rocblas_complex_numIfES3_KPS1_EviiT2_lPKT1_lilS9_lilS6_lPT3_lil.numbered_sgpr, 24
	.set _ZL22rocblas_gemvtsm_kernelILb1ELi256EPK19rocblas_complex_numIfES3_KPS1_EviiT2_lPKT1_lilS9_lilS6_lPT3_lil.num_named_barrier, 0
	.set _ZL22rocblas_gemvtsm_kernelILb1ELi256EPK19rocblas_complex_numIfES3_KPS1_EviiT2_lPKT1_lilS9_lilS6_lPT3_lil.private_seg_size, 0
	.set _ZL22rocblas_gemvtsm_kernelILb1ELi256EPK19rocblas_complex_numIfES3_KPS1_EviiT2_lPKT1_lilS9_lilS6_lPT3_lil.uses_vcc, 1
	.set _ZL22rocblas_gemvtsm_kernelILb1ELi256EPK19rocblas_complex_numIfES3_KPS1_EviiT2_lPKT1_lilS9_lilS6_lPT3_lil.uses_flat_scratch, 1
	.set _ZL22rocblas_gemvtsm_kernelILb1ELi256EPK19rocblas_complex_numIfES3_KPS1_EviiT2_lPKT1_lilS9_lilS6_lPT3_lil.has_dyn_sized_stack, 0
	.set _ZL22rocblas_gemvtsm_kernelILb1ELi256EPK19rocblas_complex_numIfES3_KPS1_EviiT2_lPKT1_lilS9_lilS6_lPT3_lil.has_recursion, 0
	.set _ZL22rocblas_gemvtsm_kernelILb1ELi256EPK19rocblas_complex_numIfES3_KPS1_EviiT2_lPKT1_lilS9_lilS6_lPT3_lil.has_indirect_call, 0
	.section	.AMDGPU.csdata,"",@progbits
; Kernel info:
; codeLenInByte = 2004
; TotalNumSgprs: 26
; NumVgprs: 51
; ScratchSize: 0
; MemoryBound: 0
; FloatMode: 240
; IeeeMode: 1
; LDSByteSize: 512 bytes/workgroup (compile time only)
; SGPRBlocks: 0
; VGPRBlocks: 6
; NumSGPRsForWavesPerEU: 26
; NumVGPRsForWavesPerEU: 51
; Occupancy: 16
; WaveLimiterHint : 1
; COMPUTE_PGM_RSRC2:SCRATCH_EN: 0
; COMPUTE_PGM_RSRC2:USER_SGPR: 2
; COMPUTE_PGM_RSRC2:TRAP_HANDLER: 0
; COMPUTE_PGM_RSRC2:TGID_X_EN: 1
; COMPUTE_PGM_RSRC2:TGID_Y_EN: 0
; COMPUTE_PGM_RSRC2:TGID_Z_EN: 0
; COMPUTE_PGM_RSRC2:TIDIG_COMP_CNT: 0
	.section	.text._ZL22rocblas_gemvtsm_kernelILb1ELi256EPK19rocblas_complex_numIfES1_KPS1_EviiT2_lPKT1_lilS9_lilS6_lPT3_lil,"axG",@progbits,_ZL22rocblas_gemvtsm_kernelILb1ELi256EPK19rocblas_complex_numIfES1_KPS1_EviiT2_lPKT1_lilS9_lilS6_lPT3_lil,comdat
	.globl	_ZL22rocblas_gemvtsm_kernelILb1ELi256EPK19rocblas_complex_numIfES1_KPS1_EviiT2_lPKT1_lilS9_lilS6_lPT3_lil ; -- Begin function _ZL22rocblas_gemvtsm_kernelILb1ELi256EPK19rocblas_complex_numIfES1_KPS1_EviiT2_lPKT1_lilS9_lilS6_lPT3_lil
	.p2align	8
	.type	_ZL22rocblas_gemvtsm_kernelILb1ELi256EPK19rocblas_complex_numIfES1_KPS1_EviiT2_lPKT1_lilS9_lilS6_lPT3_lil,@function
_ZL22rocblas_gemvtsm_kernelILb1ELi256EPK19rocblas_complex_numIfES1_KPS1_EviiT2_lPKT1_lilS9_lilS6_lPT3_lil: ; @_ZL22rocblas_gemvtsm_kernelILb1ELi256EPK19rocblas_complex_numIfES1_KPS1_EviiT2_lPKT1_lilS9_lilS6_lPT3_lil
; %bb.0:
	s_clause 0x1
	s_load_b128 s[4:7], s[0:1], 0x0
	s_load_b64 s[2:3], s[0:1], 0x58
	s_wait_kmcnt 0x0
	s_cmp_neq_f32 s6, 0
	s_cselect_b32 s8, -1, 0
	s_cmp_neq_f32 s7, 0
	s_cselect_b32 s9, -1, 0
	s_delay_alu instid0(SALU_CYCLE_1) | instskip(NEXT) | instid1(SALU_CYCLE_1)
	s_or_b32 s8, s8, s9
	s_and_b32 vcc_lo, exec_lo, s8
	s_mov_b32 s8, -1
	s_cbranch_vccnz .LBB325_2
; %bb.1:
	s_cmp_neq_f32 s2, 1.0
	s_cselect_b32 s8, -1, 0
	s_cmp_neq_f32 s3, 0
	s_cselect_b32 s9, -1, 0
	s_delay_alu instid0(SALU_CYCLE_1)
	s_or_b32 s8, s8, s9
.LBB325_2:
	s_delay_alu instid0(SALU_CYCLE_1)
	s_and_not1_b32 vcc_lo, exec_lo, s8
	s_cbranch_vccnz .LBB325_42
; %bb.3:
	s_or_b32 s8, s6, s7
	s_mov_b32 s12, ttmp9
	s_and_b32 s9, s8, 0x7fffffff
	s_mov_b32 s13, 0
	s_cmp_lg_u32 s9, 0
	s_cselect_b32 s8, -1, 0
	s_cmp_eq_u32 s9, 0
	s_cselect_b32 s18, -1, 0
	s_and_b32 vcc_lo, exec_lo, s8
	s_cbranch_vccnz .LBB325_5
; %bb.4:
	s_mov_b32 s9, s13
	s_mov_b64 s[16:17], 0
	s_and_not1_b32 vcc_lo, exec_lo, s9
	s_mov_b64 s[14:15], 0
	s_cbranch_vccz .LBB325_6
	s_branch .LBB325_7
.LBB325_5:
	s_mov_b64 s[16:17], 0
	s_mov_b64 s[14:15], 0
.LBB325_6:
	s_load_b128 s[20:23], s[0:1], 0x18
	s_lshl_b64 s[10:11], s[12:13], 3
	s_wait_kmcnt 0x0
	s_add_nc_u64 s[10:11], s[20:21], s[10:11]
	s_lshl_b64 s[14:15], s[22:23], 3
	s_load_b64 s[10:11], s[10:11], 0x0
	s_wait_kmcnt 0x0
	s_add_nc_u64 s[14:15], s[10:11], s[14:15]
.LBB325_7:
	s_and_not1_b32 vcc_lo, exec_lo, s8
	s_cbranch_vccnz .LBB325_9
; %bb.8:
	s_load_b128 s[8:11], s[0:1], 0x38
	s_lshl_b64 s[16:17], s[12:13], 3
	s_wait_kmcnt 0x0
	s_add_nc_u64 s[8:9], s[8:9], s[16:17]
	s_lshl_b64 s[10:11], s[10:11], 3
	s_load_b64 s[8:9], s[8:9], 0x0
	s_wait_kmcnt 0x0
	s_add_nc_u64 s[16:17], s[8:9], s[10:11]
.LBB325_9:
	s_load_b128 s[8:11], s[0:1], 0x68
	s_lshl_b64 s[20:21], s[12:13], 3
	s_load_b32 s12, s[0:1], 0x78
	s_and_not1_b32 vcc_lo, exec_lo, s18
	s_mov_b32 s13, -1
	s_wait_kmcnt 0x0
	s_add_nc_u64 s[8:9], s[8:9], s[20:21]
	s_load_b64 s[8:9], s[8:9], 0x0
	s_cbranch_vccnz .LBB325_24
; %bb.10:
	s_cmp_neq_f32 s2, 0
	s_cselect_b32 s13, -1, 0
	s_cmp_neq_f32 s3, 0
	s_cselect_b32 s18, -1, 0
	s_delay_alu instid0(SALU_CYCLE_1)
	s_or_b32 s13, s13, s18
	s_cmp_gt_i32 s5, 0
	s_cselect_b32 s20, -1, 0
	s_and_b32 vcc_lo, exec_lo, s13
	s_mov_b32 s13, -1
	s_cbranch_vccnz .LBB325_17
; %bb.11:
	s_and_not1_b32 vcc_lo, exec_lo, s20
	s_cbranch_vccnz .LBB325_16
; %bb.12:
	v_mad_co_i64_i32 v[1:2], null, s12, v0, 0
	s_lshl_b64 s[18:19], s[10:11], 3
	v_mov_b32_e32 v3, 0
	s_wait_kmcnt 0x0
	s_add_nc_u64 s[18:19], s[8:9], s[18:19]
	s_ashr_i32 s13, s12, 31
	v_lshlrev_b64_e32 v[1:2], 3, v[1:2]
	s_delay_alu instid0(VALU_DEP_1) | instskip(NEXT) | instid1(VALU_DEP_1)
	v_add_co_u32 v1, vcc_lo, s18, v1
	v_add_co_ci_u32_e64 v2, null, s19, v2, vcc_lo
	s_wait_alu 0xfffe
	s_lshl_b64 s[18:19], s[12:13], 11
	s_delay_alu instid0(VALU_DEP_2)
	v_add_co_u32 v1, vcc_lo, v1, 4
	s_wait_alu 0xfffd
	v_add_co_ci_u32_e64 v2, null, 0, v2, vcc_lo
	s_mov_b32 s13, 0
	s_branch .LBB325_14
.LBB325_13:                             ;   in Loop: Header=BB325_14 Depth=1
	s_or_b32 exec_lo, exec_lo, s21
	v_add_co_u32 v1, vcc_lo, v1, s18
	s_wait_alu 0xfffd
	v_add_co_ci_u32_e64 v2, null, s19, v2, vcc_lo
	s_addk_co_i32 s13, 0x100
	s_wait_alu 0xfffe
	s_cmp_ge_i32 s13, s5
	s_cbranch_scc1 .LBB325_16
.LBB325_14:                             ; =>This Inner Loop Header: Depth=1
	s_wait_alu 0xfffe
	v_add_nc_u32_e32 v4, s13, v0
	s_mov_b32 s21, exec_lo
	s_delay_alu instid0(VALU_DEP_1)
	v_cmpx_gt_i32_e64 s5, v4
	s_cbranch_execz .LBB325_13
; %bb.15:                               ;   in Loop: Header=BB325_14 Depth=1
	v_mov_b32_e32 v4, v3
	flat_store_b64 v[1:2], v[3:4] offset:-4
	s_branch .LBB325_13
.LBB325_16:
	s_mov_b32 s13, 0
.LBB325_17:
	s_wait_alu 0xfffe
	s_and_not1_b32 vcc_lo, exec_lo, s13
	s_wait_alu 0xfffe
	s_cbranch_vccnz .LBB325_23
; %bb.18:
	s_and_not1_b32 vcc_lo, exec_lo, s20
	s_wait_alu 0xfffe
	s_cbranch_vccnz .LBB325_23
; %bb.19:
	v_mad_co_i64_i32 v[1:2], null, s12, v0, 0
	s_lshl_b64 s[18:19], s[10:11], 3
	s_ashr_i32 s13, s12, 31
	s_wait_kmcnt 0x0
	s_wait_alu 0xfffe
	s_add_nc_u64 s[18:19], s[8:9], s[18:19]
	v_lshlrev_b64_e32 v[1:2], 3, v[1:2]
	s_wait_alu 0xfffe
	s_delay_alu instid0(VALU_DEP_1) | instskip(SKIP_1) | instid1(VALU_DEP_2)
	v_add_co_u32 v1, vcc_lo, s18, v1
	s_wait_alu 0xfffd
	v_add_co_ci_u32_e64 v2, null, s19, v2, vcc_lo
	s_lshl_b64 s[18:19], s[12:13], 11
	v_add_co_u32 v1, vcc_lo, v1, 4
	s_wait_alu 0xfffd
	v_add_co_ci_u32_e64 v2, null, 0, v2, vcc_lo
	s_mov_b32 s13, 0
	s_branch .LBB325_21
.LBB325_20:                             ;   in Loop: Header=BB325_21 Depth=1
	s_or_b32 exec_lo, exec_lo, s20
	v_add_co_u32 v1, vcc_lo, v1, s18
	s_wait_alu 0xfffd
	v_add_co_ci_u32_e64 v2, null, s19, v2, vcc_lo
	s_addk_co_i32 s13, 0x100
	s_wait_alu 0xfffe
	s_cmp_ge_i32 s13, s5
	s_cbranch_scc1 .LBB325_23
.LBB325_21:                             ; =>This Inner Loop Header: Depth=1
	s_wait_alu 0xfffe
	v_add_nc_u32_e32 v3, s13, v0
	s_mov_b32 s20, exec_lo
	s_delay_alu instid0(VALU_DEP_1)
	v_cmpx_gt_i32_e64 s5, v3
	s_cbranch_execz .LBB325_20
; %bb.22:                               ;   in Loop: Header=BB325_21 Depth=1
	flat_load_b64 v[3:4], v[1:2] offset:-4
	s_wait_loadcnt_dscnt 0x0
	v_mul_f32_e32 v5, s2, v4
	s_delay_alu instid0(VALU_DEP_1) | instskip(NEXT) | instid1(VALU_DEP_1)
	v_dual_mul_f32 v6, s3, v4 :: v_dual_fmac_f32 v5, s3, v3
	v_fma_f32 v4, s2, v3, -v6
	flat_store_b64 v[1:2], v[4:5] offset:-4
	s_branch .LBB325_20
.LBB325_23:
	s_mov_b32 s13, 0
.LBB325_24:
	s_wait_alu 0xfffe
	s_and_not1_b32 vcc_lo, exec_lo, s13
	s_wait_alu 0xfffe
	s_cbranch_vccnz .LBB325_42
; %bb.25:
	s_mov_b32 s13, exec_lo
	v_cmpx_gt_i32_e64 s4, v0
	s_cbranch_execz .LBB325_27
; %bb.26:
	s_load_b32 s18, s[0:1], 0x48
	s_wait_kmcnt 0x0
	v_mad_co_i64_i32 v[1:2], null, s18, v0, 0
	s_delay_alu instid0(VALU_DEP_1) | instskip(NEXT) | instid1(VALU_DEP_1)
	v_lshlrev_b64_e32 v[1:2], 3, v[1:2]
	v_add_co_u32 v1, vcc_lo, s16, v1
	s_wait_alu 0xfffd
	s_delay_alu instid0(VALU_DEP_2) | instskip(SKIP_3) | instid1(VALU_DEP_1)
	v_add_co_ci_u32_e64 v2, null, s17, v2, vcc_lo
	flat_load_b64 v[1:2], v[1:2]
	s_wait_loadcnt_dscnt 0x0
	v_mul_f32_e32 v3, s6, v2
	v_dual_mul_f32 v4, s7, v2 :: v_dual_fmac_f32 v3, s7, v1
	s_delay_alu instid0(VALU_DEP_1)
	v_fma_f32 v2, v1, s6, -v4
	v_lshlrev_b32_e32 v1, 3, v0
	ds_store_b64 v1, v[2:3]
.LBB325_27:
	s_wait_alu 0xfffe
	s_or_b32 exec_lo, exec_lo, s13
	s_cmp_lt_i32 s5, 1
	s_wait_storecnt_dscnt 0x0
	s_barrier_signal -1
	s_barrier_wait -1
	global_inv scope:SCOPE_SE
	s_cbranch_scc1 .LBB325_42
; %bb.28:
	s_load_b32 s18, s[0:1], 0x28
	s_lshl_b64 s[6:7], s[10:11], 3
	s_ashr_i32 s13, s12, 31
	s_wait_kmcnt 0x0
	s_wait_alu 0xfffe
	s_add_nc_u64 s[6:7], s[8:9], s[6:7]
	s_mov_b32 s1, 0
	v_mad_co_i64_i32 v[1:2], null, s18, v0, 0
	s_ashr_i32 s19, s18, 31
	s_cmp_neq_f32 s2, 0
	s_cselect_b32 s0, -1, 0
	v_lshlrev_b64_e32 v[1:2], 3, v[1:2]
	s_cmp_neq_f32 s3, 0
	s_cselect_b32 s8, -1, 0
	s_delay_alu instid0(VALU_DEP_1)
	v_add_co_u32 v9, vcc_lo, s14, v1
	s_or_b32 s16, s0, s8
	s_cmp_gt_i32 s4, 0
	s_wait_alu 0xfffd
	v_add_co_ci_u32_e64 v10, null, s15, v2, vcc_lo
	s_cselect_b32 s17, -1, 0
	s_and_b32 s0, s4, 7
	s_cmp_gt_u32 s4, 7
	v_add_co_u32 v1, vcc_lo, v9, 60
	s_cselect_b32 s14, -1, 0
	s_and_b32 s4, s4, 0x7ffffff8
	s_wait_alu 0xfffd
	v_add_co_ci_u32_e64 v2, null, 0, v10, vcc_lo
	s_cmp_lg_u32 s0, 0
	s_cselect_b32 s15, -1, 0
	s_wait_alu 0xfffe
	s_lshl_b64 s[8:9], s[18:19], 11
	s_lshl_b32 s18, s0, 3
	s_mov_b32 s19, 0
	s_branch .LBB325_31
.LBB325_29:                             ;   in Loop: Header=BB325_31 Depth=1
	v_add_co_u32 v3, vcc_lo, s6, v3
	s_wait_alu 0xfffd
	v_add_co_ci_u32_e64 v4, null, s7, v4, vcc_lo
	flat_store_b64 v[3:4], v[5:6]
.LBB325_30:                             ;   in Loop: Header=BB325_31 Depth=1
	s_or_b32 exec_lo, exec_lo, s20
	v_add_co_u32 v1, vcc_lo, v1, s8
	s_wait_alu 0xfffd
	v_add_co_ci_u32_e64 v2, null, s9, v2, vcc_lo
	v_add_co_u32 v9, vcc_lo, v9, s8
	s_wait_alu 0xfffd
	v_add_co_ci_u32_e64 v10, null, s9, v10, vcc_lo
	s_addk_co_i32 s19, 0x100
	s_wait_alu 0xfffe
	s_cmp_ge_i32 s19, s5
	s_cbranch_scc1 .LBB325_42
.LBB325_31:                             ; =>This Loop Header: Depth=1
                                        ;     Child Loop BB325_37 Depth 2
                                        ;     Child Loop BB325_41 Depth 2
	s_wait_alu 0xfffe
	v_add_nc_u32_e32 v3, s19, v0
	s_mov_b32 s20, exec_lo
	s_delay_alu instid0(VALU_DEP_1)
	v_cmpx_gt_i32_e64 s5, v3
	s_cbranch_execz .LBB325_30
; %bb.32:                               ;   in Loop: Header=BB325_31 Depth=1
	v_mad_co_u64_u32 v[6:7], null, v3, s12, 0
	s_and_not1_b32 vcc_lo, exec_lo, s16
	v_mov_b32_e32 v4, v7
	s_delay_alu instid0(VALU_DEP_1) | instskip(SKIP_1) | instid1(VALU_DEP_2)
	v_mad_co_u64_u32 v[3:4], null, v3, s13, v[4:5]
	v_mov_b32_e32 v5, 0
	v_mov_b32_e32 v7, v3
	s_delay_alu instid0(VALU_DEP_1)
	v_lshlrev_b64_e32 v[3:4], 3, v[6:7]
	v_mov_b32_e32 v6, 0
	s_wait_alu 0xfffe
	s_cbranch_vccnz .LBB325_34
; %bb.33:                               ;   in Loop: Header=BB325_31 Depth=1
	s_delay_alu instid0(VALU_DEP_2)
	v_add_co_u32 v5, vcc_lo, s6, v3
	s_wait_alu 0xfffd
	v_add_co_ci_u32_e64 v6, null, s7, v4, vcc_lo
	flat_load_b64 v[7:8], v[5:6]
	s_wait_loadcnt_dscnt 0x0
	v_mul_f32_e32 v6, s2, v8
	s_delay_alu instid0(VALU_DEP_1) | instskip(NEXT) | instid1(VALU_DEP_1)
	v_dual_mul_f32 v5, s3, v8 :: v_dual_fmac_f32 v6, s3, v7
	v_fma_f32 v5, s2, v7, -v5
.LBB325_34:                             ;   in Loop: Header=BB325_31 Depth=1
	s_and_not1_b32 vcc_lo, exec_lo, s17
	s_wait_alu 0xfffe
	s_cbranch_vccnz .LBB325_29
; %bb.35:                               ;   in Loop: Header=BB325_31 Depth=1
	s_and_not1_b32 vcc_lo, exec_lo, s14
	s_mov_b32 s0, 0
	s_wait_alu 0xfffe
	s_cbranch_vccnz .LBB325_39
; %bb.36:                               ;   in Loop: Header=BB325_31 Depth=1
	v_dual_mov_b32 v8, v2 :: v_dual_mov_b32 v7, v1
	s_mov_b32 s10, 0
.LBB325_37:                             ;   Parent Loop BB325_31 Depth=1
                                        ; =>  This Inner Loop Header: Depth=2
	s_clause 0x3
	flat_load_b128 v[11:14], v[7:8] offset:-60
	flat_load_b128 v[15:18], v[7:8] offset:-44
	;; [unrolled: 1-line block ×4, first 2 shown]
	s_wait_alu 0xfffe
	v_mov_b32_e32 v39, s0
	v_add_co_u32 v7, vcc_lo, v7, 64
	s_wait_alu 0xfffd
	v_add_co_ci_u32_e64 v8, null, 0, v8, vcc_lo
	ds_load_b128 v[27:30], v39
	ds_load_b128 v[31:34], v39 offset:16
	ds_load_b128 v[35:38], v39 offset:32
	;; [unrolled: 1-line block ×3, first 2 shown]
	s_add_co_i32 s10, s10, 8
	s_add_co_i32 s0, s0, 64
	s_wait_alu 0xfffe
	s_cmp_eq_u32 s4, s10
	s_wait_loadcnt_dscnt 0x303
	v_dual_mul_f32 v43, v12, v28 :: v_dual_mul_f32 v44, v14, v30
	s_wait_loadcnt_dscnt 0x101
	v_mul_f32_e32 v48, v22, v38
	v_dual_mul_f32 v14, v14, v29 :: v_dual_mul_f32 v45, v16, v32
	s_delay_alu instid0(VALU_DEP_3) | instskip(SKIP_3) | instid1(VALU_DEP_3)
	v_dual_fmac_f32 v43, v11, v27 :: v_dual_mul_f32 v46, v18, v34
	v_dual_mul_f32 v47, v20, v36 :: v_dual_mul_f32 v18, v18, v33
	s_wait_loadcnt_dscnt 0x0
	v_dual_mul_f32 v49, v24, v40 :: v_dual_mul_f32 v22, v22, v37
	v_add_f32_e32 v5, v5, v43
	v_fmac_f32_e32 v44, v13, v29
	v_dual_mul_f32 v50, v26, v42 :: v_dual_fmac_f32 v45, v15, v31
	s_delay_alu instid0(VALU_DEP_4) | instskip(NEXT) | instid1(VALU_DEP_3)
	v_fmac_f32_e32 v49, v23, v39
	v_dual_mul_f32 v16, v16, v31 :: v_dual_add_f32 v5, v5, v44
	v_mul_f32_e32 v12, v12, v27
	v_mul_f32_e32 v20, v20, v35
	v_fmac_f32_e32 v46, v17, v33
	v_dual_mul_f32 v26, v26, v41 :: v_dual_fmac_f32 v47, v19, v35
	v_dual_add_f32 v5, v5, v45 :: v_dual_mul_f32 v24, v24, v39
	v_fma_f32 v11, v11, v28, -v12
	v_fma_f32 v12, v13, v30, -v14
	v_fmac_f32_e32 v48, v21, v37
	s_delay_alu instid0(VALU_DEP_4) | instskip(SKIP_1) | instid1(VALU_DEP_2)
	v_add_f32_e32 v5, v5, v46
	v_fmac_f32_e32 v50, v25, v41
	v_add_f32_e32 v5, v5, v47
	v_add_f32_e32 v6, v6, v11
	v_fma_f32 v11, v15, v32, -v16
	s_delay_alu instid0(VALU_DEP_3) | instskip(NEXT) | instid1(VALU_DEP_3)
	v_add_f32_e32 v5, v5, v48
	v_add_f32_e32 v6, v6, v12
	v_fma_f32 v12, v17, v34, -v18
	s_delay_alu instid0(VALU_DEP_2) | instskip(SKIP_1) | instid1(VALU_DEP_2)
	v_dual_add_f32 v5, v5, v49 :: v_dual_add_f32 v6, v6, v11
	v_fma_f32 v11, v19, v36, -v20
	v_dual_add_f32 v5, v5, v50 :: v_dual_add_f32 v6, v6, v12
	v_fma_f32 v12, v21, v38, -v22
	s_delay_alu instid0(VALU_DEP_2) | instskip(SKIP_1) | instid1(VALU_DEP_2)
	v_add_f32_e32 v6, v6, v11
	v_fma_f32 v11, v23, v40, -v24
	v_add_f32_e32 v6, v6, v12
	v_fma_f32 v12, v25, v42, -v26
	s_delay_alu instid0(VALU_DEP_2) | instskip(NEXT) | instid1(VALU_DEP_1)
	v_add_f32_e32 v6, v6, v11
	v_add_f32_e32 v6, v6, v12
	s_cbranch_scc0 .LBB325_37
; %bb.38:                               ;   in Loop: Header=BB325_31 Depth=1
	s_mov_b32 s0, s4
.LBB325_39:                             ;   in Loop: Header=BB325_31 Depth=1
	s_and_not1_b32 vcc_lo, exec_lo, s15
	s_wait_alu 0xfffe
	s_cbranch_vccnz .LBB325_29
; %bb.40:                               ;   in Loop: Header=BB325_31 Depth=1
	s_lshl_b64 s[10:11], s[0:1], 3
	s_lshl_b32 s0, s0, 3
	s_wait_alu 0xfffe
	v_add_co_u32 v7, vcc_lo, v9, s10
	s_wait_alu 0xfffd
	v_add_co_ci_u32_e64 v8, null, s11, v10, vcc_lo
	s_mov_b64 s[10:11], 0
.LBB325_41:                             ;   Parent Loop BB325_31 Depth=1
                                        ; =>  This Inner Loop Header: Depth=2
	s_wait_alu 0xfffe
	v_add_co_u32 v11, vcc_lo, v7, s10
	s_wait_alu 0xfffd
	v_add_co_ci_u32_e64 v12, null, s11, v8, vcc_lo
	v_mov_b32_e32 v13, s0
	s_add_nc_u64 s[10:11], s[10:11], 8
	s_add_co_i32 s0, s0, 8
	flat_load_b64 v[11:12], v[11:12]
	s_wait_alu 0xfffe
	s_cmp_lg_u32 s18, s10
	ds_load_b64 v[13:14], v13
	s_wait_loadcnt_dscnt 0x0
	v_mul_f32_e32 v15, v12, v14
	s_delay_alu instid0(VALU_DEP_1) | instskip(NEXT) | instid1(VALU_DEP_1)
	v_fmac_f32_e32 v15, v11, v13
	v_dual_mul_f32 v12, v12, v13 :: v_dual_add_f32 v5, v5, v15
	s_delay_alu instid0(VALU_DEP_1) | instskip(NEXT) | instid1(VALU_DEP_1)
	v_fma_f32 v11, v11, v14, -v12
	v_add_f32_e32 v6, v6, v11
	s_cbranch_scc1 .LBB325_41
	s_branch .LBB325_29
.LBB325_42:
	s_endpgm
	.section	.rodata,"a",@progbits
	.p2align	6, 0x0
	.amdhsa_kernel _ZL22rocblas_gemvtsm_kernelILb1ELi256EPK19rocblas_complex_numIfES1_KPS1_EviiT2_lPKT1_lilS9_lilS6_lPT3_lil
		.amdhsa_group_segment_fixed_size 512
		.amdhsa_private_segment_fixed_size 0
		.amdhsa_kernarg_size 136
		.amdhsa_user_sgpr_count 2
		.amdhsa_user_sgpr_dispatch_ptr 0
		.amdhsa_user_sgpr_queue_ptr 0
		.amdhsa_user_sgpr_kernarg_segment_ptr 1
		.amdhsa_user_sgpr_dispatch_id 0
		.amdhsa_user_sgpr_private_segment_size 0
		.amdhsa_wavefront_size32 1
		.amdhsa_uses_dynamic_stack 0
		.amdhsa_enable_private_segment 0
		.amdhsa_system_sgpr_workgroup_id_x 1
		.amdhsa_system_sgpr_workgroup_id_y 0
		.amdhsa_system_sgpr_workgroup_id_z 0
		.amdhsa_system_sgpr_workgroup_info 0
		.amdhsa_system_vgpr_workitem_id 0
		.amdhsa_next_free_vgpr 51
		.amdhsa_next_free_sgpr 24
		.amdhsa_reserve_vcc 1
		.amdhsa_float_round_mode_32 0
		.amdhsa_float_round_mode_16_64 0
		.amdhsa_float_denorm_mode_32 3
		.amdhsa_float_denorm_mode_16_64 3
		.amdhsa_fp16_overflow 0
		.amdhsa_workgroup_processor_mode 1
		.amdhsa_memory_ordered 1
		.amdhsa_forward_progress 1
		.amdhsa_inst_pref_size 16
		.amdhsa_round_robin_scheduling 0
		.amdhsa_exception_fp_ieee_invalid_op 0
		.amdhsa_exception_fp_denorm_src 0
		.amdhsa_exception_fp_ieee_div_zero 0
		.amdhsa_exception_fp_ieee_overflow 0
		.amdhsa_exception_fp_ieee_underflow 0
		.amdhsa_exception_fp_ieee_inexact 0
		.amdhsa_exception_int_div_zero 0
	.end_amdhsa_kernel
	.section	.text._ZL22rocblas_gemvtsm_kernelILb1ELi256EPK19rocblas_complex_numIfES1_KPS1_EviiT2_lPKT1_lilS9_lilS6_lPT3_lil,"axG",@progbits,_ZL22rocblas_gemvtsm_kernelILb1ELi256EPK19rocblas_complex_numIfES1_KPS1_EviiT2_lPKT1_lilS9_lilS6_lPT3_lil,comdat
.Lfunc_end325:
	.size	_ZL22rocblas_gemvtsm_kernelILb1ELi256EPK19rocblas_complex_numIfES1_KPS1_EviiT2_lPKT1_lilS9_lilS6_lPT3_lil, .Lfunc_end325-_ZL22rocblas_gemvtsm_kernelILb1ELi256EPK19rocblas_complex_numIfES1_KPS1_EviiT2_lPKT1_lilS9_lilS6_lPT3_lil
                                        ; -- End function
	.set _ZL22rocblas_gemvtsm_kernelILb1ELi256EPK19rocblas_complex_numIfES1_KPS1_EviiT2_lPKT1_lilS9_lilS6_lPT3_lil.num_vgpr, 51
	.set _ZL22rocblas_gemvtsm_kernelILb1ELi256EPK19rocblas_complex_numIfES1_KPS1_EviiT2_lPKT1_lilS9_lilS6_lPT3_lil.num_agpr, 0
	.set _ZL22rocblas_gemvtsm_kernelILb1ELi256EPK19rocblas_complex_numIfES1_KPS1_EviiT2_lPKT1_lilS9_lilS6_lPT3_lil.numbered_sgpr, 24
	.set _ZL22rocblas_gemvtsm_kernelILb1ELi256EPK19rocblas_complex_numIfES1_KPS1_EviiT2_lPKT1_lilS9_lilS6_lPT3_lil.num_named_barrier, 0
	.set _ZL22rocblas_gemvtsm_kernelILb1ELi256EPK19rocblas_complex_numIfES1_KPS1_EviiT2_lPKT1_lilS9_lilS6_lPT3_lil.private_seg_size, 0
	.set _ZL22rocblas_gemvtsm_kernelILb1ELi256EPK19rocblas_complex_numIfES1_KPS1_EviiT2_lPKT1_lilS9_lilS6_lPT3_lil.uses_vcc, 1
	.set _ZL22rocblas_gemvtsm_kernelILb1ELi256EPK19rocblas_complex_numIfES1_KPS1_EviiT2_lPKT1_lilS9_lilS6_lPT3_lil.uses_flat_scratch, 1
	.set _ZL22rocblas_gemvtsm_kernelILb1ELi256EPK19rocblas_complex_numIfES1_KPS1_EviiT2_lPKT1_lilS9_lilS6_lPT3_lil.has_dyn_sized_stack, 0
	.set _ZL22rocblas_gemvtsm_kernelILb1ELi256EPK19rocblas_complex_numIfES1_KPS1_EviiT2_lPKT1_lilS9_lilS6_lPT3_lil.has_recursion, 0
	.set _ZL22rocblas_gemvtsm_kernelILb1ELi256EPK19rocblas_complex_numIfES1_KPS1_EviiT2_lPKT1_lilS9_lilS6_lPT3_lil.has_indirect_call, 0
	.section	.AMDGPU.csdata,"",@progbits
; Kernel info:
; codeLenInByte = 1980
; TotalNumSgprs: 26
; NumVgprs: 51
; ScratchSize: 0
; MemoryBound: 0
; FloatMode: 240
; IeeeMode: 1
; LDSByteSize: 512 bytes/workgroup (compile time only)
; SGPRBlocks: 0
; VGPRBlocks: 6
; NumSGPRsForWavesPerEU: 26
; NumVGPRsForWavesPerEU: 51
; Occupancy: 16
; WaveLimiterHint : 1
; COMPUTE_PGM_RSRC2:SCRATCH_EN: 0
; COMPUTE_PGM_RSRC2:USER_SGPR: 2
; COMPUTE_PGM_RSRC2:TRAP_HANDLER: 0
; COMPUTE_PGM_RSRC2:TGID_X_EN: 1
; COMPUTE_PGM_RSRC2:TGID_Y_EN: 0
; COMPUTE_PGM_RSRC2:TGID_Z_EN: 0
; COMPUTE_PGM_RSRC2:TIDIG_COMP_CNT: 0
	.section	.text._ZL23rocblas_gemvt_sn_kernelILb1ELi256ELi4EiPK19rocblas_complex_numIfES3_S1_EviiT4_lPKT3_lilS7_lilPT5_i,"axG",@progbits,_ZL23rocblas_gemvt_sn_kernelILb1ELi256ELi4EiPK19rocblas_complex_numIfES3_S1_EviiT4_lPKT3_lilS7_lilPT5_i,comdat
	.globl	_ZL23rocblas_gemvt_sn_kernelILb1ELi256ELi4EiPK19rocblas_complex_numIfES3_S1_EviiT4_lPKT3_lilS7_lilPT5_i ; -- Begin function _ZL23rocblas_gemvt_sn_kernelILb1ELi256ELi4EiPK19rocblas_complex_numIfES3_S1_EviiT4_lPKT3_lilS7_lilPT5_i
	.p2align	8
	.type	_ZL23rocblas_gemvt_sn_kernelILb1ELi256ELi4EiPK19rocblas_complex_numIfES3_S1_EviiT4_lPKT3_lilS7_lilPT5_i,@function
_ZL23rocblas_gemvt_sn_kernelILb1ELi256ELi4EiPK19rocblas_complex_numIfES3_S1_EviiT4_lPKT3_lilS7_lilPT5_i: ; @_ZL23rocblas_gemvt_sn_kernelILb1ELi256ELi4EiPK19rocblas_complex_numIfES3_S1_EviiT4_lPKT3_lilS7_lilPT5_i
; %bb.0:
	s_load_b32 s33, s[0:1], 0x60
	s_lshr_b32 s10, ttmp7, 16
	s_wait_kmcnt 0x0
	s_cmp_ge_u32 s10, s33
	s_cbranch_scc1 .LBB326_84
; %bb.1:
	s_clause 0x6
	s_load_b64 s[26:27], s[0:1], 0x0
	s_load_b256 s[12:19], s[0:1], 0x8
	s_load_b32 s28, s[0:1], 0x68
	s_load_b32 s52, s[0:1], 0x28
	s_load_b128 s[20:23], s[0:1], 0x38
	s_load_b32 s53, s[0:1], 0x48
	s_load_b64 s[30:31], s[0:1], 0x58
	v_lshrrev_b32_e32 v2, 2, v0
	s_mov_b32 s35, 0
	v_cmp_eq_u32_e64 s0, 0, v0
	v_and_b32_e32 v1, 31, v0
	v_cmp_gt_u32_e64 s1, 32, v0
	v_and_b32_e32 v35, 56, v2
	v_cmp_gt_u32_e64 s2, 8, v0
	s_mov_b32 s29, s35
	v_mbcnt_lo_u32_b32 v38, -1, 0
	s_mov_b32 s24, ttmp9
	s_mov_b32 s25, s35
	s_wait_kmcnt 0x0
	s_ashr_i32 s5, s27, 31
	s_cmp_gt_i32 s27, 0
	s_mov_b32 s4, s27
	s_cselect_b32 s6, -1, 0
	s_lshl_b32 s7, ttmp9, 10
	s_mul_u64 s[36:37], s[4:5], s[28:29]
	v_lshl_or_b32 v2, v0, 2, s7
	s_lshr_b32 s4, s5, 30
	s_ashr_i32 s5, s26, 31
	s_add_co_i32 s4, s27, s4
	s_lshr_b32 s5, s5, 30
	v_mul_lo_u32 v0, s53, v2
	s_add_co_i32 s5, s26, s5
	s_and_b32 s55, s4, -4
	s_and_b32 s4, s5, -4
	v_ashrrev_i32_e32 v3, 31, v2
	s_sub_co_i32 s56, s26, s4
	s_and_b32 s54, s0, s6
	v_add_nc_u32_e32 v4, s56, v2
	v_add_nc_u32_e32 v8, s53, v0
	s_cmp_gt_i32 s55, 0
	s_mul_i32 s60, s52, 3
	s_cselect_b32 s57, -1, 0
	v_cmp_ge_i32_e64 s5, s26, v4
	v_add_nc_u32_e32 v10, s53, v8
	v_mov_b32_e32 v4, 0
	v_cmp_eq_u32_e64 s3, 0, v1
	v_lshlrev_b32_e32 v34, 3, v1
	v_add_nc_u32_e32 v1, 4, v2
	v_add_nc_u32_e32 v12, s53, v10
	v_ashrrev_i32_e32 v9, 31, v8
	v_ashrrev_i32_e32 v11, 31, v10
	v_lshlrev_b64_e32 v[2:3], 3, v[2:3]
	v_cmp_ge_i32_e64 s4, s26, v1
	v_ashrrev_i32_e32 v1, 31, v0
	v_ashrrev_i32_e32 v13, 31, v12
	s_cmp_gt_i32 s56, 0
	v_lshlrev_b64_e32 v[8:9], 3, v[8:9]
	s_cselect_b32 s58, -1, 0
	s_lshl_b64 s[38:39], s[24:25], 3
	v_lshlrev_b64_e32 v[6:7], 3, v[0:1]
	v_lshlrev_b64_e32 v[10:11], 3, v[10:11]
	;; [unrolled: 1-line block ×3, first 2 shown]
	v_or_b32_e32 v36, 4, v2
	v_mov_b32_e32 v37, v3
	v_lshl_or_b32 v1, v38, 2, 64
	s_add_nc_u64 s[6:7], s[30:31], s[38:39]
	s_and_b32 s25, s58, s5
	s_wait_alu 0xfffe
	s_add_nc_u64 s[40:41], s[6:7], 4
	s_lshl_b64 s[42:43], s[36:37], 3
	s_lshl_b64 s[44:45], s[28:29], 3
	s_lshl_b32 s26, s52, 2
	s_lshl_b32 s59, s52, 1
	s_or_b32 s61, 0, 4
	s_lshl_b64 s[18:19], s[18:19], 3
	s_lshl_b64 s[22:23], s[22:23], 3
	s_branch .LBB326_3
.LBB326_2:                              ;   in Loop: Header=BB326_3 Depth=1
	s_add_co_i32 s10, s10, 0x10000
	s_delay_alu instid0(SALU_CYCLE_1)
	s_cmp_lt_u32 s10, s33
	s_cbranch_scc0 .LBB326_84
.LBB326_3:                              ; =>This Loop Header: Depth=1
                                        ;     Child Loop BB326_11 Depth 2
                                        ;     Child Loop BB326_16 Depth 2
                                        ;       Child Loop BB326_47 Depth 3
                                        ;       Child Loop BB326_49 Depth 3
                                        ;     Child Loop BB326_65 Depth 2
                                        ;       Child Loop BB326_77 Depth 3
                                        ;       Child Loop BB326_79 Depth 3
	s_mov_b32 s11, s35
	s_wait_dscnt 0x0
	v_mov_b32_e32 v16, 0
	s_mul_u64 s[6:7], s[14:15], s[10:11]
	v_mov_b32_e32 v17, 0
	s_wait_alu 0xfffe
	s_lshl_b64 s[6:7], s[6:7], 3
	s_wait_alu 0xfffe
	s_add_nc_u64 s[6:7], s[12:13], s[6:7]
	global_load_b64 v[14:15], v4, s[6:7]
	s_wait_loadcnt 0x0
	v_readfirstlane_b32 s62, v14
	v_readfirstlane_b32 s63, v15
	v_mov_b32_e32 v14, 0
	v_mov_b32_e32 v15, 0
	s_or_b32 s6, s62, s63
	s_wait_alu 0xfffe
	s_bitset0_b32 s6, 31
	s_wait_alu 0xfffe
	s_cmp_lg_u32 s6, 0
	s_cselect_b32 s7, -1, 0
	s_cmp_eq_u32 s6, 0
	s_cselect_b32 s6, -1, 0
	s_wait_alu 0xfffe
	s_and_b32 vcc_lo, exec_lo, s6
	s_wait_alu 0xfffe
	s_cbranch_vccz .LBB326_7
; %bb.4:                                ;   in Loop: Header=BB326_3 Depth=1
	s_and_not1_b32 vcc_lo, exec_lo, s7
	s_wait_alu 0xfffe
	s_cbranch_vccz .LBB326_8
.LBB326_5:                              ;   in Loop: Header=BB326_3 Depth=1
	s_and_not1_b32 vcc_lo, exec_lo, s6
	s_mov_b32 s6, -1
	s_wait_alu 0xfffe
	s_cbranch_vccz .LBB326_9
.LBB326_6:                              ;   in Loop: Header=BB326_3 Depth=1
	s_wait_alu 0xfffe
	s_and_not1_b32 vcc_lo, exec_lo, s6
	s_wait_alu 0xfffe
	s_cbranch_vccnz .LBB326_2
	s_branch .LBB326_13
.LBB326_7:                              ;   in Loop: Header=BB326_3 Depth=1
	s_lshl_b64 s[8:9], s[10:11], 3
	s_wait_alu 0xfffe
	s_add_nc_u64 s[8:9], s[16:17], s[8:9]
	global_load_b64 v[16:17], v4, s[8:9]
	s_wait_loadcnt 0x0
	v_add_co_u32 v16, vcc_lo, v16, s18
	s_wait_alu 0xfffd
	v_add_co_ci_u32_e64 v17, null, s19, v17, vcc_lo
	s_and_not1_b32 vcc_lo, exec_lo, s7
	s_wait_alu 0xfffe
	s_cbranch_vccnz .LBB326_5
.LBB326_8:                              ;   in Loop: Header=BB326_3 Depth=1
	s_lshl_b64 s[8:9], s[10:11], 3
	s_wait_alu 0xfffe
	s_add_nc_u64 s[8:9], s[20:21], s[8:9]
	global_load_b64 v[14:15], v4, s[8:9]
	s_wait_loadcnt 0x0
	v_add_co_u32 v14, vcc_lo, v14, s22
	s_wait_alu 0xfffd
	v_add_co_ci_u32_e64 v15, null, s23, v15, vcc_lo
	s_and_not1_b32 vcc_lo, exec_lo, s6
	s_mov_b32 s6, -1
	s_wait_alu 0xfffe
	s_cbranch_vccnz .LBB326_6
.LBB326_9:                              ;   in Loop: Header=BB326_3 Depth=1
	s_and_saveexec_b32 s8, s54
	s_cbranch_execz .LBB326_12
; %bb.10:                               ;   in Loop: Header=BB326_3 Depth=1
	s_mul_u64 s[6:7], s[42:43], s[10:11]
	s_mov_b32 s9, s27
	s_wait_alu 0xfffe
	s_add_nc_u64 s[6:7], s[40:41], s[6:7]
.LBB326_11:                             ;   Parent Loop BB326_3 Depth=1
                                        ; =>  This Inner Loop Header: Depth=2
	v_mov_b32_e32 v5, v4
	s_add_co_i32 s9, s9, -1
	s_wait_alu 0xfffe
	s_cmp_eq_u32 s9, 0
	global_store_b64 v4, v[4:5], s[6:7] offset:-4
	s_add_nc_u64 s[6:7], s[6:7], s[44:45]
	s_cbranch_scc0 .LBB326_11
.LBB326_12:                             ;   in Loop: Header=BB326_3 Depth=1
	s_wait_alu 0xfffe
	s_or_b32 exec_lo, exec_lo, s8
	s_cbranch_execnz .LBB326_2
.LBB326_13:                             ;   in Loop: Header=BB326_3 Depth=1
	v_add_co_u32 v39, vcc_lo, v16, v2
	s_mul_u64 s[46:47], s[36:37], s[10:11]
	s_wait_alu 0xfffd
	v_add_co_ci_u32_e64 v40, null, v17, v3, vcc_lo
	v_cmp_gt_u32_e64 s9, 24, v38
	v_cmp_gt_u32_e64 s8, 28, v38
	v_cmp_gt_u32_e64 s7, 30, v38
	v_cmp_ne_u32_e64 s6, 31, v38
	s_wait_alu 0xfffe
	s_lshl_b64 s[46:47], s[46:47], 3
	s_and_not1_b32 vcc_lo, exec_lo, s57
	s_wait_alu 0xfffe
	s_add_nc_u64 s[46:47], s[30:31], s[46:47]
	s_cbranch_vccnz .LBB326_61
; %bb.14:                               ;   in Loop: Header=BB326_3 Depth=1
	v_cndmask_b32_e64 v18, 0, 4, s8
	v_cndmask_b32_e64 v19, 0, 2, s7
	v_add_co_ci_u32_e64 v20, null, 0, v38, s6
	v_cndmask_b32_e64 v5, 0, 8, s9
	s_delay_alu instid0(VALU_DEP_4)
	v_add_lshl_u32 v42, v18, v38, 2
	v_add_co_u32 v18, vcc_lo, v14, v6
	v_add_lshl_u32 v43, v19, v38, 2
	v_lshlrev_b32_e32 v44, 2, v20
	s_wait_alu 0xfffd
	v_add_co_ci_u32_e64 v19, null, v15, v7, vcc_lo
	v_add_co_u32 v20, vcc_lo, v14, v8
	s_wait_alu 0xfffd
	v_add_co_ci_u32_e64 v21, null, v15, v9, vcc_lo
	v_add_co_u32 v22, vcc_lo, v14, v10
	;; [unrolled: 3-line block ×4, first 2 shown]
	v_add_lshl_u32 v41, v5, v38, 2
	s_wait_alu 0xfffd
	v_add_co_ci_u32_e64 v46, null, v17, v37, vcc_lo
	s_mov_b32 s6, 0
	s_mov_b32 s64, s60
	;; [unrolled: 1-line block ×5, first 2 shown]
	s_branch .LBB326_16
.LBB326_15:                             ;   in Loop: Header=BB326_16 Depth=2
	s_wait_alu 0xfffe
	s_or_b32 exec_lo, exec_lo, s7
	s_add_co_i32 s11, s11, 4
	s_add_co_i32 s66, s66, s26
	;; [unrolled: 1-line block ×5, first 2 shown]
	s_cmp_ge_i32 s11, s55
	s_cbranch_scc1 .LBB326_62
.LBB326_16:                             ;   Parent Loop BB326_3 Depth=1
                                        ; =>  This Loop Header: Depth=2
                                        ;       Child Loop BB326_47 Depth 3
                                        ;       Child Loop BB326_49 Depth 3
                                        ; implicit-def: $vgpr47
                                        ; implicit-def: $vgpr48
                                        ; implicit-def: $vgpr28
                                        ; implicit-def: $vgpr29
                                        ; implicit-def: $vgpr30
                                        ; implicit-def: $vgpr31
                                        ; implicit-def: $vgpr33
                                        ; implicit-def: $vgpr32
	s_and_saveexec_b32 s7, s4
	s_wait_alu 0xfffe
	s_xor_b32 s7, exec_lo, s7
	s_cbranch_execnz .LBB326_43
; %bb.17:                               ;   in Loop: Header=BB326_16 Depth=2
	s_wait_alu 0xfffe
	s_and_not1_saveexec_b32 s34, s7
	s_cbranch_execnz .LBB326_44
.LBB326_18:                             ;   in Loop: Header=BB326_16 Depth=2
	s_or_b32 exec_lo, exec_lo, s34
	s_and_saveexec_b32 s7, s1
.LBB326_19:                             ;   in Loop: Header=BB326_16 Depth=2
	v_mov_b32_e32 v5, v4
	ds_store_b64 v34, v[4:5]
.LBB326_20:                             ;   in Loop: Header=BB326_16 Depth=2
	s_wait_alu 0xfffe
	s_or_b32 exec_lo, exec_lo, s7
	ds_bpermute_b32 v5, v1, v47
	ds_bpermute_b32 v26, v1, v48
	s_wait_storecnt_dscnt 0x0
	s_barrier_signal -1
	s_barrier_wait -1
	global_inv scope:SCOPE_SE
	v_dual_add_f32 v5, v47, v5 :: v_dual_add_f32 v26, v48, v26
	ds_bpermute_b32 v27, v41, v5
	ds_bpermute_b32 v47, v41, v26
	s_wait_dscnt 0x1
	v_add_f32_e32 v5, v5, v27
	s_wait_dscnt 0x0
	v_add_f32_e32 v26, v26, v47
	ds_bpermute_b32 v27, v42, v5
	ds_bpermute_b32 v47, v42, v26
	s_wait_dscnt 0x1
	v_add_f32_e32 v5, v5, v27
	s_wait_dscnt 0x0
	v_add_f32_e32 v26, v26, v47
	;; [unrolled: 6-line block ×3, first 2 shown]
	ds_bpermute_b32 v27, v44, v5
	ds_bpermute_b32 v47, v44, v26
	s_and_saveexec_b32 s7, s3
	s_cbranch_execz .LBB326_22
; %bb.21:                               ;   in Loop: Header=BB326_16 Depth=2
	s_wait_dscnt 0x0
	v_add_f32_e32 v48, v26, v47
	v_add_f32_e32 v47, v5, v27
	ds_store_b64 v35, v[47:48]
.LBB326_22:                             ;   in Loop: Header=BB326_16 Depth=2
	s_wait_alu 0xfffe
	s_or_b32 exec_lo, exec_lo, s7
	s_wait_dscnt 0x1
	v_dual_mov_b32 v27, 0 :: v_dual_mov_b32 v26, 0
	s_wait_loadcnt_dscnt 0x0
	s_barrier_signal -1
	s_barrier_wait -1
	global_inv scope:SCOPE_SE
	s_and_saveexec_b32 s7, s2
	s_cbranch_execnz .LBB326_50
; %bb.23:                               ;   in Loop: Header=BB326_16 Depth=2
	s_wait_alu 0xfffe
	s_or_b32 exec_lo, exec_lo, s7
	s_and_saveexec_b32 s7, s1
	s_cbranch_execnz .LBB326_51
.LBB326_24:                             ;   in Loop: Header=BB326_16 Depth=2
	s_wait_alu 0xfffe
	s_or_b32 exec_lo, exec_lo, s7
	s_and_saveexec_b32 s7, s1
.LBB326_25:                             ;   in Loop: Header=BB326_16 Depth=2
	v_mov_b32_e32 v5, v4
	ds_store_b64 v34, v[4:5]
.LBB326_26:                             ;   in Loop: Header=BB326_16 Depth=2
	s_wait_alu 0xfffe
	s_or_b32 exec_lo, exec_lo, s7
	ds_bpermute_b32 v5, v1, v28
	ds_bpermute_b32 v47, v1, v29
	s_wait_loadcnt_dscnt 0x0
	s_barrier_signal -1
	s_barrier_wait -1
	global_inv scope:SCOPE_SE
	v_dual_add_f32 v5, v28, v5 :: v_dual_add_f32 v28, v29, v47
	ds_bpermute_b32 v29, v41, v5
	ds_bpermute_b32 v47, v41, v28
	s_wait_dscnt 0x0
	v_dual_add_f32 v5, v5, v29 :: v_dual_add_f32 v28, v28, v47
	ds_bpermute_b32 v29, v42, v5
	ds_bpermute_b32 v47, v42, v28
	s_wait_dscnt 0x0
	;; [unrolled: 4-line block ×3, first 2 shown]
	v_dual_add_f32 v5, v5, v29 :: v_dual_add_f32 v28, v28, v47
	ds_bpermute_b32 v29, v44, v5
	ds_bpermute_b32 v47, v44, v28
	s_and_saveexec_b32 s7, s3
	s_cbranch_execz .LBB326_28
; %bb.27:                               ;   in Loop: Header=BB326_16 Depth=2
	s_wait_dscnt 0x0
	v_dual_add_f32 v48, v28, v47 :: v_dual_add_f32 v47, v5, v29
	ds_store_b64 v35, v[47:48]
.LBB326_28:                             ;   in Loop: Header=BB326_16 Depth=2
	s_wait_alu 0xfffe
	s_or_b32 exec_lo, exec_lo, s7
	s_wait_dscnt 0x1
	v_dual_mov_b32 v29, 0 :: v_dual_mov_b32 v28, 0
	s_wait_loadcnt_dscnt 0x0
	s_barrier_signal -1
	s_barrier_wait -1
	global_inv scope:SCOPE_SE
	s_and_saveexec_b32 s7, s2
	s_cbranch_execnz .LBB326_52
; %bb.29:                               ;   in Loop: Header=BB326_16 Depth=2
	s_wait_alu 0xfffe
	s_or_b32 exec_lo, exec_lo, s7
	s_and_saveexec_b32 s7, s1
	s_cbranch_execnz .LBB326_53
.LBB326_30:                             ;   in Loop: Header=BB326_16 Depth=2
	s_wait_alu 0xfffe
	s_or_b32 exec_lo, exec_lo, s7
	s_and_saveexec_b32 s7, s1
.LBB326_31:                             ;   in Loop: Header=BB326_16 Depth=2
	v_mov_b32_e32 v5, v4
	ds_store_b64 v34, v[4:5]
.LBB326_32:                             ;   in Loop: Header=BB326_16 Depth=2
	s_wait_alu 0xfffe
	s_or_b32 exec_lo, exec_lo, s7
	ds_bpermute_b32 v5, v1, v30
	ds_bpermute_b32 v47, v1, v31
	s_wait_loadcnt_dscnt 0x0
	s_barrier_signal -1
	s_barrier_wait -1
	global_inv scope:SCOPE_SE
	v_dual_add_f32 v5, v30, v5 :: v_dual_add_f32 v30, v31, v47
	ds_bpermute_b32 v31, v41, v5
	ds_bpermute_b32 v47, v41, v30
	s_wait_dscnt 0x1
	v_add_f32_e32 v5, v5, v31
	s_wait_dscnt 0x0
	v_add_f32_e32 v30, v30, v47
	ds_bpermute_b32 v31, v42, v5
	ds_bpermute_b32 v47, v42, v30
	s_wait_dscnt 0x1
	v_add_f32_e32 v5, v5, v31
	s_wait_dscnt 0x0
	v_add_f32_e32 v30, v30, v47
	;; [unrolled: 6-line block ×3, first 2 shown]
	ds_bpermute_b32 v31, v44, v5
	ds_bpermute_b32 v47, v44, v30
	s_and_saveexec_b32 s7, s3
	s_cbranch_execz .LBB326_34
; %bb.33:                               ;   in Loop: Header=BB326_16 Depth=2
	s_wait_dscnt 0x0
	v_add_f32_e32 v48, v30, v47
	v_add_f32_e32 v47, v5, v31
	ds_store_b64 v35, v[47:48]
.LBB326_34:                             ;   in Loop: Header=BB326_16 Depth=2
	s_wait_alu 0xfffe
	s_or_b32 exec_lo, exec_lo, s7
	s_wait_dscnt 0x1
	v_dual_mov_b32 v31, 0 :: v_dual_mov_b32 v30, 0
	s_wait_loadcnt_dscnt 0x0
	s_barrier_signal -1
	s_barrier_wait -1
	global_inv scope:SCOPE_SE
	s_and_saveexec_b32 s7, s2
	s_cbranch_execnz .LBB326_54
; %bb.35:                               ;   in Loop: Header=BB326_16 Depth=2
	s_wait_alu 0xfffe
	s_or_b32 exec_lo, exec_lo, s7
	s_and_saveexec_b32 s7, s1
	s_cbranch_execnz .LBB326_55
.LBB326_36:                             ;   in Loop: Header=BB326_16 Depth=2
	s_wait_alu 0xfffe
	s_or_b32 exec_lo, exec_lo, s7
	s_and_saveexec_b32 s7, s1
.LBB326_37:                             ;   in Loop: Header=BB326_16 Depth=2
	v_mov_b32_e32 v5, v4
	ds_store_b64 v34, v[4:5]
.LBB326_38:                             ;   in Loop: Header=BB326_16 Depth=2
	s_wait_alu 0xfffe
	s_or_b32 exec_lo, exec_lo, s7
	ds_bpermute_b32 v5, v1, v33
	ds_bpermute_b32 v47, v1, v32
	s_wait_loadcnt_dscnt 0x0
	s_barrier_signal -1
	s_barrier_wait -1
	global_inv scope:SCOPE_SE
	v_dual_add_f32 v5, v33, v5 :: v_dual_add_f32 v32, v32, v47
	ds_bpermute_b32 v33, v41, v5
	ds_bpermute_b32 v47, v41, v32
	s_wait_dscnt 0x0
	v_dual_add_f32 v5, v5, v33 :: v_dual_add_f32 v32, v32, v47
	ds_bpermute_b32 v33, v42, v5
	ds_bpermute_b32 v47, v42, v32
	s_wait_dscnt 0x0
	;; [unrolled: 4-line block ×3, first 2 shown]
	v_dual_add_f32 v5, v5, v33 :: v_dual_add_f32 v32, v32, v47
	ds_bpermute_b32 v33, v44, v5
	ds_bpermute_b32 v47, v44, v32
	s_and_saveexec_b32 s7, s3
	s_cbranch_execz .LBB326_40
; %bb.39:                               ;   in Loop: Header=BB326_16 Depth=2
	s_wait_dscnt 0x0
	v_dual_add_f32 v48, v32, v47 :: v_dual_add_f32 v47, v5, v33
	ds_store_b64 v35, v[47:48]
.LBB326_40:                             ;   in Loop: Header=BB326_16 Depth=2
	s_wait_alu 0xfffe
	s_or_b32 exec_lo, exec_lo, s7
	s_wait_dscnt 0x1
	v_dual_mov_b32 v33, 0 :: v_dual_mov_b32 v32, 0
	s_wait_loadcnt_dscnt 0x0
	s_barrier_signal -1
	s_barrier_wait -1
	global_inv scope:SCOPE_SE
	s_and_saveexec_b32 s7, s2
	s_cbranch_execnz .LBB326_56
; %bb.41:                               ;   in Loop: Header=BB326_16 Depth=2
	s_wait_alu 0xfffe
	s_or_b32 exec_lo, exec_lo, s7
	s_and_saveexec_b32 s7, s1
	s_cbranch_execnz .LBB326_57
.LBB326_42:                             ;   in Loop: Header=BB326_16 Depth=2
	s_wait_alu 0xfffe
	s_or_b32 exec_lo, exec_lo, s7
	s_and_saveexec_b32 s7, s0
	s_cbranch_execz .LBB326_15
	s_branch .LBB326_58
.LBB326_43:                             ;   in Loop: Header=BB326_16 Depth=2
	s_mul_i32 s8, s11, s52
	s_wait_alu 0xfffe
	s_ashr_i32 s9, s8, 31
	s_add_co_i32 s48, s8, s52
	s_wait_alu 0xfffe
	s_lshl_b64 s[8:9], s[8:9], 3
	s_ashr_i32 s49, s48, 31
	s_wait_alu 0xfffe
	v_add_co_u32 v30, vcc_lo, v39, s8
	s_wait_alu 0xfffd
	v_add_co_ci_u32_e64 v31, null, s9, v40, vcc_lo
	s_lshl_b64 s[8:9], s[48:49], 3
	s_wait_alu 0xfffe
	v_add_co_u32 v47, vcc_lo, v39, s8
	s_add_co_i32 s8, s48, s52
	s_wait_alu 0xfffd
	v_add_co_ci_u32_e64 v48, null, s9, v40, vcc_lo
	s_wait_alu 0xfffe
	s_ashr_i32 s9, s8, 31
	flat_load_b128 v[26:29], v[30:31]
	s_wait_alu 0xfffe
	s_lshl_b64 s[48:49], s[8:9], 3
	s_add_co_i32 s8, s8, s52
	s_wait_alu 0xfffe
	v_add_co_u32 v69, vcc_lo, v39, s48
	s_wait_alu 0xfffd
	v_add_co_ci_u32_e64 v70, null, s49, v40, vcc_lo
	s_ashr_i32 s9, s8, 31
	s_clause 0x3
	flat_load_b64 v[49:50], v[18:19]
	flat_load_b64 v[51:52], v[20:21]
	;; [unrolled: 1-line block ×4, first 2 shown]
	s_wait_alu 0xfffe
	s_lshl_b64 s[8:9], s[8:9], 3
	s_wait_dscnt 0x5
	s_clause 0x3
	flat_load_b128 v[30:33], v[30:31] offset:16
	flat_load_b128 v[57:60], v[47:48]
	flat_load_b128 v[61:64], v[47:48] offset:16
	flat_load_b128 v[65:68], v[69:70]
	s_wait_alu 0xfffe
	v_add_co_u32 v47, vcc_lo, v39, s8
	s_wait_alu 0xfffd
	v_add_co_ci_u32_e64 v48, null, s9, v40, vcc_lo
	s_clause 0x2
	flat_load_b128 v[69:72], v[69:70] offset:16
	flat_load_b128 v[73:76], v[47:48]
	flat_load_b128 v[77:80], v[47:48] offset:16
	s_wait_loadcnt_dscnt 0x909
	scratch_store_b128 off, v[49:52], off
	s_wait_loadcnt_dscnt 0x707
	scratch_store_b128 off, v[53:56], off offset:16
	s_wait_loadcnt_dscnt 0x606
	v_dual_mul_f32 v5, v27, v50 :: v_dual_mul_f32 v48, v54, v31
	s_wait_loadcnt_dscnt 0x505
	v_dual_mul_f32 v27, v27, v49 :: v_dual_mul_f32 v82, v58, v50
	v_dual_mul_f32 v47, v29, v52 :: v_dual_mul_f32 v58, v58, v49
	s_wait_loadcnt_dscnt 0x404
	v_dual_mul_f32 v29, v29, v51 :: v_dual_mul_f32 v84, v54, v62
	v_mul_f32_e32 v31, v53, v31
	v_dual_mul_f32 v81, v56, v33 :: v_dual_mul_f32 v62, v53, v62
	v_mul_f32_e32 v33, v55, v33
	s_wait_loadcnt_dscnt 0x303
	v_dual_mul_f32 v83, v60, v52 :: v_dual_mul_f32 v86, v66, v50
	v_dual_mul_f32 v85, v56, v64 :: v_dual_mul_f32 v66, v66, v49
	v_mul_f32_e32 v64, v55, v64
	s_wait_loadcnt_dscnt 0x202
	v_dual_mul_f32 v87, v68, v52 :: v_dual_mul_f32 v88, v54, v70
	v_dual_mul_f32 v68, v68, v51 :: v_dual_fmac_f32 v5, v26, v49
	v_dual_mul_f32 v70, v53, v70 :: v_dual_mul_f32 v89, v56, v72
	v_dual_mul_f32 v72, v55, v72 :: v_dual_fmac_f32 v47, v28, v51
	v_fma_f32 v26, v26, v50, -v27
	v_fma_f32 v27, v28, v52, -v29
	v_dual_fmac_f32 v48, v53, v30 :: v_dual_fmac_f32 v81, v55, v32
	v_fma_f32 v28, v54, v30, -v31
	s_wait_loadcnt_dscnt 0x101
	v_mul_f32_e32 v30, v74, v50
	v_mul_f32_e32 v60, v60, v51
	v_fma_f32 v29, v56, v32, -v33
	v_dual_mul_f32 v31, v74, v49 :: v_dual_mul_f32 v32, v76, v52
	s_wait_loadcnt_dscnt 0x0
	v_dual_mul_f32 v33, v76, v51 :: v_dual_mul_f32 v74, v54, v78
	v_dual_fmac_f32 v83, v59, v51 :: v_dual_mul_f32 v76, v53, v78
	v_dual_fmac_f32 v85, v55, v63 :: v_dual_mul_f32 v78, v56, v80
	v_fmac_f32_e32 v87, v67, v51
	v_dual_mul_f32 v80, v55, v80 :: v_dual_add_f32 v5, 0, v5
	v_dual_fmac_f32 v82, v57, v49 :: v_dual_fmac_f32 v89, v55, v71
	v_fma_f32 v57, v57, v50, -v58
	v_add_f32_e32 v26, 0, v26
	v_fmac_f32_e32 v30, v73, v49
	v_fmac_f32_e32 v86, v65, v49
	v_fma_f32 v58, v59, v52, -v60
	v_fmac_f32_e32 v84, v53, v61
	v_fma_f32 v59, v54, v61, -v62
	v_fma_f32 v61, v65, v50, -v66
	v_fma_f32 v62, v67, v52, -v68
	v_fma_f32 v31, v73, v50, -v31
	v_add_f32_e32 v67, 0, v82
	v_add_f32_e32 v57, 0, v57
	;; [unrolled: 1-line block ×3, first 2 shown]
	v_dual_add_f32 v26, v26, v27 :: v_dual_add_f32 v27, 0, v30
	v_add_f32_e32 v68, 0, v86
	v_fmac_f32_e32 v88, v53, v69
	v_dual_fmac_f32 v32, v75, v51 :: v_dual_add_f32 v61, 0, v61
	v_fma_f32 v33, v75, v52, -v33
	v_dual_fmac_f32 v78, v55, v79 :: v_dual_add_f32 v47, v57, v58
	v_dual_add_f32 v5, v5, v48 :: v_dual_add_f32 v30, 0, v31
	v_add_f32_e32 v31, v67, v83
	v_fma_f32 v60, v56, v63, -v64
	v_fma_f32 v63, v54, v69, -v70
	v_dual_fmac_f32 v74, v53, v77 :: v_dual_add_f32 v27, v27, v32
	v_fma_f32 v65, v54, v77, -v76
	v_dual_add_f32 v57, v68, v87 :: v_dual_add_f32 v58, v61, v62
	v_add_f32_e32 v26, v26, v28
	v_add_f32_e32 v28, v30, v33
	;; [unrolled: 1-line block ×4, first 2 shown]
	v_fma_f32 v64, v56, v71, -v72
	v_fma_f32 v66, v56, v79, -v80
	v_dual_add_f32 v32, v57, v88 :: v_dual_add_f32 v33, v58, v63
	v_add_f32_e32 v47, v5, v81
	v_dual_add_f32 v5, v27, v74 :: v_dual_add_f32 v48, v26, v29
	v_dual_add_f32 v29, v31, v60 :: v_dual_add_f32 v26, v28, v65
	v_add_f32_e32 v28, v30, v85
	v_dual_add_f32 v30, v32, v89 :: v_dual_add_f32 v31, v33, v64
	s_delay_alu instid0(VALU_DEP_4) | instskip(NEXT) | instid1(VALU_DEP_4)
	v_add_f32_e32 v33, v5, v78
	v_add_f32_e32 v32, v26, v66
	s_and_not1_saveexec_b32 s34, s7
	s_cbranch_execz .LBB326_18
.LBB326_44:                             ;   in Loop: Header=BB326_16 Depth=2
	v_dual_mov_b32 v47, 0 :: v_dual_mov_b32 v48, 0
	v_dual_mov_b32 v28, 0 :: v_dual_mov_b32 v29, 0
	;; [unrolled: 1-line block ×3, first 2 shown]
	s_wait_dscnt 0x0
	v_dual_mov_b32 v33, 0 :: v_dual_mov_b32 v32, 0
	s_and_saveexec_b32 s67, s5
	s_cbranch_execz .LBB326_60
; %bb.45:                               ;   in Loop: Header=BB326_16 Depth=2
	s_and_not1_b32 vcc_lo, exec_lo, s58
	s_wait_alu 0xfffe
	s_cbranch_vccnz .LBB326_59
; %bb.46:                               ;   in Loop: Header=BB326_16 Depth=2
	v_mov_b32_e32 v26, v0
	s_mov_b32 s7, 0
	s_mov_b32 s8, s56
.LBB326_47:                             ;   Parent Loop BB326_3 Depth=1
                                        ;     Parent Loop BB326_16 Depth=2
                                        ; =>    This Inner Loop Header: Depth=3
	s_delay_alu instid0(VALU_DEP_1) | instskip(SKIP_2) | instid1(VALU_DEP_1)
	v_ashrrev_i32_e32 v27, 31, v26
	s_wait_alu 0xfffe
	s_add_co_i32 s8, s8, -1
	v_lshlrev_b64_e32 v[27:28], 3, v[26:27]
	v_add_nc_u32_e32 v26, s53, v26
	s_delay_alu instid0(VALU_DEP_2) | instskip(SKIP_1) | instid1(VALU_DEP_3)
	v_add_co_u32 v27, vcc_lo, v14, v27
	s_wait_alu 0xfffd
	v_add_co_ci_u32_e64 v28, null, v15, v28, vcc_lo
	flat_load_b64 v[27:28], v[27:28]
	s_wait_loadcnt_dscnt 0x0
	scratch_store_b64 off, v[27:28], s7
	s_add_co_i32 s7, s7, 8
	s_wait_alu 0xfffe
	s_cmp_eq_u32 s8, 0
	s_cbranch_scc0 .LBB326_47
; %bb.48:                               ;   in Loop: Header=BB326_16 Depth=2
	s_ashr_i32 s7, s6, 31
	v_dual_mov_b32 v32, 0 :: v_dual_mov_b32 v33, 0
	s_wait_alu 0xfffe
	s_lshl_b64 s[8:9], s[6:7], 3
	v_dual_mov_b32 v31, 0 :: v_dual_mov_b32 v30, 0
	s_wait_alu 0xfffe
	v_add_co_u32 v26, vcc_lo, v45, s8
	s_wait_alu 0xfffd
	v_add_co_ci_u32_e64 v27, null, s9, v46, vcc_lo
	v_dual_mov_b32 v29, 0 :: v_dual_mov_b32 v28, 0
	v_dual_mov_b32 v48, 0 :: v_dual_mov_b32 v47, 0
	s_mov_b32 s7, s61
	s_mov_b32 s8, s64
	;; [unrolled: 1-line block ×5, first 2 shown]
.LBB326_49:                             ;   Parent Loop BB326_3 Depth=1
                                        ;     Parent Loop BB326_16 Depth=2
                                        ; =>    This Inner Loop Header: Depth=3
	s_ashr_i32 s51, s50, 31
	s_wait_alu 0xfffe
	s_ashr_i32 s49, s48, 31
	s_lshl_b64 s[70:71], s[50:51], 3
	scratch_load_b64 v[49:50], off, s7 offset:-4
	flat_load_b64 v[51:52], v[26:27] offset:-4
	s_ashr_i32 s9, s8, 31
	s_wait_alu 0xfffe
	s_lshl_b64 s[72:73], s[48:49], 3
	v_add_co_u32 v53, vcc_lo, v39, s70
	s_lshl_b64 s[74:75], s[8:9], 3
	s_wait_alu 0xfffd
	v_add_co_ci_u32_e64 v54, null, s71, v40, vcc_lo
	s_wait_alu 0xfffe
	v_add_co_u32 v55, vcc_lo, v39, s72
	s_wait_alu 0xfffd
	v_add_co_ci_u32_e64 v56, null, s73, v40, vcc_lo
	v_add_co_u32 v57, vcc_lo, v39, s74
	s_wait_alu 0xfffd
	v_add_co_ci_u32_e64 v58, null, s75, v40, vcc_lo
	s_clause 0x2
	flat_load_b64 v[53:54], v[53:54]
	flat_load_b64 v[55:56], v[55:56]
	;; [unrolled: 1-line block ×3, first 2 shown]
	v_add_co_u32 v26, vcc_lo, v26, 8
	s_wait_alu 0xfffd
	v_add_co_ci_u32_e64 v27, null, 0, v27, vcc_lo
	s_add_co_i32 s68, s68, -1
	s_add_co_i32 s7, s7, 8
	s_add_co_i32 s50, s50, 1
	;; [unrolled: 1-line block ×4, first 2 shown]
	s_cmp_lg_u32 s68, 0
	s_wait_loadcnt_dscnt 0x303
	v_mul_f32_e32 v5, v50, v52
	s_delay_alu instid0(VALU_DEP_1) | instskip(NEXT) | instid1(VALU_DEP_1)
	v_fmac_f32_e32 v5, v49, v51
	v_dual_mul_f32 v52, v49, v52 :: v_dual_add_f32 v47, v47, v5
	s_delay_alu instid0(VALU_DEP_1)
	v_fma_f32 v51, v50, v51, -v52
	s_wait_loadcnt_dscnt 0x202
	v_mul_f32_e32 v52, v50, v54
	s_wait_loadcnt_dscnt 0x101
	v_dual_mul_f32 v54, v49, v54 :: v_dual_mul_f32 v59, v50, v56
	v_mul_f32_e32 v56, v49, v56
	s_wait_loadcnt_dscnt 0x0
	v_mul_f32_e32 v60, v50, v58
	v_mul_f32_e32 v58, v49, v58
	v_fmac_f32_e32 v52, v49, v53
	v_fma_f32 v5, v50, v53, -v54
	v_add_f32_e32 v48, v48, v51
	v_fmac_f32_e32 v59, v49, v55
	v_fma_f32 v51, v50, v55, -v56
	v_fmac_f32_e32 v60, v49, v57
	v_fma_f32 v49, v50, v57, -v58
	v_dual_add_f32 v28, v28, v52 :: v_dual_add_f32 v29, v29, v5
	s_delay_alu instid0(VALU_DEP_3) | instskip(NEXT) | instid1(VALU_DEP_3)
	v_dual_add_f32 v30, v30, v59 :: v_dual_add_f32 v33, v33, v60
	v_dual_add_f32 v31, v31, v51 :: v_dual_add_f32 v32, v32, v49
	s_cbranch_scc1 .LBB326_49
	s_branch .LBB326_60
.LBB326_50:                             ;   in Loop: Header=BB326_16 Depth=2
	ds_load_b64 v[26:27], v34
	s_wait_alu 0xfffe
	s_or_b32 exec_lo, exec_lo, s7
	s_and_saveexec_b32 s7, s1
	s_cbranch_execz .LBB326_24
.LBB326_51:                             ;   in Loop: Header=BB326_16 Depth=2
	s_wait_dscnt 0x0
	ds_bpermute_b32 v5, v42, v26
	ds_bpermute_b32 v47, v42, v27
	s_wait_dscnt 0x0
	v_dual_add_f32 v5, v26, v5 :: v_dual_add_f32 v26, v27, v47
	ds_bpermute_b32 v27, v43, v5
	ds_bpermute_b32 v47, v43, v26
	s_wait_dscnt 0x1
	v_add_f32_e32 v5, v5, v27
	s_wait_dscnt 0x0
	v_add_f32_e32 v27, v26, v47
	ds_bpermute_b32 v26, v44, v5
	s_wait_dscnt 0x0
	v_add_f32_e32 v26, v5, v26
	ds_bpermute_b32 v47, v44, v27
	s_wait_dscnt 0x0
	v_add_f32_e32 v27, v27, v47
	s_wait_alu 0xfffe
	s_or_b32 exec_lo, exec_lo, s7
	s_and_saveexec_b32 s7, s1
	s_cbranch_execnz .LBB326_25
	s_branch .LBB326_26
.LBB326_52:                             ;   in Loop: Header=BB326_16 Depth=2
	ds_load_b64 v[28:29], v34
	s_wait_alu 0xfffe
	s_or_b32 exec_lo, exec_lo, s7
	s_and_saveexec_b32 s7, s1
	s_cbranch_execz .LBB326_30
.LBB326_53:                             ;   in Loop: Header=BB326_16 Depth=2
	s_wait_dscnt 0x0
	ds_bpermute_b32 v5, v42, v28
	ds_bpermute_b32 v47, v42, v29
	s_wait_dscnt 0x0
	v_dual_add_f32 v5, v28, v5 :: v_dual_add_f32 v28, v29, v47
	ds_bpermute_b32 v29, v43, v5
	ds_bpermute_b32 v47, v43, v28
	s_wait_dscnt 0x1
	v_add_f32_e32 v5, v5, v29
	s_wait_dscnt 0x0
	v_add_f32_e32 v29, v28, v47
	ds_bpermute_b32 v28, v44, v5
	s_wait_dscnt 0x0
	v_add_f32_e32 v28, v5, v28
	ds_bpermute_b32 v47, v44, v29
	s_wait_dscnt 0x0
	v_add_f32_e32 v29, v29, v47
	s_wait_alu 0xfffe
	s_or_b32 exec_lo, exec_lo, s7
	s_and_saveexec_b32 s7, s1
	s_cbranch_execnz .LBB326_31
	s_branch .LBB326_32
.LBB326_54:                             ;   in Loop: Header=BB326_16 Depth=2
	ds_load_b64 v[30:31], v34
	s_wait_alu 0xfffe
	s_or_b32 exec_lo, exec_lo, s7
	s_and_saveexec_b32 s7, s1
	s_cbranch_execz .LBB326_36
.LBB326_55:                             ;   in Loop: Header=BB326_16 Depth=2
	s_wait_dscnt 0x0
	ds_bpermute_b32 v5, v42, v30
	ds_bpermute_b32 v47, v42, v31
	s_wait_dscnt 0x0
	v_dual_add_f32 v5, v30, v5 :: v_dual_add_f32 v30, v31, v47
	ds_bpermute_b32 v31, v43, v5
	ds_bpermute_b32 v47, v43, v30
	s_wait_dscnt 0x1
	v_add_f32_e32 v5, v5, v31
	s_wait_dscnt 0x0
	v_add_f32_e32 v31, v30, v47
	ds_bpermute_b32 v30, v44, v5
	s_wait_dscnt 0x0
	v_add_f32_e32 v30, v5, v30
	ds_bpermute_b32 v47, v44, v31
	s_wait_dscnt 0x0
	v_add_f32_e32 v31, v31, v47
	s_wait_alu 0xfffe
	s_or_b32 exec_lo, exec_lo, s7
	s_and_saveexec_b32 s7, s1
	s_cbranch_execnz .LBB326_37
	s_branch .LBB326_38
.LBB326_56:                             ;   in Loop: Header=BB326_16 Depth=2
	ds_load_b64 v[32:33], v34
	s_wait_alu 0xfffe
	s_or_b32 exec_lo, exec_lo, s7
	s_and_saveexec_b32 s7, s1
	s_cbranch_execz .LBB326_42
.LBB326_57:                             ;   in Loop: Header=BB326_16 Depth=2
	s_wait_dscnt 0x0
	ds_bpermute_b32 v5, v42, v32
	ds_bpermute_b32 v47, v42, v33
	s_wait_dscnt 0x0
	v_dual_add_f32 v5, v32, v5 :: v_dual_add_f32 v32, v33, v47
	ds_bpermute_b32 v33, v43, v5
	ds_bpermute_b32 v47, v43, v32
	s_wait_dscnt 0x1
	v_add_f32_e32 v5, v5, v33
	s_wait_dscnt 0x0
	v_add_f32_e32 v33, v32, v47
	ds_bpermute_b32 v32, v44, v5
	s_wait_dscnt 0x0
	v_add_f32_e32 v32, v5, v32
	ds_bpermute_b32 v47, v44, v33
	s_wait_dscnt 0x0
	v_add_f32_e32 v33, v33, v47
	s_wait_alu 0xfffe
	s_or_b32 exec_lo, exec_lo, s7
	s_and_saveexec_b32 s7, s0
	s_cbranch_execz .LBB326_15
.LBB326_58:                             ;   in Loop: Header=BB326_16 Depth=2
	v_dual_mul_f32 v48, s62, v27 :: v_dual_mul_f32 v49, s63, v29
	v_mul_f32_e32 v5, s63, v27
	s_mul_i32 s8, s11, s28
	v_mul_f32_e32 v27, s62, v29
	s_wait_alu 0xfffe
	s_add_co_i32 s34, s8, s24
	v_fmac_f32_e32 v48, s63, v26
	v_fma_f32 v47, v26, s62, -v5
	s_lshl_b64 s[8:9], s[34:35], 3
	s_add_co_i32 s34, s34, s28
	v_fma_f32 v26, v28, s62, -v49
	v_fmac_f32_e32 v27, s63, v28
	v_mul_f32_e32 v5, s63, v31
	s_lshl_b64 s[48:49], s[34:35], 3
	s_wait_alu 0xfffe
	s_add_nc_u64 s[8:9], s[46:47], s[8:9]
	s_add_nc_u64 s[48:49], s[46:47], s[48:49]
	s_clause 0x1
	global_store_b64 v4, v[47:48], s[8:9]
	global_store_b64 v4, v[26:27], s[48:49]
	v_mul_f32_e32 v27, s62, v31
	v_fma_f32 v26, v30, s62, -v5
	s_wait_dscnt 0x0
	v_mul_f32_e32 v5, s63, v33
	v_mul_f32_e32 v29, s62, v33
	s_add_co_i32 s34, s34, s28
	v_fmac_f32_e32 v27, s63, v30
	s_lshl_b64 s[8:9], s[34:35], 3
	s_add_co_i32 s34, s34, s28
	v_fma_f32 v28, v32, s62, -v5
	v_fmac_f32_e32 v29, s63, v32
	s_lshl_b64 s[48:49], s[34:35], 3
	s_wait_alu 0xfffe
	s_add_nc_u64 s[8:9], s[46:47], s[8:9]
	s_add_nc_u64 s[48:49], s[46:47], s[48:49]
	s_clause 0x1
	global_store_b64 v4, v[26:27], s[8:9]
	global_store_b64 v4, v[28:29], s[48:49]
	s_branch .LBB326_15
.LBB326_59:                             ;   in Loop: Header=BB326_16 Depth=2
	v_dual_mov_b32 v47, 0 :: v_dual_mov_b32 v48, 0
	v_dual_mov_b32 v28, 0 :: v_dual_mov_b32 v29, 0
	;; [unrolled: 1-line block ×4, first 2 shown]
.LBB326_60:                             ;   in Loop: Header=BB326_16 Depth=2
	s_or_b32 exec_lo, exec_lo, s67
	s_delay_alu instid0(SALU_CYCLE_1)
	s_or_b32 exec_lo, exec_lo, s34
	s_and_saveexec_b32 s7, s1
	s_cbranch_execnz .LBB326_19
	s_branch .LBB326_20
.LBB326_61:                             ;   in Loop: Header=BB326_3 Depth=1
	s_mov_b32 s11, 0
.LBB326_62:                             ;   in Loop: Header=BB326_3 Depth=1
	s_delay_alu instid0(SALU_CYCLE_1)
	s_cmp_ge_i32 s11, s27
	s_cbranch_scc1 .LBB326_2
; %bb.63:                               ;   in Loop: Header=BB326_3 Depth=1
	v_cmp_gt_u32_e32 vcc_lo, 24, v38
	s_wait_alu 0xfffe
	s_add_nc_u64 s[6:7], s[46:47], s[38:39]
	s_mul_i32 s8, s52, s11
	s_mov_b32 s34, s11
	s_wait_alu 0xfffd
	v_cndmask_b32_e64 v5, 0, 8, vcc_lo
	v_cmp_gt_u32_e32 vcc_lo, 28, v38
	s_delay_alu instid0(VALU_DEP_2) | instskip(SKIP_3) | instid1(VALU_DEP_2)
	v_add_lshl_u32 v26, v5, v38, 2
	s_wait_alu 0xfffd
	v_cndmask_b32_e64 v18, 0, 4, vcc_lo
	v_cmp_gt_u32_e32 vcc_lo, 30, v38
	v_add_lshl_u32 v27, v18, v38, 2
	s_wait_alu 0xfffd
	v_cndmask_b32_e64 v19, 0, 2, vcc_lo
	v_cmp_ne_u32_e32 vcc_lo, 31, v38
	s_delay_alu instid0(VALU_DEP_2)
	v_add_lshl_u32 v28, v19, v38, 2
	s_wait_alu 0xfffd
	v_add_co_ci_u32_e64 v20, null, 0, v38, vcc_lo
	v_add_co_u32 v18, vcc_lo, v14, v6
	s_wait_alu 0xfffd
	v_add_co_ci_u32_e64 v19, null, v15, v7, vcc_lo
	s_delay_alu instid0(VALU_DEP_3)
	v_lshlrev_b32_e32 v29, 2, v20
	v_add_co_u32 v20, vcc_lo, v14, v8
	s_wait_alu 0xfffd
	v_add_co_ci_u32_e64 v21, null, v15, v9, vcc_lo
	v_add_co_u32 v22, vcc_lo, v14, v10
	s_wait_alu 0xfffd
	v_add_co_ci_u32_e64 v23, null, v15, v11, vcc_lo
	;; [unrolled: 3-line block ×4, first 2 shown]
	s_branch .LBB326_65
.LBB326_64:                             ;   in Loop: Header=BB326_65 Depth=2
	s_wait_alu 0xfffe
	s_or_b32 exec_lo, exec_lo, s9
	s_add_co_i32 s34, s34, 1
	s_add_co_i32 s8, s8, s52
	s_cmp_lt_i32 s34, s27
	s_cbranch_scc0 .LBB326_2
.LBB326_65:                             ;   Parent Loop BB326_3 Depth=1
                                        ; =>  This Loop Header: Depth=2
                                        ;       Child Loop BB326_77 Depth 3
                                        ;       Child Loop BB326_79 Depth 3
                                        ; implicit-def: $vgpr32
                                        ; implicit-def: $vgpr33
	s_and_saveexec_b32 s9, s4
	s_wait_alu 0xfffe
	s_xor_b32 s9, exec_lo, s9
	s_cbranch_execnz .LBB326_74
; %bb.66:                               ;   in Loop: Header=BB326_65 Depth=2
	s_wait_alu 0xfffe
	s_and_not1_saveexec_b32 s11, s9
	s_cbranch_execnz .LBB326_75
.LBB326_67:                             ;   in Loop: Header=BB326_65 Depth=2
	s_or_b32 exec_lo, exec_lo, s11
	s_and_saveexec_b32 s9, s1
.LBB326_68:                             ;   in Loop: Header=BB326_65 Depth=2
	v_mov_b32_e32 v5, v4
	ds_store_b64 v34, v[4:5]
.LBB326_69:                             ;   in Loop: Header=BB326_65 Depth=2
	s_wait_alu 0xfffe
	s_or_b32 exec_lo, exec_lo, s9
	s_wait_dscnt 0x0
	ds_bpermute_b32 v5, v1, v32
	ds_bpermute_b32 v16, v1, v33
	s_wait_storecnt 0x0
	s_wait_loadcnt_dscnt 0x0
	s_barrier_signal -1
	s_barrier_wait -1
	global_inv scope:SCOPE_SE
	v_dual_add_f32 v5, v32, v5 :: v_dual_add_f32 v16, v33, v16
	ds_bpermute_b32 v17, v26, v5
	ds_bpermute_b32 v32, v26, v16
	s_wait_dscnt 0x0
	v_dual_add_f32 v5, v5, v17 :: v_dual_add_f32 v16, v16, v32
	ds_bpermute_b32 v17, v27, v5
	ds_bpermute_b32 v32, v27, v16
	s_wait_dscnt 0x0
	;; [unrolled: 4-line block ×3, first 2 shown]
	v_dual_add_f32 v5, v5, v17 :: v_dual_add_f32 v16, v16, v32
	ds_bpermute_b32 v17, v29, v5
	ds_bpermute_b32 v32, v29, v16
	s_and_saveexec_b32 s9, s3
	s_cbranch_execz .LBB326_71
; %bb.70:                               ;   in Loop: Header=BB326_65 Depth=2
	s_wait_dscnt 0x0
	v_dual_add_f32 v33, v16, v32 :: v_dual_add_f32 v32, v5, v17
	ds_store_b64 v35, v[32:33]
.LBB326_71:                             ;   in Loop: Header=BB326_65 Depth=2
	s_wait_alu 0xfffe
	s_or_b32 exec_lo, exec_lo, s9
	s_wait_dscnt 0x1
	v_dual_mov_b32 v17, 0 :: v_dual_mov_b32 v16, 0
	s_wait_loadcnt_dscnt 0x0
	s_barrier_signal -1
	s_barrier_wait -1
	global_inv scope:SCOPE_SE
	s_and_saveexec_b32 s9, s2
	s_cbranch_execnz .LBB326_81
; %bb.72:                               ;   in Loop: Header=BB326_65 Depth=2
	s_wait_alu 0xfffe
	s_or_b32 exec_lo, exec_lo, s9
	s_and_saveexec_b32 s9, s1
	s_cbranch_execnz .LBB326_82
.LBB326_73:                             ;   in Loop: Header=BB326_65 Depth=2
	s_wait_alu 0xfffe
	s_or_b32 exec_lo, exec_lo, s9
	s_and_saveexec_b32 s9, s0
	s_cbranch_execz .LBB326_64
	s_branch .LBB326_83
.LBB326_74:                             ;   in Loop: Header=BB326_65 Depth=2
	s_mul_i32 s46, s34, s52
	s_wait_alu 0xfffe
	s_ashr_i32 s47, s46, 31
	s_wait_alu 0xfffe
	s_lshl_b64 s[46:47], s[46:47], 3
	s_wait_dscnt 0x0
	s_wait_alu 0xfffe
	v_add_co_u32 v16, vcc_lo, v39, s46
	s_wait_alu 0xfffd
	v_add_co_ci_u32_e64 v17, null, s47, v40, vcc_lo
	flat_load_b128 v[41:44], v[16:17]
	s_clause 0x1
	flat_load_b64 v[45:46], v[18:19]
	flat_load_b64 v[47:48], v[20:21]
	flat_load_b128 v[49:52], v[16:17] offset:16
	s_clause 0x1
	flat_load_b64 v[53:54], v[22:23]
	flat_load_b64 v[55:56], v[24:25]
	s_wait_loadcnt_dscnt 0x303
	scratch_store_b128 off, v[45:48], off
	s_wait_loadcnt_dscnt 0x0
	scratch_store_b128 off, v[53:56], off offset:16
	v_dual_mul_f32 v16, v42, v45 :: v_dual_mul_f32 v17, v44, v48
	v_dual_mul_f32 v5, v42, v46 :: v_dual_mul_f32 v32, v44, v47
	v_mul_f32_e32 v42, v50, v53
	s_delay_alu instid0(VALU_DEP_3) | instskip(SKIP_1) | instid1(VALU_DEP_4)
	v_fma_f32 v16, v41, v46, -v16
	v_mul_f32_e32 v33, v50, v54
	v_fma_f32 v32, v43, v48, -v32
	s_delay_alu instid0(VALU_DEP_3) | instskip(SKIP_2) | instid1(VALU_DEP_3)
	v_dual_add_f32 v16, 0, v16 :: v_dual_fmac_f32 v5, v41, v45
	v_mul_f32_e32 v41, v52, v56
	v_fma_f32 v42, v49, v54, -v42
	v_dual_fmac_f32 v33, v49, v53 :: v_dual_add_f32 v16, v16, v32
	v_fmac_f32_e32 v17, v43, v47
	v_add_f32_e32 v5, 0, v5
	s_delay_alu instid0(VALU_DEP_3) | instskip(NEXT) | instid1(VALU_DEP_2)
	v_dual_fmac_f32 v41, v51, v55 :: v_dual_add_f32 v16, v16, v42
	v_add_f32_e32 v5, v5, v17
	s_delay_alu instid0(VALU_DEP_1) | instskip(NEXT) | instid1(VALU_DEP_1)
	v_add_f32_e32 v5, v5, v33
	v_dual_mul_f32 v43, v52, v55 :: v_dual_add_f32 v32, v5, v41
	s_delay_alu instid0(VALU_DEP_1) | instskip(NEXT) | instid1(VALU_DEP_1)
	v_fma_f32 v17, v51, v56, -v43
	v_add_f32_e32 v33, v16, v17
	s_and_not1_saveexec_b32 s11, s9
	s_cbranch_execz .LBB326_67
.LBB326_75:                             ;   in Loop: Header=BB326_65 Depth=2
	s_wait_dscnt 0x0
	v_dual_mov_b32 v32, 0 :: v_dual_mov_b32 v33, 0
	s_and_saveexec_b32 s46, s25
	s_cbranch_execz .LBB326_80
; %bb.76:                               ;   in Loop: Header=BB326_65 Depth=2
	v_mov_b32_e32 v16, v0
	s_mov_b32 s9, 0
	s_mov_b32 s47, s56
.LBB326_77:                             ;   Parent Loop BB326_3 Depth=1
                                        ;     Parent Loop BB326_65 Depth=2
                                        ; =>    This Inner Loop Header: Depth=3
	s_delay_alu instid0(VALU_DEP_1) | instskip(SKIP_2) | instid1(VALU_DEP_1)
	v_ashrrev_i32_e32 v17, 31, v16
	s_wait_alu 0xfffe
	s_add_co_i32 s47, s47, -1
	v_lshlrev_b64_e32 v[32:33], 3, v[16:17]
	v_add_nc_u32_e32 v16, s53, v16
	s_delay_alu instid0(VALU_DEP_2) | instskip(SKIP_1) | instid1(VALU_DEP_3)
	v_add_co_u32 v32, vcc_lo, v14, v32
	s_wait_alu 0xfffd
	v_add_co_ci_u32_e64 v33, null, v15, v33, vcc_lo
	flat_load_b64 v[32:33], v[32:33]
	s_wait_loadcnt_dscnt 0x0
	scratch_store_b64 off, v[32:33], s9
	s_add_co_i32 s9, s9, 8
	s_wait_alu 0xfffe
	s_cmp_eq_u32 s47, 0
	s_cbranch_scc0 .LBB326_77
; %bb.78:                               ;   in Loop: Header=BB326_65 Depth=2
	s_ashr_i32 s9, s8, 31
	v_dual_mov_b32 v32, 0 :: v_dual_mov_b32 v33, 0
	s_wait_alu 0xfffe
	s_lshl_b64 s[48:49], s[8:9], 3
	s_mov_b32 s9, s61
	s_wait_alu 0xfffe
	v_add_co_u32 v16, vcc_lo, v30, s48
	s_wait_alu 0xfffd
	v_add_co_ci_u32_e64 v17, null, s49, v31, vcc_lo
	s_mov_b32 s47, s56
.LBB326_79:                             ;   Parent Loop BB326_3 Depth=1
                                        ;     Parent Loop BB326_65 Depth=2
                                        ; =>    This Inner Loop Header: Depth=3
	flat_load_b64 v[41:42], v[16:17] offset:-4
	scratch_load_b64 v[43:44], off, s9 offset:-4
	v_add_co_u32 v16, vcc_lo, v16, 8
	s_wait_alu 0xfffd
	v_add_co_ci_u32_e64 v17, null, 0, v17, vcc_lo
	s_wait_alu 0xfffe
	s_add_co_i32 s47, s47, -1
	s_add_co_i32 s9, s9, 8
	s_wait_alu 0xfffe
	s_cmp_lg_u32 s47, 0
	s_wait_loadcnt_dscnt 0x0
	v_mul_f32_e32 v5, v42, v44
	v_mul_f32_e32 v42, v42, v43
	s_delay_alu instid0(VALU_DEP_2) | instskip(NEXT) | instid1(VALU_DEP_2)
	v_fmac_f32_e32 v5, v41, v43
	v_fma_f32 v41, v41, v44, -v42
	s_delay_alu instid0(VALU_DEP_2) | instskip(NEXT) | instid1(VALU_DEP_2)
	v_add_f32_e32 v32, v32, v5
	v_add_f32_e32 v33, v33, v41
	s_cbranch_scc1 .LBB326_79
.LBB326_80:                             ;   in Loop: Header=BB326_65 Depth=2
	s_wait_alu 0xfffe
	s_or_b32 exec_lo, exec_lo, s46
	s_delay_alu instid0(SALU_CYCLE_1)
	s_or_b32 exec_lo, exec_lo, s11
	s_and_saveexec_b32 s9, s1
	s_cbranch_execnz .LBB326_68
	s_branch .LBB326_69
.LBB326_81:                             ;   in Loop: Header=BB326_65 Depth=2
	ds_load_b64 v[16:17], v34
	s_wait_alu 0xfffe
	s_or_b32 exec_lo, exec_lo, s9
	s_and_saveexec_b32 s9, s1
	s_cbranch_execz .LBB326_73
.LBB326_82:                             ;   in Loop: Header=BB326_65 Depth=2
	s_wait_dscnt 0x0
	ds_bpermute_b32 v5, v27, v16
	ds_bpermute_b32 v32, v27, v17
	s_wait_dscnt 0x0
	v_dual_add_f32 v5, v16, v5 :: v_dual_add_f32 v16, v17, v32
	ds_bpermute_b32 v17, v28, v5
	ds_bpermute_b32 v32, v28, v16
	s_wait_dscnt 0x1
	v_add_f32_e32 v5, v5, v17
	s_wait_dscnt 0x0
	v_add_f32_e32 v17, v16, v32
	ds_bpermute_b32 v16, v29, v5
	ds_bpermute_b32 v32, v29, v17
	s_wait_dscnt 0x1
	v_add_f32_e32 v16, v5, v16
	s_wait_dscnt 0x0
	v_add_f32_e32 v17, v17, v32
	s_wait_alu 0xfffe
	s_or_b32 exec_lo, exec_lo, s9
	s_and_saveexec_b32 s9, s0
	s_cbranch_execz .LBB326_64
.LBB326_83:                             ;   in Loop: Header=BB326_65 Depth=2
	s_wait_dscnt 0x0
	v_mul_f32_e32 v5, s63, v17
	v_mul_f32_e32 v33, s62, v17
	s_mul_u64 s[46:47], s[34:35], s[28:29]
	s_wait_alu 0xfffe
	s_lshl_b64 s[46:47], s[46:47], 3
	v_fma_f32 v32, v16, s62, -v5
	v_fmac_f32_e32 v33, s63, v16
	s_wait_alu 0xfffe
	s_add_nc_u64 s[46:47], s[6:7], s[46:47]
	global_store_b64 v4, v[32:33], s[46:47]
	s_branch .LBB326_64
.LBB326_84:
	s_endpgm
	.section	.rodata,"a",@progbits
	.p2align	6, 0x0
	.amdhsa_kernel _ZL23rocblas_gemvt_sn_kernelILb1ELi256ELi4EiPK19rocblas_complex_numIfES3_S1_EviiT4_lPKT3_lilS7_lilPT5_i
		.amdhsa_group_segment_fixed_size 256
		.amdhsa_private_segment_fixed_size 48
		.amdhsa_kernarg_size 360
		.amdhsa_user_sgpr_count 2
		.amdhsa_user_sgpr_dispatch_ptr 0
		.amdhsa_user_sgpr_queue_ptr 0
		.amdhsa_user_sgpr_kernarg_segment_ptr 1
		.amdhsa_user_sgpr_dispatch_id 0
		.amdhsa_user_sgpr_private_segment_size 0
		.amdhsa_wavefront_size32 1
		.amdhsa_uses_dynamic_stack 0
		.amdhsa_enable_private_segment 1
		.amdhsa_system_sgpr_workgroup_id_x 1
		.amdhsa_system_sgpr_workgroup_id_y 0
		.amdhsa_system_sgpr_workgroup_id_z 1
		.amdhsa_system_sgpr_workgroup_info 0
		.amdhsa_system_vgpr_workitem_id 0
		.amdhsa_next_free_vgpr 90
		.amdhsa_next_free_sgpr 76
		.amdhsa_reserve_vcc 1
		.amdhsa_float_round_mode_32 0
		.amdhsa_float_round_mode_16_64 0
		.amdhsa_float_denorm_mode_32 3
		.amdhsa_float_denorm_mode_16_64 3
		.amdhsa_fp16_overflow 0
		.amdhsa_workgroup_processor_mode 1
		.amdhsa_memory_ordered 1
		.amdhsa_forward_progress 1
		.amdhsa_inst_pref_size 47
		.amdhsa_round_robin_scheduling 0
		.amdhsa_exception_fp_ieee_invalid_op 0
		.amdhsa_exception_fp_denorm_src 0
		.amdhsa_exception_fp_ieee_div_zero 0
		.amdhsa_exception_fp_ieee_overflow 0
		.amdhsa_exception_fp_ieee_underflow 0
		.amdhsa_exception_fp_ieee_inexact 0
		.amdhsa_exception_int_div_zero 0
	.end_amdhsa_kernel
	.section	.text._ZL23rocblas_gemvt_sn_kernelILb1ELi256ELi4EiPK19rocblas_complex_numIfES3_S1_EviiT4_lPKT3_lilS7_lilPT5_i,"axG",@progbits,_ZL23rocblas_gemvt_sn_kernelILb1ELi256ELi4EiPK19rocblas_complex_numIfES3_S1_EviiT4_lPKT3_lilS7_lilPT5_i,comdat
.Lfunc_end326:
	.size	_ZL23rocblas_gemvt_sn_kernelILb1ELi256ELi4EiPK19rocblas_complex_numIfES3_S1_EviiT4_lPKT3_lilS7_lilPT5_i, .Lfunc_end326-_ZL23rocblas_gemvt_sn_kernelILb1ELi256ELi4EiPK19rocblas_complex_numIfES3_S1_EviiT4_lPKT3_lilS7_lilPT5_i
                                        ; -- End function
	.set _ZL23rocblas_gemvt_sn_kernelILb1ELi256ELi4EiPK19rocblas_complex_numIfES3_S1_EviiT4_lPKT3_lilS7_lilPT5_i.num_vgpr, 90
	.set _ZL23rocblas_gemvt_sn_kernelILb1ELi256ELi4EiPK19rocblas_complex_numIfES3_S1_EviiT4_lPKT3_lilS7_lilPT5_i.num_agpr, 0
	.set _ZL23rocblas_gemvt_sn_kernelILb1ELi256ELi4EiPK19rocblas_complex_numIfES3_S1_EviiT4_lPKT3_lilS7_lilPT5_i.numbered_sgpr, 76
	.set _ZL23rocblas_gemvt_sn_kernelILb1ELi256ELi4EiPK19rocblas_complex_numIfES3_S1_EviiT4_lPKT3_lilS7_lilPT5_i.num_named_barrier, 0
	.set _ZL23rocblas_gemvt_sn_kernelILb1ELi256ELi4EiPK19rocblas_complex_numIfES3_S1_EviiT4_lPKT3_lilS7_lilPT5_i.private_seg_size, 48
	.set _ZL23rocblas_gemvt_sn_kernelILb1ELi256ELi4EiPK19rocblas_complex_numIfES3_S1_EviiT4_lPKT3_lilS7_lilPT5_i.uses_vcc, 1
	.set _ZL23rocblas_gemvt_sn_kernelILb1ELi256ELi4EiPK19rocblas_complex_numIfES3_S1_EviiT4_lPKT3_lilS7_lilPT5_i.uses_flat_scratch, 1
	.set _ZL23rocblas_gemvt_sn_kernelILb1ELi256ELi4EiPK19rocblas_complex_numIfES3_S1_EviiT4_lPKT3_lilS7_lilPT5_i.has_dyn_sized_stack, 0
	.set _ZL23rocblas_gemvt_sn_kernelILb1ELi256ELi4EiPK19rocblas_complex_numIfES3_S1_EviiT4_lPKT3_lilS7_lilPT5_i.has_recursion, 0
	.set _ZL23rocblas_gemvt_sn_kernelILb1ELi256ELi4EiPK19rocblas_complex_numIfES3_S1_EviiT4_lPKT3_lilS7_lilPT5_i.has_indirect_call, 0
	.section	.AMDGPU.csdata,"",@progbits
; Kernel info:
; codeLenInByte = 5928
; TotalNumSgprs: 78
; NumVgprs: 90
; ScratchSize: 48
; MemoryBound: 0
; FloatMode: 240
; IeeeMode: 1
; LDSByteSize: 256 bytes/workgroup (compile time only)
; SGPRBlocks: 0
; VGPRBlocks: 11
; NumSGPRsForWavesPerEU: 78
; NumVGPRsForWavesPerEU: 90
; Occupancy: 16
; WaveLimiterHint : 0
; COMPUTE_PGM_RSRC2:SCRATCH_EN: 1
; COMPUTE_PGM_RSRC2:USER_SGPR: 2
; COMPUTE_PGM_RSRC2:TRAP_HANDLER: 0
; COMPUTE_PGM_RSRC2:TGID_X_EN: 1
; COMPUTE_PGM_RSRC2:TGID_Y_EN: 0
; COMPUTE_PGM_RSRC2:TGID_Z_EN: 1
; COMPUTE_PGM_RSRC2:TIDIG_COMP_CNT: 0
	.section	.text._ZL23rocblas_gemvt_sn_kernelILb1ELi256ELi4ElPK19rocblas_complex_numIfES3_S1_EviiT4_lPKT3_lilS7_lilPT5_i,"axG",@progbits,_ZL23rocblas_gemvt_sn_kernelILb1ELi256ELi4ElPK19rocblas_complex_numIfES3_S1_EviiT4_lPKT3_lilS7_lilPT5_i,comdat
	.globl	_ZL23rocblas_gemvt_sn_kernelILb1ELi256ELi4ElPK19rocblas_complex_numIfES3_S1_EviiT4_lPKT3_lilS7_lilPT5_i ; -- Begin function _ZL23rocblas_gemvt_sn_kernelILb1ELi256ELi4ElPK19rocblas_complex_numIfES3_S1_EviiT4_lPKT3_lilS7_lilPT5_i
	.p2align	8
	.type	_ZL23rocblas_gemvt_sn_kernelILb1ELi256ELi4ElPK19rocblas_complex_numIfES3_S1_EviiT4_lPKT3_lilS7_lilPT5_i,@function
_ZL23rocblas_gemvt_sn_kernelILb1ELi256ELi4ElPK19rocblas_complex_numIfES3_S1_EviiT4_lPKT3_lilS7_lilPT5_i: ; @_ZL23rocblas_gemvt_sn_kernelILb1ELi256ELi4ElPK19rocblas_complex_numIfES3_S1_EviiT4_lPKT3_lilS7_lilPT5_i
; %bb.0:
	s_load_b32 s33, s[0:1], 0x60
	s_lshr_b32 s10, ttmp7, 16
	s_wait_kmcnt 0x0
	s_cmp_ge_u32 s10, s33
	s_cbranch_scc1 .LBB327_84
; %bb.1:
	s_clause 0x6
	s_load_b32 s26, s[0:1], 0x28
	s_load_b32 s6, s[0:1], 0x48
	s_load_b64 s[28:29], s[0:1], 0x0
	s_load_b32 s30, s[0:1], 0x68
	s_load_b256 s[12:19], s[0:1], 0x8
	s_load_b128 s[20:23], s[0:1], 0x38
	s_load_b64 s[34:35], s[0:1], 0x58
	s_mov_b32 s25, 0
	v_cmp_eq_u32_e64 s0, 0, v0
	s_mov_b32 s31, s25
	v_and_b32_e32 v3, 31, v0
	v_cmp_gt_u32_e64 s5, 8, v0
	v_mbcnt_lo_u32_b32 v40, -1, 0
	s_mov_b32 s24, ttmp9
	v_lshlrev_b32_e32 v36, 3, v3
	s_delay_alu instid0(VALU_DEP_2)
	v_lshl_or_b32 v41, v40, 2, 64
	s_wait_kmcnt 0x0
	s_ashr_i32 s27, s26, 31
	s_ashr_i32 s7, s6, 31
	;; [unrolled: 1-line block ×3, first 2 shown]
	s_mov_b32 s2, s29
	s_cmp_gt_i32 s29, 0
	s_mul_u64 s[36:37], s[2:3], s[30:31]
	s_cselect_b32 s1, -1, 0
	s_lshl_b32 s2, ttmp9, 10
	s_ashr_i32 s4, s28, 31
	v_lshl_or_b32 v1, v0, 2, s2
	s_and_b32 s54, s0, s1
	s_lshr_b32 s1, s4, 30
	s_lshr_b32 s3, s3, 30
	s_add_co_i32 s1, s28, s1
	v_add_nc_u32_e32 v4, 4, v1
	s_and_b32 s1, s1, -4
	s_wait_alu 0xfffe
	s_add_co_i32 s2, s29, s3
	s_sub_co_i32 s56, s28, s1
	v_cmp_gt_u32_e64 s3, 32, v0
	v_add_nc_u32_e32 v5, s56, v1
	v_cmp_ge_i32_e64 s1, s28, v4
	v_lshrrev_b32_e32 v4, 2, v0
	v_or_b32_e32 v0, 1, v1
	s_wait_alu 0xfffe
	s_and_b32 s55, s2, -4
	v_cmp_ge_i32_e64 s2, s28, v5
	v_or_b32_e32 v7, 2, v1
	v_ashrrev_i32_e32 v2, 31, v1
	v_mad_co_i64_i32 v[5:6], null, s6, v0, 0
	v_or_b32_e32 v0, 3, v1
	v_cmp_eq_u32_e64 s4, 0, v3
	v_and_b32_e32 v37, 56, v4
	v_mad_co_i64_i32 v[3:4], null, s6, v1, 0
	v_mad_co_i64_i32 v[8:9], null, s6, v7, 0
	;; [unrolled: 1-line block ×3, first 2 shown]
	v_lshlrev_b64_e32 v[0:1], 3, v[1:2]
	s_cmp_gt_i32 s55, 0
	s_delay_alu instid0(VALU_DEP_4)
	v_lshlrev_b64_e32 v[2:3], 3, v[3:4]
	s_cselect_b32 s57, -1, 0
	s_cmp_gt_i32 s56, 0
	v_lshlrev_b64_e32 v[6:7], 3, v[5:6]
	s_cselect_b32 s58, -1, 0
	s_lshl_b64 s[38:39], s[24:25], 3
	v_lshlrev_b64_e32 v[8:9], 3, v[8:9]
	v_lshlrev_b64_e32 v[10:11], 3, v[10:11]
	v_or_b32_e32 v38, 4, v0
	v_dual_mov_b32 v39, v1 :: v_dual_mov_b32 v4, 0
	s_add_nc_u64 s[8:9], s[34:35], s[38:39]
	s_and_b32 s28, s58, s2
	s_add_nc_u64 s[40:41], s[8:9], 4
	s_lshl_b64 s[42:43], s[36:37], 3
	s_lshl_b64 s[44:45], s[30:31], 3
	;; [unrolled: 1-line block ×3, first 2 shown]
	s_or_b32 s59, 0, 4
	s_lshl_b64 s[48:49], s[26:27], 5
	s_lshl_b64 s[50:51], s[26:27], 3
	;; [unrolled: 1-line block ×4, first 2 shown]
	s_branch .LBB327_3
.LBB327_2:                              ;   in Loop: Header=BB327_3 Depth=1
	s_add_co_i32 s10, s10, 0x10000
	s_delay_alu instid0(SALU_CYCLE_1)
	s_cmp_lt_u32 s10, s33
	s_cbranch_scc0 .LBB327_84
.LBB327_3:                              ; =>This Loop Header: Depth=1
                                        ;     Child Loop BB327_11 Depth 2
                                        ;     Child Loop BB327_16 Depth 2
                                        ;       Child Loop BB327_47 Depth 3
                                        ;       Child Loop BB327_49 Depth 3
                                        ;     Child Loop BB327_65 Depth 2
                                        ;       Child Loop BB327_77 Depth 3
                                        ;       Child Loop BB327_79 Depth 3
	s_mov_b32 s11, s25
	v_mov_b32_e32 v14, 0
	s_mul_u64 s[6:7], s[14:15], s[10:11]
	v_dual_mov_b32 v15, 0 :: v_dual_mov_b32 v16, 0
	s_wait_alu 0xfffe
	s_lshl_b64 s[6:7], s[6:7], 3
	v_mov_b32_e32 v17, 0
	s_wait_alu 0xfffe
	s_add_nc_u64 s[6:7], s[12:13], s[6:7]
	global_load_b64 v[12:13], v4, s[6:7]
	s_wait_loadcnt 0x0
	v_readfirstlane_b32 s60, v12
	v_readfirstlane_b32 s61, v13
	s_or_b32 s6, s60, s61
	s_wait_alu 0xfffe
	s_bitset0_b32 s6, 31
	s_wait_alu 0xfffe
	s_cmp_lg_u32 s6, 0
	s_cselect_b32 s7, -1, 0
	s_cmp_eq_u32 s6, 0
	s_cselect_b32 s6, -1, 0
	s_wait_alu 0xfffe
	s_and_b32 vcc_lo, exec_lo, s6
	s_wait_alu 0xfffe
	s_cbranch_vccz .LBB327_7
; %bb.4:                                ;   in Loop: Header=BB327_3 Depth=1
	s_and_not1_b32 vcc_lo, exec_lo, s7
	s_wait_alu 0xfffe
	s_cbranch_vccz .LBB327_8
.LBB327_5:                              ;   in Loop: Header=BB327_3 Depth=1
	s_and_not1_b32 vcc_lo, exec_lo, s6
	s_mov_b32 s6, -1
	s_wait_alu 0xfffe
	s_cbranch_vccz .LBB327_9
.LBB327_6:                              ;   in Loop: Header=BB327_3 Depth=1
	s_wait_alu 0xfffe
	s_and_not1_b32 vcc_lo, exec_lo, s6
	s_wait_alu 0xfffe
	s_cbranch_vccnz .LBB327_2
	s_branch .LBB327_13
.LBB327_7:                              ;   in Loop: Header=BB327_3 Depth=1
	s_lshl_b64 s[8:9], s[10:11], 3
	s_wait_alu 0xfffe
	s_add_nc_u64 s[8:9], s[16:17], s[8:9]
	global_load_b64 v[12:13], v4, s[8:9]
	s_wait_loadcnt 0x0
	v_add_co_u32 v16, vcc_lo, v12, s18
	s_wait_alu 0xfffd
	v_add_co_ci_u32_e64 v17, null, s19, v13, vcc_lo
	s_and_not1_b32 vcc_lo, exec_lo, s7
	s_wait_alu 0xfffe
	s_cbranch_vccnz .LBB327_5
.LBB327_8:                              ;   in Loop: Header=BB327_3 Depth=1
	s_lshl_b64 s[8:9], s[10:11], 3
	s_wait_alu 0xfffe
	s_add_nc_u64 s[8:9], s[20:21], s[8:9]
	global_load_b64 v[12:13], v4, s[8:9]
	s_wait_loadcnt 0x0
	v_add_co_u32 v14, vcc_lo, v12, s22
	s_wait_alu 0xfffd
	v_add_co_ci_u32_e64 v15, null, s23, v13, vcc_lo
	s_and_not1_b32 vcc_lo, exec_lo, s6
	s_mov_b32 s6, -1
	s_wait_alu 0xfffe
	s_cbranch_vccnz .LBB327_6
.LBB327_9:                              ;   in Loop: Header=BB327_3 Depth=1
	s_and_saveexec_b32 s8, s54
	s_cbranch_execz .LBB327_12
; %bb.10:                               ;   in Loop: Header=BB327_3 Depth=1
	s_mul_u64 s[6:7], s[42:43], s[10:11]
	s_mov_b32 s9, s29
	s_wait_alu 0xfffe
	s_add_nc_u64 s[6:7], s[40:41], s[6:7]
.LBB327_11:                             ;   Parent Loop BB327_3 Depth=1
                                        ; =>  This Inner Loop Header: Depth=2
	v_mov_b32_e32 v5, v4
	s_add_co_i32 s9, s9, -1
	s_wait_alu 0xfffe
	s_cmp_eq_u32 s9, 0
	global_store_b64 v4, v[4:5], s[6:7] offset:-4
	s_add_nc_u64 s[6:7], s[6:7], s[44:45]
	s_cbranch_scc0 .LBB327_11
.LBB327_12:                             ;   in Loop: Header=BB327_3 Depth=1
	s_wait_alu 0xfffe
	s_or_b32 exec_lo, exec_lo, s8
	s_cbranch_execnz .LBB327_2
.LBB327_13:                             ;   in Loop: Header=BB327_3 Depth=1
	s_mul_u64 s[6:7], s[36:37], s[10:11]
	v_add_co_u32 v12, vcc_lo, v16, v0
	s_wait_alu 0xfffe
	s_lshl_b64 s[52:53], s[6:7], 3
	s_wait_alu 0xfffd
	v_add_co_ci_u32_e64 v13, null, v17, v1, vcc_lo
	v_cmp_gt_u32_e64 s9, 24, v40
	v_cmp_gt_u32_e64 s8, 28, v40
	;; [unrolled: 1-line block ×3, first 2 shown]
	v_cmp_ne_u32_e64 s6, 31, v40
	s_add_nc_u64 s[52:53], s[34:35], s[52:53]
	s_and_not1_b32 vcc_lo, exec_lo, s57
	s_add_nc_u64 s[52:53], s[52:53], s[38:39]
	s_wait_alu 0xfffe
	s_cbranch_vccnz .LBB327_61
; %bb.14:                               ;   in Loop: Header=BB327_3 Depth=1
	v_cndmask_b32_e64 v18, 0, 4, s8
	v_cndmask_b32_e64 v19, 0, 2, s7
	v_add_co_ci_u32_e64 v20, null, 0, v40, s6
	v_cndmask_b32_e64 v5, 0, 8, s9
	s_delay_alu instid0(VALU_DEP_4)
	v_add_lshl_u32 v43, v18, v40, 2
	v_add_co_u32 v18, vcc_lo, v14, v2
	v_add_lshl_u32 v44, v19, v40, 2
	v_lshlrev_b32_e32 v45, 2, v20
	s_wait_alu 0xfffd
	v_add_co_ci_u32_e64 v19, null, v15, v3, vcc_lo
	v_add_co_u32 v20, vcc_lo, v14, v6
	s_wait_alu 0xfffd
	v_add_co_ci_u32_e64 v21, null, v15, v7, vcc_lo
	v_add_co_u32 v22, vcc_lo, v14, v8
	s_wait_alu 0xfffd
	v_add_co_ci_u32_e64 v23, null, v15, v9, vcc_lo
	s_wait_dscnt 0x0
	v_add_co_u32 v24, vcc_lo, v14, v10
	v_mov_b32_e32 v27, v13
	v_add_lshl_u32 v42, v5, v40, 2
	s_wait_alu 0xfffd
	v_add_co_ci_u32_e64 v25, null, v15, v11, vcc_lo
	v_mov_b32_e32 v26, v12
	s_mov_b32 s24, 0
	s_branch .LBB327_16
.LBB327_15:                             ;   in Loop: Header=BB327_16 Depth=2
	s_wait_alu 0xfffe
	s_or_b32 exec_lo, exec_lo, s6
	v_add_co_u32 v26, vcc_lo, v26, s48
	s_wait_alu 0xfffd
	v_add_co_ci_u32_e64 v27, null, s49, v27, vcc_lo
	s_add_co_i32 s24, s24, 4
	s_wait_alu 0xfffe
	s_cmp_ge_i32 s24, s55
	s_cbranch_scc1 .LBB327_62
.LBB327_16:                             ;   Parent Loop BB327_3 Depth=1
                                        ; =>  This Loop Header: Depth=2
                                        ;       Child Loop BB327_47 Depth 3
                                        ;       Child Loop BB327_49 Depth 3
                                        ; implicit-def: $vgpr46
                                        ; implicit-def: $vgpr47
                                        ; implicit-def: $vgpr30
                                        ; implicit-def: $vgpr31
                                        ; implicit-def: $vgpr32
                                        ; implicit-def: $vgpr33
                                        ; implicit-def: $vgpr35
                                        ; implicit-def: $vgpr34
	s_and_saveexec_b32 s6, s1
	s_wait_alu 0xfffe
	s_xor_b32 s6, exec_lo, s6
	s_cbranch_execnz .LBB327_43
; %bb.17:                               ;   in Loop: Header=BB327_16 Depth=2
	s_wait_alu 0xfffe
	s_and_not1_saveexec_b32 s6, s6
	s_cbranch_execnz .LBB327_44
.LBB327_18:                             ;   in Loop: Header=BB327_16 Depth=2
	s_wait_alu 0xfffe
	s_or_b32 exec_lo, exec_lo, s6
	s_and_saveexec_b32 s6, s3
.LBB327_19:                             ;   in Loop: Header=BB327_16 Depth=2
	v_mov_b32_e32 v5, v4
	ds_store_b64 v36, v[4:5]
.LBB327_20:                             ;   in Loop: Header=BB327_16 Depth=2
	s_wait_alu 0xfffe
	s_or_b32 exec_lo, exec_lo, s6
	ds_bpermute_b32 v5, v41, v46
	ds_bpermute_b32 v28, v41, v47
	s_wait_storecnt_dscnt 0x0
	s_barrier_signal -1
	s_barrier_wait -1
	global_inv scope:SCOPE_SE
	v_dual_add_f32 v5, v46, v5 :: v_dual_add_f32 v28, v47, v28
	ds_bpermute_b32 v29, v42, v5
	ds_bpermute_b32 v46, v42, v28
	s_wait_dscnt 0x0
	v_dual_add_f32 v5, v5, v29 :: v_dual_add_f32 v28, v28, v46
	ds_bpermute_b32 v29, v43, v5
	ds_bpermute_b32 v46, v43, v28
	s_wait_dscnt 0x0
	;; [unrolled: 4-line block ×3, first 2 shown]
	v_dual_add_f32 v5, v5, v29 :: v_dual_add_f32 v28, v28, v46
	ds_bpermute_b32 v29, v45, v5
	ds_bpermute_b32 v46, v45, v28
	s_and_saveexec_b32 s6, s4
	s_cbranch_execz .LBB327_22
; %bb.21:                               ;   in Loop: Header=BB327_16 Depth=2
	s_wait_dscnt 0x0
	v_dual_add_f32 v47, v28, v46 :: v_dual_add_f32 v46, v5, v29
	ds_store_b64 v37, v[46:47]
.LBB327_22:                             ;   in Loop: Header=BB327_16 Depth=2
	s_wait_alu 0xfffe
	s_or_b32 exec_lo, exec_lo, s6
	s_wait_dscnt 0x1
	v_dual_mov_b32 v29, 0 :: v_dual_mov_b32 v28, 0
	s_wait_loadcnt_dscnt 0x0
	s_barrier_signal -1
	s_barrier_wait -1
	global_inv scope:SCOPE_SE
	s_and_saveexec_b32 s6, s5
	s_cbranch_execnz .LBB327_50
; %bb.23:                               ;   in Loop: Header=BB327_16 Depth=2
	s_wait_alu 0xfffe
	s_or_b32 exec_lo, exec_lo, s6
	s_and_saveexec_b32 s6, s3
	s_cbranch_execnz .LBB327_51
.LBB327_24:                             ;   in Loop: Header=BB327_16 Depth=2
	s_wait_alu 0xfffe
	s_or_b32 exec_lo, exec_lo, s6
	s_and_saveexec_b32 s6, s3
.LBB327_25:                             ;   in Loop: Header=BB327_16 Depth=2
	v_mov_b32_e32 v5, v4
	ds_store_b64 v36, v[4:5]
.LBB327_26:                             ;   in Loop: Header=BB327_16 Depth=2
	s_wait_alu 0xfffe
	s_or_b32 exec_lo, exec_lo, s6
	ds_bpermute_b32 v5, v41, v30
	ds_bpermute_b32 v46, v41, v31
	s_wait_loadcnt_dscnt 0x0
	s_barrier_signal -1
	s_barrier_wait -1
	global_inv scope:SCOPE_SE
	v_dual_add_f32 v5, v30, v5 :: v_dual_add_f32 v30, v31, v46
	ds_bpermute_b32 v31, v42, v5
	ds_bpermute_b32 v46, v42, v30
	s_wait_dscnt 0x0
	v_dual_add_f32 v5, v5, v31 :: v_dual_add_f32 v30, v30, v46
	ds_bpermute_b32 v31, v43, v5
	ds_bpermute_b32 v46, v43, v30
	s_wait_dscnt 0x0
	;; [unrolled: 4-line block ×3, first 2 shown]
	v_dual_add_f32 v5, v5, v31 :: v_dual_add_f32 v30, v30, v46
	ds_bpermute_b32 v31, v45, v5
	ds_bpermute_b32 v46, v45, v30
	s_and_saveexec_b32 s6, s4
	s_cbranch_execz .LBB327_28
; %bb.27:                               ;   in Loop: Header=BB327_16 Depth=2
	s_wait_dscnt 0x0
	v_dual_add_f32 v47, v30, v46 :: v_dual_add_f32 v46, v5, v31
	ds_store_b64 v37, v[46:47]
.LBB327_28:                             ;   in Loop: Header=BB327_16 Depth=2
	s_wait_alu 0xfffe
	s_or_b32 exec_lo, exec_lo, s6
	s_wait_dscnt 0x1
	v_dual_mov_b32 v31, 0 :: v_dual_mov_b32 v30, 0
	s_wait_loadcnt_dscnt 0x0
	s_barrier_signal -1
	s_barrier_wait -1
	global_inv scope:SCOPE_SE
	s_and_saveexec_b32 s6, s5
	s_cbranch_execnz .LBB327_52
; %bb.29:                               ;   in Loop: Header=BB327_16 Depth=2
	s_wait_alu 0xfffe
	s_or_b32 exec_lo, exec_lo, s6
	s_and_saveexec_b32 s6, s3
	s_cbranch_execnz .LBB327_53
.LBB327_30:                             ;   in Loop: Header=BB327_16 Depth=2
	s_wait_alu 0xfffe
	s_or_b32 exec_lo, exec_lo, s6
	s_and_saveexec_b32 s6, s3
.LBB327_31:                             ;   in Loop: Header=BB327_16 Depth=2
	v_mov_b32_e32 v5, v4
	ds_store_b64 v36, v[4:5]
.LBB327_32:                             ;   in Loop: Header=BB327_16 Depth=2
	s_wait_alu 0xfffe
	s_or_b32 exec_lo, exec_lo, s6
	ds_bpermute_b32 v5, v41, v32
	ds_bpermute_b32 v46, v41, v33
	s_wait_loadcnt_dscnt 0x0
	s_barrier_signal -1
	s_barrier_wait -1
	global_inv scope:SCOPE_SE
	v_dual_add_f32 v5, v32, v5 :: v_dual_add_f32 v32, v33, v46
	ds_bpermute_b32 v33, v42, v5
	ds_bpermute_b32 v46, v42, v32
	s_wait_dscnt 0x0
	v_dual_add_f32 v5, v5, v33 :: v_dual_add_f32 v32, v32, v46
	ds_bpermute_b32 v33, v43, v5
	ds_bpermute_b32 v46, v43, v32
	s_wait_dscnt 0x0
	;; [unrolled: 4-line block ×3, first 2 shown]
	v_dual_add_f32 v5, v5, v33 :: v_dual_add_f32 v32, v32, v46
	ds_bpermute_b32 v33, v45, v5
	ds_bpermute_b32 v46, v45, v32
	s_and_saveexec_b32 s6, s4
	s_cbranch_execz .LBB327_34
; %bb.33:                               ;   in Loop: Header=BB327_16 Depth=2
	s_wait_dscnt 0x0
	v_dual_add_f32 v47, v32, v46 :: v_dual_add_f32 v46, v5, v33
	ds_store_b64 v37, v[46:47]
.LBB327_34:                             ;   in Loop: Header=BB327_16 Depth=2
	s_wait_alu 0xfffe
	s_or_b32 exec_lo, exec_lo, s6
	s_wait_dscnt 0x1
	v_dual_mov_b32 v33, 0 :: v_dual_mov_b32 v32, 0
	s_wait_loadcnt_dscnt 0x0
	s_barrier_signal -1
	s_barrier_wait -1
	global_inv scope:SCOPE_SE
	s_and_saveexec_b32 s6, s5
	s_cbranch_execnz .LBB327_54
; %bb.35:                               ;   in Loop: Header=BB327_16 Depth=2
	s_wait_alu 0xfffe
	s_or_b32 exec_lo, exec_lo, s6
	s_and_saveexec_b32 s6, s3
	s_cbranch_execnz .LBB327_55
.LBB327_36:                             ;   in Loop: Header=BB327_16 Depth=2
	s_wait_alu 0xfffe
	s_or_b32 exec_lo, exec_lo, s6
	s_and_saveexec_b32 s6, s3
.LBB327_37:                             ;   in Loop: Header=BB327_16 Depth=2
	v_mov_b32_e32 v5, v4
	ds_store_b64 v36, v[4:5]
.LBB327_38:                             ;   in Loop: Header=BB327_16 Depth=2
	s_wait_alu 0xfffe
	s_or_b32 exec_lo, exec_lo, s6
	ds_bpermute_b32 v5, v41, v35
	ds_bpermute_b32 v46, v41, v34
	s_wait_loadcnt_dscnt 0x0
	s_barrier_signal -1
	s_barrier_wait -1
	global_inv scope:SCOPE_SE
	v_dual_add_f32 v5, v35, v5 :: v_dual_add_f32 v34, v34, v46
	ds_bpermute_b32 v35, v42, v5
	ds_bpermute_b32 v46, v42, v34
	s_wait_dscnt 0x0
	v_dual_add_f32 v5, v5, v35 :: v_dual_add_f32 v34, v34, v46
	ds_bpermute_b32 v35, v43, v5
	ds_bpermute_b32 v46, v43, v34
	s_wait_dscnt 0x0
	;; [unrolled: 4-line block ×3, first 2 shown]
	v_dual_add_f32 v5, v5, v35 :: v_dual_add_f32 v34, v34, v46
	ds_bpermute_b32 v35, v45, v5
	ds_bpermute_b32 v46, v45, v34
	s_and_saveexec_b32 s6, s4
	s_cbranch_execz .LBB327_40
; %bb.39:                               ;   in Loop: Header=BB327_16 Depth=2
	s_wait_dscnt 0x0
	v_dual_add_f32 v47, v34, v46 :: v_dual_add_f32 v46, v5, v35
	ds_store_b64 v37, v[46:47]
.LBB327_40:                             ;   in Loop: Header=BB327_16 Depth=2
	s_wait_alu 0xfffe
	s_or_b32 exec_lo, exec_lo, s6
	s_wait_dscnt 0x1
	v_dual_mov_b32 v35, 0 :: v_dual_mov_b32 v34, 0
	s_wait_loadcnt_dscnt 0x0
	s_barrier_signal -1
	s_barrier_wait -1
	global_inv scope:SCOPE_SE
	s_and_saveexec_b32 s6, s5
	s_cbranch_execnz .LBB327_56
; %bb.41:                               ;   in Loop: Header=BB327_16 Depth=2
	s_wait_alu 0xfffe
	s_or_b32 exec_lo, exec_lo, s6
	s_and_saveexec_b32 s6, s3
	s_cbranch_execnz .LBB327_57
.LBB327_42:                             ;   in Loop: Header=BB327_16 Depth=2
	s_wait_alu 0xfffe
	s_or_b32 exec_lo, exec_lo, s6
	s_and_saveexec_b32 s6, s0
	s_cbranch_execz .LBB327_15
	s_branch .LBB327_58
.LBB327_43:                             ;   in Loop: Header=BB327_16 Depth=2
	s_mul_u64 s[8:9], s[24:25], s[26:27]
	s_or_b32 s62, s24, 2
	s_wait_alu 0xfffe
	s_lshl_b64 s[8:9], s[8:9], 3
	s_mov_b32 s63, s25
	s_wait_alu 0xfffe
	v_add_co_u32 v32, vcc_lo, v12, s8
	s_wait_alu 0xfffd
	v_add_co_ci_u32_e64 v33, null, s9, v13, vcc_lo
	s_or_b32 s8, s24, 1
	s_mov_b32 s9, s25
	s_clause 0x3
	flat_load_b64 v[48:49], v[18:19]
	flat_load_b64 v[50:51], v[20:21]
	;; [unrolled: 1-line block ×4, first 2 shown]
	s_wait_alu 0xfffe
	s_mul_u64 s[8:9], s[8:9], s[26:27]
	flat_load_b128 v[28:31], v[32:33]
	s_wait_alu 0xfffe
	s_lshl_b64 s[8:9], s[8:9], 3
	s_wait_dscnt 0x5
	flat_load_b128 v[32:35], v[32:33] offset:16
	s_wait_alu 0xfffe
	v_add_co_u32 v46, vcc_lo, v12, s8
	s_wait_alu 0xfffd
	v_add_co_ci_u32_e64 v47, null, s9, v13, vcc_lo
	s_mul_u64 s[8:9], s[62:63], s[26:27]
	s_or_b32 s62, s24, 3
	s_wait_alu 0xfffe
	s_lshl_b64 s[8:9], s[8:9], 3
	s_mul_u64 s[62:63], s[62:63], s[26:27]
	s_wait_alu 0xfffe
	v_add_co_u32 v72, vcc_lo, v12, s8
	s_wait_alu 0xfffd
	v_add_co_ci_u32_e64 v73, null, s9, v13, vcc_lo
	s_lshl_b64 s[8:9], s[62:63], 3
	s_wait_alu 0xfffe
	v_add_co_u32 v76, vcc_lo, v12, s8
	s_wait_alu 0xfffd
	v_add_co_ci_u32_e64 v77, null, s9, v13, vcc_lo
	s_clause 0x5
	flat_load_b128 v[56:59], v[46:47]
	flat_load_b128 v[60:63], v[72:73]
	;; [unrolled: 1-line block ×3, first 2 shown]
	flat_load_b128 v[68:71], v[46:47] offset:16
	flat_load_b128 v[72:75], v[72:73] offset:16
	flat_load_b128 v[76:79], v[76:77] offset:16
	s_wait_loadcnt_dscnt 0xa0a
	scratch_store_b128 off, v[48:51], off
	s_wait_loadcnt_dscnt 0x808
	scratch_store_b128 off, v[52:55], off offset:16
	s_wait_loadcnt_dscnt 0x707
	v_dual_mul_f32 v5, v29, v49 :: v_dual_mul_f32 v46, v31, v51
	s_wait_loadcnt_dscnt 0x606
	v_dual_mul_f32 v29, v29, v48 :: v_dual_mul_f32 v80, v55, v35
	v_mul_f32_e32 v31, v31, v50
	v_mul_f32_e32 v47, v53, v33
	;; [unrolled: 1-line block ×4, first 2 shown]
	v_fmac_f32_e32 v46, v30, v50
	v_fmac_f32_e32 v80, v54, v34
	s_wait_loadcnt_dscnt 0x505
	v_dual_mul_f32 v84, v59, v51 :: v_dual_mul_f32 v81, v57, v49
	s_wait_loadcnt_dscnt 0x303
	v_mul_f32_e32 v83, v65, v49
	v_dual_mul_f32 v65, v65, v48 :: v_dual_mul_f32 v86, v67, v51
	s_wait_loadcnt_dscnt 0x0
	v_dual_mul_f32 v57, v57, v48 :: v_dual_mul_f32 v92, v55, v79
	v_dual_mul_f32 v82, v61, v49 :: v_dual_mul_f32 v85, v63, v51
	s_delay_alu instid0(VALU_DEP_3)
	v_fmac_f32_e32 v86, v66, v50
	v_mul_f32_e32 v88, v53, v73
	v_dual_mul_f32 v90, v55, v71 :: v_dual_fmac_f32 v5, v28, v48
	v_fma_f32 v28, v28, v49, -v29
	v_fma_f32 v29, v30, v51, -v31
	;; [unrolled: 1-line block ×3, first 2 shown]
	v_fmac_f32_e32 v84, v58, v50
	v_fma_f32 v34, v64, v49, -v65
	v_mul_f32_e32 v61, v61, v48
	v_dual_mul_f32 v59, v59, v50 :: v_dual_fmac_f32 v82, v60, v48
	v_dual_mul_f32 v67, v67, v50 :: v_dual_add_f32 v28, 0, v28
	v_dual_mul_f32 v87, v53, v69 :: v_dual_fmac_f32 v90, v54, v70
	v_fma_f32 v30, v53, v32, -v33
	v_fmac_f32_e32 v83, v64, v48
	v_mul_f32_e32 v89, v53, v77
	v_dual_mul_f32 v77, v52, v77 :: v_dual_add_f32 v34, 0, v34
	v_fmac_f32_e32 v47, v52, v32
	v_fma_f32 v32, v56, v49, -v57
	v_dual_mul_f32 v69, v52, v69 :: v_dual_fmac_f32 v92, v54, v78
	v_mul_f32_e32 v73, v52, v73
	v_fma_f32 v35, v58, v51, -v59
	v_fma_f32 v57, v66, v51, -v67
	v_dual_add_f32 v32, 0, v32 :: v_dual_mul_f32 v63, v63, v50
	v_fmac_f32_e32 v88, v52, v72
	v_fma_f32 v33, v60, v49, -v61
	s_delay_alu instid0(VALU_DEP_3)
	v_dual_fmac_f32 v85, v62, v50 :: v_dual_add_f32 v32, v32, v35
	v_fma_f32 v58, v53, v68, -v69
	v_mul_f32_e32 v79, v54, v79
	v_fma_f32 v60, v53, v76, -v77
	v_add_f32_e32 v66, 0, v83
	v_add_f32_e32 v34, v34, v57
	v_add_f32_e32 v5, 0, v5
	v_add_f32_e32 v65, 0, v82
	v_dual_add_f32 v33, 0, v33 :: v_dual_add_f32 v32, v32, v58
	s_delay_alu instid0(VALU_DEP_4)
	v_add_f32_e32 v34, v34, v60
	v_fmac_f32_e32 v89, v52, v76
	v_add_f32_e32 v5, v5, v46
	v_dual_add_f32 v46, v66, v86 :: v_dual_fmac_f32 v81, v56, v48
	v_fma_f32 v56, v62, v51, -v63
	v_fma_f32 v63, v55, v78, -v79
	v_dual_mul_f32 v91, v55, v75 :: v_dual_add_f32 v28, v28, v29
	v_add_f32_e32 v35, v65, v85
	s_delay_alu instid0(VALU_DEP_4)
	v_add_f32_e32 v33, v33, v56
	v_add_f32_e32 v5, v5, v47
	;; [unrolled: 1-line block ×4, first 2 shown]
	v_dual_mul_f32 v71, v54, v71 :: v_dual_add_f32 v64, 0, v81
	v_dual_mul_f32 v75, v54, v75 :: v_dual_add_f32 v28, v28, v30
	v_fma_f32 v59, v53, v72, -v73
	s_delay_alu instid0(VALU_DEP_3)
	v_fma_f32 v61, v55, v70, -v71
	v_dual_fmac_f32 v91, v54, v74 :: v_dual_add_f32 v46, v5, v80
	v_add_f32_e32 v29, v64, v84
	v_add_f32_e32 v35, v35, v88
	v_fmac_f32_e32 v87, v52, v68
	v_fma_f32 v62, v55, v74, -v75
	v_add_f32_e32 v33, v33, v59
	v_add_f32_e32 v47, v28, v31
	v_dual_add_f32 v31, v32, v61 :: v_dual_add_f32 v32, v35, v91
	v_add_f32_e32 v29, v29, v87
	s_delay_alu instid0(VALU_DEP_4) | instskip(NEXT) | instid1(VALU_DEP_2)
	v_add_f32_e32 v33, v33, v62
	v_dual_add_f32 v35, v56, v92 :: v_dual_add_f32 v30, v29, v90
	s_and_not1_saveexec_b32 s6, s6
	s_cbranch_execz .LBB327_18
.LBB327_44:                             ;   in Loop: Header=BB327_16 Depth=2
	v_dual_mov_b32 v46, 0 :: v_dual_mov_b32 v47, 0
	v_dual_mov_b32 v30, 0 :: v_dual_mov_b32 v31, 0
	;; [unrolled: 1-line block ×3, first 2 shown]
	s_wait_dscnt 0x0
	v_dual_mov_b32 v35, 0 :: v_dual_mov_b32 v34, 0
	s_and_saveexec_b32 s7, s2
	s_cbranch_execz .LBB327_60
; %bb.45:                               ;   in Loop: Header=BB327_16 Depth=2
	s_and_not1_b32 vcc_lo, exec_lo, s58
	s_wait_alu 0xfffe
	s_cbranch_vccnz .LBB327_59
; %bb.46:                               ;   in Loop: Header=BB327_16 Depth=2
	v_dual_mov_b32 v29, v19 :: v_dual_mov_b32 v28, v18
	s_mov_b32 s8, 0
	s_mov_b32 s9, s56
.LBB327_47:                             ;   Parent Loop BB327_3 Depth=1
                                        ;     Parent Loop BB327_16 Depth=2
                                        ; =>    This Inner Loop Header: Depth=3
	flat_load_b64 v[30:31], v[28:29]
	v_add_co_u32 v28, vcc_lo, v28, s46
	s_wait_alu 0xfffd
	v_add_co_ci_u32_e64 v29, null, s47, v29, vcc_lo
	s_wait_alu 0xfffe
	s_add_co_i32 s9, s9, -1
	s_wait_loadcnt_dscnt 0x0
	scratch_store_b64 off, v[30:31], s8
	s_add_co_i32 s8, s8, 8
	s_wait_alu 0xfffe
	s_cmp_eq_u32 s9, 0
	s_cbranch_scc0 .LBB327_47
; %bb.48:                               ;   in Loop: Header=BB327_16 Depth=2
	v_dual_mov_b32 v34, 0 :: v_dual_mov_b32 v29, v27
	v_dual_mov_b32 v28, v26 :: v_dual_mov_b32 v35, 0
	;; [unrolled: 1-line block ×5, first 2 shown]
	s_mov_b32 s8, s59
	s_mov_b32 s9, s56
.LBB327_49:                             ;   Parent Loop BB327_3 Depth=1
                                        ;     Parent Loop BB327_16 Depth=2
                                        ; =>    This Inner Loop Header: Depth=3
	v_add_co_u32 v50, vcc_lo, v28, s50
	s_wait_alu 0xfffd
	v_add_co_ci_u32_e64 v51, null, s51, v29, vcc_lo
	scratch_load_b64 v[48:49], off, s8 offset:-4
	flat_load_b64 v[52:53], v[28:29]
	v_add_co_u32 v54, vcc_lo, v50, s50
	s_wait_alu 0xfffd
	v_add_co_ci_u32_e64 v55, null, s51, v51, vcc_lo
	s_wait_alu 0xfffe
	s_add_co_i32 s9, s9, -1
	v_add_co_u32 v56, vcc_lo, v54, s50
	s_wait_alu 0xfffd
	v_add_co_ci_u32_e64 v57, null, s51, v55, vcc_lo
	s_clause 0x2
	flat_load_b64 v[50:51], v[50:51]
	flat_load_b64 v[54:55], v[54:55]
	;; [unrolled: 1-line block ×3, first 2 shown]
	v_add_co_u32 v28, vcc_lo, v28, 8
	s_wait_alu 0xfffd
	v_add_co_ci_u32_e64 v29, null, 0, v29, vcc_lo
	s_add_co_i32 s8, s8, 8
	s_wait_alu 0xfffe
	s_cmp_lg_u32 s9, 0
	s_wait_loadcnt_dscnt 0x303
	v_mul_f32_e32 v5, v49, v53
	v_mul_f32_e32 v53, v48, v53
	s_delay_alu instid0(VALU_DEP_2) | instskip(NEXT) | instid1(VALU_DEP_2)
	v_fmac_f32_e32 v5, v48, v52
	v_fma_f32 v52, v49, v52, -v53
	s_wait_loadcnt_dscnt 0x0
	s_delay_alu instid0(VALU_DEP_1) | instskip(NEXT) | instid1(VALU_DEP_3)
	v_dual_add_f32 v47, v47, v52 :: v_dual_mul_f32 v52, v49, v57
	v_dual_mul_f32 v53, v49, v51 :: v_dual_add_f32 v46, v46, v5
	s_delay_alu instid0(VALU_DEP_1) | instskip(NEXT) | instid1(VALU_DEP_1)
	v_fmac_f32_e32 v53, v48, v50
	v_dual_mul_f32 v51, v48, v51 :: v_dual_add_f32 v30, v30, v53
	s_delay_alu instid0(VALU_DEP_1) | instskip(SKIP_3) | instid1(VALU_DEP_4)
	v_fma_f32 v5, v49, v50, -v51
	v_mul_f32_e32 v50, v49, v55
	v_mul_f32_e32 v51, v48, v55
	;; [unrolled: 1-line block ×3, first 2 shown]
	v_dual_fmac_f32 v52, v48, v56 :: v_dual_add_f32 v31, v31, v5
	s_delay_alu instid0(VALU_DEP_4) | instskip(NEXT) | instid1(VALU_DEP_4)
	v_fmac_f32_e32 v50, v48, v54
	v_fma_f32 v51, v49, v54, -v51
	s_delay_alu instid0(VALU_DEP_4) | instskip(NEXT) | instid1(VALU_DEP_3)
	v_fma_f32 v48, v49, v56, -v55
	v_dual_add_f32 v35, v35, v52 :: v_dual_add_f32 v32, v32, v50
	s_delay_alu instid0(VALU_DEP_2)
	v_dual_add_f32 v33, v33, v51 :: v_dual_add_f32 v34, v34, v48
	s_cbranch_scc1 .LBB327_49
	s_branch .LBB327_60
.LBB327_50:                             ;   in Loop: Header=BB327_16 Depth=2
	ds_load_b64 v[28:29], v36
	s_wait_alu 0xfffe
	s_or_b32 exec_lo, exec_lo, s6
	s_and_saveexec_b32 s6, s3
	s_cbranch_execz .LBB327_24
.LBB327_51:                             ;   in Loop: Header=BB327_16 Depth=2
	s_wait_dscnt 0x0
	ds_bpermute_b32 v5, v43, v28
	ds_bpermute_b32 v46, v43, v29
	s_wait_dscnt 0x0
	v_dual_add_f32 v5, v28, v5 :: v_dual_add_f32 v28, v29, v46
	ds_bpermute_b32 v29, v44, v5
	ds_bpermute_b32 v46, v44, v28
	s_wait_dscnt 0x1
	v_add_f32_e32 v5, v5, v29
	s_wait_dscnt 0x0
	v_add_f32_e32 v29, v28, v46
	ds_bpermute_b32 v28, v45, v5
	s_wait_dscnt 0x0
	v_add_f32_e32 v28, v5, v28
	ds_bpermute_b32 v46, v45, v29
	s_wait_dscnt 0x0
	v_add_f32_e32 v29, v29, v46
	s_wait_alu 0xfffe
	s_or_b32 exec_lo, exec_lo, s6
	s_and_saveexec_b32 s6, s3
	s_cbranch_execnz .LBB327_25
	s_branch .LBB327_26
.LBB327_52:                             ;   in Loop: Header=BB327_16 Depth=2
	ds_load_b64 v[30:31], v36
	s_wait_alu 0xfffe
	s_or_b32 exec_lo, exec_lo, s6
	s_and_saveexec_b32 s6, s3
	s_cbranch_execz .LBB327_30
.LBB327_53:                             ;   in Loop: Header=BB327_16 Depth=2
	s_wait_dscnt 0x0
	ds_bpermute_b32 v5, v43, v30
	ds_bpermute_b32 v46, v43, v31
	s_wait_dscnt 0x0
	v_dual_add_f32 v5, v30, v5 :: v_dual_add_f32 v30, v31, v46
	ds_bpermute_b32 v31, v44, v5
	ds_bpermute_b32 v46, v44, v30
	s_wait_dscnt 0x1
	v_add_f32_e32 v5, v5, v31
	s_wait_dscnt 0x0
	v_add_f32_e32 v31, v30, v46
	ds_bpermute_b32 v30, v45, v5
	ds_bpermute_b32 v46, v45, v31
	s_wait_dscnt 0x1
	v_add_f32_e32 v30, v5, v30
	s_wait_dscnt 0x0
	v_add_f32_e32 v31, v31, v46
	s_wait_alu 0xfffe
	s_or_b32 exec_lo, exec_lo, s6
	s_and_saveexec_b32 s6, s3
	s_cbranch_execnz .LBB327_31
	s_branch .LBB327_32
.LBB327_54:                             ;   in Loop: Header=BB327_16 Depth=2
	ds_load_b64 v[32:33], v36
	s_wait_alu 0xfffe
	s_or_b32 exec_lo, exec_lo, s6
	s_and_saveexec_b32 s6, s3
	s_cbranch_execz .LBB327_36
.LBB327_55:                             ;   in Loop: Header=BB327_16 Depth=2
	s_wait_dscnt 0x0
	ds_bpermute_b32 v5, v43, v32
	ds_bpermute_b32 v46, v43, v33
	s_wait_dscnt 0x0
	v_dual_add_f32 v5, v32, v5 :: v_dual_add_f32 v32, v33, v46
	ds_bpermute_b32 v33, v44, v5
	ds_bpermute_b32 v46, v44, v32
	s_wait_dscnt 0x1
	v_add_f32_e32 v5, v5, v33
	s_wait_dscnt 0x0
	v_add_f32_e32 v33, v32, v46
	ds_bpermute_b32 v32, v45, v5
	s_wait_dscnt 0x0
	v_add_f32_e32 v32, v5, v32
	ds_bpermute_b32 v46, v45, v33
	s_wait_dscnt 0x0
	v_add_f32_e32 v33, v33, v46
	s_wait_alu 0xfffe
	s_or_b32 exec_lo, exec_lo, s6
	s_and_saveexec_b32 s6, s3
	s_cbranch_execnz .LBB327_37
	s_branch .LBB327_38
.LBB327_56:                             ;   in Loop: Header=BB327_16 Depth=2
	ds_load_b64 v[34:35], v36
	s_wait_alu 0xfffe
	s_or_b32 exec_lo, exec_lo, s6
	s_and_saveexec_b32 s6, s3
	s_cbranch_execz .LBB327_42
.LBB327_57:                             ;   in Loop: Header=BB327_16 Depth=2
	s_wait_dscnt 0x0
	ds_bpermute_b32 v5, v43, v34
	ds_bpermute_b32 v46, v43, v35
	s_wait_dscnt 0x0
	v_dual_add_f32 v5, v34, v5 :: v_dual_add_f32 v34, v35, v46
	ds_bpermute_b32 v35, v44, v5
	ds_bpermute_b32 v46, v44, v34
	s_wait_dscnt 0x1
	v_add_f32_e32 v5, v5, v35
	s_wait_dscnt 0x0
	v_add_f32_e32 v35, v34, v46
	ds_bpermute_b32 v34, v45, v5
	ds_bpermute_b32 v46, v45, v35
	s_wait_dscnt 0x1
	v_add_f32_e32 v34, v5, v34
	s_wait_dscnt 0x0
	v_add_f32_e32 v35, v35, v46
	s_wait_alu 0xfffe
	s_or_b32 exec_lo, exec_lo, s6
	s_and_saveexec_b32 s6, s0
	s_cbranch_execz .LBB327_15
.LBB327_58:                             ;   in Loop: Header=BB327_16 Depth=2
	v_dual_mul_f32 v5, s61, v29 :: v_dual_mul_f32 v48, s61, v31
	v_mul_f32_e32 v47, s60, v29
	v_mul_f32_e32 v29, s60, v31
	s_or_b32 s62, s24, 1
	s_mov_b32 s63, s25
	s_mul_u64 s[8:9], s[24:25], s[30:31]
	v_fma_f32 v46, v28, s60, -v5
	s_mul_u64 s[62:63], s[62:63], s[30:31]
	v_fmac_f32_e32 v47, s61, v28
	s_wait_alu 0xfffe
	s_lshl_b64 s[8:9], s[8:9], 3
	v_fma_f32 v28, v30, s60, -v48
	v_fmac_f32_e32 v29, s61, v30
	v_mul_f32_e32 v5, s61, v33
	s_lshl_b64 s[62:63], s[62:63], 3
	s_wait_alu 0xfffe
	s_add_nc_u64 s[8:9], s[52:53], s[8:9]
	s_add_nc_u64 s[62:63], s[52:53], s[62:63]
	s_clause 0x1
	global_store_b64 v4, v[46:47], s[8:9]
	global_store_b64 v4, v[28:29], s[62:63]
	v_mul_f32_e32 v29, s60, v33
	v_fma_f32 v28, v32, s60, -v5
	s_wait_dscnt 0x0
	v_mul_f32_e32 v5, s61, v35
	v_mul_f32_e32 v31, s60, v35
	s_or_b32 s8, s24, 2
	s_mov_b32 s9, s25
	s_or_b32 s62, s24, 3
	s_mov_b32 s63, s25
	s_wait_alu 0xfffe
	s_mul_u64 s[8:9], s[8:9], s[30:31]
	s_mul_u64 s[62:63], s[62:63], s[30:31]
	v_fmac_f32_e32 v29, s61, v32
	s_wait_alu 0xfffe
	s_lshl_b64 s[8:9], s[8:9], 3
	v_fma_f32 v30, v34, s60, -v5
	v_fmac_f32_e32 v31, s61, v34
	s_lshl_b64 s[62:63], s[62:63], 3
	s_wait_alu 0xfffe
	s_add_nc_u64 s[8:9], s[52:53], s[8:9]
	s_add_nc_u64 s[62:63], s[52:53], s[62:63]
	s_clause 0x1
	global_store_b64 v4, v[28:29], s[8:9]
	global_store_b64 v4, v[30:31], s[62:63]
	s_branch .LBB327_15
.LBB327_59:                             ;   in Loop: Header=BB327_16 Depth=2
	v_dual_mov_b32 v46, 0 :: v_dual_mov_b32 v47, 0
	v_dual_mov_b32 v30, 0 :: v_dual_mov_b32 v31, 0
	;; [unrolled: 1-line block ×4, first 2 shown]
.LBB327_60:                             ;   in Loop: Header=BB327_16 Depth=2
	s_wait_alu 0xfffe
	s_or_b32 exec_lo, exec_lo, s7
	s_delay_alu instid0(SALU_CYCLE_1)
	s_or_b32 exec_lo, exec_lo, s6
	s_and_saveexec_b32 s6, s3
	s_cbranch_execnz .LBB327_19
	s_branch .LBB327_20
.LBB327_61:                             ;   in Loop: Header=BB327_3 Depth=1
	s_mov_b32 s24, 0
.LBB327_62:                             ;   in Loop: Header=BB327_3 Depth=1
	s_wait_alu 0xfffe
	s_cmp_ge_i32 s24, s29
	s_cbranch_scc1 .LBB327_2
; %bb.63:                               ;   in Loop: Header=BB327_3 Depth=1
	v_cmp_gt_u32_e32 vcc_lo, 24, v40
	s_wait_alu 0xfffd
	v_cndmask_b32_e64 v5, 0, 8, vcc_lo
	v_cmp_gt_u32_e32 vcc_lo, 28, v40
	s_delay_alu instid0(VALU_DEP_2) | instskip(SKIP_3) | instid1(VALU_DEP_2)
	v_add_lshl_u32 v26, v5, v40, 2
	s_wait_alu 0xfffd
	v_cndmask_b32_e64 v18, 0, 4, vcc_lo
	v_cmp_gt_u32_e32 vcc_lo, 30, v40
	v_add_lshl_u32 v27, v18, v40, 2
	s_wait_alu 0xfffd
	v_cndmask_b32_e64 v5, 0, 2, vcc_lo
	v_add_co_u32 v16, vcc_lo, v16, v38
	s_wait_alu 0xfffd
	v_add_co_ci_u32_e64 v17, null, v17, v39, vcc_lo
	v_cmp_ne_u32_e32 vcc_lo, 31, v40
	v_add_lshl_u32 v28, v5, v40, 2
	s_delay_alu instid0(VALU_DEP_3) | instskip(SKIP_3) | instid1(VALU_DEP_2)
	v_mad_co_u64_u32 v[16:17], null, s50, s24, v[16:17]
	s_wait_alu 0xfffd
	v_add_co_ci_u32_e64 v19, null, 0, v40, vcc_lo
	v_add_co_u32 v18, vcc_lo, v14, v2
	v_lshlrev_b32_e32 v29, 2, v19
	s_delay_alu instid0(VALU_DEP_4)
	v_mov_b32_e32 v5, v17
	s_wait_alu 0xfffd
	v_add_co_ci_u32_e64 v19, null, v15, v3, vcc_lo
	v_add_co_u32 v20, vcc_lo, v14, v6
	s_wait_dscnt 0x0
	v_mad_co_u64_u32 v[24:25], null, s51, s24, v[5:6]
	s_wait_alu 0xfffd
	v_add_co_ci_u32_e64 v21, null, v15, v7, vcc_lo
	v_add_co_u32 v22, vcc_lo, v14, v8
	s_wait_alu 0xfffd
	v_add_co_ci_u32_e64 v23, null, v15, v9, vcc_lo
	v_add_co_u32 v14, vcc_lo, v14, v10
	s_wait_alu 0xfffd
	v_add_co_ci_u32_e64 v15, null, v15, v11, vcc_lo
	v_mov_b32_e32 v17, v24
	s_branch .LBB327_65
.LBB327_64:                             ;   in Loop: Header=BB327_65 Depth=2
	s_wait_alu 0xfffe
	s_or_b32 exec_lo, exec_lo, s6
	v_add_co_u32 v16, vcc_lo, v16, s50
	s_wait_alu 0xfffd
	v_add_co_ci_u32_e64 v17, null, s51, v17, vcc_lo
	s_add_co_i32 s24, s24, 1
	s_wait_alu 0xfffe
	s_cmp_lt_i32 s24, s29
	s_cbranch_scc0 .LBB327_2
.LBB327_65:                             ;   Parent Loop BB327_3 Depth=1
                                        ; =>  This Loop Header: Depth=2
                                        ;       Child Loop BB327_77 Depth 3
                                        ;       Child Loop BB327_79 Depth 3
                                        ; implicit-def: $vgpr30
                                        ; implicit-def: $vgpr31
	s_and_saveexec_b32 s6, s1
	s_wait_alu 0xfffe
	s_xor_b32 s6, exec_lo, s6
	s_cbranch_execnz .LBB327_74
; %bb.66:                               ;   in Loop: Header=BB327_65 Depth=2
	s_wait_alu 0xfffe
	s_and_not1_saveexec_b32 s6, s6
	s_cbranch_execnz .LBB327_75
.LBB327_67:                             ;   in Loop: Header=BB327_65 Depth=2
	s_wait_alu 0xfffe
	s_or_b32 exec_lo, exec_lo, s6
	s_and_saveexec_b32 s6, s3
.LBB327_68:                             ;   in Loop: Header=BB327_65 Depth=2
	v_mov_b32_e32 v5, v4
	ds_store_b64 v36, v[4:5]
.LBB327_69:                             ;   in Loop: Header=BB327_65 Depth=2
	s_wait_alu 0xfffe
	s_or_b32 exec_lo, exec_lo, s6
	ds_bpermute_b32 v5, v41, v30
	s_wait_dscnt 0x1
	ds_bpermute_b32 v24, v41, v31
	s_wait_storecnt 0x0
	s_wait_loadcnt_dscnt 0x0
	s_barrier_signal -1
	s_barrier_wait -1
	global_inv scope:SCOPE_SE
	v_dual_add_f32 v5, v30, v5 :: v_dual_add_f32 v24, v31, v24
	ds_bpermute_b32 v25, v26, v5
	ds_bpermute_b32 v30, v26, v24
	s_wait_dscnt 0x0
	v_dual_add_f32 v5, v5, v25 :: v_dual_add_f32 v24, v24, v30
	ds_bpermute_b32 v25, v27, v5
	ds_bpermute_b32 v30, v27, v24
	s_wait_dscnt 0x0
	;; [unrolled: 4-line block ×3, first 2 shown]
	v_dual_add_f32 v5, v5, v25 :: v_dual_add_f32 v24, v24, v30
	ds_bpermute_b32 v25, v29, v5
	ds_bpermute_b32 v30, v29, v24
	s_and_saveexec_b32 s6, s4
	s_cbranch_execz .LBB327_71
; %bb.70:                               ;   in Loop: Header=BB327_65 Depth=2
	s_wait_dscnt 0x0
	v_dual_add_f32 v31, v24, v30 :: v_dual_add_f32 v30, v5, v25
	ds_store_b64 v37, v[30:31]
.LBB327_71:                             ;   in Loop: Header=BB327_65 Depth=2
	s_wait_alu 0xfffe
	s_or_b32 exec_lo, exec_lo, s6
	s_wait_dscnt 0x1
	v_dual_mov_b32 v25, 0 :: v_dual_mov_b32 v24, 0
	s_wait_loadcnt_dscnt 0x0
	s_barrier_signal -1
	s_barrier_wait -1
	global_inv scope:SCOPE_SE
	s_and_saveexec_b32 s6, s5
	s_cbranch_execnz .LBB327_81
; %bb.72:                               ;   in Loop: Header=BB327_65 Depth=2
	s_wait_alu 0xfffe
	s_or_b32 exec_lo, exec_lo, s6
	s_and_saveexec_b32 s6, s3
	s_cbranch_execnz .LBB327_82
.LBB327_73:                             ;   in Loop: Header=BB327_65 Depth=2
	s_wait_alu 0xfffe
	s_or_b32 exec_lo, exec_lo, s6
	s_and_saveexec_b32 s6, s0
	s_cbranch_execz .LBB327_64
	s_branch .LBB327_83
.LBB327_74:                             ;   in Loop: Header=BB327_65 Depth=2
	s_mul_u64 s[8:9], s[24:25], s[26:27]
	s_wait_alu 0xfffe
	s_lshl_b64 s[8:9], s[8:9], 3
	s_wait_dscnt 0x0
	s_wait_alu 0xfffe
	v_add_co_u32 v24, vcc_lo, v12, s8
	s_wait_alu 0xfffd
	v_add_co_ci_u32_e64 v25, null, s9, v13, vcc_lo
	flat_load_b128 v[30:33], v[24:25]
	s_clause 0x1
	flat_load_b64 v[42:43], v[18:19]
	flat_load_b64 v[44:45], v[20:21]
	flat_load_b128 v[46:49], v[24:25] offset:16
	s_clause 0x1
	flat_load_b64 v[50:51], v[22:23]
	flat_load_b64 v[52:53], v[14:15]
	s_wait_loadcnt_dscnt 0x303
	scratch_store_b128 off, v[42:45], off
	s_wait_loadcnt_dscnt 0x0
	scratch_store_b128 off, v[50:53], off offset:16
	v_mul_f32_e32 v5, v31, v43
	v_dual_mul_f32 v24, v31, v42 :: v_dual_mul_f32 v25, v33, v45
	v_dual_mul_f32 v31, v33, v44 :: v_dual_mul_f32 v34, v47, v50
	s_delay_alu instid0(VALU_DEP_3) | instskip(NEXT) | instid1(VALU_DEP_3)
	v_fmac_f32_e32 v5, v30, v42
	v_fma_f32 v24, v30, v43, -v24
	v_dual_mul_f32 v33, v47, v51 :: v_dual_mul_f32 v30, v49, v53
	s_delay_alu instid0(VALU_DEP_4) | instskip(SKIP_1) | instid1(VALU_DEP_3)
	v_fma_f32 v31, v32, v45, -v31
	v_fma_f32 v34, v46, v51, -v34
	v_dual_add_f32 v24, 0, v24 :: v_dual_fmac_f32 v33, v46, v50
	s_delay_alu instid0(VALU_DEP_4) | instskip(SKIP_2) | instid1(VALU_DEP_1)
	v_fmac_f32_e32 v30, v48, v52
	v_fmac_f32_e32 v25, v32, v44
	v_dual_mul_f32 v32, v49, v52 :: v_dual_add_f32 v5, 0, v5
	v_dual_add_f32 v24, v24, v31 :: v_dual_add_f32 v5, v5, v25
	s_delay_alu instid0(VALU_DEP_1) | instskip(NEXT) | instid1(VALU_DEP_3)
	v_add_f32_e32 v24, v24, v34
	v_fma_f32 v25, v48, v53, -v32
	s_delay_alu instid0(VALU_DEP_3) | instskip(NEXT) | instid1(VALU_DEP_1)
	v_add_f32_e32 v5, v5, v33
	v_dual_add_f32 v31, v24, v25 :: v_dual_add_f32 v30, v5, v30
	s_and_not1_saveexec_b32 s6, s6
	s_cbranch_execz .LBB327_67
.LBB327_75:                             ;   in Loop: Header=BB327_65 Depth=2
	v_dual_mov_b32 v30, 0 :: v_dual_mov_b32 v31, 0
	s_and_saveexec_b32 s7, s28
	s_cbranch_execz .LBB327_80
; %bb.76:                               ;   in Loop: Header=BB327_65 Depth=2
	s_wait_dscnt 0x0
	v_dual_mov_b32 v25, v19 :: v_dual_mov_b32 v24, v18
	s_mov_b32 s8, 0
	s_mov_b32 s9, s56
.LBB327_77:                             ;   Parent Loop BB327_3 Depth=1
                                        ;     Parent Loop BB327_65 Depth=2
                                        ; =>    This Inner Loop Header: Depth=3
	flat_load_b64 v[30:31], v[24:25]
	v_add_co_u32 v24, vcc_lo, v24, s46
	s_wait_alu 0xfffd
	v_add_co_ci_u32_e64 v25, null, s47, v25, vcc_lo
	s_wait_alu 0xfffe
	s_add_co_i32 s9, s9, -1
	s_wait_loadcnt_dscnt 0x0
	scratch_store_b64 off, v[30:31], s8
	s_add_co_i32 s8, s8, 8
	s_wait_alu 0xfffe
	s_cmp_eq_u32 s9, 0
	s_cbranch_scc0 .LBB327_77
; %bb.78:                               ;   in Loop: Header=BB327_65 Depth=2
	v_dual_mov_b32 v30, 0 :: v_dual_mov_b32 v25, v17
	v_dual_mov_b32 v24, v16 :: v_dual_mov_b32 v31, 0
	s_mov_b32 s8, s59
	s_mov_b32 s9, s56
.LBB327_79:                             ;   Parent Loop BB327_3 Depth=1
                                        ;     Parent Loop BB327_65 Depth=2
                                        ; =>    This Inner Loop Header: Depth=3
	flat_load_b64 v[32:33], v[24:25] offset:-4
	scratch_load_b64 v[34:35], off, s8 offset:-4
	v_add_co_u32 v24, vcc_lo, v24, 8
	s_wait_alu 0xfffd
	v_add_co_ci_u32_e64 v25, null, 0, v25, vcc_lo
	s_wait_alu 0xfffe
	s_add_co_i32 s9, s9, -1
	s_add_co_i32 s8, s8, 8
	s_wait_alu 0xfffe
	s_cmp_lg_u32 s9, 0
	s_wait_loadcnt_dscnt 0x0
	v_mul_f32_e32 v5, v33, v35
	s_delay_alu instid0(VALU_DEP_1) | instskip(NEXT) | instid1(VALU_DEP_1)
	v_fmac_f32_e32 v5, v32, v34
	v_dual_mul_f32 v33, v33, v34 :: v_dual_add_f32 v30, v30, v5
	s_delay_alu instid0(VALU_DEP_1) | instskip(NEXT) | instid1(VALU_DEP_1)
	v_fma_f32 v32, v32, v35, -v33
	v_add_f32_e32 v31, v31, v32
	s_cbranch_scc1 .LBB327_79
.LBB327_80:                             ;   in Loop: Header=BB327_65 Depth=2
	s_wait_alu 0xfffe
	s_or_b32 exec_lo, exec_lo, s7
	s_delay_alu instid0(SALU_CYCLE_1)
	s_or_b32 exec_lo, exec_lo, s6
	s_and_saveexec_b32 s6, s3
	s_cbranch_execnz .LBB327_68
	s_branch .LBB327_69
.LBB327_81:                             ;   in Loop: Header=BB327_65 Depth=2
	ds_load_b64 v[24:25], v36
	s_wait_alu 0xfffe
	s_or_b32 exec_lo, exec_lo, s6
	s_and_saveexec_b32 s6, s3
	s_cbranch_execz .LBB327_73
.LBB327_82:                             ;   in Loop: Header=BB327_65 Depth=2
	s_wait_dscnt 0x0
	ds_bpermute_b32 v5, v27, v24
	ds_bpermute_b32 v30, v27, v25
	s_wait_dscnt 0x0
	v_dual_add_f32 v5, v24, v5 :: v_dual_add_f32 v24, v25, v30
	ds_bpermute_b32 v25, v28, v5
	ds_bpermute_b32 v30, v28, v24
	s_wait_dscnt 0x1
	v_add_f32_e32 v5, v5, v25
	s_wait_dscnt 0x0
	v_add_f32_e32 v25, v24, v30
	ds_bpermute_b32 v24, v29, v5
	s_wait_dscnt 0x0
	v_add_f32_e32 v24, v5, v24
	ds_bpermute_b32 v30, v29, v25
	s_wait_dscnt 0x0
	v_add_f32_e32 v25, v25, v30
	s_wait_alu 0xfffe
	s_or_b32 exec_lo, exec_lo, s6
	s_and_saveexec_b32 s6, s0
	s_cbranch_execz .LBB327_64
.LBB327_83:                             ;   in Loop: Header=BB327_65 Depth=2
	s_wait_dscnt 0x0
	v_mul_f32_e32 v5, s61, v25
	v_mul_f32_e32 v31, s60, v25
	s_mul_u64 s[8:9], s[24:25], s[30:31]
	s_wait_alu 0xfffe
	s_lshl_b64 s[8:9], s[8:9], 3
	v_fma_f32 v30, v24, s60, -v5
	v_fmac_f32_e32 v31, s61, v24
	s_wait_alu 0xfffe
	s_add_nc_u64 s[8:9], s[52:53], s[8:9]
	global_store_b64 v4, v[30:31], s[8:9]
	s_branch .LBB327_64
.LBB327_84:
	s_endpgm
	.section	.rodata,"a",@progbits
	.p2align	6, 0x0
	.amdhsa_kernel _ZL23rocblas_gemvt_sn_kernelILb1ELi256ELi4ElPK19rocblas_complex_numIfES3_S1_EviiT4_lPKT3_lilS7_lilPT5_i
		.amdhsa_group_segment_fixed_size 256
		.amdhsa_private_segment_fixed_size 48
		.amdhsa_kernarg_size 360
		.amdhsa_user_sgpr_count 2
		.amdhsa_user_sgpr_dispatch_ptr 0
		.amdhsa_user_sgpr_queue_ptr 0
		.amdhsa_user_sgpr_kernarg_segment_ptr 1
		.amdhsa_user_sgpr_dispatch_id 0
		.amdhsa_user_sgpr_private_segment_size 0
		.amdhsa_wavefront_size32 1
		.amdhsa_uses_dynamic_stack 0
		.amdhsa_enable_private_segment 1
		.amdhsa_system_sgpr_workgroup_id_x 1
		.amdhsa_system_sgpr_workgroup_id_y 0
		.amdhsa_system_sgpr_workgroup_id_z 1
		.amdhsa_system_sgpr_workgroup_info 0
		.amdhsa_system_vgpr_workitem_id 0
		.amdhsa_next_free_vgpr 93
		.amdhsa_next_free_sgpr 64
		.amdhsa_reserve_vcc 1
		.amdhsa_float_round_mode_32 0
		.amdhsa_float_round_mode_16_64 0
		.amdhsa_float_denorm_mode_32 3
		.amdhsa_float_denorm_mode_16_64 3
		.amdhsa_fp16_overflow 0
		.amdhsa_workgroup_processor_mode 1
		.amdhsa_memory_ordered 1
		.amdhsa_forward_progress 1
		.amdhsa_inst_pref_size 46
		.amdhsa_round_robin_scheduling 0
		.amdhsa_exception_fp_ieee_invalid_op 0
		.amdhsa_exception_fp_denorm_src 0
		.amdhsa_exception_fp_ieee_div_zero 0
		.amdhsa_exception_fp_ieee_overflow 0
		.amdhsa_exception_fp_ieee_underflow 0
		.amdhsa_exception_fp_ieee_inexact 0
		.amdhsa_exception_int_div_zero 0
	.end_amdhsa_kernel
	.section	.text._ZL23rocblas_gemvt_sn_kernelILb1ELi256ELi4ElPK19rocblas_complex_numIfES3_S1_EviiT4_lPKT3_lilS7_lilPT5_i,"axG",@progbits,_ZL23rocblas_gemvt_sn_kernelILb1ELi256ELi4ElPK19rocblas_complex_numIfES3_S1_EviiT4_lPKT3_lilS7_lilPT5_i,comdat
.Lfunc_end327:
	.size	_ZL23rocblas_gemvt_sn_kernelILb1ELi256ELi4ElPK19rocblas_complex_numIfES3_S1_EviiT4_lPKT3_lilS7_lilPT5_i, .Lfunc_end327-_ZL23rocblas_gemvt_sn_kernelILb1ELi256ELi4ElPK19rocblas_complex_numIfES3_S1_EviiT4_lPKT3_lilS7_lilPT5_i
                                        ; -- End function
	.set _ZL23rocblas_gemvt_sn_kernelILb1ELi256ELi4ElPK19rocblas_complex_numIfES3_S1_EviiT4_lPKT3_lilS7_lilPT5_i.num_vgpr, 93
	.set _ZL23rocblas_gemvt_sn_kernelILb1ELi256ELi4ElPK19rocblas_complex_numIfES3_S1_EviiT4_lPKT3_lilS7_lilPT5_i.num_agpr, 0
	.set _ZL23rocblas_gemvt_sn_kernelILb1ELi256ELi4ElPK19rocblas_complex_numIfES3_S1_EviiT4_lPKT3_lilS7_lilPT5_i.numbered_sgpr, 64
	.set _ZL23rocblas_gemvt_sn_kernelILb1ELi256ELi4ElPK19rocblas_complex_numIfES3_S1_EviiT4_lPKT3_lilS7_lilPT5_i.num_named_barrier, 0
	.set _ZL23rocblas_gemvt_sn_kernelILb1ELi256ELi4ElPK19rocblas_complex_numIfES3_S1_EviiT4_lPKT3_lilS7_lilPT5_i.private_seg_size, 48
	.set _ZL23rocblas_gemvt_sn_kernelILb1ELi256ELi4ElPK19rocblas_complex_numIfES3_S1_EviiT4_lPKT3_lilS7_lilPT5_i.uses_vcc, 1
	.set _ZL23rocblas_gemvt_sn_kernelILb1ELi256ELi4ElPK19rocblas_complex_numIfES3_S1_EviiT4_lPKT3_lilS7_lilPT5_i.uses_flat_scratch, 1
	.set _ZL23rocblas_gemvt_sn_kernelILb1ELi256ELi4ElPK19rocblas_complex_numIfES3_S1_EviiT4_lPKT3_lilS7_lilPT5_i.has_dyn_sized_stack, 0
	.set _ZL23rocblas_gemvt_sn_kernelILb1ELi256ELi4ElPK19rocblas_complex_numIfES3_S1_EviiT4_lPKT3_lilS7_lilPT5_i.has_recursion, 0
	.set _ZL23rocblas_gemvt_sn_kernelILb1ELi256ELi4ElPK19rocblas_complex_numIfES3_S1_EviiT4_lPKT3_lilS7_lilPT5_i.has_indirect_call, 0
	.section	.AMDGPU.csdata,"",@progbits
; Kernel info:
; codeLenInByte = 5852
; TotalNumSgprs: 66
; NumVgprs: 93
; ScratchSize: 48
; MemoryBound: 0
; FloatMode: 240
; IeeeMode: 1
; LDSByteSize: 256 bytes/workgroup (compile time only)
; SGPRBlocks: 0
; VGPRBlocks: 11
; NumSGPRsForWavesPerEU: 66
; NumVGPRsForWavesPerEU: 93
; Occupancy: 16
; WaveLimiterHint : 0
; COMPUTE_PGM_RSRC2:SCRATCH_EN: 1
; COMPUTE_PGM_RSRC2:USER_SGPR: 2
; COMPUTE_PGM_RSRC2:TRAP_HANDLER: 0
; COMPUTE_PGM_RSRC2:TGID_X_EN: 1
; COMPUTE_PGM_RSRC2:TGID_Y_EN: 0
; COMPUTE_PGM_RSRC2:TGID_Z_EN: 1
; COMPUTE_PGM_RSRC2:TIDIG_COMP_CNT: 0
	.section	.text._ZL23rocblas_gemvt_sn_kernelILb1ELi256ELi4EiPK19rocblas_complex_numIfES1_S1_EviiT4_lPKT3_lilS7_lilPT5_i,"axG",@progbits,_ZL23rocblas_gemvt_sn_kernelILb1ELi256ELi4EiPK19rocblas_complex_numIfES1_S1_EviiT4_lPKT3_lilS7_lilPT5_i,comdat
	.globl	_ZL23rocblas_gemvt_sn_kernelILb1ELi256ELi4EiPK19rocblas_complex_numIfES1_S1_EviiT4_lPKT3_lilS7_lilPT5_i ; -- Begin function _ZL23rocblas_gemvt_sn_kernelILb1ELi256ELi4EiPK19rocblas_complex_numIfES1_S1_EviiT4_lPKT3_lilS7_lilPT5_i
	.p2align	8
	.type	_ZL23rocblas_gemvt_sn_kernelILb1ELi256ELi4EiPK19rocblas_complex_numIfES1_S1_EviiT4_lPKT3_lilS7_lilPT5_i,@function
_ZL23rocblas_gemvt_sn_kernelILb1ELi256ELi4EiPK19rocblas_complex_numIfES1_S1_EviiT4_lPKT3_lilS7_lilPT5_i: ; @_ZL23rocblas_gemvt_sn_kernelILb1ELi256ELi4EiPK19rocblas_complex_numIfES1_S1_EviiT4_lPKT3_lilS7_lilPT5_i
; %bb.0:
	s_load_b32 s33, s[0:1], 0x60
	s_lshr_b32 s10, ttmp7, 16
	s_wait_kmcnt 0x0
	s_cmp_ge_u32 s10, s33
	s_cbranch_scc1 .LBB328_86
; %bb.1:
	s_clause 0x6
	s_load_b128 s[12:15], s[0:1], 0x0
	s_load_b128 s[16:19], s[0:1], 0x18
	s_load_b32 s50, s[0:1], 0x28
	s_load_b128 s[20:23], s[0:1], 0x38
	s_load_b32 s51, s[0:1], 0x48
	s_load_b64 s[26:27], s[0:1], 0x58
	s_load_b32 s30, s[0:1], 0x68
	s_mov_b32 s29, 0
	v_lshrrev_b32_e32 v2, 2, v0
	s_mov_b32 s31, s29
	v_cmp_eq_u32_e64 s0, 0, v0
	v_and_b32_e32 v1, 31, v0
	v_cmp_gt_u32_e64 s1, 32, v0
	v_and_b32_e32 v35, 56, v2
	v_cmp_gt_u32_e64 s2, 8, v0
	v_mbcnt_lo_u32_b32 v38, -1, 0
	s_mov_b32 s24, ttmp9
	s_mov_b32 s25, s29
	s_wait_kmcnt 0x0
	s_or_b32 s4, s14, s15
	s_delay_alu instid0(SALU_CYCLE_1)
	s_bitset0_b32 s4, 31
	s_mul_i32 s60, s50, 3
	s_cmp_lg_u32 s4, 0
	s_cselect_b32 s52, -1, 0
	s_cmp_eq_u32 s4, 0
	s_mov_b32 s4, s13
	s_cselect_b32 s53, -1, 0
	s_ashr_i32 s5, s13, 31
	s_cmp_gt_i32 s13, 0
	s_mul_u64 s[34:35], s[4:5], s[30:31]
	s_cselect_b32 s4, -1, 0
	s_lshl_b32 s6, ttmp9, 10
	s_ashr_i32 s7, s12, 31
	v_lshl_or_b32 v2, v0, 2, s6
	s_and_b32 s54, s0, s4
	s_lshr_b32 s4, s7, 30
	s_lshr_b32 s5, s5, 30
	s_add_co_i32 s4, s12, s4
	v_mul_lo_u32 v0, s51, v2
	s_and_b32 s4, s4, -4
	s_add_co_i32 s5, s13, s5
	s_sub_co_i32 s56, s12, s4
	s_and_b32 s55, s5, -4
	v_add_nc_u32_e32 v4, s56, v2
	v_ashrrev_i32_e32 v3, 31, v2
	s_cmp_gt_i32 s55, 0
	v_add_nc_u32_e32 v8, s51, v0
	s_cselect_b32 s57, -1, 0
	v_cmp_ge_i32_e64 s5, s12, v4
	v_mov_b32_e32 v4, 0
	v_cmp_eq_u32_e64 s3, 0, v1
	v_add_nc_u32_e32 v10, s51, v8
	v_lshlrev_b32_e32 v34, 3, v1
	v_add_nc_u32_e32 v1, 4, v2
	v_ashrrev_i32_e32 v9, 31, v8
	v_lshlrev_b64_e32 v[2:3], 3, v[2:3]
	v_add_nc_u32_e32 v12, s51, v10
	v_ashrrev_i32_e32 v11, 31, v10
	v_cmp_ge_i32_e64 s4, s12, v1
	v_ashrrev_i32_e32 v1, 31, v0
	s_cmp_gt_i32 s56, 0
	v_ashrrev_i32_e32 v13, 31, v12
	s_cselect_b32 s58, -1, 0
	s_lshl_b64 s[36:37], s[24:25], 3
	v_lshlrev_b64_e32 v[6:7], 3, v[0:1]
	v_lshlrev_b64_e32 v[8:9], 3, v[8:9]
	;; [unrolled: 1-line block ×4, first 2 shown]
	v_or_b32_e32 v36, 4, v2
	v_mov_b32_e32 v37, v3
	v_lshl_or_b32 v1, v38, 2, 64
	s_add_nc_u64 s[6:7], s[26:27], s[36:37]
	s_and_b32 s12, s58, s5
	s_wait_alu 0xfffe
	s_add_nc_u64 s[38:39], s[6:7], 4
	s_lshl_b64 s[40:41], s[34:35], 3
	s_lshl_b64 s[42:43], s[30:31], 3
	s_lshl_b32 s25, s50, 2
	s_lshl_b32 s59, s50, 1
	s_or_b32 s61, 0, 4
	s_lshl_b64 s[18:19], s[18:19], 3
	s_lshl_b64 s[22:23], s[22:23], 3
	s_branch .LBB328_3
.LBB328_2:                              ;   in Loop: Header=BB328_3 Depth=1
	s_add_co_i32 s10, s10, 0x10000
	s_delay_alu instid0(SALU_CYCLE_1)
	s_cmp_lt_u32 s10, s33
	s_cbranch_scc0 .LBB328_86
.LBB328_3:                              ; =>This Loop Header: Depth=1
                                        ;     Child Loop BB328_13 Depth 2
                                        ;     Child Loop BB328_18 Depth 2
                                        ;       Child Loop BB328_49 Depth 3
                                        ;       Child Loop BB328_51 Depth 3
                                        ;     Child Loop BB328_67 Depth 2
                                        ;       Child Loop BB328_79 Depth 3
                                        ;       Child Loop BB328_81 Depth 3
	s_mov_b32 s11, s29
	s_and_not1_b32 vcc_lo, exec_lo, s53
	s_mov_b32 s6, -1
	s_wait_alu 0xfffe
	s_cbranch_vccnz .LBB328_5
; %bb.4:                                ;   in Loop: Header=BB328_3 Depth=1
	s_mov_b32 s6, 0
.LBB328_5:                              ;   in Loop: Header=BB328_3 Depth=1
	v_mov_b32_e32 v14, 0
	s_wait_dscnt 0x0
	v_dual_mov_b32 v15, 0 :: v_dual_mov_b32 v16, 0
	v_mov_b32_e32 v17, 0
	s_wait_alu 0xfffe
	s_and_not1_b32 vcc_lo, exec_lo, s6
	s_wait_alu 0xfffe
	s_cbranch_vccz .LBB328_9
; %bb.6:                                ;   in Loop: Header=BB328_3 Depth=1
	s_and_not1_b32 vcc_lo, exec_lo, s52
	s_wait_alu 0xfffe
	s_cbranch_vccz .LBB328_10
.LBB328_7:                              ;   in Loop: Header=BB328_3 Depth=1
	s_and_not1_b32 vcc_lo, exec_lo, s53
	s_mov_b32 s6, -1
	s_wait_alu 0xfffe
	s_cbranch_vccz .LBB328_11
.LBB328_8:                              ;   in Loop: Header=BB328_3 Depth=1
	s_wait_alu 0xfffe
	s_and_not1_b32 vcc_lo, exec_lo, s6
	s_wait_alu 0xfffe
	s_cbranch_vccnz .LBB328_2
	s_branch .LBB328_15
.LBB328_9:                              ;   in Loop: Header=BB328_3 Depth=1
	s_lshl_b64 s[6:7], s[10:11], 3
	s_wait_alu 0xfffe
	s_add_nc_u64 s[6:7], s[16:17], s[6:7]
	global_load_b64 v[16:17], v4, s[6:7]
	s_wait_loadcnt 0x0
	v_add_co_u32 v16, vcc_lo, v16, s18
	s_wait_alu 0xfffd
	v_add_co_ci_u32_e64 v17, null, s19, v17, vcc_lo
	s_and_not1_b32 vcc_lo, exec_lo, s52
	s_wait_alu 0xfffe
	s_cbranch_vccnz .LBB328_7
.LBB328_10:                             ;   in Loop: Header=BB328_3 Depth=1
	s_lshl_b64 s[6:7], s[10:11], 3
	s_wait_alu 0xfffe
	s_add_nc_u64 s[6:7], s[20:21], s[6:7]
	global_load_b64 v[14:15], v4, s[6:7]
	s_wait_loadcnt 0x0
	v_add_co_u32 v14, vcc_lo, v14, s22
	s_wait_alu 0xfffd
	v_add_co_ci_u32_e64 v15, null, s23, v15, vcc_lo
	s_and_not1_b32 vcc_lo, exec_lo, s53
	s_mov_b32 s6, -1
	s_wait_alu 0xfffe
	s_cbranch_vccnz .LBB328_8
.LBB328_11:                             ;   in Loop: Header=BB328_3 Depth=1
	s_and_saveexec_b32 s8, s54
	s_cbranch_execz .LBB328_14
; %bb.12:                               ;   in Loop: Header=BB328_3 Depth=1
	s_mul_u64 s[6:7], s[40:41], s[10:11]
	s_mov_b32 s9, s13
	s_wait_alu 0xfffe
	s_add_nc_u64 s[6:7], s[38:39], s[6:7]
.LBB328_13:                             ;   Parent Loop BB328_3 Depth=1
                                        ; =>  This Inner Loop Header: Depth=2
	v_mov_b32_e32 v5, v4
	s_add_co_i32 s9, s9, -1
	s_wait_alu 0xfffe
	s_cmp_eq_u32 s9, 0
	global_store_b64 v4, v[4:5], s[6:7] offset:-4
	s_add_nc_u64 s[6:7], s[6:7], s[42:43]
	s_cbranch_scc0 .LBB328_13
.LBB328_14:                             ;   in Loop: Header=BB328_3 Depth=1
	s_wait_alu 0xfffe
	s_or_b32 exec_lo, exec_lo, s8
	s_cbranch_execnz .LBB328_2
.LBB328_15:                             ;   in Loop: Header=BB328_3 Depth=1
	v_add_co_u32 v39, vcc_lo, v16, v2
	s_mul_u64 s[44:45], s[34:35], s[10:11]
	s_wait_alu 0xfffd
	v_add_co_ci_u32_e64 v40, null, v17, v3, vcc_lo
	v_cmp_gt_u32_e64 s9, 24, v38
	v_cmp_gt_u32_e64 s8, 28, v38
	v_cmp_gt_u32_e64 s7, 30, v38
	v_cmp_ne_u32_e64 s6, 31, v38
	s_wait_alu 0xfffe
	s_lshl_b64 s[44:45], s[44:45], 3
	s_and_not1_b32 vcc_lo, exec_lo, s57
	s_wait_alu 0xfffe
	s_add_nc_u64 s[44:45], s[26:27], s[44:45]
	s_cbranch_vccnz .LBB328_63
; %bb.16:                               ;   in Loop: Header=BB328_3 Depth=1
	v_cndmask_b32_e64 v18, 0, 4, s8
	v_cndmask_b32_e64 v19, 0, 2, s7
	v_add_co_ci_u32_e64 v20, null, 0, v38, s6
	v_cndmask_b32_e64 v5, 0, 8, s9
	s_delay_alu instid0(VALU_DEP_4)
	v_add_lshl_u32 v42, v18, v38, 2
	v_add_co_u32 v18, vcc_lo, v14, v6
	v_add_lshl_u32 v43, v19, v38, 2
	v_lshlrev_b32_e32 v44, 2, v20
	s_wait_alu 0xfffd
	v_add_co_ci_u32_e64 v19, null, v15, v7, vcc_lo
	v_add_co_u32 v20, vcc_lo, v14, v8
	s_wait_alu 0xfffd
	v_add_co_ci_u32_e64 v21, null, v15, v9, vcc_lo
	v_add_co_u32 v22, vcc_lo, v14, v10
	;; [unrolled: 3-line block ×4, first 2 shown]
	v_add_lshl_u32 v41, v5, v38, 2
	s_wait_alu 0xfffd
	v_add_co_ci_u32_e64 v46, null, v17, v37, vcc_lo
	s_mov_b32 s6, 0
	s_mov_b32 s62, s60
	;; [unrolled: 1-line block ×5, first 2 shown]
	s_branch .LBB328_18
.LBB328_17:                             ;   in Loop: Header=BB328_18 Depth=2
	s_wait_alu 0xfffe
	s_or_b32 exec_lo, exec_lo, s7
	s_add_co_i32 s11, s11, 4
	s_add_co_i32 s64, s64, s25
	;; [unrolled: 1-line block ×5, first 2 shown]
	s_cmp_ge_i32 s11, s55
	s_cbranch_scc1 .LBB328_64
.LBB328_18:                             ;   Parent Loop BB328_3 Depth=1
                                        ; =>  This Loop Header: Depth=2
                                        ;       Child Loop BB328_49 Depth 3
                                        ;       Child Loop BB328_51 Depth 3
                                        ; implicit-def: $vgpr47
                                        ; implicit-def: $vgpr48
                                        ; implicit-def: $vgpr28
                                        ; implicit-def: $vgpr29
                                        ; implicit-def: $vgpr30
                                        ; implicit-def: $vgpr31
                                        ; implicit-def: $vgpr33
                                        ; implicit-def: $vgpr32
	s_and_saveexec_b32 s7, s4
	s_wait_alu 0xfffe
	s_xor_b32 s7, exec_lo, s7
	s_cbranch_execnz .LBB328_45
; %bb.19:                               ;   in Loop: Header=BB328_18 Depth=2
	s_wait_alu 0xfffe
	s_and_not1_saveexec_b32 s28, s7
	s_cbranch_execnz .LBB328_46
.LBB328_20:                             ;   in Loop: Header=BB328_18 Depth=2
	s_or_b32 exec_lo, exec_lo, s28
	s_and_saveexec_b32 s7, s1
.LBB328_21:                             ;   in Loop: Header=BB328_18 Depth=2
	v_mov_b32_e32 v5, v4
	ds_store_b64 v34, v[4:5]
.LBB328_22:                             ;   in Loop: Header=BB328_18 Depth=2
	s_wait_alu 0xfffe
	s_or_b32 exec_lo, exec_lo, s7
	ds_bpermute_b32 v5, v1, v47
	ds_bpermute_b32 v26, v1, v48
	s_wait_storecnt_dscnt 0x0
	s_barrier_signal -1
	s_barrier_wait -1
	global_inv scope:SCOPE_SE
	v_dual_add_f32 v5, v47, v5 :: v_dual_add_f32 v26, v48, v26
	ds_bpermute_b32 v27, v41, v5
	ds_bpermute_b32 v47, v41, v26
	s_wait_dscnt 0x1
	v_add_f32_e32 v5, v5, v27
	s_wait_dscnt 0x0
	v_add_f32_e32 v26, v26, v47
	ds_bpermute_b32 v27, v42, v5
	ds_bpermute_b32 v47, v42, v26
	s_wait_dscnt 0x1
	v_add_f32_e32 v5, v5, v27
	s_wait_dscnt 0x0
	v_add_f32_e32 v26, v26, v47
	;; [unrolled: 6-line block ×3, first 2 shown]
	ds_bpermute_b32 v27, v44, v5
	ds_bpermute_b32 v47, v44, v26
	s_and_saveexec_b32 s7, s3
	s_cbranch_execz .LBB328_24
; %bb.23:                               ;   in Loop: Header=BB328_18 Depth=2
	s_wait_dscnt 0x0
	v_add_f32_e32 v48, v26, v47
	v_add_f32_e32 v47, v5, v27
	ds_store_b64 v35, v[47:48]
.LBB328_24:                             ;   in Loop: Header=BB328_18 Depth=2
	s_wait_alu 0xfffe
	s_or_b32 exec_lo, exec_lo, s7
	s_wait_dscnt 0x1
	v_dual_mov_b32 v27, 0 :: v_dual_mov_b32 v26, 0
	s_wait_loadcnt_dscnt 0x0
	s_barrier_signal -1
	s_barrier_wait -1
	global_inv scope:SCOPE_SE
	s_and_saveexec_b32 s7, s2
	s_cbranch_execnz .LBB328_52
; %bb.25:                               ;   in Loop: Header=BB328_18 Depth=2
	s_wait_alu 0xfffe
	s_or_b32 exec_lo, exec_lo, s7
	s_and_saveexec_b32 s7, s1
	s_cbranch_execnz .LBB328_53
.LBB328_26:                             ;   in Loop: Header=BB328_18 Depth=2
	s_wait_alu 0xfffe
	s_or_b32 exec_lo, exec_lo, s7
	s_and_saveexec_b32 s7, s1
.LBB328_27:                             ;   in Loop: Header=BB328_18 Depth=2
	v_mov_b32_e32 v5, v4
	ds_store_b64 v34, v[4:5]
.LBB328_28:                             ;   in Loop: Header=BB328_18 Depth=2
	s_wait_alu 0xfffe
	s_or_b32 exec_lo, exec_lo, s7
	ds_bpermute_b32 v5, v1, v28
	ds_bpermute_b32 v47, v1, v29
	s_wait_loadcnt_dscnt 0x0
	s_barrier_signal -1
	s_barrier_wait -1
	global_inv scope:SCOPE_SE
	v_dual_add_f32 v5, v28, v5 :: v_dual_add_f32 v28, v29, v47
	ds_bpermute_b32 v29, v41, v5
	ds_bpermute_b32 v47, v41, v28
	s_wait_dscnt 0x0
	v_dual_add_f32 v5, v5, v29 :: v_dual_add_f32 v28, v28, v47
	ds_bpermute_b32 v29, v42, v5
	ds_bpermute_b32 v47, v42, v28
	s_wait_dscnt 0x0
	;; [unrolled: 4-line block ×3, first 2 shown]
	v_dual_add_f32 v5, v5, v29 :: v_dual_add_f32 v28, v28, v47
	ds_bpermute_b32 v29, v44, v5
	ds_bpermute_b32 v47, v44, v28
	s_and_saveexec_b32 s7, s3
	s_cbranch_execz .LBB328_30
; %bb.29:                               ;   in Loop: Header=BB328_18 Depth=2
	s_wait_dscnt 0x0
	v_dual_add_f32 v48, v28, v47 :: v_dual_add_f32 v47, v5, v29
	ds_store_b64 v35, v[47:48]
.LBB328_30:                             ;   in Loop: Header=BB328_18 Depth=2
	s_wait_alu 0xfffe
	s_or_b32 exec_lo, exec_lo, s7
	s_wait_dscnt 0x1
	v_dual_mov_b32 v29, 0 :: v_dual_mov_b32 v28, 0
	s_wait_loadcnt_dscnt 0x0
	s_barrier_signal -1
	s_barrier_wait -1
	global_inv scope:SCOPE_SE
	s_and_saveexec_b32 s7, s2
	s_cbranch_execnz .LBB328_54
; %bb.31:                               ;   in Loop: Header=BB328_18 Depth=2
	s_wait_alu 0xfffe
	s_or_b32 exec_lo, exec_lo, s7
	s_and_saveexec_b32 s7, s1
	s_cbranch_execnz .LBB328_55
.LBB328_32:                             ;   in Loop: Header=BB328_18 Depth=2
	s_wait_alu 0xfffe
	s_or_b32 exec_lo, exec_lo, s7
	s_and_saveexec_b32 s7, s1
.LBB328_33:                             ;   in Loop: Header=BB328_18 Depth=2
	v_mov_b32_e32 v5, v4
	ds_store_b64 v34, v[4:5]
.LBB328_34:                             ;   in Loop: Header=BB328_18 Depth=2
	s_wait_alu 0xfffe
	s_or_b32 exec_lo, exec_lo, s7
	ds_bpermute_b32 v5, v1, v30
	ds_bpermute_b32 v47, v1, v31
	s_wait_loadcnt_dscnt 0x0
	s_barrier_signal -1
	s_barrier_wait -1
	global_inv scope:SCOPE_SE
	v_dual_add_f32 v5, v30, v5 :: v_dual_add_f32 v30, v31, v47
	ds_bpermute_b32 v31, v41, v5
	ds_bpermute_b32 v47, v41, v30
	s_wait_dscnt 0x1
	v_add_f32_e32 v5, v5, v31
	s_wait_dscnt 0x0
	v_add_f32_e32 v30, v30, v47
	ds_bpermute_b32 v31, v42, v5
	ds_bpermute_b32 v47, v42, v30
	s_wait_dscnt 0x1
	v_add_f32_e32 v5, v5, v31
	s_wait_dscnt 0x0
	v_add_f32_e32 v30, v30, v47
	;; [unrolled: 6-line block ×3, first 2 shown]
	ds_bpermute_b32 v31, v44, v5
	ds_bpermute_b32 v47, v44, v30
	s_and_saveexec_b32 s7, s3
	s_cbranch_execz .LBB328_36
; %bb.35:                               ;   in Loop: Header=BB328_18 Depth=2
	s_wait_dscnt 0x0
	v_add_f32_e32 v48, v30, v47
	v_add_f32_e32 v47, v5, v31
	ds_store_b64 v35, v[47:48]
.LBB328_36:                             ;   in Loop: Header=BB328_18 Depth=2
	s_wait_alu 0xfffe
	s_or_b32 exec_lo, exec_lo, s7
	s_wait_dscnt 0x1
	v_dual_mov_b32 v31, 0 :: v_dual_mov_b32 v30, 0
	s_wait_loadcnt_dscnt 0x0
	s_barrier_signal -1
	s_barrier_wait -1
	global_inv scope:SCOPE_SE
	s_and_saveexec_b32 s7, s2
	s_cbranch_execnz .LBB328_56
; %bb.37:                               ;   in Loop: Header=BB328_18 Depth=2
	s_wait_alu 0xfffe
	s_or_b32 exec_lo, exec_lo, s7
	s_and_saveexec_b32 s7, s1
	s_cbranch_execnz .LBB328_57
.LBB328_38:                             ;   in Loop: Header=BB328_18 Depth=2
	s_wait_alu 0xfffe
	s_or_b32 exec_lo, exec_lo, s7
	s_and_saveexec_b32 s7, s1
.LBB328_39:                             ;   in Loop: Header=BB328_18 Depth=2
	v_mov_b32_e32 v5, v4
	ds_store_b64 v34, v[4:5]
.LBB328_40:                             ;   in Loop: Header=BB328_18 Depth=2
	s_wait_alu 0xfffe
	s_or_b32 exec_lo, exec_lo, s7
	ds_bpermute_b32 v5, v1, v33
	ds_bpermute_b32 v47, v1, v32
	s_wait_loadcnt_dscnt 0x0
	s_barrier_signal -1
	s_barrier_wait -1
	global_inv scope:SCOPE_SE
	v_dual_add_f32 v5, v33, v5 :: v_dual_add_f32 v32, v32, v47
	ds_bpermute_b32 v33, v41, v5
	ds_bpermute_b32 v47, v41, v32
	s_wait_dscnt 0x0
	v_dual_add_f32 v5, v5, v33 :: v_dual_add_f32 v32, v32, v47
	ds_bpermute_b32 v33, v42, v5
	ds_bpermute_b32 v47, v42, v32
	s_wait_dscnt 0x0
	;; [unrolled: 4-line block ×3, first 2 shown]
	v_dual_add_f32 v5, v5, v33 :: v_dual_add_f32 v32, v32, v47
	ds_bpermute_b32 v33, v44, v5
	ds_bpermute_b32 v47, v44, v32
	s_and_saveexec_b32 s7, s3
	s_cbranch_execz .LBB328_42
; %bb.41:                               ;   in Loop: Header=BB328_18 Depth=2
	s_wait_dscnt 0x0
	v_dual_add_f32 v48, v32, v47 :: v_dual_add_f32 v47, v5, v33
	ds_store_b64 v35, v[47:48]
.LBB328_42:                             ;   in Loop: Header=BB328_18 Depth=2
	s_wait_alu 0xfffe
	s_or_b32 exec_lo, exec_lo, s7
	s_wait_dscnt 0x1
	v_dual_mov_b32 v33, 0 :: v_dual_mov_b32 v32, 0
	s_wait_loadcnt_dscnt 0x0
	s_barrier_signal -1
	s_barrier_wait -1
	global_inv scope:SCOPE_SE
	s_and_saveexec_b32 s7, s2
	s_cbranch_execnz .LBB328_58
; %bb.43:                               ;   in Loop: Header=BB328_18 Depth=2
	s_wait_alu 0xfffe
	s_or_b32 exec_lo, exec_lo, s7
	s_and_saveexec_b32 s7, s1
	s_cbranch_execnz .LBB328_59
.LBB328_44:                             ;   in Loop: Header=BB328_18 Depth=2
	s_wait_alu 0xfffe
	s_or_b32 exec_lo, exec_lo, s7
	s_and_saveexec_b32 s7, s0
	s_cbranch_execz .LBB328_17
	s_branch .LBB328_60
.LBB328_45:                             ;   in Loop: Header=BB328_18 Depth=2
	s_mul_i32 s8, s11, s50
	s_wait_alu 0xfffe
	s_ashr_i32 s9, s8, 31
	s_add_co_i32 s46, s8, s50
	s_wait_alu 0xfffe
	s_lshl_b64 s[8:9], s[8:9], 3
	s_ashr_i32 s47, s46, 31
	s_wait_alu 0xfffe
	v_add_co_u32 v30, vcc_lo, v39, s8
	s_wait_alu 0xfffd
	v_add_co_ci_u32_e64 v31, null, s9, v40, vcc_lo
	s_lshl_b64 s[8:9], s[46:47], 3
	s_wait_alu 0xfffe
	v_add_co_u32 v47, vcc_lo, v39, s8
	s_add_co_i32 s8, s46, s50
	s_wait_alu 0xfffd
	v_add_co_ci_u32_e64 v48, null, s9, v40, vcc_lo
	s_wait_alu 0xfffe
	s_ashr_i32 s9, s8, 31
	flat_load_b128 v[26:29], v[30:31]
	s_wait_alu 0xfffe
	s_lshl_b64 s[46:47], s[8:9], 3
	s_add_co_i32 s8, s8, s50
	s_wait_alu 0xfffe
	v_add_co_u32 v69, vcc_lo, v39, s46
	s_wait_alu 0xfffd
	v_add_co_ci_u32_e64 v70, null, s47, v40, vcc_lo
	s_ashr_i32 s9, s8, 31
	s_clause 0x3
	flat_load_b64 v[49:50], v[18:19]
	flat_load_b64 v[51:52], v[20:21]
	;; [unrolled: 1-line block ×4, first 2 shown]
	s_wait_alu 0xfffe
	s_lshl_b64 s[8:9], s[8:9], 3
	s_wait_dscnt 0x5
	s_clause 0x3
	flat_load_b128 v[30:33], v[30:31] offset:16
	flat_load_b128 v[57:60], v[47:48]
	flat_load_b128 v[61:64], v[47:48] offset:16
	flat_load_b128 v[65:68], v[69:70]
	s_wait_alu 0xfffe
	v_add_co_u32 v47, vcc_lo, v39, s8
	s_wait_alu 0xfffd
	v_add_co_ci_u32_e64 v48, null, s9, v40, vcc_lo
	s_clause 0x2
	flat_load_b128 v[69:72], v[69:70] offset:16
	flat_load_b128 v[73:76], v[47:48]
	flat_load_b128 v[77:80], v[47:48] offset:16
	s_wait_loadcnt_dscnt 0x909
	scratch_store_b128 off, v[49:52], off
	s_wait_loadcnt_dscnt 0x707
	scratch_store_b128 off, v[53:56], off offset:16
	s_wait_loadcnt_dscnt 0x606
	v_dual_mul_f32 v5, v27, v50 :: v_dual_mul_f32 v48, v54, v31
	s_wait_loadcnt_dscnt 0x505
	v_dual_mul_f32 v27, v27, v49 :: v_dual_mul_f32 v82, v58, v50
	v_dual_mul_f32 v47, v29, v52 :: v_dual_mul_f32 v58, v58, v49
	s_wait_loadcnt_dscnt 0x404
	v_dual_mul_f32 v29, v29, v51 :: v_dual_mul_f32 v84, v54, v62
	v_mul_f32_e32 v31, v53, v31
	v_dual_mul_f32 v81, v56, v33 :: v_dual_mul_f32 v62, v53, v62
	v_mul_f32_e32 v33, v55, v33
	s_wait_loadcnt_dscnt 0x303
	v_dual_mul_f32 v83, v60, v52 :: v_dual_mul_f32 v86, v66, v50
	v_dual_mul_f32 v85, v56, v64 :: v_dual_mul_f32 v66, v66, v49
	v_mul_f32_e32 v64, v55, v64
	s_wait_loadcnt_dscnt 0x202
	v_dual_mul_f32 v87, v68, v52 :: v_dual_mul_f32 v88, v54, v70
	v_dual_mul_f32 v68, v68, v51 :: v_dual_fmac_f32 v5, v26, v49
	v_dual_mul_f32 v70, v53, v70 :: v_dual_mul_f32 v89, v56, v72
	v_dual_mul_f32 v72, v55, v72 :: v_dual_fmac_f32 v47, v28, v51
	v_fma_f32 v26, v26, v50, -v27
	v_fma_f32 v27, v28, v52, -v29
	v_dual_fmac_f32 v48, v53, v30 :: v_dual_fmac_f32 v81, v55, v32
	v_fma_f32 v28, v54, v30, -v31
	s_wait_loadcnt_dscnt 0x101
	v_mul_f32_e32 v30, v74, v50
	v_mul_f32_e32 v60, v60, v51
	v_fma_f32 v29, v56, v32, -v33
	v_dual_mul_f32 v31, v74, v49 :: v_dual_mul_f32 v32, v76, v52
	s_wait_loadcnt_dscnt 0x0
	v_dual_mul_f32 v33, v76, v51 :: v_dual_mul_f32 v74, v54, v78
	v_dual_fmac_f32 v83, v59, v51 :: v_dual_mul_f32 v76, v53, v78
	v_dual_fmac_f32 v85, v55, v63 :: v_dual_mul_f32 v78, v56, v80
	v_fmac_f32_e32 v87, v67, v51
	v_dual_mul_f32 v80, v55, v80 :: v_dual_add_f32 v5, 0, v5
	v_dual_fmac_f32 v82, v57, v49 :: v_dual_fmac_f32 v89, v55, v71
	v_fma_f32 v57, v57, v50, -v58
	v_add_f32_e32 v26, 0, v26
	v_fmac_f32_e32 v30, v73, v49
	v_fmac_f32_e32 v86, v65, v49
	v_fma_f32 v58, v59, v52, -v60
	v_fmac_f32_e32 v84, v53, v61
	v_fma_f32 v59, v54, v61, -v62
	v_fma_f32 v61, v65, v50, -v66
	v_fma_f32 v62, v67, v52, -v68
	v_fma_f32 v31, v73, v50, -v31
	v_add_f32_e32 v67, 0, v82
	v_add_f32_e32 v57, 0, v57
	;; [unrolled: 1-line block ×3, first 2 shown]
	v_dual_add_f32 v26, v26, v27 :: v_dual_add_f32 v27, 0, v30
	v_add_f32_e32 v68, 0, v86
	v_fmac_f32_e32 v88, v53, v69
	v_dual_fmac_f32 v32, v75, v51 :: v_dual_add_f32 v61, 0, v61
	v_fma_f32 v33, v75, v52, -v33
	v_dual_fmac_f32 v78, v55, v79 :: v_dual_add_f32 v47, v57, v58
	v_dual_add_f32 v5, v5, v48 :: v_dual_add_f32 v30, 0, v31
	v_add_f32_e32 v31, v67, v83
	v_fma_f32 v60, v56, v63, -v64
	v_fma_f32 v63, v54, v69, -v70
	v_dual_fmac_f32 v74, v53, v77 :: v_dual_add_f32 v27, v27, v32
	v_fma_f32 v65, v54, v77, -v76
	v_dual_add_f32 v57, v68, v87 :: v_dual_add_f32 v58, v61, v62
	v_add_f32_e32 v26, v26, v28
	v_add_f32_e32 v28, v30, v33
	;; [unrolled: 1-line block ×4, first 2 shown]
	v_fma_f32 v64, v56, v71, -v72
	v_fma_f32 v66, v56, v79, -v80
	v_dual_add_f32 v32, v57, v88 :: v_dual_add_f32 v33, v58, v63
	v_add_f32_e32 v47, v5, v81
	v_dual_add_f32 v5, v27, v74 :: v_dual_add_f32 v48, v26, v29
	v_dual_add_f32 v29, v31, v60 :: v_dual_add_f32 v26, v28, v65
	v_add_f32_e32 v28, v30, v85
	v_dual_add_f32 v30, v32, v89 :: v_dual_add_f32 v31, v33, v64
	s_delay_alu instid0(VALU_DEP_4) | instskip(NEXT) | instid1(VALU_DEP_4)
	v_add_f32_e32 v33, v5, v78
	v_add_f32_e32 v32, v26, v66
	s_and_not1_saveexec_b32 s28, s7
	s_cbranch_execz .LBB328_20
.LBB328_46:                             ;   in Loop: Header=BB328_18 Depth=2
	v_dual_mov_b32 v47, 0 :: v_dual_mov_b32 v48, 0
	v_dual_mov_b32 v28, 0 :: v_dual_mov_b32 v29, 0
	;; [unrolled: 1-line block ×3, first 2 shown]
	s_wait_dscnt 0x0
	v_dual_mov_b32 v33, 0 :: v_dual_mov_b32 v32, 0
	s_and_saveexec_b32 s65, s5
	s_cbranch_execz .LBB328_62
; %bb.47:                               ;   in Loop: Header=BB328_18 Depth=2
	s_and_not1_b32 vcc_lo, exec_lo, s58
	s_wait_alu 0xfffe
	s_cbranch_vccnz .LBB328_61
; %bb.48:                               ;   in Loop: Header=BB328_18 Depth=2
	v_mov_b32_e32 v26, v0
	s_mov_b32 s7, 0
	s_mov_b32 s8, s56
.LBB328_49:                             ;   Parent Loop BB328_3 Depth=1
                                        ;     Parent Loop BB328_18 Depth=2
                                        ; =>    This Inner Loop Header: Depth=3
	s_delay_alu instid0(VALU_DEP_1) | instskip(SKIP_2) | instid1(VALU_DEP_1)
	v_ashrrev_i32_e32 v27, 31, v26
	s_wait_alu 0xfffe
	s_add_co_i32 s8, s8, -1
	v_lshlrev_b64_e32 v[27:28], 3, v[26:27]
	v_add_nc_u32_e32 v26, s51, v26
	s_delay_alu instid0(VALU_DEP_2) | instskip(SKIP_1) | instid1(VALU_DEP_3)
	v_add_co_u32 v27, vcc_lo, v14, v27
	s_wait_alu 0xfffd
	v_add_co_ci_u32_e64 v28, null, v15, v28, vcc_lo
	flat_load_b64 v[27:28], v[27:28]
	s_wait_loadcnt_dscnt 0x0
	scratch_store_b64 off, v[27:28], s7
	s_add_co_i32 s7, s7, 8
	s_wait_alu 0xfffe
	s_cmp_eq_u32 s8, 0
	s_cbranch_scc0 .LBB328_49
; %bb.50:                               ;   in Loop: Header=BB328_18 Depth=2
	s_ashr_i32 s7, s6, 31
	v_dual_mov_b32 v32, 0 :: v_dual_mov_b32 v33, 0
	s_wait_alu 0xfffe
	s_lshl_b64 s[8:9], s[6:7], 3
	v_dual_mov_b32 v31, 0 :: v_dual_mov_b32 v30, 0
	s_wait_alu 0xfffe
	v_add_co_u32 v26, vcc_lo, v45, s8
	s_wait_alu 0xfffd
	v_add_co_ci_u32_e64 v27, null, s9, v46, vcc_lo
	v_dual_mov_b32 v29, 0 :: v_dual_mov_b32 v28, 0
	v_dual_mov_b32 v48, 0 :: v_dual_mov_b32 v47, 0
	s_mov_b32 s7, s61
	s_mov_b32 s8, s62
	;; [unrolled: 1-line block ×5, first 2 shown]
.LBB328_51:                             ;   Parent Loop BB328_3 Depth=1
                                        ;     Parent Loop BB328_18 Depth=2
                                        ; =>    This Inner Loop Header: Depth=3
	s_ashr_i32 s49, s48, 31
	s_wait_alu 0xfffe
	s_ashr_i32 s47, s46, 31
	s_lshl_b64 s[68:69], s[48:49], 3
	scratch_load_b64 v[49:50], off, s7 offset:-4
	flat_load_b64 v[51:52], v[26:27] offset:-4
	s_ashr_i32 s9, s8, 31
	s_wait_alu 0xfffe
	s_lshl_b64 s[70:71], s[46:47], 3
	v_add_co_u32 v53, vcc_lo, v39, s68
	s_lshl_b64 s[72:73], s[8:9], 3
	s_wait_alu 0xfffd
	v_add_co_ci_u32_e64 v54, null, s69, v40, vcc_lo
	s_wait_alu 0xfffe
	v_add_co_u32 v55, vcc_lo, v39, s70
	s_wait_alu 0xfffd
	v_add_co_ci_u32_e64 v56, null, s71, v40, vcc_lo
	v_add_co_u32 v57, vcc_lo, v39, s72
	s_wait_alu 0xfffd
	v_add_co_ci_u32_e64 v58, null, s73, v40, vcc_lo
	s_clause 0x2
	flat_load_b64 v[53:54], v[53:54]
	flat_load_b64 v[55:56], v[55:56]
	;; [unrolled: 1-line block ×3, first 2 shown]
	v_add_co_u32 v26, vcc_lo, v26, 8
	s_wait_alu 0xfffd
	v_add_co_ci_u32_e64 v27, null, 0, v27, vcc_lo
	s_add_co_i32 s66, s66, -1
	s_add_co_i32 s7, s7, 8
	s_add_co_i32 s48, s48, 1
	;; [unrolled: 1-line block ×4, first 2 shown]
	s_cmp_lg_u32 s66, 0
	s_wait_loadcnt_dscnt 0x303
	v_mul_f32_e32 v5, v50, v52
	s_delay_alu instid0(VALU_DEP_1) | instskip(NEXT) | instid1(VALU_DEP_1)
	v_fmac_f32_e32 v5, v49, v51
	v_dual_mul_f32 v52, v49, v52 :: v_dual_add_f32 v47, v47, v5
	s_delay_alu instid0(VALU_DEP_1)
	v_fma_f32 v51, v50, v51, -v52
	s_wait_loadcnt_dscnt 0x202
	v_mul_f32_e32 v52, v50, v54
	s_wait_loadcnt_dscnt 0x101
	v_dual_mul_f32 v54, v49, v54 :: v_dual_mul_f32 v59, v50, v56
	v_mul_f32_e32 v56, v49, v56
	s_wait_loadcnt_dscnt 0x0
	v_mul_f32_e32 v60, v50, v58
	v_mul_f32_e32 v58, v49, v58
	v_fmac_f32_e32 v52, v49, v53
	v_fma_f32 v5, v50, v53, -v54
	v_add_f32_e32 v48, v48, v51
	v_fmac_f32_e32 v59, v49, v55
	v_fma_f32 v51, v50, v55, -v56
	v_fmac_f32_e32 v60, v49, v57
	v_fma_f32 v49, v50, v57, -v58
	v_dual_add_f32 v28, v28, v52 :: v_dual_add_f32 v29, v29, v5
	s_delay_alu instid0(VALU_DEP_3) | instskip(NEXT) | instid1(VALU_DEP_3)
	v_dual_add_f32 v30, v30, v59 :: v_dual_add_f32 v33, v33, v60
	v_dual_add_f32 v31, v31, v51 :: v_dual_add_f32 v32, v32, v49
	s_cbranch_scc1 .LBB328_51
	s_branch .LBB328_62
.LBB328_52:                             ;   in Loop: Header=BB328_18 Depth=2
	ds_load_b64 v[26:27], v34
	s_wait_alu 0xfffe
	s_or_b32 exec_lo, exec_lo, s7
	s_and_saveexec_b32 s7, s1
	s_cbranch_execz .LBB328_26
.LBB328_53:                             ;   in Loop: Header=BB328_18 Depth=2
	s_wait_dscnt 0x0
	ds_bpermute_b32 v5, v42, v26
	ds_bpermute_b32 v47, v42, v27
	s_wait_dscnt 0x0
	v_dual_add_f32 v5, v26, v5 :: v_dual_add_f32 v26, v27, v47
	ds_bpermute_b32 v27, v43, v5
	ds_bpermute_b32 v47, v43, v26
	s_wait_dscnt 0x1
	v_add_f32_e32 v5, v5, v27
	s_wait_dscnt 0x0
	v_add_f32_e32 v27, v26, v47
	ds_bpermute_b32 v26, v44, v5
	s_wait_dscnt 0x0
	v_add_f32_e32 v26, v5, v26
	ds_bpermute_b32 v47, v44, v27
	s_wait_dscnt 0x0
	v_add_f32_e32 v27, v27, v47
	s_wait_alu 0xfffe
	s_or_b32 exec_lo, exec_lo, s7
	s_and_saveexec_b32 s7, s1
	s_cbranch_execnz .LBB328_27
	s_branch .LBB328_28
.LBB328_54:                             ;   in Loop: Header=BB328_18 Depth=2
	ds_load_b64 v[28:29], v34
	s_wait_alu 0xfffe
	s_or_b32 exec_lo, exec_lo, s7
	s_and_saveexec_b32 s7, s1
	s_cbranch_execz .LBB328_32
.LBB328_55:                             ;   in Loop: Header=BB328_18 Depth=2
	s_wait_dscnt 0x0
	ds_bpermute_b32 v5, v42, v28
	ds_bpermute_b32 v47, v42, v29
	s_wait_dscnt 0x0
	v_dual_add_f32 v5, v28, v5 :: v_dual_add_f32 v28, v29, v47
	ds_bpermute_b32 v29, v43, v5
	ds_bpermute_b32 v47, v43, v28
	s_wait_dscnt 0x1
	v_add_f32_e32 v5, v5, v29
	s_wait_dscnt 0x0
	v_add_f32_e32 v29, v28, v47
	ds_bpermute_b32 v28, v44, v5
	s_wait_dscnt 0x0
	v_add_f32_e32 v28, v5, v28
	ds_bpermute_b32 v47, v44, v29
	s_wait_dscnt 0x0
	v_add_f32_e32 v29, v29, v47
	s_wait_alu 0xfffe
	s_or_b32 exec_lo, exec_lo, s7
	s_and_saveexec_b32 s7, s1
	s_cbranch_execnz .LBB328_33
	s_branch .LBB328_34
.LBB328_56:                             ;   in Loop: Header=BB328_18 Depth=2
	ds_load_b64 v[30:31], v34
	s_wait_alu 0xfffe
	s_or_b32 exec_lo, exec_lo, s7
	s_and_saveexec_b32 s7, s1
	s_cbranch_execz .LBB328_38
.LBB328_57:                             ;   in Loop: Header=BB328_18 Depth=2
	s_wait_dscnt 0x0
	ds_bpermute_b32 v5, v42, v30
	ds_bpermute_b32 v47, v42, v31
	s_wait_dscnt 0x0
	v_dual_add_f32 v5, v30, v5 :: v_dual_add_f32 v30, v31, v47
	ds_bpermute_b32 v31, v43, v5
	ds_bpermute_b32 v47, v43, v30
	s_wait_dscnt 0x1
	v_add_f32_e32 v5, v5, v31
	s_wait_dscnt 0x0
	v_add_f32_e32 v31, v30, v47
	ds_bpermute_b32 v30, v44, v5
	s_wait_dscnt 0x0
	v_add_f32_e32 v30, v5, v30
	ds_bpermute_b32 v47, v44, v31
	s_wait_dscnt 0x0
	v_add_f32_e32 v31, v31, v47
	s_wait_alu 0xfffe
	s_or_b32 exec_lo, exec_lo, s7
	s_and_saveexec_b32 s7, s1
	s_cbranch_execnz .LBB328_39
	s_branch .LBB328_40
.LBB328_58:                             ;   in Loop: Header=BB328_18 Depth=2
	ds_load_b64 v[32:33], v34
	s_wait_alu 0xfffe
	s_or_b32 exec_lo, exec_lo, s7
	s_and_saveexec_b32 s7, s1
	s_cbranch_execz .LBB328_44
.LBB328_59:                             ;   in Loop: Header=BB328_18 Depth=2
	s_wait_dscnt 0x0
	ds_bpermute_b32 v5, v42, v32
	ds_bpermute_b32 v47, v42, v33
	s_wait_dscnt 0x0
	v_dual_add_f32 v5, v32, v5 :: v_dual_add_f32 v32, v33, v47
	ds_bpermute_b32 v33, v43, v5
	ds_bpermute_b32 v47, v43, v32
	s_wait_dscnt 0x1
	v_add_f32_e32 v5, v5, v33
	s_wait_dscnt 0x0
	v_add_f32_e32 v33, v32, v47
	ds_bpermute_b32 v32, v44, v5
	s_wait_dscnt 0x0
	v_add_f32_e32 v32, v5, v32
	ds_bpermute_b32 v47, v44, v33
	s_wait_dscnt 0x0
	v_add_f32_e32 v33, v33, v47
	s_wait_alu 0xfffe
	s_or_b32 exec_lo, exec_lo, s7
	s_and_saveexec_b32 s7, s0
	s_cbranch_execz .LBB328_17
.LBB328_60:                             ;   in Loop: Header=BB328_18 Depth=2
	v_dual_mul_f32 v48, s14, v27 :: v_dual_mul_f32 v49, s15, v29
	v_mul_f32_e32 v5, s15, v27
	s_mul_i32 s8, s11, s30
	v_mul_f32_e32 v27, s14, v29
	s_wait_alu 0xfffe
	s_add_co_i32 s28, s8, s24
	v_fmac_f32_e32 v48, s15, v26
	v_fma_f32 v47, v26, s14, -v5
	s_lshl_b64 s[8:9], s[28:29], 3
	s_add_co_i32 s28, s28, s30
	v_fma_f32 v26, v28, s14, -v49
	v_fmac_f32_e32 v27, s15, v28
	v_mul_f32_e32 v5, s15, v31
	s_lshl_b64 s[46:47], s[28:29], 3
	s_wait_alu 0xfffe
	s_add_nc_u64 s[8:9], s[44:45], s[8:9]
	s_add_nc_u64 s[46:47], s[44:45], s[46:47]
	s_clause 0x1
	global_store_b64 v4, v[47:48], s[8:9]
	global_store_b64 v4, v[26:27], s[46:47]
	v_mul_f32_e32 v27, s14, v31
	v_fma_f32 v26, v30, s14, -v5
	s_wait_dscnt 0x0
	v_mul_f32_e32 v5, s15, v33
	v_mul_f32_e32 v29, s14, v33
	s_add_co_i32 s28, s28, s30
	v_fmac_f32_e32 v27, s15, v30
	s_lshl_b64 s[8:9], s[28:29], 3
	s_add_co_i32 s28, s28, s30
	v_fma_f32 v28, v32, s14, -v5
	v_fmac_f32_e32 v29, s15, v32
	s_lshl_b64 s[46:47], s[28:29], 3
	s_wait_alu 0xfffe
	s_add_nc_u64 s[8:9], s[44:45], s[8:9]
	s_add_nc_u64 s[46:47], s[44:45], s[46:47]
	s_clause 0x1
	global_store_b64 v4, v[26:27], s[8:9]
	global_store_b64 v4, v[28:29], s[46:47]
	s_branch .LBB328_17
.LBB328_61:                             ;   in Loop: Header=BB328_18 Depth=2
	v_dual_mov_b32 v47, 0 :: v_dual_mov_b32 v48, 0
	v_dual_mov_b32 v28, 0 :: v_dual_mov_b32 v29, 0
	;; [unrolled: 1-line block ×4, first 2 shown]
.LBB328_62:                             ;   in Loop: Header=BB328_18 Depth=2
	s_or_b32 exec_lo, exec_lo, s65
	s_delay_alu instid0(SALU_CYCLE_1)
	s_or_b32 exec_lo, exec_lo, s28
	s_and_saveexec_b32 s7, s1
	s_cbranch_execnz .LBB328_21
	s_branch .LBB328_22
.LBB328_63:                             ;   in Loop: Header=BB328_3 Depth=1
	s_mov_b32 s11, 0
.LBB328_64:                             ;   in Loop: Header=BB328_3 Depth=1
	s_delay_alu instid0(SALU_CYCLE_1)
	s_cmp_ge_i32 s11, s13
	s_cbranch_scc1 .LBB328_2
; %bb.65:                               ;   in Loop: Header=BB328_3 Depth=1
	v_cmp_gt_u32_e32 vcc_lo, 24, v38
	s_wait_alu 0xfffe
	s_add_nc_u64 s[6:7], s[44:45], s[36:37]
	s_mul_i32 s8, s50, s11
	s_mov_b32 s28, s11
	s_wait_alu 0xfffd
	v_cndmask_b32_e64 v5, 0, 8, vcc_lo
	v_cmp_gt_u32_e32 vcc_lo, 28, v38
	s_delay_alu instid0(VALU_DEP_2) | instskip(SKIP_3) | instid1(VALU_DEP_2)
	v_add_lshl_u32 v26, v5, v38, 2
	s_wait_alu 0xfffd
	v_cndmask_b32_e64 v18, 0, 4, vcc_lo
	v_cmp_gt_u32_e32 vcc_lo, 30, v38
	v_add_lshl_u32 v27, v18, v38, 2
	s_wait_alu 0xfffd
	v_cndmask_b32_e64 v19, 0, 2, vcc_lo
	v_cmp_ne_u32_e32 vcc_lo, 31, v38
	s_delay_alu instid0(VALU_DEP_2)
	v_add_lshl_u32 v28, v19, v38, 2
	s_wait_alu 0xfffd
	v_add_co_ci_u32_e64 v20, null, 0, v38, vcc_lo
	v_add_co_u32 v18, vcc_lo, v14, v6
	s_wait_alu 0xfffd
	v_add_co_ci_u32_e64 v19, null, v15, v7, vcc_lo
	s_delay_alu instid0(VALU_DEP_3)
	v_lshlrev_b32_e32 v29, 2, v20
	v_add_co_u32 v20, vcc_lo, v14, v8
	s_wait_alu 0xfffd
	v_add_co_ci_u32_e64 v21, null, v15, v9, vcc_lo
	v_add_co_u32 v22, vcc_lo, v14, v10
	s_wait_alu 0xfffd
	v_add_co_ci_u32_e64 v23, null, v15, v11, vcc_lo
	;; [unrolled: 3-line block ×4, first 2 shown]
	s_branch .LBB328_67
.LBB328_66:                             ;   in Loop: Header=BB328_67 Depth=2
	s_wait_alu 0xfffe
	s_or_b32 exec_lo, exec_lo, s9
	s_add_co_i32 s28, s28, 1
	s_add_co_i32 s8, s8, s50
	s_cmp_lt_i32 s28, s13
	s_cbranch_scc0 .LBB328_2
.LBB328_67:                             ;   Parent Loop BB328_3 Depth=1
                                        ; =>  This Loop Header: Depth=2
                                        ;       Child Loop BB328_79 Depth 3
                                        ;       Child Loop BB328_81 Depth 3
                                        ; implicit-def: $vgpr32
                                        ; implicit-def: $vgpr33
	s_and_saveexec_b32 s9, s4
	s_wait_alu 0xfffe
	s_xor_b32 s9, exec_lo, s9
	s_cbranch_execnz .LBB328_76
; %bb.68:                               ;   in Loop: Header=BB328_67 Depth=2
	s_wait_alu 0xfffe
	s_and_not1_saveexec_b32 s11, s9
	s_cbranch_execnz .LBB328_77
.LBB328_69:                             ;   in Loop: Header=BB328_67 Depth=2
	s_or_b32 exec_lo, exec_lo, s11
	s_and_saveexec_b32 s9, s1
.LBB328_70:                             ;   in Loop: Header=BB328_67 Depth=2
	v_mov_b32_e32 v5, v4
	ds_store_b64 v34, v[4:5]
.LBB328_71:                             ;   in Loop: Header=BB328_67 Depth=2
	s_wait_alu 0xfffe
	s_or_b32 exec_lo, exec_lo, s9
	s_wait_dscnt 0x0
	ds_bpermute_b32 v5, v1, v32
	ds_bpermute_b32 v16, v1, v33
	s_wait_storecnt 0x0
	s_wait_loadcnt_dscnt 0x0
	s_barrier_signal -1
	s_barrier_wait -1
	global_inv scope:SCOPE_SE
	v_dual_add_f32 v5, v32, v5 :: v_dual_add_f32 v16, v33, v16
	ds_bpermute_b32 v17, v26, v5
	ds_bpermute_b32 v32, v26, v16
	s_wait_dscnt 0x0
	v_dual_add_f32 v5, v5, v17 :: v_dual_add_f32 v16, v16, v32
	ds_bpermute_b32 v17, v27, v5
	ds_bpermute_b32 v32, v27, v16
	s_wait_dscnt 0x0
	;; [unrolled: 4-line block ×3, first 2 shown]
	v_dual_add_f32 v5, v5, v17 :: v_dual_add_f32 v16, v16, v32
	ds_bpermute_b32 v17, v29, v5
	ds_bpermute_b32 v32, v29, v16
	s_and_saveexec_b32 s9, s3
	s_cbranch_execz .LBB328_73
; %bb.72:                               ;   in Loop: Header=BB328_67 Depth=2
	s_wait_dscnt 0x0
	v_dual_add_f32 v33, v16, v32 :: v_dual_add_f32 v32, v5, v17
	ds_store_b64 v35, v[32:33]
.LBB328_73:                             ;   in Loop: Header=BB328_67 Depth=2
	s_wait_alu 0xfffe
	s_or_b32 exec_lo, exec_lo, s9
	s_wait_dscnt 0x1
	v_dual_mov_b32 v17, 0 :: v_dual_mov_b32 v16, 0
	s_wait_loadcnt_dscnt 0x0
	s_barrier_signal -1
	s_barrier_wait -1
	global_inv scope:SCOPE_SE
	s_and_saveexec_b32 s9, s2
	s_cbranch_execnz .LBB328_83
; %bb.74:                               ;   in Loop: Header=BB328_67 Depth=2
	s_wait_alu 0xfffe
	s_or_b32 exec_lo, exec_lo, s9
	s_and_saveexec_b32 s9, s1
	s_cbranch_execnz .LBB328_84
.LBB328_75:                             ;   in Loop: Header=BB328_67 Depth=2
	s_wait_alu 0xfffe
	s_or_b32 exec_lo, exec_lo, s9
	s_and_saveexec_b32 s9, s0
	s_cbranch_execz .LBB328_66
	s_branch .LBB328_85
.LBB328_76:                             ;   in Loop: Header=BB328_67 Depth=2
	s_mul_i32 s44, s28, s50
	s_wait_alu 0xfffe
	s_ashr_i32 s45, s44, 31
	s_wait_alu 0xfffe
	s_lshl_b64 s[44:45], s[44:45], 3
	s_wait_dscnt 0x0
	s_wait_alu 0xfffe
	v_add_co_u32 v16, vcc_lo, v39, s44
	s_wait_alu 0xfffd
	v_add_co_ci_u32_e64 v17, null, s45, v40, vcc_lo
	flat_load_b128 v[41:44], v[16:17]
	s_clause 0x1
	flat_load_b64 v[45:46], v[18:19]
	flat_load_b64 v[47:48], v[20:21]
	flat_load_b128 v[49:52], v[16:17] offset:16
	s_clause 0x1
	flat_load_b64 v[53:54], v[22:23]
	flat_load_b64 v[55:56], v[24:25]
	s_wait_loadcnt_dscnt 0x303
	scratch_store_b128 off, v[45:48], off
	s_wait_loadcnt_dscnt 0x0
	scratch_store_b128 off, v[53:56], off offset:16
	v_dual_mul_f32 v16, v42, v45 :: v_dual_mul_f32 v17, v44, v48
	v_dual_mul_f32 v5, v42, v46 :: v_dual_mul_f32 v32, v44, v47
	v_mul_f32_e32 v42, v50, v53
	s_delay_alu instid0(VALU_DEP_3) | instskip(SKIP_1) | instid1(VALU_DEP_4)
	v_fma_f32 v16, v41, v46, -v16
	v_mul_f32_e32 v33, v50, v54
	v_fma_f32 v32, v43, v48, -v32
	s_delay_alu instid0(VALU_DEP_3) | instskip(SKIP_2) | instid1(VALU_DEP_3)
	v_dual_add_f32 v16, 0, v16 :: v_dual_fmac_f32 v5, v41, v45
	v_mul_f32_e32 v41, v52, v56
	v_fma_f32 v42, v49, v54, -v42
	v_dual_fmac_f32 v33, v49, v53 :: v_dual_add_f32 v16, v16, v32
	v_fmac_f32_e32 v17, v43, v47
	v_add_f32_e32 v5, 0, v5
	s_delay_alu instid0(VALU_DEP_3) | instskip(NEXT) | instid1(VALU_DEP_2)
	v_dual_fmac_f32 v41, v51, v55 :: v_dual_add_f32 v16, v16, v42
	v_add_f32_e32 v5, v5, v17
	s_delay_alu instid0(VALU_DEP_1) | instskip(NEXT) | instid1(VALU_DEP_1)
	v_add_f32_e32 v5, v5, v33
	v_dual_mul_f32 v43, v52, v55 :: v_dual_add_f32 v32, v5, v41
	s_delay_alu instid0(VALU_DEP_1) | instskip(NEXT) | instid1(VALU_DEP_1)
	v_fma_f32 v17, v51, v56, -v43
	v_add_f32_e32 v33, v16, v17
	s_and_not1_saveexec_b32 s11, s9
	s_cbranch_execz .LBB328_69
.LBB328_77:                             ;   in Loop: Header=BB328_67 Depth=2
	s_wait_dscnt 0x0
	v_dual_mov_b32 v32, 0 :: v_dual_mov_b32 v33, 0
	s_and_saveexec_b32 s44, s12
	s_cbranch_execz .LBB328_82
; %bb.78:                               ;   in Loop: Header=BB328_67 Depth=2
	v_mov_b32_e32 v16, v0
	s_mov_b32 s9, 0
	s_mov_b32 s45, s56
.LBB328_79:                             ;   Parent Loop BB328_3 Depth=1
                                        ;     Parent Loop BB328_67 Depth=2
                                        ; =>    This Inner Loop Header: Depth=3
	s_delay_alu instid0(VALU_DEP_1) | instskip(SKIP_2) | instid1(VALU_DEP_1)
	v_ashrrev_i32_e32 v17, 31, v16
	s_wait_alu 0xfffe
	s_add_co_i32 s45, s45, -1
	v_lshlrev_b64_e32 v[32:33], 3, v[16:17]
	v_add_nc_u32_e32 v16, s51, v16
	s_delay_alu instid0(VALU_DEP_2) | instskip(SKIP_1) | instid1(VALU_DEP_3)
	v_add_co_u32 v32, vcc_lo, v14, v32
	s_wait_alu 0xfffd
	v_add_co_ci_u32_e64 v33, null, v15, v33, vcc_lo
	flat_load_b64 v[32:33], v[32:33]
	s_wait_loadcnt_dscnt 0x0
	scratch_store_b64 off, v[32:33], s9
	s_add_co_i32 s9, s9, 8
	s_wait_alu 0xfffe
	s_cmp_eq_u32 s45, 0
	s_cbranch_scc0 .LBB328_79
; %bb.80:                               ;   in Loop: Header=BB328_67 Depth=2
	s_ashr_i32 s9, s8, 31
	v_dual_mov_b32 v32, 0 :: v_dual_mov_b32 v33, 0
	s_wait_alu 0xfffe
	s_lshl_b64 s[46:47], s[8:9], 3
	s_mov_b32 s9, s61
	s_wait_alu 0xfffe
	v_add_co_u32 v16, vcc_lo, v30, s46
	s_wait_alu 0xfffd
	v_add_co_ci_u32_e64 v17, null, s47, v31, vcc_lo
	s_mov_b32 s45, s56
.LBB328_81:                             ;   Parent Loop BB328_3 Depth=1
                                        ;     Parent Loop BB328_67 Depth=2
                                        ; =>    This Inner Loop Header: Depth=3
	flat_load_b64 v[41:42], v[16:17] offset:-4
	scratch_load_b64 v[43:44], off, s9 offset:-4
	v_add_co_u32 v16, vcc_lo, v16, 8
	s_wait_alu 0xfffd
	v_add_co_ci_u32_e64 v17, null, 0, v17, vcc_lo
	s_wait_alu 0xfffe
	s_add_co_i32 s45, s45, -1
	s_add_co_i32 s9, s9, 8
	s_wait_alu 0xfffe
	s_cmp_lg_u32 s45, 0
	s_wait_loadcnt_dscnt 0x0
	v_mul_f32_e32 v5, v42, v44
	v_mul_f32_e32 v42, v42, v43
	s_delay_alu instid0(VALU_DEP_2) | instskip(NEXT) | instid1(VALU_DEP_2)
	v_fmac_f32_e32 v5, v41, v43
	v_fma_f32 v41, v41, v44, -v42
	s_delay_alu instid0(VALU_DEP_2) | instskip(NEXT) | instid1(VALU_DEP_2)
	v_add_f32_e32 v32, v32, v5
	v_add_f32_e32 v33, v33, v41
	s_cbranch_scc1 .LBB328_81
.LBB328_82:                             ;   in Loop: Header=BB328_67 Depth=2
	s_wait_alu 0xfffe
	s_or_b32 exec_lo, exec_lo, s44
	s_delay_alu instid0(SALU_CYCLE_1)
	s_or_b32 exec_lo, exec_lo, s11
	s_and_saveexec_b32 s9, s1
	s_cbranch_execnz .LBB328_70
	s_branch .LBB328_71
.LBB328_83:                             ;   in Loop: Header=BB328_67 Depth=2
	ds_load_b64 v[16:17], v34
	s_wait_alu 0xfffe
	s_or_b32 exec_lo, exec_lo, s9
	s_and_saveexec_b32 s9, s1
	s_cbranch_execz .LBB328_75
.LBB328_84:                             ;   in Loop: Header=BB328_67 Depth=2
	s_wait_dscnt 0x0
	ds_bpermute_b32 v5, v27, v16
	ds_bpermute_b32 v32, v27, v17
	s_wait_dscnt 0x0
	v_dual_add_f32 v5, v16, v5 :: v_dual_add_f32 v16, v17, v32
	ds_bpermute_b32 v17, v28, v5
	ds_bpermute_b32 v32, v28, v16
	s_wait_dscnt 0x1
	v_add_f32_e32 v5, v5, v17
	s_wait_dscnt 0x0
	v_add_f32_e32 v17, v16, v32
	ds_bpermute_b32 v16, v29, v5
	ds_bpermute_b32 v32, v29, v17
	s_wait_dscnt 0x1
	v_add_f32_e32 v16, v5, v16
	s_wait_dscnt 0x0
	v_add_f32_e32 v17, v17, v32
	s_wait_alu 0xfffe
	s_or_b32 exec_lo, exec_lo, s9
	s_and_saveexec_b32 s9, s0
	s_cbranch_execz .LBB328_66
.LBB328_85:                             ;   in Loop: Header=BB328_67 Depth=2
	s_wait_dscnt 0x0
	v_mul_f32_e32 v5, s15, v17
	v_mul_f32_e32 v33, s14, v17
	s_mul_u64 s[44:45], s[28:29], s[30:31]
	s_wait_alu 0xfffe
	s_lshl_b64 s[44:45], s[44:45], 3
	v_fma_f32 v32, v16, s14, -v5
	v_fmac_f32_e32 v33, s15, v16
	s_wait_alu 0xfffe
	s_add_nc_u64 s[44:45], s[6:7], s[44:45]
	global_store_b64 v4, v[32:33], s[44:45]
	s_branch .LBB328_66
.LBB328_86:
	s_endpgm
	.section	.rodata,"a",@progbits
	.p2align	6, 0x0
	.amdhsa_kernel _ZL23rocblas_gemvt_sn_kernelILb1ELi256ELi4EiPK19rocblas_complex_numIfES1_S1_EviiT4_lPKT3_lilS7_lilPT5_i
		.amdhsa_group_segment_fixed_size 256
		.amdhsa_private_segment_fixed_size 48
		.amdhsa_kernarg_size 360
		.amdhsa_user_sgpr_count 2
		.amdhsa_user_sgpr_dispatch_ptr 0
		.amdhsa_user_sgpr_queue_ptr 0
		.amdhsa_user_sgpr_kernarg_segment_ptr 1
		.amdhsa_user_sgpr_dispatch_id 0
		.amdhsa_user_sgpr_private_segment_size 0
		.amdhsa_wavefront_size32 1
		.amdhsa_uses_dynamic_stack 0
		.amdhsa_enable_private_segment 1
		.amdhsa_system_sgpr_workgroup_id_x 1
		.amdhsa_system_sgpr_workgroup_id_y 0
		.amdhsa_system_sgpr_workgroup_id_z 1
		.amdhsa_system_sgpr_workgroup_info 0
		.amdhsa_system_vgpr_workitem_id 0
		.amdhsa_next_free_vgpr 90
		.amdhsa_next_free_sgpr 74
		.amdhsa_reserve_vcc 1
		.amdhsa_float_round_mode_32 0
		.amdhsa_float_round_mode_16_64 0
		.amdhsa_float_denorm_mode_32 3
		.amdhsa_float_denorm_mode_16_64 3
		.amdhsa_fp16_overflow 0
		.amdhsa_workgroup_processor_mode 1
		.amdhsa_memory_ordered 1
		.amdhsa_forward_progress 1
		.amdhsa_inst_pref_size 47
		.amdhsa_round_robin_scheduling 0
		.amdhsa_exception_fp_ieee_invalid_op 0
		.amdhsa_exception_fp_denorm_src 0
		.amdhsa_exception_fp_ieee_div_zero 0
		.amdhsa_exception_fp_ieee_overflow 0
		.amdhsa_exception_fp_ieee_underflow 0
		.amdhsa_exception_fp_ieee_inexact 0
		.amdhsa_exception_int_div_zero 0
	.end_amdhsa_kernel
	.section	.text._ZL23rocblas_gemvt_sn_kernelILb1ELi256ELi4EiPK19rocblas_complex_numIfES1_S1_EviiT4_lPKT3_lilS7_lilPT5_i,"axG",@progbits,_ZL23rocblas_gemvt_sn_kernelILb1ELi256ELi4EiPK19rocblas_complex_numIfES1_S1_EviiT4_lPKT3_lilS7_lilPT5_i,comdat
.Lfunc_end328:
	.size	_ZL23rocblas_gemvt_sn_kernelILb1ELi256ELi4EiPK19rocblas_complex_numIfES1_S1_EviiT4_lPKT3_lilS7_lilPT5_i, .Lfunc_end328-_ZL23rocblas_gemvt_sn_kernelILb1ELi256ELi4EiPK19rocblas_complex_numIfES1_S1_EviiT4_lPKT3_lilS7_lilPT5_i
                                        ; -- End function
	.set _ZL23rocblas_gemvt_sn_kernelILb1ELi256ELi4EiPK19rocblas_complex_numIfES1_S1_EviiT4_lPKT3_lilS7_lilPT5_i.num_vgpr, 90
	.set _ZL23rocblas_gemvt_sn_kernelILb1ELi256ELi4EiPK19rocblas_complex_numIfES1_S1_EviiT4_lPKT3_lilS7_lilPT5_i.num_agpr, 0
	.set _ZL23rocblas_gemvt_sn_kernelILb1ELi256ELi4EiPK19rocblas_complex_numIfES1_S1_EviiT4_lPKT3_lilS7_lilPT5_i.numbered_sgpr, 74
	.set _ZL23rocblas_gemvt_sn_kernelILb1ELi256ELi4EiPK19rocblas_complex_numIfES1_S1_EviiT4_lPKT3_lilS7_lilPT5_i.num_named_barrier, 0
	.set _ZL23rocblas_gemvt_sn_kernelILb1ELi256ELi4EiPK19rocblas_complex_numIfES1_S1_EviiT4_lPKT3_lilS7_lilPT5_i.private_seg_size, 48
	.set _ZL23rocblas_gemvt_sn_kernelILb1ELi256ELi4EiPK19rocblas_complex_numIfES1_S1_EviiT4_lPKT3_lilS7_lilPT5_i.uses_vcc, 1
	.set _ZL23rocblas_gemvt_sn_kernelILb1ELi256ELi4EiPK19rocblas_complex_numIfES1_S1_EviiT4_lPKT3_lilS7_lilPT5_i.uses_flat_scratch, 1
	.set _ZL23rocblas_gemvt_sn_kernelILb1ELi256ELi4EiPK19rocblas_complex_numIfES1_S1_EviiT4_lPKT3_lilS7_lilPT5_i.has_dyn_sized_stack, 0
	.set _ZL23rocblas_gemvt_sn_kernelILb1ELi256ELi4EiPK19rocblas_complex_numIfES1_S1_EviiT4_lPKT3_lilS7_lilPT5_i.has_recursion, 0
	.set _ZL23rocblas_gemvt_sn_kernelILb1ELi256ELi4EiPK19rocblas_complex_numIfES1_S1_EviiT4_lPKT3_lilS7_lilPT5_i.has_indirect_call, 0
	.section	.AMDGPU.csdata,"",@progbits
; Kernel info:
; codeLenInByte = 5900
; TotalNumSgprs: 76
; NumVgprs: 90
; ScratchSize: 48
; MemoryBound: 0
; FloatMode: 240
; IeeeMode: 1
; LDSByteSize: 256 bytes/workgroup (compile time only)
; SGPRBlocks: 0
; VGPRBlocks: 11
; NumSGPRsForWavesPerEU: 76
; NumVGPRsForWavesPerEU: 90
; Occupancy: 16
; WaveLimiterHint : 1
; COMPUTE_PGM_RSRC2:SCRATCH_EN: 1
; COMPUTE_PGM_RSRC2:USER_SGPR: 2
; COMPUTE_PGM_RSRC2:TRAP_HANDLER: 0
; COMPUTE_PGM_RSRC2:TGID_X_EN: 1
; COMPUTE_PGM_RSRC2:TGID_Y_EN: 0
; COMPUTE_PGM_RSRC2:TGID_Z_EN: 1
; COMPUTE_PGM_RSRC2:TIDIG_COMP_CNT: 0
	.section	.text._ZL23rocblas_gemvt_sn_kernelILb1ELi256ELi4ElPK19rocblas_complex_numIfES1_S1_EviiT4_lPKT3_lilS7_lilPT5_i,"axG",@progbits,_ZL23rocblas_gemvt_sn_kernelILb1ELi256ELi4ElPK19rocblas_complex_numIfES1_S1_EviiT4_lPKT3_lilS7_lilPT5_i,comdat
	.globl	_ZL23rocblas_gemvt_sn_kernelILb1ELi256ELi4ElPK19rocblas_complex_numIfES1_S1_EviiT4_lPKT3_lilS7_lilPT5_i ; -- Begin function _ZL23rocblas_gemvt_sn_kernelILb1ELi256ELi4ElPK19rocblas_complex_numIfES1_S1_EviiT4_lPKT3_lilS7_lilPT5_i
	.p2align	8
	.type	_ZL23rocblas_gemvt_sn_kernelILb1ELi256ELi4ElPK19rocblas_complex_numIfES1_S1_EviiT4_lPKT3_lilS7_lilPT5_i,@function
_ZL23rocblas_gemvt_sn_kernelILb1ELi256ELi4ElPK19rocblas_complex_numIfES1_S1_EviiT4_lPKT3_lilS7_lilPT5_i: ; @_ZL23rocblas_gemvt_sn_kernelILb1ELi256ELi4ElPK19rocblas_complex_numIfES1_S1_EviiT4_lPKT3_lilS7_lilPT5_i
; %bb.0:
	s_load_b32 s33, s[0:1], 0x60
	s_lshr_b32 s10, ttmp7, 16
	s_wait_kmcnt 0x0
	s_cmp_ge_u32 s10, s33
	s_cbranch_scc1 .LBB329_86
; %bb.1:
	s_clause 0x6
	s_load_b128 s[12:15], s[0:1], 0x0
	s_load_b32 s26, s[0:1], 0x28
	s_load_b32 s6, s[0:1], 0x48
	s_load_b128 s[16:19], s[0:1], 0x18
	s_load_b32 s28, s[0:1], 0x68
	s_load_b64 s[30:31], s[0:1], 0x58
	s_load_b128 s[20:23], s[0:1], 0x38
	s_mov_b32 s25, 0
	v_cmp_eq_u32_e64 s0, 0, v0
	s_mov_b32 s29, s25
	v_and_b32_e32 v3, 31, v0
	v_cmp_gt_u32_e64 s1, 32, v0
	v_lshrrev_b32_e32 v4, 2, v0
	v_mbcnt_lo_u32_b32 v39, -1, 0
	s_mov_b32 s24, ttmp9
	v_lshlrev_b32_e32 v36, 3, v3
	s_delay_alu instid0(VALU_DEP_3) | instskip(NEXT) | instid1(VALU_DEP_3)
	v_and_b32_e32 v37, 56, v4
	v_lshl_or_b32 v40, v39, 2, 64
	s_wait_kmcnt 0x0
	s_or_b32 s2, s14, s15
	s_ashr_i32 s27, s26, 31
	s_bitset0_b32 s2, 31
	s_ashr_i32 s7, s6, 31
	s_cmp_lg_u32 s2, 0
	s_cselect_b32 s52, -1, 0
	s_cmp_eq_u32 s2, 0
	s_mov_b32 s2, s13
	s_cselect_b32 s53, -1, 0
	s_ashr_i32 s3, s13, 31
	s_cmp_gt_i32 s13, 0
	s_mul_u64 s[34:35], s[2:3], s[28:29]
	s_cselect_b32 s2, -1, 0
	s_ashr_i32 s5, s12, 31
	s_and_b32 s54, s0, s2
	s_lshr_b32 s2, s5, 30
	s_lshl_b32 s4, ttmp9, 10
	s_add_co_i32 s2, s12, s2
	v_lshl_or_b32 v1, v0, 2, s4
	s_and_b32 s2, s2, -4
	v_cmp_gt_u32_e64 s5, 8, v0
	s_sub_co_i32 s56, s12, s2
	s_lshr_b32 s3, s3, 30
	v_add_nc_u32_e32 v5, 4, v1
	v_add_nc_u32_e32 v6, s56, v1
	v_or_b32_e32 v0, 1, v1
	s_add_co_i32 s3, s13, s3
	v_or_b32_e32 v7, 2, v1
	s_and_b32 s55, s3, -4
	v_cmp_ge_i32_e64 s2, s12, v5
	v_cmp_ge_i32_e64 s3, s12, v6
	v_mad_co_i64_i32 v[5:6], null, s6, v0, 0
	v_or_b32_e32 v0, 3, v1
	v_ashrrev_i32_e32 v2, 31, v1
	v_cmp_eq_u32_e64 s4, 0, v3
	v_mad_co_i64_i32 v[3:4], null, s6, v1, 0
	v_mad_co_i64_i32 v[8:9], null, s6, v7, 0
	;; [unrolled: 1-line block ×3, first 2 shown]
	v_lshlrev_b64_e32 v[0:1], 3, v[1:2]
	s_cmp_gt_i32 s55, 0
	s_delay_alu instid0(VALU_DEP_4)
	v_lshlrev_b64_e32 v[2:3], 3, v[3:4]
	s_cselect_b32 s57, -1, 0
	s_cmp_gt_i32 s56, 0
	v_lshlrev_b64_e32 v[6:7], 3, v[5:6]
	s_cselect_b32 s58, -1, 0
	s_lshl_b64 s[36:37], s[24:25], 3
	v_lshlrev_b64_e32 v[8:9], 3, v[8:9]
	v_lshlrev_b64_e32 v[10:11], 3, v[10:11]
	v_mov_b32_e32 v38, v1
	v_mov_b32_e32 v4, 0
	s_add_nc_u64 s[8:9], s[30:31], s[36:37]
	s_and_b32 s12, s58, s3
	s_add_nc_u64 s[38:39], s[8:9], 4
	s_lshl_b64 s[40:41], s[34:35], 3
	s_lshl_b64 s[42:43], s[28:29], 3
	;; [unrolled: 1-line block ×3, first 2 shown]
	s_or_b32 s59, 0, 4
	s_lshl_b64 s[46:47], s[26:27], 5
	s_lshl_b64 s[48:49], s[26:27], 3
	;; [unrolled: 1-line block ×4, first 2 shown]
	s_branch .LBB329_3
.LBB329_2:                              ;   in Loop: Header=BB329_3 Depth=1
	s_add_co_i32 s10, s10, 0x10000
	s_delay_alu instid0(SALU_CYCLE_1)
	s_cmp_lt_u32 s10, s33
	s_cbranch_scc0 .LBB329_86
.LBB329_3:                              ; =>This Loop Header: Depth=1
                                        ;     Child Loop BB329_13 Depth 2
                                        ;     Child Loop BB329_18 Depth 2
                                        ;       Child Loop BB329_49 Depth 3
                                        ;       Child Loop BB329_51 Depth 3
                                        ;     Child Loop BB329_67 Depth 2
                                        ;       Child Loop BB329_79 Depth 3
                                        ;       Child Loop BB329_81 Depth 3
	s_mov_b32 s11, s25
	s_and_not1_b32 vcc_lo, exec_lo, s53
	s_mov_b32 s6, -1
	s_wait_alu 0xfffe
	s_cbranch_vccnz .LBB329_5
; %bb.4:                                ;   in Loop: Header=BB329_3 Depth=1
	s_mov_b32 s6, 0
.LBB329_5:                              ;   in Loop: Header=BB329_3 Depth=1
	v_mov_b32_e32 v14, 0
	v_dual_mov_b32 v15, 0 :: v_dual_mov_b32 v16, 0
	v_mov_b32_e32 v17, 0
	s_wait_alu 0xfffe
	s_and_not1_b32 vcc_lo, exec_lo, s6
	s_wait_alu 0xfffe
	s_cbranch_vccz .LBB329_9
; %bb.6:                                ;   in Loop: Header=BB329_3 Depth=1
	s_and_not1_b32 vcc_lo, exec_lo, s52
	s_wait_alu 0xfffe
	s_cbranch_vccz .LBB329_10
.LBB329_7:                              ;   in Loop: Header=BB329_3 Depth=1
	s_and_not1_b32 vcc_lo, exec_lo, s53
	s_mov_b32 s6, -1
	s_wait_alu 0xfffe
	s_cbranch_vccz .LBB329_11
.LBB329_8:                              ;   in Loop: Header=BB329_3 Depth=1
	s_wait_alu 0xfffe
	s_and_not1_b32 vcc_lo, exec_lo, s6
	s_wait_alu 0xfffe
	s_cbranch_vccnz .LBB329_2
	s_branch .LBB329_15
.LBB329_9:                              ;   in Loop: Header=BB329_3 Depth=1
	s_lshl_b64 s[6:7], s[10:11], 3
	s_wait_alu 0xfffe
	s_add_nc_u64 s[6:7], s[16:17], s[6:7]
	global_load_b64 v[12:13], v4, s[6:7]
	s_wait_loadcnt 0x0
	v_add_co_u32 v16, vcc_lo, v12, s18
	s_wait_alu 0xfffd
	v_add_co_ci_u32_e64 v17, null, s19, v13, vcc_lo
	s_and_not1_b32 vcc_lo, exec_lo, s52
	s_wait_alu 0xfffe
	s_cbranch_vccnz .LBB329_7
.LBB329_10:                             ;   in Loop: Header=BB329_3 Depth=1
	s_lshl_b64 s[6:7], s[10:11], 3
	s_wait_alu 0xfffe
	s_add_nc_u64 s[6:7], s[20:21], s[6:7]
	global_load_b64 v[12:13], v4, s[6:7]
	s_wait_loadcnt 0x0
	v_add_co_u32 v14, vcc_lo, v12, s22
	s_wait_alu 0xfffd
	v_add_co_ci_u32_e64 v15, null, s23, v13, vcc_lo
	s_and_not1_b32 vcc_lo, exec_lo, s53
	s_mov_b32 s6, -1
	s_wait_alu 0xfffe
	s_cbranch_vccnz .LBB329_8
.LBB329_11:                             ;   in Loop: Header=BB329_3 Depth=1
	s_and_saveexec_b32 s8, s54
	s_cbranch_execz .LBB329_14
; %bb.12:                               ;   in Loop: Header=BB329_3 Depth=1
	s_mul_u64 s[6:7], s[40:41], s[10:11]
	s_mov_b32 s9, s13
	s_wait_alu 0xfffe
	s_add_nc_u64 s[6:7], s[38:39], s[6:7]
.LBB329_13:                             ;   Parent Loop BB329_3 Depth=1
                                        ; =>  This Inner Loop Header: Depth=2
	v_mov_b32_e32 v5, v4
	s_add_co_i32 s9, s9, -1
	s_wait_alu 0xfffe
	s_cmp_eq_u32 s9, 0
	global_store_b64 v4, v[4:5], s[6:7] offset:-4
	s_add_nc_u64 s[6:7], s[6:7], s[42:43]
	s_cbranch_scc0 .LBB329_13
.LBB329_14:                             ;   in Loop: Header=BB329_3 Depth=1
	s_wait_alu 0xfffe
	s_or_b32 exec_lo, exec_lo, s8
	s_cbranch_execnz .LBB329_2
.LBB329_15:                             ;   in Loop: Header=BB329_3 Depth=1
	s_mul_u64 s[6:7], s[34:35], s[10:11]
	v_add_co_u32 v12, vcc_lo, v16, v0
	s_wait_alu 0xfffe
	s_lshl_b64 s[50:51], s[6:7], 3
	s_wait_alu 0xfffd
	v_add_co_ci_u32_e64 v13, null, v17, v1, vcc_lo
	v_cmp_gt_u32_e64 s9, 24, v39
	v_cmp_gt_u32_e64 s8, 28, v39
	;; [unrolled: 1-line block ×3, first 2 shown]
	v_cmp_ne_u32_e64 s6, 31, v39
	s_add_nc_u64 s[50:51], s[30:31], s[50:51]
	s_and_not1_b32 vcc_lo, exec_lo, s57
	s_add_nc_u64 s[50:51], s[50:51], s[36:37]
	s_wait_alu 0xfffe
	s_cbranch_vccnz .LBB329_63
; %bb.16:                               ;   in Loop: Header=BB329_3 Depth=1
	v_cndmask_b32_e64 v18, 0, 4, s8
	v_cndmask_b32_e64 v19, 0, 2, s7
	v_add_co_ci_u32_e64 v20, null, 0, v39, s6
	v_cndmask_b32_e64 v5, 0, 8, s9
	s_delay_alu instid0(VALU_DEP_4)
	v_add_lshl_u32 v42, v18, v39, 2
	v_add_co_u32 v18, vcc_lo, v14, v2
	v_add_lshl_u32 v43, v19, v39, 2
	v_dual_mov_b32 v27, v13 :: v_dual_lshlrev_b32 v44, 2, v20
	s_wait_alu 0xfffd
	v_add_co_ci_u32_e64 v19, null, v15, v3, vcc_lo
	v_add_co_u32 v20, vcc_lo, v14, v6
	s_wait_alu 0xfffd
	v_add_co_ci_u32_e64 v21, null, v15, v7, vcc_lo
	v_add_co_u32 v22, vcc_lo, v14, v8
	s_wait_alu 0xfffd
	v_add_co_ci_u32_e64 v23, null, v15, v9, vcc_lo
	s_wait_dscnt 0x0
	v_add_co_u32 v24, vcc_lo, v14, v10
	v_add_lshl_u32 v41, v5, v39, 2
	s_wait_alu 0xfffd
	v_add_co_ci_u32_e64 v25, null, v15, v11, vcc_lo
	v_mov_b32_e32 v26, v12
	s_mov_b32 s24, 0
	s_branch .LBB329_18
.LBB329_17:                             ;   in Loop: Header=BB329_18 Depth=2
	s_wait_alu 0xfffe
	s_or_b32 exec_lo, exec_lo, s6
	v_add_co_u32 v26, vcc_lo, v26, s46
	s_wait_alu 0xfffd
	v_add_co_ci_u32_e64 v27, null, s47, v27, vcc_lo
	s_add_co_i32 s24, s24, 4
	s_wait_alu 0xfffe
	s_cmp_ge_i32 s24, s55
	s_cbranch_scc1 .LBB329_64
.LBB329_18:                             ;   Parent Loop BB329_3 Depth=1
                                        ; =>  This Loop Header: Depth=2
                                        ;       Child Loop BB329_49 Depth 3
                                        ;       Child Loop BB329_51 Depth 3
                                        ; implicit-def: $vgpr45
                                        ; implicit-def: $vgpr46
                                        ; implicit-def: $vgpr30
                                        ; implicit-def: $vgpr31
                                        ; implicit-def: $vgpr32
                                        ; implicit-def: $vgpr33
                                        ; implicit-def: $vgpr35
                                        ; implicit-def: $vgpr34
	s_and_saveexec_b32 s6, s2
	s_wait_alu 0xfffe
	s_xor_b32 s6, exec_lo, s6
	s_cbranch_execnz .LBB329_45
; %bb.19:                               ;   in Loop: Header=BB329_18 Depth=2
	s_wait_alu 0xfffe
	s_and_not1_saveexec_b32 s6, s6
	s_cbranch_execnz .LBB329_46
.LBB329_20:                             ;   in Loop: Header=BB329_18 Depth=2
	s_wait_alu 0xfffe
	s_or_b32 exec_lo, exec_lo, s6
	s_and_saveexec_b32 s6, s1
.LBB329_21:                             ;   in Loop: Header=BB329_18 Depth=2
	v_mov_b32_e32 v5, v4
	ds_store_b64 v36, v[4:5]
.LBB329_22:                             ;   in Loop: Header=BB329_18 Depth=2
	s_wait_alu 0xfffe
	s_or_b32 exec_lo, exec_lo, s6
	ds_bpermute_b32 v5, v40, v45
	ds_bpermute_b32 v28, v40, v46
	s_wait_storecnt_dscnt 0x0
	s_barrier_signal -1
	s_barrier_wait -1
	global_inv scope:SCOPE_SE
	v_dual_add_f32 v5, v45, v5 :: v_dual_add_f32 v28, v46, v28
	ds_bpermute_b32 v29, v41, v5
	ds_bpermute_b32 v45, v41, v28
	s_wait_dscnt 0x1
	v_add_f32_e32 v5, v5, v29
	s_wait_dscnt 0x0
	v_add_f32_e32 v28, v28, v45
	ds_bpermute_b32 v29, v42, v5
	ds_bpermute_b32 v45, v42, v28
	s_wait_dscnt 0x1
	v_add_f32_e32 v5, v5, v29
	s_wait_dscnt 0x0
	v_add_f32_e32 v28, v28, v45
	ds_bpermute_b32 v29, v43, v5
	ds_bpermute_b32 v45, v43, v28
	s_wait_dscnt 0x1
	v_add_f32_e32 v5, v5, v29
	s_wait_dscnt 0x0
	v_add_f32_e32 v28, v28, v45
	ds_bpermute_b32 v29, v44, v5
	ds_bpermute_b32 v45, v44, v28
	s_and_saveexec_b32 s6, s4
	s_cbranch_execz .LBB329_24
; %bb.23:                               ;   in Loop: Header=BB329_18 Depth=2
	s_wait_dscnt 0x0
	v_add_f32_e32 v46, v28, v45
	v_add_f32_e32 v45, v5, v29
	ds_store_b64 v37, v[45:46]
.LBB329_24:                             ;   in Loop: Header=BB329_18 Depth=2
	s_wait_alu 0xfffe
	s_or_b32 exec_lo, exec_lo, s6
	s_wait_dscnt 0x1
	v_dual_mov_b32 v29, 0 :: v_dual_mov_b32 v28, 0
	s_wait_loadcnt_dscnt 0x0
	s_barrier_signal -1
	s_barrier_wait -1
	global_inv scope:SCOPE_SE
	s_and_saveexec_b32 s6, s5
	s_cbranch_execnz .LBB329_52
; %bb.25:                               ;   in Loop: Header=BB329_18 Depth=2
	s_wait_alu 0xfffe
	s_or_b32 exec_lo, exec_lo, s6
	s_and_saveexec_b32 s6, s1
	s_cbranch_execnz .LBB329_53
.LBB329_26:                             ;   in Loop: Header=BB329_18 Depth=2
	s_wait_alu 0xfffe
	s_or_b32 exec_lo, exec_lo, s6
	s_and_saveexec_b32 s6, s1
.LBB329_27:                             ;   in Loop: Header=BB329_18 Depth=2
	v_mov_b32_e32 v5, v4
	ds_store_b64 v36, v[4:5]
.LBB329_28:                             ;   in Loop: Header=BB329_18 Depth=2
	s_wait_alu 0xfffe
	s_or_b32 exec_lo, exec_lo, s6
	ds_bpermute_b32 v5, v40, v30
	ds_bpermute_b32 v45, v40, v31
	s_wait_loadcnt_dscnt 0x0
	s_barrier_signal -1
	s_barrier_wait -1
	global_inv scope:SCOPE_SE
	v_add_f32_e32 v5, v30, v5
	v_add_f32_e32 v30, v31, v45
	ds_bpermute_b32 v31, v41, v5
	s_wait_dscnt 0x0
	v_add_f32_e32 v5, v5, v31
	ds_bpermute_b32 v45, v41, v30
	ds_bpermute_b32 v31, v42, v5
	s_wait_dscnt 0x0
	v_dual_add_f32 v30, v30, v45 :: v_dual_add_f32 v5, v5, v31
	ds_bpermute_b32 v45, v42, v30
	ds_bpermute_b32 v31, v43, v5
	s_wait_dscnt 0x0
	v_dual_add_f32 v30, v30, v45 :: v_dual_add_f32 v5, v5, v31
	ds_bpermute_b32 v45, v43, v30
	ds_bpermute_b32 v31, v44, v5
	s_wait_dscnt 0x1
	v_add_f32_e32 v30, v30, v45
	ds_bpermute_b32 v45, v44, v30
	s_and_saveexec_b32 s6, s4
	s_cbranch_execz .LBB329_30
; %bb.29:                               ;   in Loop: Header=BB329_18 Depth=2
	s_wait_dscnt 0x0
	v_dual_add_f32 v46, v30, v45 :: v_dual_add_f32 v45, v5, v31
	ds_store_b64 v37, v[45:46]
.LBB329_30:                             ;   in Loop: Header=BB329_18 Depth=2
	s_wait_alu 0xfffe
	s_or_b32 exec_lo, exec_lo, s6
	s_wait_dscnt 0x1
	v_dual_mov_b32 v31, 0 :: v_dual_mov_b32 v30, 0
	s_wait_loadcnt_dscnt 0x0
	s_barrier_signal -1
	s_barrier_wait -1
	global_inv scope:SCOPE_SE
	s_and_saveexec_b32 s6, s5
	s_cbranch_execnz .LBB329_54
; %bb.31:                               ;   in Loop: Header=BB329_18 Depth=2
	s_wait_alu 0xfffe
	s_or_b32 exec_lo, exec_lo, s6
	s_and_saveexec_b32 s6, s1
	s_cbranch_execnz .LBB329_55
.LBB329_32:                             ;   in Loop: Header=BB329_18 Depth=2
	s_wait_alu 0xfffe
	s_or_b32 exec_lo, exec_lo, s6
	s_and_saveexec_b32 s6, s1
.LBB329_33:                             ;   in Loop: Header=BB329_18 Depth=2
	v_mov_b32_e32 v5, v4
	ds_store_b64 v36, v[4:5]
.LBB329_34:                             ;   in Loop: Header=BB329_18 Depth=2
	s_wait_alu 0xfffe
	s_or_b32 exec_lo, exec_lo, s6
	ds_bpermute_b32 v5, v40, v32
	ds_bpermute_b32 v45, v40, v33
	s_wait_loadcnt_dscnt 0x0
	s_barrier_signal -1
	s_barrier_wait -1
	global_inv scope:SCOPE_SE
	v_add_f32_e32 v5, v32, v5
	v_add_f32_e32 v32, v33, v45
	ds_bpermute_b32 v33, v41, v5
	ds_bpermute_b32 v45, v41, v32
	s_wait_dscnt 0x1
	v_add_f32_e32 v5, v5, v33
	s_wait_dscnt 0x0
	v_add_f32_e32 v32, v32, v45
	ds_bpermute_b32 v33, v42, v5
	ds_bpermute_b32 v45, v42, v32
	s_wait_dscnt 0x1
	v_add_f32_e32 v5, v5, v33
	s_wait_dscnt 0x0
	;; [unrolled: 6-line block ×3, first 2 shown]
	v_add_f32_e32 v32, v32, v45
	ds_bpermute_b32 v33, v44, v5
	ds_bpermute_b32 v45, v44, v32
	s_and_saveexec_b32 s6, s4
	s_cbranch_execz .LBB329_36
; %bb.35:                               ;   in Loop: Header=BB329_18 Depth=2
	s_wait_dscnt 0x0
	v_add_f32_e32 v46, v32, v45
	v_add_f32_e32 v45, v5, v33
	ds_store_b64 v37, v[45:46]
.LBB329_36:                             ;   in Loop: Header=BB329_18 Depth=2
	s_wait_alu 0xfffe
	s_or_b32 exec_lo, exec_lo, s6
	s_wait_dscnt 0x1
	v_dual_mov_b32 v33, 0 :: v_dual_mov_b32 v32, 0
	s_wait_loadcnt_dscnt 0x0
	s_barrier_signal -1
	s_barrier_wait -1
	global_inv scope:SCOPE_SE
	s_and_saveexec_b32 s6, s5
	s_cbranch_execnz .LBB329_56
; %bb.37:                               ;   in Loop: Header=BB329_18 Depth=2
	s_wait_alu 0xfffe
	s_or_b32 exec_lo, exec_lo, s6
	s_and_saveexec_b32 s6, s1
	s_cbranch_execnz .LBB329_57
.LBB329_38:                             ;   in Loop: Header=BB329_18 Depth=2
	s_wait_alu 0xfffe
	s_or_b32 exec_lo, exec_lo, s6
	s_and_saveexec_b32 s6, s1
.LBB329_39:                             ;   in Loop: Header=BB329_18 Depth=2
	v_mov_b32_e32 v5, v4
	ds_store_b64 v36, v[4:5]
.LBB329_40:                             ;   in Loop: Header=BB329_18 Depth=2
	s_wait_alu 0xfffe
	s_or_b32 exec_lo, exec_lo, s6
	ds_bpermute_b32 v5, v40, v35
	ds_bpermute_b32 v45, v40, v34
	s_wait_loadcnt_dscnt 0x0
	s_barrier_signal -1
	s_barrier_wait -1
	global_inv scope:SCOPE_SE
	v_add_f32_e32 v5, v35, v5
	ds_bpermute_b32 v35, v41, v5
	s_wait_dscnt 0x0
	v_dual_add_f32 v34, v34, v45 :: v_dual_add_f32 v5, v5, v35
	ds_bpermute_b32 v45, v41, v34
	ds_bpermute_b32 v35, v42, v5
	s_wait_dscnt 0x0
	v_dual_add_f32 v34, v34, v45 :: v_dual_add_f32 v5, v5, v35
	ds_bpermute_b32 v45, v42, v34
	;; [unrolled: 4-line block ×3, first 2 shown]
	ds_bpermute_b32 v35, v44, v5
	s_wait_dscnt 0x1
	v_add_f32_e32 v34, v34, v45
	ds_bpermute_b32 v45, v44, v34
	s_and_saveexec_b32 s6, s4
	s_cbranch_execz .LBB329_42
; %bb.41:                               ;   in Loop: Header=BB329_18 Depth=2
	s_wait_dscnt 0x0
	v_dual_add_f32 v46, v34, v45 :: v_dual_add_f32 v45, v5, v35
	ds_store_b64 v37, v[45:46]
.LBB329_42:                             ;   in Loop: Header=BB329_18 Depth=2
	s_wait_alu 0xfffe
	s_or_b32 exec_lo, exec_lo, s6
	s_wait_dscnt 0x1
	v_dual_mov_b32 v35, 0 :: v_dual_mov_b32 v34, 0
	s_wait_loadcnt_dscnt 0x0
	s_barrier_signal -1
	s_barrier_wait -1
	global_inv scope:SCOPE_SE
	s_and_saveexec_b32 s6, s5
	s_cbranch_execnz .LBB329_58
; %bb.43:                               ;   in Loop: Header=BB329_18 Depth=2
	s_wait_alu 0xfffe
	s_or_b32 exec_lo, exec_lo, s6
	s_and_saveexec_b32 s6, s1
	s_cbranch_execnz .LBB329_59
.LBB329_44:                             ;   in Loop: Header=BB329_18 Depth=2
	s_wait_alu 0xfffe
	s_or_b32 exec_lo, exec_lo, s6
	s_and_saveexec_b32 s6, s0
	s_cbranch_execz .LBB329_17
	s_branch .LBB329_60
.LBB329_45:                             ;   in Loop: Header=BB329_18 Depth=2
	s_mul_u64 s[8:9], s[24:25], s[26:27]
	s_or_b32 s60, s24, 2
	s_wait_alu 0xfffe
	s_lshl_b64 s[8:9], s[8:9], 3
	s_mov_b32 s61, s25
	s_wait_alu 0xfffe
	v_add_co_u32 v32, vcc_lo, v12, s8
	s_wait_alu 0xfffd
	v_add_co_ci_u32_e64 v33, null, s9, v13, vcc_lo
	s_or_b32 s8, s24, 1
	s_mov_b32 s9, s25
	s_clause 0x3
	flat_load_b64 v[47:48], v[18:19]
	flat_load_b64 v[49:50], v[20:21]
	;; [unrolled: 1-line block ×4, first 2 shown]
	s_wait_alu 0xfffe
	s_mul_u64 s[8:9], s[8:9], s[26:27]
	flat_load_b128 v[28:31], v[32:33]
	s_wait_alu 0xfffe
	s_lshl_b64 s[8:9], s[8:9], 3
	s_wait_dscnt 0x5
	flat_load_b128 v[32:35], v[32:33] offset:16
	s_wait_alu 0xfffe
	v_add_co_u32 v45, vcc_lo, v12, s8
	s_wait_alu 0xfffd
	v_add_co_ci_u32_e64 v46, null, s9, v13, vcc_lo
	s_mul_u64 s[8:9], s[60:61], s[26:27]
	s_or_b32 s60, s24, 3
	s_wait_alu 0xfffe
	s_lshl_b64 s[8:9], s[8:9], 3
	s_mul_u64 s[60:61], s[60:61], s[26:27]
	s_wait_alu 0xfffe
	v_add_co_u32 v71, vcc_lo, v12, s8
	s_wait_alu 0xfffd
	v_add_co_ci_u32_e64 v72, null, s9, v13, vcc_lo
	s_lshl_b64 s[8:9], s[60:61], 3
	s_wait_alu 0xfffe
	v_add_co_u32 v75, vcc_lo, v12, s8
	s_wait_alu 0xfffd
	v_add_co_ci_u32_e64 v76, null, s9, v13, vcc_lo
	s_clause 0x5
	flat_load_b128 v[55:58], v[45:46]
	flat_load_b128 v[59:62], v[71:72]
	;; [unrolled: 1-line block ×3, first 2 shown]
	flat_load_b128 v[67:70], v[45:46] offset:16
	flat_load_b128 v[71:74], v[71:72] offset:16
	;; [unrolled: 1-line block ×3, first 2 shown]
	s_wait_loadcnt_dscnt 0xa0a
	scratch_store_b128 off, v[47:50], off
	s_wait_loadcnt_dscnt 0x808
	scratch_store_b128 off, v[51:54], off offset:16
	s_wait_loadcnt_dscnt 0x707
	v_mul_f32_e32 v5, v29, v48
	v_mul_f32_e32 v29, v29, v47
	;; [unrolled: 1-line block ×4, first 2 shown]
	s_wait_loadcnt_dscnt 0x606
	v_mul_f32_e32 v46, v52, v33
	v_mul_f32_e32 v33, v51, v33
	;; [unrolled: 1-line block ×4, first 2 shown]
	v_fmac_f32_e32 v5, v28, v47
	s_wait_loadcnt_dscnt 0x505
	s_delay_alu instid0(VALU_DEP_1)
	v_dual_add_f32 v5, 0, v5 :: v_dual_mul_f32 v80, v56, v48
	s_wait_loadcnt_dscnt 0x404
	v_dual_mul_f32 v81, v60, v48 :: v_dual_mul_f32 v84, v62, v50
	v_mul_f32_e32 v60, v60, v47
	v_mul_f32_e32 v56, v56, v47
	s_wait_loadcnt_dscnt 0x303
	v_mul_f32_e32 v82, v64, v48
	v_dual_mul_f32 v64, v64, v47 :: v_dual_mul_f32 v83, v58, v50
	s_wait_loadcnt_dscnt 0x101
	v_dual_mul_f32 v62, v62, v49 :: v_dual_mul_f32 v87, v52, v72
	v_mul_f32_e32 v85, v66, v50
	v_mul_f32_e32 v66, v66, v49
	s_wait_loadcnt_dscnt 0x0
	v_dual_mul_f32 v88, v52, v76 :: v_dual_mul_f32 v91, v54, v78
	v_dual_mul_f32 v76, v51, v76 :: v_dual_fmac_f32 v45, v30, v49
	v_fma_f32 v28, v28, v48, -v29
	v_fma_f32 v29, v30, v50, -v31
	v_fma_f32 v30, v52, v32, -v33
	v_fma_f32 v33, v59, v48, -v60
	v_mul_f32_e32 v58, v58, v49
	v_mul_f32_e32 v86, v52, v68
	;; [unrolled: 1-line block ×3, first 2 shown]
	v_dual_mul_f32 v72, v51, v72 :: v_dual_mul_f32 v89, v54, v70
	v_dual_mul_f32 v70, v53, v70 :: v_dual_fmac_f32 v81, v59, v47
	v_dual_mul_f32 v90, v54, v74 :: v_dual_fmac_f32 v83, v57, v49
	v_dual_fmac_f32 v46, v51, v32 :: v_dual_fmac_f32 v79, v53, v34
	v_fma_f32 v31, v54, v34, -v35
	v_dual_fmac_f32 v80, v55, v47 :: v_dual_fmac_f32 v85, v65, v49
	v_fma_f32 v32, v55, v48, -v56
	;; [unrolled: 2-line block ×3, first 2 shown]
	v_fma_f32 v55, v61, v50, -v62
	v_dual_fmac_f32 v88, v51, v75 :: v_dual_add_f32 v33, 0, v33
	v_mul_f32_e32 v78, v53, v78
	v_fma_f32 v35, v57, v50, -v58
	v_dual_fmac_f32 v84, v61, v49 :: v_dual_add_f32 v63, 0, v80
	v_fma_f32 v56, v65, v50, -v66
	v_dual_fmac_f32 v90, v53, v73 :: v_dual_add_f32 v65, 0, v82
	v_dual_add_f32 v28, 0, v28 :: v_dual_add_f32 v5, v5, v45
	v_add_f32_e32 v32, 0, v32
	v_dual_add_f32 v64, 0, v81 :: v_dual_add_f32 v33, v33, v55
	v_add_f32_e32 v34, 0, v34
	v_dual_mul_f32 v74, v53, v74 :: v_dual_fmac_f32 v87, v51, v71
	v_dual_fmac_f32 v86, v51, v67 :: v_dual_fmac_f32 v91, v53, v77
	v_fma_f32 v57, v52, v67, -v68
	v_fma_f32 v58, v52, v71, -v72
	;; [unrolled: 1-line block ×3, first 2 shown]
	v_dual_add_f32 v28, v28, v29 :: v_dual_add_f32 v5, v5, v46
	v_add_f32_e32 v29, v63, v83
	v_dual_add_f32 v32, v32, v35 :: v_dual_add_f32 v45, v65, v85
	v_add_f32_e32 v35, v64, v84
	s_delay_alu instid0(VALU_DEP_3)
	v_dual_add_f32 v34, v34, v56 :: v_dual_add_f32 v29, v29, v86
	v_fma_f32 v60, v54, v69, -v70
	v_fma_f32 v61, v54, v73, -v74
	;; [unrolled: 1-line block ×3, first 2 shown]
	v_dual_add_f32 v28, v28, v30 :: v_dual_add_f32 v35, v35, v87
	v_dual_add_f32 v32, v32, v57 :: v_dual_add_f32 v33, v33, v58
	;; [unrolled: 1-line block ×3, first 2 shown]
	v_add_f32_e32 v45, v5, v79
	s_delay_alu instid0(VALU_DEP_3) | instskip(NEXT) | instid1(VALU_DEP_4)
	v_dual_add_f32 v46, v28, v31 :: v_dual_add_f32 v33, v33, v61
	v_dual_add_f32 v30, v29, v89 :: v_dual_add_f32 v31, v32, v60
	v_add_f32_e32 v32, v35, v90
	v_dual_add_f32 v35, v55, v91 :: v_dual_add_f32 v34, v34, v62
	s_and_not1_saveexec_b32 s6, s6
	s_cbranch_execz .LBB329_20
.LBB329_46:                             ;   in Loop: Header=BB329_18 Depth=2
	v_dual_mov_b32 v45, 0 :: v_dual_mov_b32 v46, 0
	v_dual_mov_b32 v30, 0 :: v_dual_mov_b32 v31, 0
	;; [unrolled: 1-line block ×3, first 2 shown]
	s_wait_dscnt 0x0
	v_dual_mov_b32 v35, 0 :: v_dual_mov_b32 v34, 0
	s_and_saveexec_b32 s7, s3
	s_cbranch_execz .LBB329_62
; %bb.47:                               ;   in Loop: Header=BB329_18 Depth=2
	s_and_not1_b32 vcc_lo, exec_lo, s58
	s_wait_alu 0xfffe
	s_cbranch_vccnz .LBB329_61
; %bb.48:                               ;   in Loop: Header=BB329_18 Depth=2
	v_dual_mov_b32 v29, v19 :: v_dual_mov_b32 v28, v18
	s_mov_b32 s8, 0
	s_mov_b32 s9, s56
.LBB329_49:                             ;   Parent Loop BB329_3 Depth=1
                                        ;     Parent Loop BB329_18 Depth=2
                                        ; =>    This Inner Loop Header: Depth=3
	flat_load_b64 v[30:31], v[28:29]
	v_add_co_u32 v28, vcc_lo, v28, s44
	s_wait_alu 0xfffd
	v_add_co_ci_u32_e64 v29, null, s45, v29, vcc_lo
	s_wait_alu 0xfffe
	s_add_co_i32 s9, s9, -1
	s_wait_loadcnt_dscnt 0x0
	scratch_store_b64 off, v[30:31], s8
	s_add_co_i32 s8, s8, 8
	s_wait_alu 0xfffe
	s_cmp_eq_u32 s9, 0
	s_cbranch_scc0 .LBB329_49
; %bb.50:                               ;   in Loop: Header=BB329_18 Depth=2
	v_dual_mov_b32 v34, 0 :: v_dual_mov_b32 v29, v27
	v_dual_mov_b32 v28, v26 :: v_dual_mov_b32 v35, 0
	v_dual_mov_b32 v33, 0 :: v_dual_mov_b32 v32, 0
	v_dual_mov_b32 v31, 0 :: v_dual_mov_b32 v30, 0
	v_dual_mov_b32 v46, 0 :: v_dual_mov_b32 v45, 0
	s_mov_b32 s8, s59
	s_mov_b32 s9, s56
.LBB329_51:                             ;   Parent Loop BB329_3 Depth=1
                                        ;     Parent Loop BB329_18 Depth=2
                                        ; =>    This Inner Loop Header: Depth=3
	v_add_co_u32 v49, vcc_lo, v28, s48
	s_wait_alu 0xfffd
	v_add_co_ci_u32_e64 v50, null, s49, v29, vcc_lo
	scratch_load_b64 v[47:48], off, s8 offset:-4
	flat_load_b64 v[51:52], v[28:29]
	v_add_co_u32 v53, vcc_lo, v49, s48
	s_wait_alu 0xfffd
	v_add_co_ci_u32_e64 v54, null, s49, v50, vcc_lo
	s_wait_alu 0xfffe
	s_add_co_i32 s9, s9, -1
	v_add_co_u32 v55, vcc_lo, v53, s48
	s_wait_alu 0xfffd
	v_add_co_ci_u32_e64 v56, null, s49, v54, vcc_lo
	s_clause 0x2
	flat_load_b64 v[49:50], v[49:50]
	flat_load_b64 v[53:54], v[53:54]
	;; [unrolled: 1-line block ×3, first 2 shown]
	v_add_co_u32 v28, vcc_lo, v28, 8
	s_wait_alu 0xfffd
	v_add_co_ci_u32_e64 v29, null, 0, v29, vcc_lo
	s_add_co_i32 s8, s8, 8
	s_wait_alu 0xfffe
	s_cmp_lg_u32 s9, 0
	s_wait_loadcnt_dscnt 0x303
	v_mul_f32_e32 v5, v48, v52
	s_delay_alu instid0(VALU_DEP_1) | instskip(NEXT) | instid1(VALU_DEP_1)
	v_fmac_f32_e32 v5, v47, v51
	v_dual_mul_f32 v52, v47, v52 :: v_dual_add_f32 v45, v45, v5
	s_delay_alu instid0(VALU_DEP_1) | instskip(SKIP_3) | instid1(VALU_DEP_3)
	v_fma_f32 v51, v48, v51, -v52
	s_wait_loadcnt_dscnt 0x202
	v_mul_f32_e32 v52, v48, v50
	v_mul_f32_e32 v50, v47, v50
	v_add_f32_e32 v46, v46, v51
	s_wait_loadcnt_dscnt 0x0
	s_delay_alu instid0(VALU_DEP_3) | instskip(NEXT) | instid1(VALU_DEP_3)
	v_dual_fmac_f32 v52, v47, v49 :: v_dual_mul_f32 v51, v48, v56
	v_fma_f32 v5, v48, v49, -v50
	v_mul_f32_e32 v50, v47, v54
	s_delay_alu instid0(VALU_DEP_3) | instskip(NEXT) | instid1(VALU_DEP_2)
	v_dual_mul_f32 v49, v48, v54 :: v_dual_add_f32 v30, v30, v52
	v_fma_f32 v50, v48, v53, -v50
	v_mul_f32_e32 v54, v47, v56
	s_delay_alu instid0(VALU_DEP_3) | instskip(SKIP_1) | instid1(VALU_DEP_4)
	v_fmac_f32_e32 v49, v47, v53
	v_fmac_f32_e32 v51, v47, v55
	v_add_f32_e32 v33, v33, v50
	s_delay_alu instid0(VALU_DEP_4) | instskip(SKIP_1) | instid1(VALU_DEP_4)
	v_fma_f32 v47, v48, v55, -v54
	v_add_f32_e32 v31, v31, v5
	v_dual_add_f32 v32, v32, v49 :: v_dual_add_f32 v35, v35, v51
	s_delay_alu instid0(VALU_DEP_3)
	v_add_f32_e32 v34, v34, v47
	s_cbranch_scc1 .LBB329_51
	s_branch .LBB329_62
.LBB329_52:                             ;   in Loop: Header=BB329_18 Depth=2
	ds_load_b64 v[28:29], v36
	s_wait_alu 0xfffe
	s_or_b32 exec_lo, exec_lo, s6
	s_and_saveexec_b32 s6, s1
	s_cbranch_execz .LBB329_26
.LBB329_53:                             ;   in Loop: Header=BB329_18 Depth=2
	s_wait_dscnt 0x0
	ds_bpermute_b32 v5, v42, v28
	ds_bpermute_b32 v45, v42, v29
	s_wait_dscnt 0x1
	v_add_f32_e32 v5, v28, v5
	s_wait_dscnt 0x0
	v_add_f32_e32 v28, v29, v45
	ds_bpermute_b32 v29, v43, v5
	ds_bpermute_b32 v45, v43, v28
	s_wait_dscnt 0x1
	v_add_f32_e32 v5, v5, v29
	s_wait_dscnt 0x0
	v_add_f32_e32 v29, v28, v45
	ds_bpermute_b32 v28, v44, v5
	s_wait_dscnt 0x0
	v_add_f32_e32 v28, v5, v28
	ds_bpermute_b32 v45, v44, v29
	s_wait_dscnt 0x0
	v_add_f32_e32 v29, v29, v45
	s_wait_alu 0xfffe
	s_or_b32 exec_lo, exec_lo, s6
	s_and_saveexec_b32 s6, s1
	s_cbranch_execnz .LBB329_27
	s_branch .LBB329_28
.LBB329_54:                             ;   in Loop: Header=BB329_18 Depth=2
	ds_load_b64 v[30:31], v36
	s_wait_alu 0xfffe
	s_or_b32 exec_lo, exec_lo, s6
	s_and_saveexec_b32 s6, s1
	s_cbranch_execz .LBB329_32
.LBB329_55:                             ;   in Loop: Header=BB329_18 Depth=2
	s_wait_dscnt 0x0
	ds_bpermute_b32 v5, v42, v30
	ds_bpermute_b32 v45, v42, v31
	s_wait_dscnt 0x1
	v_add_f32_e32 v5, v30, v5
	s_wait_dscnt 0x0
	v_add_f32_e32 v30, v31, v45
	ds_bpermute_b32 v31, v43, v5
	s_wait_dscnt 0x0
	v_add_f32_e32 v5, v5, v31
	ds_bpermute_b32 v45, v43, v30
	;; [unrolled: 3-line block ×4, first 2 shown]
	s_wait_dscnt 0x0
	v_add_f32_e32 v31, v31, v45
	s_wait_alu 0xfffe
	s_or_b32 exec_lo, exec_lo, s6
	s_and_saveexec_b32 s6, s1
	s_cbranch_execnz .LBB329_33
	s_branch .LBB329_34
.LBB329_56:                             ;   in Loop: Header=BB329_18 Depth=2
	ds_load_b64 v[32:33], v36
	s_wait_alu 0xfffe
	s_or_b32 exec_lo, exec_lo, s6
	s_and_saveexec_b32 s6, s1
	s_cbranch_execz .LBB329_38
.LBB329_57:                             ;   in Loop: Header=BB329_18 Depth=2
	s_wait_dscnt 0x0
	ds_bpermute_b32 v5, v42, v32
	ds_bpermute_b32 v45, v42, v33
	s_wait_dscnt 0x1
	v_add_f32_e32 v5, v32, v5
	s_wait_dscnt 0x0
	v_add_f32_e32 v32, v33, v45
	ds_bpermute_b32 v33, v43, v5
	ds_bpermute_b32 v45, v43, v32
	s_wait_dscnt 0x1
	v_add_f32_e32 v5, v5, v33
	s_wait_dscnt 0x0
	v_add_f32_e32 v33, v32, v45
	ds_bpermute_b32 v32, v44, v5
	s_wait_dscnt 0x0
	v_add_f32_e32 v32, v5, v32
	ds_bpermute_b32 v45, v44, v33
	s_wait_dscnt 0x0
	v_add_f32_e32 v33, v33, v45
	s_wait_alu 0xfffe
	s_or_b32 exec_lo, exec_lo, s6
	s_and_saveexec_b32 s6, s1
	s_cbranch_execnz .LBB329_39
	s_branch .LBB329_40
.LBB329_58:                             ;   in Loop: Header=BB329_18 Depth=2
	ds_load_b64 v[34:35], v36
	s_wait_alu 0xfffe
	s_or_b32 exec_lo, exec_lo, s6
	s_and_saveexec_b32 s6, s1
	s_cbranch_execz .LBB329_44
.LBB329_59:                             ;   in Loop: Header=BB329_18 Depth=2
	s_wait_dscnt 0x0
	ds_bpermute_b32 v5, v42, v34
	ds_bpermute_b32 v45, v42, v35
	s_wait_dscnt 0x1
	v_add_f32_e32 v5, v34, v5
	s_wait_dscnt 0x0
	v_add_f32_e32 v34, v35, v45
	ds_bpermute_b32 v35, v43, v5
	s_wait_dscnt 0x0
	v_add_f32_e32 v5, v5, v35
	ds_bpermute_b32 v45, v43, v34
	;; [unrolled: 3-line block ×4, first 2 shown]
	s_wait_dscnt 0x0
	v_add_f32_e32 v35, v35, v45
	s_wait_alu 0xfffe
	s_or_b32 exec_lo, exec_lo, s6
	s_and_saveexec_b32 s6, s0
	s_cbranch_execz .LBB329_17
.LBB329_60:                             ;   in Loop: Header=BB329_18 Depth=2
	v_dual_mul_f32 v46, s14, v29 :: v_dual_mul_f32 v47, s15, v31
	v_mul_f32_e32 v5, s15, v29
	v_mul_f32_e32 v29, s14, v31
	s_or_b32 s60, s24, 1
	s_mov_b32 s61, s25
	s_mul_u64 s[8:9], s[24:25], s[28:29]
	s_mul_u64 s[60:61], s[60:61], s[28:29]
	v_fmac_f32_e32 v46, s15, v28
	v_fma_f32 v45, v28, s14, -v5
	s_wait_alu 0xfffe
	s_lshl_b64 s[8:9], s[8:9], 3
	v_fma_f32 v28, v30, s14, -v47
	v_fmac_f32_e32 v29, s15, v30
	v_mul_f32_e32 v5, s15, v33
	s_lshl_b64 s[60:61], s[60:61], 3
	s_wait_alu 0xfffe
	s_add_nc_u64 s[8:9], s[50:51], s[8:9]
	s_add_nc_u64 s[60:61], s[50:51], s[60:61]
	s_clause 0x1
	global_store_b64 v4, v[45:46], s[8:9]
	global_store_b64 v4, v[28:29], s[60:61]
	v_mul_f32_e32 v29, s14, v33
	v_fma_f32 v28, v32, s14, -v5
	s_wait_dscnt 0x0
	v_mul_f32_e32 v5, s15, v35
	v_mul_f32_e32 v31, s14, v35
	s_or_b32 s8, s24, 2
	s_mov_b32 s9, s25
	s_or_b32 s60, s24, 3
	s_mov_b32 s61, s25
	s_wait_alu 0xfffe
	s_mul_u64 s[8:9], s[8:9], s[28:29]
	s_mul_u64 s[60:61], s[60:61], s[28:29]
	v_fmac_f32_e32 v29, s15, v32
	s_wait_alu 0xfffe
	s_lshl_b64 s[8:9], s[8:9], 3
	v_fma_f32 v30, v34, s14, -v5
	v_fmac_f32_e32 v31, s15, v34
	s_lshl_b64 s[60:61], s[60:61], 3
	s_wait_alu 0xfffe
	s_add_nc_u64 s[8:9], s[50:51], s[8:9]
	s_add_nc_u64 s[60:61], s[50:51], s[60:61]
	s_clause 0x1
	global_store_b64 v4, v[28:29], s[8:9]
	global_store_b64 v4, v[30:31], s[60:61]
	s_branch .LBB329_17
.LBB329_61:                             ;   in Loop: Header=BB329_18 Depth=2
	v_dual_mov_b32 v45, 0 :: v_dual_mov_b32 v46, 0
	v_dual_mov_b32 v30, 0 :: v_dual_mov_b32 v31, 0
	;; [unrolled: 1-line block ×4, first 2 shown]
.LBB329_62:                             ;   in Loop: Header=BB329_18 Depth=2
	s_wait_alu 0xfffe
	s_or_b32 exec_lo, exec_lo, s7
	s_delay_alu instid0(SALU_CYCLE_1)
	s_or_b32 exec_lo, exec_lo, s6
	s_and_saveexec_b32 s6, s1
	s_cbranch_execnz .LBB329_21
	s_branch .LBB329_22
.LBB329_63:                             ;   in Loop: Header=BB329_3 Depth=1
	s_mov_b32 s24, 0
.LBB329_64:                             ;   in Loop: Header=BB329_3 Depth=1
	s_wait_alu 0xfffe
	s_cmp_ge_i32 s24, s13
	s_cbranch_scc1 .LBB329_2
; %bb.65:                               ;   in Loop: Header=BB329_3 Depth=1
	v_cmp_gt_u32_e32 vcc_lo, 24, v39
	v_or_b32_e32 v19, 4, v0
	s_wait_alu 0xfffd
	v_cndmask_b32_e64 v5, 0, 8, vcc_lo
	v_cmp_gt_u32_e32 vcc_lo, 28, v39
	s_delay_alu instid0(VALU_DEP_2) | instskip(SKIP_3) | instid1(VALU_DEP_2)
	v_add_lshl_u32 v26, v5, v39, 2
	s_wait_alu 0xfffd
	v_cndmask_b32_e64 v18, 0, 4, vcc_lo
	v_cmp_gt_u32_e32 vcc_lo, 30, v39
	v_add_lshl_u32 v27, v18, v39, 2
	s_wait_alu 0xfffd
	v_cndmask_b32_e64 v5, 0, 2, vcc_lo
	v_add_co_u32 v16, vcc_lo, v16, v19
	s_wait_alu 0xfffd
	v_add_co_ci_u32_e64 v17, null, v17, v38, vcc_lo
	v_cmp_ne_u32_e32 vcc_lo, 31, v39
	v_add_lshl_u32 v28, v5, v39, 2
	s_delay_alu instid0(VALU_DEP_3) | instskip(SKIP_3) | instid1(VALU_DEP_2)
	v_mad_co_u64_u32 v[16:17], null, s48, s24, v[16:17]
	s_wait_alu 0xfffd
	v_add_co_ci_u32_e64 v19, null, 0, v39, vcc_lo
	v_add_co_u32 v18, vcc_lo, v14, v2
	v_lshlrev_b32_e32 v29, 2, v19
	s_delay_alu instid0(VALU_DEP_4)
	v_mov_b32_e32 v5, v17
	s_wait_alu 0xfffd
	v_add_co_ci_u32_e64 v19, null, v15, v3, vcc_lo
	v_add_co_u32 v20, vcc_lo, v14, v6
	s_wait_dscnt 0x0
	v_mad_co_u64_u32 v[24:25], null, s49, s24, v[5:6]
	s_wait_alu 0xfffd
	v_add_co_ci_u32_e64 v21, null, v15, v7, vcc_lo
	v_add_co_u32 v22, vcc_lo, v14, v8
	s_wait_alu 0xfffd
	v_add_co_ci_u32_e64 v23, null, v15, v9, vcc_lo
	v_add_co_u32 v14, vcc_lo, v14, v10
	s_wait_alu 0xfffd
	v_add_co_ci_u32_e64 v15, null, v15, v11, vcc_lo
	v_mov_b32_e32 v17, v24
	s_branch .LBB329_67
.LBB329_66:                             ;   in Loop: Header=BB329_67 Depth=2
	s_wait_alu 0xfffe
	s_or_b32 exec_lo, exec_lo, s6
	v_add_co_u32 v16, vcc_lo, v16, s48
	s_wait_alu 0xfffd
	v_add_co_ci_u32_e64 v17, null, s49, v17, vcc_lo
	s_add_co_i32 s24, s24, 1
	s_wait_alu 0xfffe
	s_cmp_lt_i32 s24, s13
	s_cbranch_scc0 .LBB329_2
.LBB329_67:                             ;   Parent Loop BB329_3 Depth=1
                                        ; =>  This Loop Header: Depth=2
                                        ;       Child Loop BB329_79 Depth 3
                                        ;       Child Loop BB329_81 Depth 3
                                        ; implicit-def: $vgpr30
                                        ; implicit-def: $vgpr31
	s_and_saveexec_b32 s6, s2
	s_wait_alu 0xfffe
	s_xor_b32 s6, exec_lo, s6
	s_cbranch_execnz .LBB329_76
; %bb.68:                               ;   in Loop: Header=BB329_67 Depth=2
	s_wait_alu 0xfffe
	s_and_not1_saveexec_b32 s6, s6
	s_cbranch_execnz .LBB329_77
.LBB329_69:                             ;   in Loop: Header=BB329_67 Depth=2
	s_wait_alu 0xfffe
	s_or_b32 exec_lo, exec_lo, s6
	s_and_saveexec_b32 s6, s1
.LBB329_70:                             ;   in Loop: Header=BB329_67 Depth=2
	v_mov_b32_e32 v5, v4
	ds_store_b64 v36, v[4:5]
.LBB329_71:                             ;   in Loop: Header=BB329_67 Depth=2
	s_wait_alu 0xfffe
	s_or_b32 exec_lo, exec_lo, s6
	ds_bpermute_b32 v5, v40, v30
	s_wait_dscnt 0x1
	ds_bpermute_b32 v24, v40, v31
	s_wait_storecnt 0x0
	s_wait_loadcnt_dscnt 0x0
	s_barrier_signal -1
	s_barrier_wait -1
	global_inv scope:SCOPE_SE
	v_dual_add_f32 v5, v30, v5 :: v_dual_add_f32 v24, v31, v24
	ds_bpermute_b32 v25, v26, v5
	ds_bpermute_b32 v30, v26, v24
	s_wait_dscnt 0x0
	v_dual_add_f32 v5, v5, v25 :: v_dual_add_f32 v24, v24, v30
	ds_bpermute_b32 v25, v27, v5
	ds_bpermute_b32 v30, v27, v24
	s_wait_dscnt 0x0
	;; [unrolled: 4-line block ×3, first 2 shown]
	v_dual_add_f32 v5, v5, v25 :: v_dual_add_f32 v24, v24, v30
	ds_bpermute_b32 v25, v29, v5
	ds_bpermute_b32 v30, v29, v24
	s_and_saveexec_b32 s6, s4
	s_cbranch_execz .LBB329_73
; %bb.72:                               ;   in Loop: Header=BB329_67 Depth=2
	s_wait_dscnt 0x0
	v_dual_add_f32 v31, v24, v30 :: v_dual_add_f32 v30, v5, v25
	ds_store_b64 v37, v[30:31]
.LBB329_73:                             ;   in Loop: Header=BB329_67 Depth=2
	s_wait_alu 0xfffe
	s_or_b32 exec_lo, exec_lo, s6
	s_wait_dscnt 0x1
	v_dual_mov_b32 v25, 0 :: v_dual_mov_b32 v24, 0
	s_wait_loadcnt_dscnt 0x0
	s_barrier_signal -1
	s_barrier_wait -1
	global_inv scope:SCOPE_SE
	s_and_saveexec_b32 s6, s5
	s_cbranch_execnz .LBB329_83
; %bb.74:                               ;   in Loop: Header=BB329_67 Depth=2
	s_wait_alu 0xfffe
	s_or_b32 exec_lo, exec_lo, s6
	s_and_saveexec_b32 s6, s1
	s_cbranch_execnz .LBB329_84
.LBB329_75:                             ;   in Loop: Header=BB329_67 Depth=2
	s_wait_alu 0xfffe
	s_or_b32 exec_lo, exec_lo, s6
	s_and_saveexec_b32 s6, s0
	s_cbranch_execz .LBB329_66
	s_branch .LBB329_85
.LBB329_76:                             ;   in Loop: Header=BB329_67 Depth=2
	s_mul_u64 s[8:9], s[24:25], s[26:27]
	s_wait_alu 0xfffe
	s_lshl_b64 s[8:9], s[8:9], 3
	s_wait_dscnt 0x0
	s_wait_alu 0xfffe
	v_add_co_u32 v24, vcc_lo, v12, s8
	s_wait_alu 0xfffd
	v_add_co_ci_u32_e64 v25, null, s9, v13, vcc_lo
	flat_load_b128 v[30:33], v[24:25]
	s_clause 0x1
	flat_load_b64 v[41:42], v[18:19]
	flat_load_b64 v[43:44], v[20:21]
	flat_load_b128 v[45:48], v[24:25] offset:16
	s_clause 0x1
	flat_load_b64 v[49:50], v[22:23]
	flat_load_b64 v[51:52], v[14:15]
	s_wait_loadcnt_dscnt 0x303
	scratch_store_b128 off, v[41:44], off
	s_wait_loadcnt_dscnt 0x0
	scratch_store_b128 off, v[49:52], off offset:16
	v_dual_mul_f32 v5, v31, v42 :: v_dual_mul_f32 v34, v46, v49
	v_dual_mul_f32 v24, v31, v41 :: v_dual_mul_f32 v25, v33, v44
	v_mul_f32_e32 v31, v33, v43
	s_delay_alu instid0(VALU_DEP_3) | instskip(NEXT) | instid1(VALU_DEP_4)
	v_fmac_f32_e32 v5, v30, v41
	v_fma_f32 v34, v45, v50, -v34
	s_delay_alu instid0(VALU_DEP_4) | instskip(SKIP_2) | instid1(VALU_DEP_2)
	v_fma_f32 v24, v30, v42, -v24
	v_dual_mul_f32 v33, v46, v50 :: v_dual_mul_f32 v30, v48, v52
	v_fma_f32 v31, v32, v44, -v31
	v_dual_add_f32 v24, 0, v24 :: v_dual_fmac_f32 v33, v45, v49
	s_delay_alu instid0(VALU_DEP_3) | instskip(SKIP_2) | instid1(VALU_DEP_1)
	v_fmac_f32_e32 v30, v47, v51
	v_fmac_f32_e32 v25, v32, v43
	v_dual_mul_f32 v32, v48, v51 :: v_dual_add_f32 v5, 0, v5
	v_dual_add_f32 v24, v24, v31 :: v_dual_add_f32 v5, v5, v25
	s_delay_alu instid0(VALU_DEP_1) | instskip(NEXT) | instid1(VALU_DEP_3)
	v_add_f32_e32 v24, v24, v34
	v_fma_f32 v25, v47, v52, -v32
	s_delay_alu instid0(VALU_DEP_3) | instskip(NEXT) | instid1(VALU_DEP_1)
	v_add_f32_e32 v5, v5, v33
	v_dual_add_f32 v31, v24, v25 :: v_dual_add_f32 v30, v5, v30
	s_and_not1_saveexec_b32 s6, s6
	s_cbranch_execz .LBB329_69
.LBB329_77:                             ;   in Loop: Header=BB329_67 Depth=2
	v_dual_mov_b32 v30, 0 :: v_dual_mov_b32 v31, 0
	s_and_saveexec_b32 s7, s12
	s_cbranch_execz .LBB329_82
; %bb.78:                               ;   in Loop: Header=BB329_67 Depth=2
	s_wait_dscnt 0x0
	v_dual_mov_b32 v25, v19 :: v_dual_mov_b32 v24, v18
	s_mov_b32 s8, 0
	s_mov_b32 s9, s56
.LBB329_79:                             ;   Parent Loop BB329_3 Depth=1
                                        ;     Parent Loop BB329_67 Depth=2
                                        ; =>    This Inner Loop Header: Depth=3
	flat_load_b64 v[30:31], v[24:25]
	v_add_co_u32 v24, vcc_lo, v24, s44
	s_wait_alu 0xfffd
	v_add_co_ci_u32_e64 v25, null, s45, v25, vcc_lo
	s_wait_alu 0xfffe
	s_add_co_i32 s9, s9, -1
	s_wait_loadcnt_dscnt 0x0
	scratch_store_b64 off, v[30:31], s8
	s_add_co_i32 s8, s8, 8
	s_wait_alu 0xfffe
	s_cmp_eq_u32 s9, 0
	s_cbranch_scc0 .LBB329_79
; %bb.80:                               ;   in Loop: Header=BB329_67 Depth=2
	v_dual_mov_b32 v30, 0 :: v_dual_mov_b32 v25, v17
	v_dual_mov_b32 v24, v16 :: v_dual_mov_b32 v31, 0
	s_mov_b32 s8, s59
	s_mov_b32 s9, s56
.LBB329_81:                             ;   Parent Loop BB329_3 Depth=1
                                        ;     Parent Loop BB329_67 Depth=2
                                        ; =>    This Inner Loop Header: Depth=3
	flat_load_b64 v[32:33], v[24:25] offset:-4
	scratch_load_b64 v[34:35], off, s8 offset:-4
	v_add_co_u32 v24, vcc_lo, v24, 8
	s_wait_alu 0xfffd
	v_add_co_ci_u32_e64 v25, null, 0, v25, vcc_lo
	s_wait_alu 0xfffe
	s_add_co_i32 s9, s9, -1
	s_add_co_i32 s8, s8, 8
	s_wait_alu 0xfffe
	s_cmp_lg_u32 s9, 0
	s_wait_loadcnt_dscnt 0x0
	v_mul_f32_e32 v5, v33, v35
	s_delay_alu instid0(VALU_DEP_1) | instskip(NEXT) | instid1(VALU_DEP_1)
	v_fmac_f32_e32 v5, v32, v34
	v_dual_mul_f32 v33, v33, v34 :: v_dual_add_f32 v30, v30, v5
	s_delay_alu instid0(VALU_DEP_1) | instskip(NEXT) | instid1(VALU_DEP_1)
	v_fma_f32 v32, v32, v35, -v33
	v_add_f32_e32 v31, v31, v32
	s_cbranch_scc1 .LBB329_81
.LBB329_82:                             ;   in Loop: Header=BB329_67 Depth=2
	s_wait_alu 0xfffe
	s_or_b32 exec_lo, exec_lo, s7
	s_delay_alu instid0(SALU_CYCLE_1)
	s_or_b32 exec_lo, exec_lo, s6
	s_and_saveexec_b32 s6, s1
	s_cbranch_execnz .LBB329_70
	s_branch .LBB329_71
.LBB329_83:                             ;   in Loop: Header=BB329_67 Depth=2
	ds_load_b64 v[24:25], v36
	s_wait_alu 0xfffe
	s_or_b32 exec_lo, exec_lo, s6
	s_and_saveexec_b32 s6, s1
	s_cbranch_execz .LBB329_75
.LBB329_84:                             ;   in Loop: Header=BB329_67 Depth=2
	s_wait_dscnt 0x0
	ds_bpermute_b32 v5, v27, v24
	ds_bpermute_b32 v30, v27, v25
	s_wait_dscnt 0x0
	v_dual_add_f32 v5, v24, v5 :: v_dual_add_f32 v24, v25, v30
	ds_bpermute_b32 v25, v28, v5
	ds_bpermute_b32 v30, v28, v24
	s_wait_dscnt 0x1
	v_add_f32_e32 v5, v5, v25
	s_wait_dscnt 0x0
	v_add_f32_e32 v25, v24, v30
	ds_bpermute_b32 v24, v29, v5
	s_wait_dscnt 0x0
	v_add_f32_e32 v24, v5, v24
	ds_bpermute_b32 v30, v29, v25
	s_wait_dscnt 0x0
	v_add_f32_e32 v25, v25, v30
	s_wait_alu 0xfffe
	s_or_b32 exec_lo, exec_lo, s6
	s_and_saveexec_b32 s6, s0
	s_cbranch_execz .LBB329_66
.LBB329_85:                             ;   in Loop: Header=BB329_67 Depth=2
	s_wait_dscnt 0x0
	v_mul_f32_e32 v5, s15, v25
	v_mul_f32_e32 v31, s14, v25
	s_mul_u64 s[8:9], s[24:25], s[28:29]
	s_wait_alu 0xfffe
	s_lshl_b64 s[8:9], s[8:9], 3
	v_fma_f32 v30, v24, s14, -v5
	v_fmac_f32_e32 v31, s15, v24
	s_wait_alu 0xfffe
	s_add_nc_u64 s[8:9], s[50:51], s[8:9]
	global_store_b64 v4, v[30:31], s[8:9]
	s_branch .LBB329_66
.LBB329_86:
	s_endpgm
	.section	.rodata,"a",@progbits
	.p2align	6, 0x0
	.amdhsa_kernel _ZL23rocblas_gemvt_sn_kernelILb1ELi256ELi4ElPK19rocblas_complex_numIfES1_S1_EviiT4_lPKT3_lilS7_lilPT5_i
		.amdhsa_group_segment_fixed_size 256
		.amdhsa_private_segment_fixed_size 48
		.amdhsa_kernarg_size 360
		.amdhsa_user_sgpr_count 2
		.amdhsa_user_sgpr_dispatch_ptr 0
		.amdhsa_user_sgpr_queue_ptr 0
		.amdhsa_user_sgpr_kernarg_segment_ptr 1
		.amdhsa_user_sgpr_dispatch_id 0
		.amdhsa_user_sgpr_private_segment_size 0
		.amdhsa_wavefront_size32 1
		.amdhsa_uses_dynamic_stack 0
		.amdhsa_enable_private_segment 1
		.amdhsa_system_sgpr_workgroup_id_x 1
		.amdhsa_system_sgpr_workgroup_id_y 0
		.amdhsa_system_sgpr_workgroup_id_z 1
		.amdhsa_system_sgpr_workgroup_info 0
		.amdhsa_system_vgpr_workitem_id 0
		.amdhsa_next_free_vgpr 92
		.amdhsa_next_free_sgpr 62
		.amdhsa_reserve_vcc 1
		.amdhsa_float_round_mode_32 0
		.amdhsa_float_round_mode_16_64 0
		.amdhsa_float_denorm_mode_32 3
		.amdhsa_float_denorm_mode_16_64 3
		.amdhsa_fp16_overflow 0
		.amdhsa_workgroup_processor_mode 1
		.amdhsa_memory_ordered 1
		.amdhsa_forward_progress 1
		.amdhsa_inst_pref_size 46
		.amdhsa_round_robin_scheduling 0
		.amdhsa_exception_fp_ieee_invalid_op 0
		.amdhsa_exception_fp_denorm_src 0
		.amdhsa_exception_fp_ieee_div_zero 0
		.amdhsa_exception_fp_ieee_overflow 0
		.amdhsa_exception_fp_ieee_underflow 0
		.amdhsa_exception_fp_ieee_inexact 0
		.amdhsa_exception_int_div_zero 0
	.end_amdhsa_kernel
	.section	.text._ZL23rocblas_gemvt_sn_kernelILb1ELi256ELi4ElPK19rocblas_complex_numIfES1_S1_EviiT4_lPKT3_lilS7_lilPT5_i,"axG",@progbits,_ZL23rocblas_gemvt_sn_kernelILb1ELi256ELi4ElPK19rocblas_complex_numIfES1_S1_EviiT4_lPKT3_lilS7_lilPT5_i,comdat
.Lfunc_end329:
	.size	_ZL23rocblas_gemvt_sn_kernelILb1ELi256ELi4ElPK19rocblas_complex_numIfES1_S1_EviiT4_lPKT3_lilS7_lilPT5_i, .Lfunc_end329-_ZL23rocblas_gemvt_sn_kernelILb1ELi256ELi4ElPK19rocblas_complex_numIfES1_S1_EviiT4_lPKT3_lilS7_lilPT5_i
                                        ; -- End function
	.set _ZL23rocblas_gemvt_sn_kernelILb1ELi256ELi4ElPK19rocblas_complex_numIfES1_S1_EviiT4_lPKT3_lilS7_lilPT5_i.num_vgpr, 92
	.set _ZL23rocblas_gemvt_sn_kernelILb1ELi256ELi4ElPK19rocblas_complex_numIfES1_S1_EviiT4_lPKT3_lilS7_lilPT5_i.num_agpr, 0
	.set _ZL23rocblas_gemvt_sn_kernelILb1ELi256ELi4ElPK19rocblas_complex_numIfES1_S1_EviiT4_lPKT3_lilS7_lilPT5_i.numbered_sgpr, 62
	.set _ZL23rocblas_gemvt_sn_kernelILb1ELi256ELi4ElPK19rocblas_complex_numIfES1_S1_EviiT4_lPKT3_lilS7_lilPT5_i.num_named_barrier, 0
	.set _ZL23rocblas_gemvt_sn_kernelILb1ELi256ELi4ElPK19rocblas_complex_numIfES1_S1_EviiT4_lPKT3_lilS7_lilPT5_i.private_seg_size, 48
	.set _ZL23rocblas_gemvt_sn_kernelILb1ELi256ELi4ElPK19rocblas_complex_numIfES1_S1_EviiT4_lPKT3_lilS7_lilPT5_i.uses_vcc, 1
	.set _ZL23rocblas_gemvt_sn_kernelILb1ELi256ELi4ElPK19rocblas_complex_numIfES1_S1_EviiT4_lPKT3_lilS7_lilPT5_i.uses_flat_scratch, 1
	.set _ZL23rocblas_gemvt_sn_kernelILb1ELi256ELi4ElPK19rocblas_complex_numIfES1_S1_EviiT4_lPKT3_lilS7_lilPT5_i.has_dyn_sized_stack, 0
	.set _ZL23rocblas_gemvt_sn_kernelILb1ELi256ELi4ElPK19rocblas_complex_numIfES1_S1_EviiT4_lPKT3_lilS7_lilPT5_i.has_recursion, 0
	.set _ZL23rocblas_gemvt_sn_kernelILb1ELi256ELi4ElPK19rocblas_complex_numIfES1_S1_EviiT4_lPKT3_lilS7_lilPT5_i.has_indirect_call, 0
	.section	.AMDGPU.csdata,"",@progbits
; Kernel info:
; codeLenInByte = 5860
; TotalNumSgprs: 64
; NumVgprs: 92
; ScratchSize: 48
; MemoryBound: 0
; FloatMode: 240
; IeeeMode: 1
; LDSByteSize: 256 bytes/workgroup (compile time only)
; SGPRBlocks: 0
; VGPRBlocks: 11
; NumSGPRsForWavesPerEU: 64
; NumVGPRsForWavesPerEU: 92
; Occupancy: 16
; WaveLimiterHint : 1
; COMPUTE_PGM_RSRC2:SCRATCH_EN: 1
; COMPUTE_PGM_RSRC2:USER_SGPR: 2
; COMPUTE_PGM_RSRC2:TRAP_HANDLER: 0
; COMPUTE_PGM_RSRC2:TGID_X_EN: 1
; COMPUTE_PGM_RSRC2:TGID_Y_EN: 0
; COMPUTE_PGM_RSRC2:TGID_Z_EN: 1
; COMPUTE_PGM_RSRC2:TIDIG_COMP_CNT: 0
	.section	.text._ZL20rocblas_gemvt_kernelILb1ELi256EPK19rocblas_complex_numIfES3_KPS1_EviiT2_lPKT1_lilS9_lilS6_lPT3_lili,"axG",@progbits,_ZL20rocblas_gemvt_kernelILb1ELi256EPK19rocblas_complex_numIfES3_KPS1_EviiT2_lPKT1_lilS9_lilS6_lPT3_lili,comdat
	.globl	_ZL20rocblas_gemvt_kernelILb1ELi256EPK19rocblas_complex_numIfES3_KPS1_EviiT2_lPKT1_lilS9_lilS6_lPT3_lili ; -- Begin function _ZL20rocblas_gemvt_kernelILb1ELi256EPK19rocblas_complex_numIfES3_KPS1_EviiT2_lPKT1_lilS9_lilS6_lPT3_lili
	.p2align	8
	.type	_ZL20rocblas_gemvt_kernelILb1ELi256EPK19rocblas_complex_numIfES3_KPS1_EviiT2_lPKT1_lilS9_lilS6_lPT3_lili,@function
_ZL20rocblas_gemvt_kernelILb1ELi256EPK19rocblas_complex_numIfES3_KPS1_EviiT2_lPKT1_lilS9_lilS6_lPT3_lili: ; @_ZL20rocblas_gemvt_kernelILb1ELi256EPK19rocblas_complex_numIfES3_KPS1_EviiT2_lPKT1_lilS9_lilS6_lPT3_lili
; %bb.0:
	s_load_b32 s9, s[0:1], 0x88
	s_lshr_b32 s10, ttmp7, 16
	s_wait_kmcnt 0x0
	s_cmp_ge_u32 s10, s9
	s_cbranch_scc1 .LBB330_43
; %bb.1:
	s_clause 0x6
	s_load_b32 s4, s[0:1], 0x28
	s_load_b32 s38, s[0:1], 0x48
	;; [unrolled: 1-line block ×4, first 2 shown]
	s_load_b128 s[28:31], s[0:1], 0x38
	s_load_b256 s[12:19], s[0:1], 0x8
	s_load_b256 s[20:27], s[0:1], 0x58
	s_mov_b32 s2, ttmp9
	s_ashr_i32 s3, ttmp9, 31
	v_cmp_eq_u32_e64 s0, 0, v0
	v_dual_mov_b32 v15, 0 :: v_dual_lshlrev_b32 v16, 3, v0
	v_cmp_gt_u32_e64 s1, 0x80, v0
	s_mov_b32 s11, 0
	s_wait_kmcnt 0x0
	s_ashr_i32 s5, s4, 31
	v_mad_co_i64_i32 v[1:2], null, s38, v0, 0
	s_ashr_i32 s33, s8, 31
	v_cmp_gt_i32_e32 vcc_lo, s8, v0
	s_lshr_b32 s33, s33, 24
	s_ashr_i32 s7, s6, 31
	s_add_co_i32 s33, s8, s33
	s_ashr_i32 s39, s38, 31
	s_and_b32 s34, s33, 0xffffff00
	v_cndmask_b32_e32 v5, 0, v0, vcc_lo
	v_or_b32_e32 v3, s34, v0
	s_mul_u64 s[40:41], s[6:7], s[2:3]
	s_cmp_gt_i32 s8, 0xff
	s_mul_u64 s[36:37], s[4:5], s[2:3]
	v_lshlrev_b32_e32 v6, 3, v5
	v_cmp_gt_i32_e64 s2, s8, v3
	v_mad_co_i64_i32 v[3:4], null, s38, v3, 0
	s_cselect_b32 s33, -1, 0
	s_lshl_b64 s[36:37], s[36:37], 3
	v_lshlrev_b64_e32 v[1:2], 3, v[1:2]
	v_add_co_u32 v6, s42, s36, v6
	v_cmp_gt_u32_e64 s3, 64, v0
	v_lshlrev_b64_e32 v[3:4], 3, v[3:4]
	v_cmp_gt_u32_e64 s4, 32, v0
	v_cmp_gt_u32_e64 s5, 16, v0
	;; [unrolled: 1-line block ×5, first 2 shown]
	v_or_b32_e32 v1, 4, v1
	v_add_co_ci_u32_e64 v0, null, s37, 0, s42
	v_or_b32_e32 v17, 4, v6
	v_lshlrev_b32_e32 v18, 3, v5
	s_ashr_i32 s35, s34, 31
	s_wait_alu 0xfffe
	s_lshl_b64 s[38:39], s[38:39], 11
	s_lshl_b64 s[18:19], s[18:19], 3
	s_lshl_b64 s[30:31], s[30:31], 3
	s_lshl_b64 s[26:27], s[26:27], 3
	s_lshl_b64 s[40:41], s[40:41], 3
	s_lshl_b64 s[42:43], s[34:35], 3
	s_branch .LBB330_5
.LBB330_2:                              ;   in Loop: Header=BB330_5 Depth=1
	v_add_co_u32 v7, vcc_lo, v19, s40
	s_wait_alu 0xfffd
	v_add_co_ci_u32_e64 v8, null, s41, v20, vcc_lo
	flat_store_b64 v[7:8], v[5:6]
.LBB330_3:                              ;   in Loop: Header=BB330_5 Depth=1
	s_wait_alu 0xfffe
	s_or_b32 exec_lo, exec_lo, s47
.LBB330_4:                              ;   in Loop: Header=BB330_5 Depth=1
	s_add_co_i32 s10, s10, 0x10000
	s_delay_alu instid0(SALU_CYCLE_1)
	s_cmp_lt_u32 s10, s9
	s_cbranch_scc0 .LBB330_43
.LBB330_5:                              ; =>This Loop Header: Depth=1
                                        ;     Child Loop BB330_21 Depth 2
	s_mul_u64 s[44:45], s[14:15], s[10:11]
	s_wait_alu 0xfffe
	s_lshl_b64 s[44:45], s[44:45], 3
	s_wait_alu 0xfffe
	s_add_nc_u64 s[44:45], s[12:13], s[44:45]
	global_load_b64 v[5:6], v15, s[44:45]
	s_mul_u64 s[44:45], s[22:23], s[10:11]
	s_wait_alu 0xfffe
	s_lshl_b64 s[44:45], s[44:45], 3
	s_wait_alu 0xfffe
	s_add_nc_u64 s[44:45], s[20:21], s[44:45]
	global_load_b64 v[7:8], v15, s[44:45]
	s_wait_loadcnt 0x1
	v_readfirstlane_b32 s45, v5
	v_readfirstlane_b32 s46, v6
	s_wait_alu 0xfffe
	s_cmp_neq_f32 s45, 0
	s_wait_loadcnt 0x0
	v_readfirstlane_b32 s35, v7
	s_cselect_b32 s44, -1, 0
	s_cmp_neq_f32 s46, 0
	s_cselect_b32 s47, -1, 0
	s_wait_alu 0xfffe
	s_or_b32 s47, s44, s47
	v_readfirstlane_b32 s44, v8
	s_wait_alu 0xfffe
	s_and_b32 vcc_lo, exec_lo, s47
	s_mov_b32 s47, -1
	s_wait_alu 0xfffe
	s_cbranch_vccnz .LBB330_7
; %bb.6:                                ;   in Loop: Header=BB330_5 Depth=1
	s_cmp_neq_f32 s35, 1.0
	s_cselect_b32 s47, -1, 0
	s_cmp_neq_f32 s44, 0
	s_cselect_b32 s48, -1, 0
	s_wait_alu 0xfffe
	s_or_b32 s47, s47, s48
.LBB330_7:                              ;   in Loop: Header=BB330_5 Depth=1
	s_wait_alu 0xfffe
	s_and_not1_b32 vcc_lo, exec_lo, s47
	s_wait_alu 0xfffe
	s_cbranch_vccnz .LBB330_4
; %bb.8:                                ;   in Loop: Header=BB330_5 Depth=1
	s_or_b32 s47, s45, s46
	v_mov_b32_e32 v5, 0
	s_wait_alu 0xfffe
	s_bitset0_b32 s47, 31
	v_dual_mov_b32 v6, 0 :: v_dual_mov_b32 v7, 0
	s_wait_alu 0xfffe
	s_cmp_lg_u32 s47, 0
	v_mov_b32_e32 v8, 0
	s_cselect_b32 s48, -1, 0
	s_cmp_eq_u32 s47, 0
	s_cselect_b32 s47, -1, 0
	s_wait_alu 0xfffe
	s_and_b32 vcc_lo, exec_lo, s47
	s_wait_alu 0xfffe
	s_cbranch_vccnz .LBB330_10
; %bb.9:                                ;   in Loop: Header=BB330_5 Depth=1
	s_lshl_b64 s[50:51], s[10:11], 3
	s_delay_alu instid0(SALU_CYCLE_1)
	s_add_nc_u64 s[50:51], s[16:17], s[50:51]
	global_load_b64 v[7:8], v15, s[50:51]
	s_wait_loadcnt 0x0
	v_add_co_u32 v7, vcc_lo, v7, s18
	s_wait_alu 0xfffd
	v_add_co_ci_u32_e64 v8, null, s19, v8, vcc_lo
.LBB330_10:                             ;   in Loop: Header=BB330_5 Depth=1
	s_and_not1_b32 vcc_lo, exec_lo, s48
	s_wait_alu 0xfffe
	s_cbranch_vccnz .LBB330_12
; %bb.11:                               ;   in Loop: Header=BB330_5 Depth=1
	s_lshl_b64 s[48:49], s[10:11], 3
	s_delay_alu instid0(SALU_CYCLE_1)
	s_add_nc_u64 s[48:49], s[28:29], s[48:49]
	global_load_b64 v[5:6], v15, s[48:49]
	s_wait_loadcnt 0x0
	v_add_co_u32 v5, vcc_lo, v5, s30
	s_wait_alu 0xfffd
	v_add_co_ci_u32_e64 v6, null, s31, v6, vcc_lo
.LBB330_12:                             ;   in Loop: Header=BB330_5 Depth=1
	s_lshl_b64 s[48:49], s[10:11], 3
	s_delay_alu instid0(SALU_CYCLE_1)
	s_add_nc_u64 s[48:49], s[24:25], s[48:49]
	global_load_b64 v[9:10], v15, s[48:49]
	s_wait_loadcnt 0x0
	v_add_co_u32 v19, vcc_lo, v9, s26
	s_wait_alu 0xfffd
	v_add_co_ci_u32_e64 v20, null, s27, v10, vcc_lo
	s_and_not1_b32 vcc_lo, exec_lo, s47
	s_mov_b32 s47, -1
	s_wait_alu 0xfffe
	s_cbranch_vccnz .LBB330_18
; %bb.13:                               ;   in Loop: Header=BB330_5 Depth=1
	s_and_saveexec_b32 s47, s0
	s_cbranch_execz .LBB330_17
; %bb.14:                               ;   in Loop: Header=BB330_5 Depth=1
	s_cmp_neq_f32 s35, 0
	v_dual_mov_b32 v9, 0 :: v_dual_mov_b32 v10, 0
	s_cselect_b32 s48, -1, 0
	s_cmp_neq_f32 s44, 0
	s_cselect_b32 s49, -1, 0
	s_delay_alu instid0(SALU_CYCLE_1) | instskip(NEXT) | instid1(SALU_CYCLE_1)
	s_or_b32 s48, s48, s49
	s_and_not1_b32 vcc_lo, exec_lo, s48
	s_wait_alu 0xfffe
	s_cbranch_vccnz .LBB330_16
; %bb.15:                               ;   in Loop: Header=BB330_5 Depth=1
	v_add_co_u32 v9, vcc_lo, v19, s40
	s_wait_alu 0xfffd
	v_add_co_ci_u32_e64 v10, null, s41, v20, vcc_lo
	flat_load_b64 v[11:12], v[9:10]
	s_wait_loadcnt_dscnt 0x0
	v_mul_f32_e32 v10, s35, v12
	s_delay_alu instid0(VALU_DEP_1) | instskip(NEXT) | instid1(VALU_DEP_1)
	v_dual_mul_f32 v9, s44, v12 :: v_dual_fmac_f32 v10, s44, v11
	v_fma_f32 v9, s35, v11, -v9
.LBB330_16:                             ;   in Loop: Header=BB330_5 Depth=1
	v_add_co_u32 v11, vcc_lo, v19, s40
	s_wait_alu 0xfffd
	v_add_co_ci_u32_e64 v12, null, s41, v20, vcc_lo
	flat_store_b64 v[11:12], v[9:10]
.LBB330_17:                             ;   in Loop: Header=BB330_5 Depth=1
	s_wait_alu 0xfffe
	s_or_b32 exec_lo, exec_lo, s47
	s_mov_b32 s47, 0
.LBB330_18:                             ;   in Loop: Header=BB330_5 Depth=1
	s_wait_alu 0xfffe
	s_and_not1_b32 vcc_lo, exec_lo, s47
	s_wait_alu 0xfffe
	s_cbranch_vccnz .LBB330_4
; %bb.19:                               ;   in Loop: Header=BB330_5 Depth=1
	v_mov_b32_e32 v10, 0
	s_and_not1_b32 vcc_lo, exec_lo, s33
	s_delay_alu instid0(VALU_DEP_1)
	v_mov_b32_e32 v9, v10
	s_wait_alu 0xfffe
	s_cbranch_vccnz .LBB330_22
; %bb.20:                               ;   in Loop: Header=BB330_5 Depth=1
	v_mov_b32_e32 v10, 0
	v_add_co_u32 v11, vcc_lo, v5, v1
	s_wait_alu 0xfffd
	v_add_co_ci_u32_e64 v12, null, v6, v2, vcc_lo
	v_add_co_u32 v13, vcc_lo, v7, v17
	s_wait_alu 0xfffd
	v_add_co_ci_u32_e64 v14, null, v8, v0, vcc_lo
	v_mov_b32_e32 v9, v10
	s_mov_b32 s47, 0
.LBB330_21:                             ;   Parent Loop BB330_5 Depth=1
                                        ; =>  This Inner Loop Header: Depth=2
	flat_load_b64 v[21:22], v[13:14] offset:-4
	flat_load_b64 v[23:24], v[11:12] offset:-4
	v_add_co_u32 v11, vcc_lo, v11, s38
	s_wait_alu 0xfffd
	v_add_co_ci_u32_e64 v12, null, s39, v12, vcc_lo
	v_add_co_u32 v13, vcc_lo, 0x800, v13
	s_wait_alu 0xfffd
	v_add_co_ci_u32_e64 v14, null, 0, v14, vcc_lo
	s_wait_alu 0xfffe
	s_addk_co_i32 s47, 0x100
	s_wait_alu 0xfffe
	s_cmp_ge_i32 s47, s34
	s_wait_loadcnt_dscnt 0x0
	v_mul_f32_e32 v25, v22, v24
	s_delay_alu instid0(VALU_DEP_1) | instskip(NEXT) | instid1(VALU_DEP_1)
	v_fmac_f32_e32 v25, v21, v23
	v_dual_mul_f32 v22, v22, v23 :: v_dual_add_f32 v9, v9, v25
	s_delay_alu instid0(VALU_DEP_1) | instskip(NEXT) | instid1(VALU_DEP_1)
	v_fma_f32 v21, v21, v24, -v22
	v_add_f32_e32 v10, v10, v21
	s_cbranch_scc0 .LBB330_21
.LBB330_22:                             ;   in Loop: Header=BB330_5 Depth=1
	s_and_saveexec_b32 s47, s2
	s_cbranch_execz .LBB330_24
; %bb.23:                               ;   in Loop: Header=BB330_5 Depth=1
	v_add_co_u32 v7, vcc_lo, v7, v18
	s_wait_alu 0xfffd
	v_add_co_ci_u32_e64 v8, null, 0, v8, vcc_lo
	s_delay_alu instid0(VALU_DEP_2) | instskip(SKIP_1) | instid1(VALU_DEP_2)
	v_add_co_u32 v7, vcc_lo, v7, s36
	s_wait_alu 0xfffd
	v_add_co_ci_u32_e64 v8, null, s37, v8, vcc_lo
	v_add_co_u32 v5, vcc_lo, v5, v3
	s_wait_alu 0xfffd
	v_add_co_ci_u32_e64 v6, null, v6, v4, vcc_lo
	;; [unrolled: 3-line block ×3, first 2 shown]
	flat_load_b64 v[5:6], v[5:6]
	flat_load_b64 v[7:8], v[7:8]
	s_wait_loadcnt_dscnt 0x0
	v_mul_f32_e32 v11, v8, v6
	s_delay_alu instid0(VALU_DEP_1) | instskip(NEXT) | instid1(VALU_DEP_1)
	v_fmac_f32_e32 v11, v7, v5
	v_dual_mul_f32 v8, v8, v5 :: v_dual_add_f32 v9, v9, v11
	s_delay_alu instid0(VALU_DEP_1) | instskip(NEXT) | instid1(VALU_DEP_1)
	v_fma_f32 v5, v7, v6, -v8
	v_add_f32_e32 v10, v10, v5
.LBB330_24:                             ;   in Loop: Header=BB330_5 Depth=1
	s_wait_alu 0xfffe
	s_or_b32 exec_lo, exec_lo, s47
	ds_store_b64 v16, v[9:10]
	s_wait_storecnt_dscnt 0x0
	s_barrier_signal -1
	s_barrier_wait -1
	global_inv scope:SCOPE_SE
	s_and_saveexec_b32 s47, s1
	s_cbranch_execz .LBB330_26
; %bb.25:                               ;   in Loop: Header=BB330_5 Depth=1
	ds_load_2addr_stride64_b64 v[5:8], v16 offset1:2
	s_wait_dscnt 0x0
	v_dual_add_f32 v5, v7, v5 :: v_dual_add_f32 v6, v8, v6
	ds_store_b64 v16, v[5:6]
.LBB330_26:                             ;   in Loop: Header=BB330_5 Depth=1
	s_wait_alu 0xfffe
	s_or_b32 exec_lo, exec_lo, s47
	s_wait_loadcnt_dscnt 0x0
	s_barrier_signal -1
	s_barrier_wait -1
	global_inv scope:SCOPE_SE
	s_and_saveexec_b32 s47, s3
	s_cbranch_execz .LBB330_28
; %bb.27:                               ;   in Loop: Header=BB330_5 Depth=1
	ds_load_2addr_stride64_b64 v[5:8], v16 offset1:1
	s_wait_dscnt 0x0
	v_dual_add_f32 v5, v7, v5 :: v_dual_add_f32 v6, v8, v6
	ds_store_b64 v16, v[5:6]
.LBB330_28:                             ;   in Loop: Header=BB330_5 Depth=1
	s_wait_alu 0xfffe
	s_or_b32 exec_lo, exec_lo, s47
	s_wait_loadcnt_dscnt 0x0
	s_barrier_signal -1
	s_barrier_wait -1
	global_inv scope:SCOPE_SE
	s_and_saveexec_b32 s47, s4
	s_cbranch_execz .LBB330_30
; %bb.29:                               ;   in Loop: Header=BB330_5 Depth=1
	ds_load_2addr_b64 v[5:8], v16 offset1:32
	s_wait_dscnt 0x0
	v_dual_add_f32 v5, v7, v5 :: v_dual_add_f32 v6, v8, v6
	ds_store_b64 v16, v[5:6]
.LBB330_30:                             ;   in Loop: Header=BB330_5 Depth=1
	s_wait_alu 0xfffe
	s_or_b32 exec_lo, exec_lo, s47
	s_wait_loadcnt_dscnt 0x0
	s_barrier_signal -1
	s_barrier_wait -1
	global_inv scope:SCOPE_SE
	s_and_saveexec_b32 s47, s5
	s_cbranch_execz .LBB330_32
; %bb.31:                               ;   in Loop: Header=BB330_5 Depth=1
	ds_load_2addr_b64 v[5:8], v16 offset1:16
	s_wait_dscnt 0x0
	v_dual_add_f32 v5, v7, v5 :: v_dual_add_f32 v6, v8, v6
	ds_store_b64 v16, v[5:6]
.LBB330_32:                             ;   in Loop: Header=BB330_5 Depth=1
	;; [unrolled: 14-line block ×5, first 2 shown]
	s_wait_alu 0xfffe
	s_or_b32 exec_lo, exec_lo, s47
	s_wait_loadcnt_dscnt 0x0
	s_barrier_signal -1
	s_barrier_wait -1
	global_inv scope:SCOPE_SE
	s_and_saveexec_b32 s47, s0
	s_cbranch_execz .LBB330_40
; %bb.39:                               ;   in Loop: Header=BB330_5 Depth=1
	ds_load_b128 v[5:8], v15
	s_wait_dscnt 0x0
	v_dual_add_f32 v5, v7, v5 :: v_dual_add_f32 v6, v8, v6
	ds_store_b64 v15, v[5:6]
.LBB330_40:                             ;   in Loop: Header=BB330_5 Depth=1
	s_wait_alu 0xfffe
	s_or_b32 exec_lo, exec_lo, s47
	s_wait_loadcnt_dscnt 0x0
	s_barrier_signal -1
	s_barrier_wait -1
	global_inv scope:SCOPE_SE
	s_and_saveexec_b32 s47, s0
	s_cbranch_execz .LBB330_3
; %bb.41:                               ;   in Loop: Header=BB330_5 Depth=1
	ds_load_b64 v[7:8], v15
	s_cmp_neq_f32 s35, 0
	s_cselect_b32 s48, -1, 0
	s_cmp_neq_f32 s44, 0
	s_cselect_b32 s49, -1, 0
	s_delay_alu instid0(SALU_CYCLE_1) | instskip(NEXT) | instid1(SALU_CYCLE_1)
	s_or_b32 s48, s48, s49
	s_and_not1_b32 vcc_lo, exec_lo, s48
	s_wait_dscnt 0x0
	v_mul_f32_e32 v6, s45, v8
	s_delay_alu instid0(VALU_DEP_1) | instskip(NEXT) | instid1(VALU_DEP_1)
	v_dual_mul_f32 v5, s46, v8 :: v_dual_fmac_f32 v6, s46, v7
	v_xor_b32_e32 v5, 0x80000000, v5
	s_delay_alu instid0(VALU_DEP_1)
	v_fmac_f32_e32 v5, s45, v7
	s_wait_alu 0xfffe
	s_cbranch_vccnz .LBB330_2
; %bb.42:                               ;   in Loop: Header=BB330_5 Depth=1
	v_add_co_u32 v7, vcc_lo, v19, s40
	s_wait_alu 0xfffd
	v_add_co_ci_u32_e64 v8, null, s41, v20, vcc_lo
	flat_load_b64 v[7:8], v[7:8]
	s_wait_loadcnt_dscnt 0x0
	v_mul_f32_e32 v9, s44, v8
	v_mul_f32_e32 v8, s35, v8
	s_delay_alu instid0(VALU_DEP_1) | instskip(NEXT) | instid1(VALU_DEP_3)
	v_fmac_f32_e32 v8, s44, v7
	v_fma_f32 v9, s35, v7, -v9
	s_delay_alu instid0(VALU_DEP_1)
	v_dual_add_f32 v6, v6, v8 :: v_dual_add_f32 v5, v5, v9
	s_branch .LBB330_2
.LBB330_43:
	s_endpgm
	.section	.rodata,"a",@progbits
	.p2align	6, 0x0
	.amdhsa_kernel _ZL20rocblas_gemvt_kernelILb1ELi256EPK19rocblas_complex_numIfES3_KPS1_EviiT2_lPKT1_lilS9_lilS6_lPT3_lili
		.amdhsa_group_segment_fixed_size 2048
		.amdhsa_private_segment_fixed_size 0
		.amdhsa_kernarg_size 140
		.amdhsa_user_sgpr_count 2
		.amdhsa_user_sgpr_dispatch_ptr 0
		.amdhsa_user_sgpr_queue_ptr 0
		.amdhsa_user_sgpr_kernarg_segment_ptr 1
		.amdhsa_user_sgpr_dispatch_id 0
		.amdhsa_user_sgpr_private_segment_size 0
		.amdhsa_wavefront_size32 1
		.amdhsa_uses_dynamic_stack 0
		.amdhsa_enable_private_segment 0
		.amdhsa_system_sgpr_workgroup_id_x 1
		.amdhsa_system_sgpr_workgroup_id_y 0
		.amdhsa_system_sgpr_workgroup_id_z 1
		.amdhsa_system_sgpr_workgroup_info 0
		.amdhsa_system_vgpr_workitem_id 0
		.amdhsa_next_free_vgpr 26
		.amdhsa_next_free_sgpr 52
		.amdhsa_reserve_vcc 1
		.amdhsa_float_round_mode_32 0
		.amdhsa_float_round_mode_16_64 0
		.amdhsa_float_denorm_mode_32 3
		.amdhsa_float_denorm_mode_16_64 3
		.amdhsa_fp16_overflow 0
		.amdhsa_workgroup_processor_mode 1
		.amdhsa_memory_ordered 1
		.amdhsa_forward_progress 1
		.amdhsa_inst_pref_size 17
		.amdhsa_round_robin_scheduling 0
		.amdhsa_exception_fp_ieee_invalid_op 0
		.amdhsa_exception_fp_denorm_src 0
		.amdhsa_exception_fp_ieee_div_zero 0
		.amdhsa_exception_fp_ieee_overflow 0
		.amdhsa_exception_fp_ieee_underflow 0
		.amdhsa_exception_fp_ieee_inexact 0
		.amdhsa_exception_int_div_zero 0
	.end_amdhsa_kernel
	.section	.text._ZL20rocblas_gemvt_kernelILb1ELi256EPK19rocblas_complex_numIfES3_KPS1_EviiT2_lPKT1_lilS9_lilS6_lPT3_lili,"axG",@progbits,_ZL20rocblas_gemvt_kernelILb1ELi256EPK19rocblas_complex_numIfES3_KPS1_EviiT2_lPKT1_lilS9_lilS6_lPT3_lili,comdat
.Lfunc_end330:
	.size	_ZL20rocblas_gemvt_kernelILb1ELi256EPK19rocblas_complex_numIfES3_KPS1_EviiT2_lPKT1_lilS9_lilS6_lPT3_lili, .Lfunc_end330-_ZL20rocblas_gemvt_kernelILb1ELi256EPK19rocblas_complex_numIfES3_KPS1_EviiT2_lPKT1_lilS9_lilS6_lPT3_lili
                                        ; -- End function
	.set _ZL20rocblas_gemvt_kernelILb1ELi256EPK19rocblas_complex_numIfES3_KPS1_EviiT2_lPKT1_lilS9_lilS6_lPT3_lili.num_vgpr, 26
	.set _ZL20rocblas_gemvt_kernelILb1ELi256EPK19rocblas_complex_numIfES3_KPS1_EviiT2_lPKT1_lilS9_lilS6_lPT3_lili.num_agpr, 0
	.set _ZL20rocblas_gemvt_kernelILb1ELi256EPK19rocblas_complex_numIfES3_KPS1_EviiT2_lPKT1_lilS9_lilS6_lPT3_lili.numbered_sgpr, 52
	.set _ZL20rocblas_gemvt_kernelILb1ELi256EPK19rocblas_complex_numIfES3_KPS1_EviiT2_lPKT1_lilS9_lilS6_lPT3_lili.num_named_barrier, 0
	.set _ZL20rocblas_gemvt_kernelILb1ELi256EPK19rocblas_complex_numIfES3_KPS1_EviiT2_lPKT1_lilS9_lilS6_lPT3_lili.private_seg_size, 0
	.set _ZL20rocblas_gemvt_kernelILb1ELi256EPK19rocblas_complex_numIfES3_KPS1_EviiT2_lPKT1_lilS9_lilS6_lPT3_lili.uses_vcc, 1
	.set _ZL20rocblas_gemvt_kernelILb1ELi256EPK19rocblas_complex_numIfES3_KPS1_EviiT2_lPKT1_lilS9_lilS6_lPT3_lili.uses_flat_scratch, 0
	.set _ZL20rocblas_gemvt_kernelILb1ELi256EPK19rocblas_complex_numIfES3_KPS1_EviiT2_lPKT1_lilS9_lilS6_lPT3_lili.has_dyn_sized_stack, 0
	.set _ZL20rocblas_gemvt_kernelILb1ELi256EPK19rocblas_complex_numIfES3_KPS1_EviiT2_lPKT1_lilS9_lilS6_lPT3_lili.has_recursion, 0
	.set _ZL20rocblas_gemvt_kernelILb1ELi256EPK19rocblas_complex_numIfES3_KPS1_EviiT2_lPKT1_lilS9_lilS6_lPT3_lili.has_indirect_call, 0
	.section	.AMDGPU.csdata,"",@progbits
; Kernel info:
; codeLenInByte = 2100
; TotalNumSgprs: 54
; NumVgprs: 26
; ScratchSize: 0
; MemoryBound: 0
; FloatMode: 240
; IeeeMode: 1
; LDSByteSize: 2048 bytes/workgroup (compile time only)
; SGPRBlocks: 0
; VGPRBlocks: 3
; NumSGPRsForWavesPerEU: 54
; NumVGPRsForWavesPerEU: 26
; Occupancy: 16
; WaveLimiterHint : 1
; COMPUTE_PGM_RSRC2:SCRATCH_EN: 0
; COMPUTE_PGM_RSRC2:USER_SGPR: 2
; COMPUTE_PGM_RSRC2:TRAP_HANDLER: 0
; COMPUTE_PGM_RSRC2:TGID_X_EN: 1
; COMPUTE_PGM_RSRC2:TGID_Y_EN: 0
; COMPUTE_PGM_RSRC2:TGID_Z_EN: 1
; COMPUTE_PGM_RSRC2:TIDIG_COMP_CNT: 0
	.section	.text._ZL20rocblas_gemvt_kernelILb1ELi256EPK19rocblas_complex_numIfES1_KPS1_EviiT2_lPKT1_lilS9_lilS6_lPT3_lili,"axG",@progbits,_ZL20rocblas_gemvt_kernelILb1ELi256EPK19rocblas_complex_numIfES1_KPS1_EviiT2_lPKT1_lilS9_lilS6_lPT3_lili,comdat
	.globl	_ZL20rocblas_gemvt_kernelILb1ELi256EPK19rocblas_complex_numIfES1_KPS1_EviiT2_lPKT1_lilS9_lilS6_lPT3_lili ; -- Begin function _ZL20rocblas_gemvt_kernelILb1ELi256EPK19rocblas_complex_numIfES1_KPS1_EviiT2_lPKT1_lilS9_lilS6_lPT3_lili
	.p2align	8
	.type	_ZL20rocblas_gemvt_kernelILb1ELi256EPK19rocblas_complex_numIfES1_KPS1_EviiT2_lPKT1_lilS9_lilS6_lPT3_lili,@function
_ZL20rocblas_gemvt_kernelILb1ELi256EPK19rocblas_complex_numIfES1_KPS1_EviiT2_lPKT1_lilS9_lilS6_lPT3_lili: ; @_ZL20rocblas_gemvt_kernelILb1ELi256EPK19rocblas_complex_numIfES1_KPS1_EviiT2_lPKT1_lilS9_lilS6_lPT3_lili
; %bb.0:
	s_load_b32 s33, s[0:1], 0x88
	s_lshr_b32 s10, ttmp7, 16
	s_wait_kmcnt 0x0
	s_cmp_ge_u32 s10, s33
	s_cbranch_scc1 .LBB331_44
; %bb.1:
	s_clause 0x8
	s_load_b32 s28, s[0:1], 0x28
	s_load_b32 s34, s[0:1], 0x48
	;; [unrolled: 1-line block ×3, first 2 shown]
	s_load_b64 s[24:25], s[0:1], 0x8
	s_load_b64 s[26:27], s[0:1], 0x58
	s_load_b32 s38, s[0:1], 0x0
	s_load_b128 s[12:15], s[0:1], 0x18
	s_load_b128 s[16:19], s[0:1], 0x38
	s_load_b128 s[20:23], s[0:1], 0x68
	s_mov_b32 s8, ttmp9
	v_cmp_eq_u32_e64 s0, 0, v0
	v_dual_mov_b32 v15, 0 :: v_dual_lshlrev_b32 v16, 3, v0
	v_cmp_gt_u32_e64 s3, 32, v0
	v_cmp_gt_u32_e64 s4, 16, v0
	;; [unrolled: 1-line block ×4, first 2 shown]
	s_mov_b32 s11, 0
	s_wait_kmcnt 0x0
	s_ashr_i32 s29, s28, 31
	s_ashr_i32 s35, s34, 31
	;; [unrolled: 1-line block ×3, first 2 shown]
	s_cmp_neq_f32 s24, 0
	v_cmp_gt_i32_e32 vcc_lo, s38, v0
	v_mad_co_i64_i32 v[1:2], null, s34, v0, 0
	s_cselect_b32 s2, -1, 0
	s_cmp_neq_f32 s25, 0
	v_cndmask_b32_e32 v5, 0, v0, vcc_lo
	s_cselect_b32 s1, -1, 0
	v_lshlrev_b64_e32 v[1:2], 3, v[1:2]
	s_or_b32 s39, s2, s1
	s_cmp_neq_f32 s26, 1.0
	v_cmp_gt_u32_e64 s1, 0x80, v0
	v_cmp_gt_u32_e64 s2, 64, v0
	v_lshlrev_b32_e32 v3, 3, v5
	s_cselect_b32 s43, -1, 0
	s_cmp_neq_f32 s27, 0
	v_or_b32_e32 v1, 4, v1
	v_lshlrev_b32_e32 v18, 3, v5
	s_cselect_b32 s44, -1, 0
	s_or_b32 s6, s24, s25
	s_delay_alu instid0(SALU_CYCLE_1) | instskip(NEXT) | instid1(SALU_CYCLE_1)
	s_bitset0_b32 s6, 31
	s_cmp_lg_u32 s6, 0
	s_cselect_b32 s40, -1, 0
	s_cmp_eq_u32 s6, 0
	v_cmp_gt_u32_e64 s6, 4, v0
	s_cselect_b32 s41, -1, 0
	s_cmp_neq_f32 s26, 0
	s_cselect_b32 s36, -1, 0
	s_ashr_i32 s37, s38, 31
	s_ashr_i32 s9, ttmp9, 31
	s_lshr_b32 s45, s37, 24
	s_or_b32 s42, s36, s44
	s_add_co_i32 s45, s38, s45
	s_mul_u64 s[36:37], s[30:31], s[8:9]
	s_mul_u64 s[30:31], s[28:29], s[8:9]
	s_and_b32 s28, s45, 0xffffff00
	s_cmp_gt_i32 s38, 0xff
	v_or_b32_e32 v0, s28, v0
	s_cselect_b32 s9, -1, 0
	s_lshl_b64 s[30:31], s[30:31], 3
	s_wait_alu 0xfffe
	s_or_b32 s39, s39, s43
	v_add_co_u32 v6, s43, s30, v3
	v_mad_co_i64_i32 v[3:4], null, s34, v0, 0
	v_cmp_gt_i32_e64 s8, s38, v0
	v_add_co_ci_u32_e64 v0, null, s31, 0, s43
	s_delay_alu instid0(VALU_DEP_4) | instskip(SKIP_2) | instid1(VALU_DEP_4)
	v_or_b32_e32 v17, 4, v6
	s_ashr_i32 s29, s28, 31
	s_lshl_b64 s[34:35], s[34:35], 11
	v_lshlrev_b64_e32 v[3:4], 3, v[3:4]
	s_wait_alu 0xfffe
	s_or_b32 s43, s39, s44
	s_lshl_b64 s[14:15], s[14:15], 3
	s_lshl_b64 s[18:19], s[18:19], 3
	s_lshl_b64 s[22:23], s[22:23], 3
	s_lshl_b64 s[36:37], s[36:37], 3
	s_lshl_b64 s[38:39], s[28:29], 3
	s_branch .LBB331_5
.LBB331_2:                              ;   in Loop: Header=BB331_5 Depth=1
	v_add_co_u32 v7, vcc_lo, v19, s36
	s_wait_alu 0xfffd
	v_add_co_ci_u32_e64 v8, null, s37, v20, vcc_lo
	flat_store_b64 v[7:8], v[5:6]
.LBB331_3:                              ;   in Loop: Header=BB331_5 Depth=1
	s_wait_alu 0xfffe
	s_or_b32 exec_lo, exec_lo, s29
.LBB331_4:                              ;   in Loop: Header=BB331_5 Depth=1
	s_add_co_i32 s10, s10, 0x10000
	s_delay_alu instid0(SALU_CYCLE_1)
	s_cmp_lt_u32 s10, s33
	s_cbranch_scc0 .LBB331_44
.LBB331_5:                              ; =>This Loop Header: Depth=1
                                        ;     Child Loop BB331_22 Depth 2
	s_wait_alu 0xfffe
	s_and_not1_b32 vcc_lo, exec_lo, s43
	s_wait_alu 0xfffe
	s_cbranch_vccnz .LBB331_4
; %bb.6:                                ;   in Loop: Header=BB331_5 Depth=1
	s_and_not1_b32 vcc_lo, exec_lo, s41
	s_wait_alu 0xfffe
	s_cbranch_vccnz .LBB331_8
; %bb.7:                                ;   in Loop: Header=BB331_5 Depth=1
	s_mov_b32 s29, 0
	s_branch .LBB331_9
.LBB331_8:                              ;   in Loop: Header=BB331_5 Depth=1
	s_mov_b32 s29, -1
.LBB331_9:                              ;   in Loop: Header=BB331_5 Depth=1
	v_mov_b32_e32 v5, 0
	v_dual_mov_b32 v6, 0 :: v_dual_mov_b32 v7, 0
	v_mov_b32_e32 v8, 0
	s_wait_alu 0xfffe
	s_and_not1_b32 vcc_lo, exec_lo, s29
	s_wait_alu 0xfffe
	s_cbranch_vccnz .LBB331_11
; %bb.10:                               ;   in Loop: Header=BB331_5 Depth=1
	s_lshl_b64 s[44:45], s[10:11], 3
	s_delay_alu instid0(SALU_CYCLE_1)
	s_add_nc_u64 s[44:45], s[12:13], s[44:45]
	global_load_b64 v[7:8], v15, s[44:45]
	s_wait_loadcnt 0x0
	v_add_co_u32 v7, vcc_lo, v7, s14
	s_wait_alu 0xfffd
	v_add_co_ci_u32_e64 v8, null, s15, v8, vcc_lo
.LBB331_11:                             ;   in Loop: Header=BB331_5 Depth=1
	s_and_not1_b32 vcc_lo, exec_lo, s40
	s_wait_alu 0xfffe
	s_cbranch_vccnz .LBB331_13
; %bb.12:                               ;   in Loop: Header=BB331_5 Depth=1
	s_lshl_b64 s[44:45], s[10:11], 3
	s_delay_alu instid0(SALU_CYCLE_1)
	s_add_nc_u64 s[44:45], s[16:17], s[44:45]
	global_load_b64 v[5:6], v15, s[44:45]
	s_wait_loadcnt 0x0
	v_add_co_u32 v5, vcc_lo, v5, s18
	s_wait_alu 0xfffd
	v_add_co_ci_u32_e64 v6, null, s19, v6, vcc_lo
.LBB331_13:                             ;   in Loop: Header=BB331_5 Depth=1
	s_lshl_b64 s[44:45], s[10:11], 3
	s_mov_b32 s29, -1
	s_add_nc_u64 s[44:45], s[20:21], s[44:45]
	global_load_b64 v[9:10], v15, s[44:45]
	s_wait_loadcnt 0x0
	v_add_co_u32 v19, vcc_lo, v9, s22
	s_wait_alu 0xfffd
	v_add_co_ci_u32_e64 v20, null, s23, v10, vcc_lo
	s_and_not1_b32 vcc_lo, exec_lo, s41
	s_wait_alu 0xfffe
	s_cbranch_vccnz .LBB331_19
; %bb.14:                               ;   in Loop: Header=BB331_5 Depth=1
	s_and_saveexec_b32 s29, s0
	s_cbranch_execz .LBB331_18
; %bb.15:                               ;   in Loop: Header=BB331_5 Depth=1
	v_dual_mov_b32 v9, 0 :: v_dual_mov_b32 v10, 0
	s_and_not1_b32 vcc_lo, exec_lo, s42
	s_wait_alu 0xfffe
	s_cbranch_vccnz .LBB331_17
; %bb.16:                               ;   in Loop: Header=BB331_5 Depth=1
	v_add_co_u32 v9, vcc_lo, v19, s36
	s_wait_alu 0xfffd
	v_add_co_ci_u32_e64 v10, null, s37, v20, vcc_lo
	flat_load_b64 v[11:12], v[9:10]
	s_wait_loadcnt_dscnt 0x0
	v_mul_f32_e32 v10, s26, v12
	s_delay_alu instid0(VALU_DEP_1) | instskip(NEXT) | instid1(VALU_DEP_1)
	v_dual_mul_f32 v9, s27, v12 :: v_dual_fmac_f32 v10, s27, v11
	v_fma_f32 v9, s26, v11, -v9
.LBB331_17:                             ;   in Loop: Header=BB331_5 Depth=1
	v_add_co_u32 v11, vcc_lo, v19, s36
	s_wait_alu 0xfffd
	v_add_co_ci_u32_e64 v12, null, s37, v20, vcc_lo
	flat_store_b64 v[11:12], v[9:10]
.LBB331_18:                             ;   in Loop: Header=BB331_5 Depth=1
	s_wait_alu 0xfffe
	s_or_b32 exec_lo, exec_lo, s29
	s_mov_b32 s29, 0
.LBB331_19:                             ;   in Loop: Header=BB331_5 Depth=1
	s_wait_alu 0xfffe
	s_and_not1_b32 vcc_lo, exec_lo, s29
	s_wait_alu 0xfffe
	s_cbranch_vccnz .LBB331_4
; %bb.20:                               ;   in Loop: Header=BB331_5 Depth=1
	v_mov_b32_e32 v10, 0
	s_and_not1_b32 vcc_lo, exec_lo, s9
	s_delay_alu instid0(VALU_DEP_1)
	v_mov_b32_e32 v9, v10
	s_wait_alu 0xfffe
	s_cbranch_vccnz .LBB331_23
; %bb.21:                               ;   in Loop: Header=BB331_5 Depth=1
	v_mov_b32_e32 v10, 0
	v_add_co_u32 v11, vcc_lo, v5, v1
	s_wait_alu 0xfffd
	v_add_co_ci_u32_e64 v12, null, v6, v2, vcc_lo
	v_add_co_u32 v13, vcc_lo, v7, v17
	s_wait_alu 0xfffd
	v_add_co_ci_u32_e64 v14, null, v8, v0, vcc_lo
	v_mov_b32_e32 v9, v10
	s_mov_b32 s29, 0
.LBB331_22:                             ;   Parent Loop BB331_5 Depth=1
                                        ; =>  This Inner Loop Header: Depth=2
	flat_load_b64 v[21:22], v[13:14] offset:-4
	flat_load_b64 v[23:24], v[11:12] offset:-4
	v_add_co_u32 v11, vcc_lo, v11, s34
	s_wait_alu 0xfffd
	v_add_co_ci_u32_e64 v12, null, s35, v12, vcc_lo
	v_add_co_u32 v13, vcc_lo, 0x800, v13
	s_wait_alu 0xfffd
	v_add_co_ci_u32_e64 v14, null, 0, v14, vcc_lo
	s_wait_alu 0xfffe
	s_addk_co_i32 s29, 0x100
	s_wait_alu 0xfffe
	s_cmp_ge_i32 s29, s28
	s_wait_loadcnt_dscnt 0x0
	v_mul_f32_e32 v25, v22, v24
	s_delay_alu instid0(VALU_DEP_1) | instskip(NEXT) | instid1(VALU_DEP_1)
	v_fmac_f32_e32 v25, v21, v23
	v_dual_mul_f32 v22, v22, v23 :: v_dual_add_f32 v9, v9, v25
	s_delay_alu instid0(VALU_DEP_1) | instskip(NEXT) | instid1(VALU_DEP_1)
	v_fma_f32 v21, v21, v24, -v22
	v_add_f32_e32 v10, v10, v21
	s_cbranch_scc0 .LBB331_22
.LBB331_23:                             ;   in Loop: Header=BB331_5 Depth=1
	s_and_saveexec_b32 s29, s8
	s_cbranch_execz .LBB331_25
; %bb.24:                               ;   in Loop: Header=BB331_5 Depth=1
	v_add_co_u32 v7, vcc_lo, v7, v18
	s_wait_alu 0xfffd
	v_add_co_ci_u32_e64 v8, null, 0, v8, vcc_lo
	s_delay_alu instid0(VALU_DEP_2) | instskip(SKIP_1) | instid1(VALU_DEP_2)
	v_add_co_u32 v7, vcc_lo, v7, s30
	s_wait_alu 0xfffd
	v_add_co_ci_u32_e64 v8, null, s31, v8, vcc_lo
	v_add_co_u32 v5, vcc_lo, v5, v3
	s_wait_alu 0xfffd
	v_add_co_ci_u32_e64 v6, null, v6, v4, vcc_lo
	;; [unrolled: 3-line block ×3, first 2 shown]
	flat_load_b64 v[5:6], v[5:6]
	flat_load_b64 v[7:8], v[7:8]
	s_wait_loadcnt_dscnt 0x0
	v_mul_f32_e32 v11, v8, v6
	s_delay_alu instid0(VALU_DEP_1) | instskip(NEXT) | instid1(VALU_DEP_1)
	v_fmac_f32_e32 v11, v7, v5
	v_dual_mul_f32 v8, v8, v5 :: v_dual_add_f32 v9, v9, v11
	s_delay_alu instid0(VALU_DEP_1) | instskip(NEXT) | instid1(VALU_DEP_1)
	v_fma_f32 v5, v7, v6, -v8
	v_add_f32_e32 v10, v10, v5
.LBB331_25:                             ;   in Loop: Header=BB331_5 Depth=1
	s_wait_alu 0xfffe
	s_or_b32 exec_lo, exec_lo, s29
	ds_store_b64 v16, v[9:10]
	s_wait_storecnt_dscnt 0x0
	s_barrier_signal -1
	s_barrier_wait -1
	global_inv scope:SCOPE_SE
	s_and_saveexec_b32 s29, s1
	s_cbranch_execz .LBB331_27
; %bb.26:                               ;   in Loop: Header=BB331_5 Depth=1
	ds_load_2addr_stride64_b64 v[5:8], v16 offset1:2
	s_wait_dscnt 0x0
	v_dual_add_f32 v5, v7, v5 :: v_dual_add_f32 v6, v8, v6
	ds_store_b64 v16, v[5:6]
.LBB331_27:                             ;   in Loop: Header=BB331_5 Depth=1
	s_wait_alu 0xfffe
	s_or_b32 exec_lo, exec_lo, s29
	s_wait_loadcnt_dscnt 0x0
	s_barrier_signal -1
	s_barrier_wait -1
	global_inv scope:SCOPE_SE
	s_and_saveexec_b32 s29, s2
	s_cbranch_execz .LBB331_29
; %bb.28:                               ;   in Loop: Header=BB331_5 Depth=1
	ds_load_2addr_stride64_b64 v[5:8], v16 offset1:1
	s_wait_dscnt 0x0
	v_dual_add_f32 v5, v7, v5 :: v_dual_add_f32 v6, v8, v6
	ds_store_b64 v16, v[5:6]
.LBB331_29:                             ;   in Loop: Header=BB331_5 Depth=1
	s_wait_alu 0xfffe
	s_or_b32 exec_lo, exec_lo, s29
	s_wait_loadcnt_dscnt 0x0
	s_barrier_signal -1
	s_barrier_wait -1
	global_inv scope:SCOPE_SE
	s_and_saveexec_b32 s29, s3
	s_cbranch_execz .LBB331_31
; %bb.30:                               ;   in Loop: Header=BB331_5 Depth=1
	ds_load_2addr_b64 v[5:8], v16 offset1:32
	s_wait_dscnt 0x0
	v_dual_add_f32 v5, v7, v5 :: v_dual_add_f32 v6, v8, v6
	ds_store_b64 v16, v[5:6]
.LBB331_31:                             ;   in Loop: Header=BB331_5 Depth=1
	s_wait_alu 0xfffe
	s_or_b32 exec_lo, exec_lo, s29
	s_wait_loadcnt_dscnt 0x0
	s_barrier_signal -1
	s_barrier_wait -1
	global_inv scope:SCOPE_SE
	s_and_saveexec_b32 s29, s4
	s_cbranch_execz .LBB331_33
; %bb.32:                               ;   in Loop: Header=BB331_5 Depth=1
	ds_load_2addr_b64 v[5:8], v16 offset1:16
	s_wait_dscnt 0x0
	v_dual_add_f32 v5, v7, v5 :: v_dual_add_f32 v6, v8, v6
	ds_store_b64 v16, v[5:6]
.LBB331_33:                             ;   in Loop: Header=BB331_5 Depth=1
	;; [unrolled: 14-line block ×5, first 2 shown]
	s_wait_alu 0xfffe
	s_or_b32 exec_lo, exec_lo, s29
	s_wait_loadcnt_dscnt 0x0
	s_barrier_signal -1
	s_barrier_wait -1
	global_inv scope:SCOPE_SE
	s_and_saveexec_b32 s29, s0
	s_cbranch_execz .LBB331_41
; %bb.40:                               ;   in Loop: Header=BB331_5 Depth=1
	ds_load_b128 v[5:8], v15
	s_wait_dscnt 0x0
	v_dual_add_f32 v5, v7, v5 :: v_dual_add_f32 v6, v8, v6
	ds_store_b64 v15, v[5:6]
.LBB331_41:                             ;   in Loop: Header=BB331_5 Depth=1
	s_wait_alu 0xfffe
	s_or_b32 exec_lo, exec_lo, s29
	s_wait_loadcnt_dscnt 0x0
	s_barrier_signal -1
	s_barrier_wait -1
	global_inv scope:SCOPE_SE
	s_and_saveexec_b32 s29, s0
	s_cbranch_execz .LBB331_3
; %bb.42:                               ;   in Loop: Header=BB331_5 Depth=1
	ds_load_b64 v[7:8], v15
	s_and_not1_b32 vcc_lo, exec_lo, s42
	s_wait_dscnt 0x0
	v_mul_f32_e32 v6, s24, v8
	s_delay_alu instid0(VALU_DEP_1) | instskip(NEXT) | instid1(VALU_DEP_1)
	v_dual_mul_f32 v5, s25, v8 :: v_dual_fmac_f32 v6, s25, v7
	v_xor_b32_e32 v5, 0x80000000, v5
	s_delay_alu instid0(VALU_DEP_1)
	v_fmac_f32_e32 v5, s24, v7
	s_wait_alu 0xfffe
	s_cbranch_vccnz .LBB331_2
; %bb.43:                               ;   in Loop: Header=BB331_5 Depth=1
	v_add_co_u32 v7, vcc_lo, v19, s36
	s_wait_alu 0xfffd
	v_add_co_ci_u32_e64 v8, null, s37, v20, vcc_lo
	flat_load_b64 v[7:8], v[7:8]
	s_wait_loadcnt_dscnt 0x0
	v_mul_f32_e32 v9, s27, v8
	v_mul_f32_e32 v8, s26, v8
	s_delay_alu instid0(VALU_DEP_1) | instskip(NEXT) | instid1(VALU_DEP_3)
	v_fmac_f32_e32 v8, s27, v7
	v_fma_f32 v9, s26, v7, -v9
	s_delay_alu instid0(VALU_DEP_1)
	v_dual_add_f32 v6, v6, v8 :: v_dual_add_f32 v5, v5, v9
	s_branch .LBB331_2
.LBB331_44:
	s_endpgm
	.section	.rodata,"a",@progbits
	.p2align	6, 0x0
	.amdhsa_kernel _ZL20rocblas_gemvt_kernelILb1ELi256EPK19rocblas_complex_numIfES1_KPS1_EviiT2_lPKT1_lilS9_lilS6_lPT3_lili
		.amdhsa_group_segment_fixed_size 2048
		.amdhsa_private_segment_fixed_size 0
		.amdhsa_kernarg_size 140
		.amdhsa_user_sgpr_count 2
		.amdhsa_user_sgpr_dispatch_ptr 0
		.amdhsa_user_sgpr_queue_ptr 0
		.amdhsa_user_sgpr_kernarg_segment_ptr 1
		.amdhsa_user_sgpr_dispatch_id 0
		.amdhsa_user_sgpr_private_segment_size 0
		.amdhsa_wavefront_size32 1
		.amdhsa_uses_dynamic_stack 0
		.amdhsa_enable_private_segment 0
		.amdhsa_system_sgpr_workgroup_id_x 1
		.amdhsa_system_sgpr_workgroup_id_y 0
		.amdhsa_system_sgpr_workgroup_id_z 1
		.amdhsa_system_sgpr_workgroup_info 0
		.amdhsa_system_vgpr_workitem_id 0
		.amdhsa_next_free_vgpr 26
		.amdhsa_next_free_sgpr 46
		.amdhsa_reserve_vcc 1
		.amdhsa_float_round_mode_32 0
		.amdhsa_float_round_mode_16_64 0
		.amdhsa_float_denorm_mode_32 3
		.amdhsa_float_denorm_mode_16_64 3
		.amdhsa_fp16_overflow 0
		.amdhsa_workgroup_processor_mode 1
		.amdhsa_memory_ordered 1
		.amdhsa_forward_progress 1
		.amdhsa_inst_pref_size 16
		.amdhsa_round_robin_scheduling 0
		.amdhsa_exception_fp_ieee_invalid_op 0
		.amdhsa_exception_fp_denorm_src 0
		.amdhsa_exception_fp_ieee_div_zero 0
		.amdhsa_exception_fp_ieee_overflow 0
		.amdhsa_exception_fp_ieee_underflow 0
		.amdhsa_exception_fp_ieee_inexact 0
		.amdhsa_exception_int_div_zero 0
	.end_amdhsa_kernel
	.section	.text._ZL20rocblas_gemvt_kernelILb1ELi256EPK19rocblas_complex_numIfES1_KPS1_EviiT2_lPKT1_lilS9_lilS6_lPT3_lili,"axG",@progbits,_ZL20rocblas_gemvt_kernelILb1ELi256EPK19rocblas_complex_numIfES1_KPS1_EviiT2_lPKT1_lilS9_lilS6_lPT3_lili,comdat
.Lfunc_end331:
	.size	_ZL20rocblas_gemvt_kernelILb1ELi256EPK19rocblas_complex_numIfES1_KPS1_EviiT2_lPKT1_lilS9_lilS6_lPT3_lili, .Lfunc_end331-_ZL20rocblas_gemvt_kernelILb1ELi256EPK19rocblas_complex_numIfES1_KPS1_EviiT2_lPKT1_lilS9_lilS6_lPT3_lili
                                        ; -- End function
	.set _ZL20rocblas_gemvt_kernelILb1ELi256EPK19rocblas_complex_numIfES1_KPS1_EviiT2_lPKT1_lilS9_lilS6_lPT3_lili.num_vgpr, 26
	.set _ZL20rocblas_gemvt_kernelILb1ELi256EPK19rocblas_complex_numIfES1_KPS1_EviiT2_lPKT1_lilS9_lilS6_lPT3_lili.num_agpr, 0
	.set _ZL20rocblas_gemvt_kernelILb1ELi256EPK19rocblas_complex_numIfES1_KPS1_EviiT2_lPKT1_lilS9_lilS6_lPT3_lili.numbered_sgpr, 46
	.set _ZL20rocblas_gemvt_kernelILb1ELi256EPK19rocblas_complex_numIfES1_KPS1_EviiT2_lPKT1_lilS9_lilS6_lPT3_lili.num_named_barrier, 0
	.set _ZL20rocblas_gemvt_kernelILb1ELi256EPK19rocblas_complex_numIfES1_KPS1_EviiT2_lPKT1_lilS9_lilS6_lPT3_lili.private_seg_size, 0
	.set _ZL20rocblas_gemvt_kernelILb1ELi256EPK19rocblas_complex_numIfES1_KPS1_EviiT2_lPKT1_lilS9_lilS6_lPT3_lili.uses_vcc, 1
	.set _ZL20rocblas_gemvt_kernelILb1ELi256EPK19rocblas_complex_numIfES1_KPS1_EviiT2_lPKT1_lilS9_lilS6_lPT3_lili.uses_flat_scratch, 0
	.set _ZL20rocblas_gemvt_kernelILb1ELi256EPK19rocblas_complex_numIfES1_KPS1_EviiT2_lPKT1_lilS9_lilS6_lPT3_lili.has_dyn_sized_stack, 0
	.set _ZL20rocblas_gemvt_kernelILb1ELi256EPK19rocblas_complex_numIfES1_KPS1_EviiT2_lPKT1_lilS9_lilS6_lPT3_lili.has_recursion, 0
	.set _ZL20rocblas_gemvt_kernelILb1ELi256EPK19rocblas_complex_numIfES1_KPS1_EviiT2_lPKT1_lilS9_lilS6_lPT3_lili.has_indirect_call, 0
	.section	.AMDGPU.csdata,"",@progbits
; Kernel info:
; codeLenInByte = 1988
; TotalNumSgprs: 48
; NumVgprs: 26
; ScratchSize: 0
; MemoryBound: 0
; FloatMode: 240
; IeeeMode: 1
; LDSByteSize: 2048 bytes/workgroup (compile time only)
; SGPRBlocks: 0
; VGPRBlocks: 3
; NumSGPRsForWavesPerEU: 48
; NumVGPRsForWavesPerEU: 26
; Occupancy: 16
; WaveLimiterHint : 1
; COMPUTE_PGM_RSRC2:SCRATCH_EN: 0
; COMPUTE_PGM_RSRC2:USER_SGPR: 2
; COMPUTE_PGM_RSRC2:TRAP_HANDLER: 0
; COMPUTE_PGM_RSRC2:TGID_X_EN: 1
; COMPUTE_PGM_RSRC2:TGID_Y_EN: 0
; COMPUTE_PGM_RSRC2:TGID_Z_EN: 1
; COMPUTE_PGM_RSRC2:TIDIG_COMP_CNT: 0
	.section	.text._ZL32rocblas_gemvt_warp_reduce_kernelILb1ELi1024EiPK19rocblas_complex_numIfES3_KPS1_EviiT3_lPKT2_lT1_lS9_lSA_lS6_lPT4_lSA_li,"axG",@progbits,_ZL32rocblas_gemvt_warp_reduce_kernelILb1ELi1024EiPK19rocblas_complex_numIfES3_KPS1_EviiT3_lPKT2_lT1_lS9_lSA_lS6_lPT4_lSA_li,comdat
	.globl	_ZL32rocblas_gemvt_warp_reduce_kernelILb1ELi1024EiPK19rocblas_complex_numIfES3_KPS1_EviiT3_lPKT2_lT1_lS9_lSA_lS6_lPT4_lSA_li ; -- Begin function _ZL32rocblas_gemvt_warp_reduce_kernelILb1ELi1024EiPK19rocblas_complex_numIfES3_KPS1_EviiT3_lPKT2_lT1_lS9_lSA_lS6_lPT4_lSA_li
	.p2align	8
	.type	_ZL32rocblas_gemvt_warp_reduce_kernelILb1ELi1024EiPK19rocblas_complex_numIfES3_KPS1_EviiT3_lPKT2_lT1_lS9_lSA_lS6_lPT4_lSA_li,@function
_ZL32rocblas_gemvt_warp_reduce_kernelILb1ELi1024EiPK19rocblas_complex_numIfES3_KPS1_EviiT3_lPKT2_lT1_lS9_lSA_lS6_lPT4_lSA_li: ; @_ZL32rocblas_gemvt_warp_reduce_kernelILb1ELi1024EiPK19rocblas_complex_numIfES3_KPS1_EviiT3_lPKT2_lT1_lS9_lSA_lS6_lPT4_lSA_li
; %bb.0:
	s_load_b32 s5, s[0:1], 0x88
	s_lshr_b32 s6, ttmp7, 16
	s_wait_kmcnt 0x0
	s_cmp_ge_u32 s6, s5
	s_cbranch_scc1 .LBB332_36
; %bb.1:
	s_clause 0x6
	s_load_b32 s3, s[0:1], 0x78
	s_load_b32 s4, s[0:1], 0x0
	;; [unrolled: 1-line block ×4, first 2 shown]
	s_load_b128 s[24:27], s[0:1], 0x38
	s_load_b256 s[8:15], s[0:1], 0x8
	s_load_b256 s[16:23], s[0:1], 0x58
	v_lshrrev_b32_e32 v3, 2, v0
	v_dual_mov_b32 v1, 0 :: v_dual_and_b32 v2, 31, v0
	v_mbcnt_lo_u32_b32 v18, -1, 0
	v_cmp_eq_u32_e64 s0, 0, v0
	s_delay_alu instid0(VALU_DEP_4) | instskip(NEXT) | instid1(VALU_DEP_4)
	v_and_b32_e32 v14, 0xf8, v3
	v_cmp_eq_u32_e64 s2, 0, v2
	v_cmp_gt_u32_e64 s1, 32, v0
	v_lshl_or_b32 v20, v18, 2, 64
	s_mov_b32 s7, 0
	s_wait_kmcnt 0x0
	s_mul_i32 s34, s3, ttmp9
	s_ashr_i32 s3, s4, 31
	s_mul_i32 s30, s28, ttmp9
	s_lshr_b32 s3, s3, 22
	v_cmp_gt_i32_e32 vcc_lo, s4, v0
	s_add_co_i32 s3, s4, s3
	v_lshlrev_b32_e32 v13, 3, v2
	s_and_b32 s28, s3, 0xfffffc00
	s_ashr_i32 s31, s30, 31
	v_or_b32_e32 v3, s28, v0
	v_cndmask_b32_e32 v4, 0, v0, vcc_lo
	s_lshl_b64 s[30:31], s[30:31], 3
	v_mul_lo_u32 v15, v0, s29
	v_cmp_gt_i32_e64 s3, s28, v0
	v_mul_lo_u32 v2, s29, v3
	v_lshlrev_b32_e32 v5, 3, v4
	v_cmp_gt_i32_e64 s4, s4, v3
	v_lshlrev_b32_e32 v19, 3, v4
	s_lshl_b32 s33, s29, 10
	s_ashr_i32 s35, s34, 31
	v_add_co_u32 v5, s36, s30, v5
	v_ashrrev_i32_e32 v3, 31, v2
	v_add_co_ci_u32_e64 v16, null, s31, 0, s36
	s_delay_alu instid0(VALU_DEP_3) | instskip(SKIP_1) | instid1(VALU_DEP_3)
	v_or_b32_e32 v17, 4, v5
	s_ashr_i32 s29, s28, 31
	v_lshlrev_b64_e32 v[3:4], 3, v[2:3]
	s_lshl_b64 s[14:15], s[14:15], 3
	s_lshl_b64 s[26:27], s[26:27], 3
	;; [unrolled: 1-line block ×4, first 2 shown]
	s_wait_alu 0xfffe
	s_lshl_b64 s[36:37], s[28:29], 3
	s_branch .LBB332_5
.LBB332_2:                              ;   in Loop: Header=BB332_5 Depth=1
	v_add_co_u32 v8, vcc_lo, v21, s34
	s_wait_alu 0xfffd
	v_add_co_ci_u32_e64 v9, null, s35, v22, vcc_lo
	flat_store_b64 v[8:9], v[6:7]
.LBB332_3:                              ;   in Loop: Header=BB332_5 Depth=1
	s_wait_alu 0xfffe
	s_or_b32 exec_lo, exec_lo, s41
.LBB332_4:                              ;   in Loop: Header=BB332_5 Depth=1
	s_add_co_i32 s6, s6, 0x10000
	s_delay_alu instid0(SALU_CYCLE_1)
	s_cmp_lt_u32 s6, s5
	s_cbranch_scc0 .LBB332_36
.LBB332_5:                              ; =>This Loop Header: Depth=1
                                        ;     Child Loop BB332_29 Depth 2
	s_mul_u64 s[38:39], s[10:11], s[6:7]
	s_wait_alu 0xfffe
	s_lshl_b64 s[38:39], s[38:39], 3
	s_wait_alu 0xfffe
	s_add_nc_u64 s[38:39], s[8:9], s[38:39]
	s_wait_dscnt 0x0
	global_load_b64 v[5:6], v1, s[38:39]
	s_mul_u64 s[38:39], s[18:19], s[6:7]
	s_wait_alu 0xfffe
	s_lshl_b64 s[38:39], s[38:39], 3
	s_wait_alu 0xfffe
	s_add_nc_u64 s[38:39], s[16:17], s[38:39]
	global_load_b64 v[7:8], v1, s[38:39]
	s_wait_loadcnt 0x1
	v_readfirstlane_b32 s39, v5
	v_readfirstlane_b32 s40, v6
	s_wait_alu 0xfffe
	s_cmp_neq_f32 s39, 0
	s_wait_loadcnt 0x0
	v_readfirstlane_b32 s29, v7
	s_cselect_b32 s38, -1, 0
	s_cmp_neq_f32 s40, 0
	s_cselect_b32 s41, -1, 0
	s_wait_alu 0xfffe
	s_or_b32 s41, s38, s41
	v_readfirstlane_b32 s38, v8
	s_wait_alu 0xfffe
	s_and_b32 vcc_lo, exec_lo, s41
	s_mov_b32 s41, -1
	s_wait_alu 0xfffe
	s_cbranch_vccnz .LBB332_7
; %bb.6:                                ;   in Loop: Header=BB332_5 Depth=1
	s_cmp_neq_f32 s29, 1.0
	s_cselect_b32 s41, -1, 0
	s_cmp_neq_f32 s38, 0
	s_cselect_b32 s42, -1, 0
	s_wait_alu 0xfffe
	s_or_b32 s41, s41, s42
.LBB332_7:                              ;   in Loop: Header=BB332_5 Depth=1
	s_wait_alu 0xfffe
	s_and_not1_b32 vcc_lo, exec_lo, s41
	s_wait_alu 0xfffe
	s_cbranch_vccnz .LBB332_4
; %bb.8:                                ;   in Loop: Header=BB332_5 Depth=1
	s_or_b32 s41, s39, s40
	v_mov_b32_e32 v5, 0
	s_wait_alu 0xfffe
	s_bitset0_b32 s41, 31
	v_dual_mov_b32 v6, 0 :: v_dual_mov_b32 v7, 0
	s_wait_alu 0xfffe
	s_cmp_lg_u32 s41, 0
	v_mov_b32_e32 v8, 0
	s_cselect_b32 s42, -1, 0
	s_cmp_eq_u32 s41, 0
	s_cselect_b32 s41, -1, 0
	s_wait_alu 0xfffe
	s_and_b32 vcc_lo, exec_lo, s41
	s_wait_alu 0xfffe
	s_cbranch_vccnz .LBB332_10
; %bb.9:                                ;   in Loop: Header=BB332_5 Depth=1
	s_lshl_b64 s[44:45], s[6:7], 3
	s_delay_alu instid0(SALU_CYCLE_1)
	s_add_nc_u64 s[44:45], s[12:13], s[44:45]
	global_load_b64 v[7:8], v1, s[44:45]
	s_wait_loadcnt 0x0
	v_add_co_u32 v7, vcc_lo, v7, s14
	s_wait_alu 0xfffd
	v_add_co_ci_u32_e64 v8, null, s15, v8, vcc_lo
.LBB332_10:                             ;   in Loop: Header=BB332_5 Depth=1
	s_and_not1_b32 vcc_lo, exec_lo, s42
	s_wait_alu 0xfffe
	s_cbranch_vccnz .LBB332_12
; %bb.11:                               ;   in Loop: Header=BB332_5 Depth=1
	s_lshl_b64 s[42:43], s[6:7], 3
	s_delay_alu instid0(SALU_CYCLE_1)
	s_add_nc_u64 s[42:43], s[24:25], s[42:43]
	global_load_b64 v[5:6], v1, s[42:43]
	s_wait_loadcnt 0x0
	v_add_co_u32 v5, vcc_lo, v5, s26
	s_wait_alu 0xfffd
	v_add_co_ci_u32_e64 v6, null, s27, v6, vcc_lo
.LBB332_12:                             ;   in Loop: Header=BB332_5 Depth=1
	s_lshl_b64 s[42:43], s[6:7], 3
	s_delay_alu instid0(SALU_CYCLE_1)
	s_add_nc_u64 s[42:43], s[20:21], s[42:43]
	global_load_b64 v[9:10], v1, s[42:43]
	s_wait_loadcnt 0x0
	v_add_co_u32 v21, vcc_lo, v9, s22
	s_wait_alu 0xfffd
	v_add_co_ci_u32_e64 v22, null, s23, v10, vcc_lo
	s_and_not1_b32 vcc_lo, exec_lo, s41
	s_mov_b32 s41, -1
	s_wait_alu 0xfffe
	s_cbranch_vccnz .LBB332_18
; %bb.13:                               ;   in Loop: Header=BB332_5 Depth=1
	s_and_saveexec_b32 s41, s0
	s_cbranch_execz .LBB332_17
; %bb.14:                               ;   in Loop: Header=BB332_5 Depth=1
	s_cmp_neq_f32 s29, 0
	v_dual_mov_b32 v9, 0 :: v_dual_mov_b32 v10, 0
	s_cselect_b32 s42, -1, 0
	s_cmp_neq_f32 s38, 0
	s_cselect_b32 s43, -1, 0
	s_delay_alu instid0(SALU_CYCLE_1) | instskip(NEXT) | instid1(SALU_CYCLE_1)
	s_or_b32 s42, s42, s43
	s_and_not1_b32 vcc_lo, exec_lo, s42
	s_wait_alu 0xfffe
	s_cbranch_vccnz .LBB332_16
; %bb.15:                               ;   in Loop: Header=BB332_5 Depth=1
	v_add_co_u32 v9, vcc_lo, v21, s34
	s_wait_alu 0xfffd
	v_add_co_ci_u32_e64 v10, null, s35, v22, vcc_lo
	flat_load_b64 v[11:12], v[9:10]
	s_wait_loadcnt_dscnt 0x0
	v_mul_f32_e32 v2, s38, v12
	v_mul_f32_e32 v10, s29, v12
	s_delay_alu instid0(VALU_DEP_2) | instskip(NEXT) | instid1(VALU_DEP_2)
	v_fma_f32 v9, s29, v11, -v2
	v_fmac_f32_e32 v10, s38, v11
.LBB332_16:                             ;   in Loop: Header=BB332_5 Depth=1
	v_add_co_u32 v11, vcc_lo, v21, s34
	s_wait_alu 0xfffd
	v_add_co_ci_u32_e64 v12, null, s35, v22, vcc_lo
	flat_store_b64 v[11:12], v[9:10]
.LBB332_17:                             ;   in Loop: Header=BB332_5 Depth=1
	s_wait_alu 0xfffe
	s_or_b32 exec_lo, exec_lo, s41
	s_mov_b32 s41, 0
.LBB332_18:                             ;   in Loop: Header=BB332_5 Depth=1
	s_wait_alu 0xfffe
	s_and_not1_b32 vcc_lo, exec_lo, s41
	s_wait_alu 0xfffe
	s_cbranch_vccnz .LBB332_4
; %bb.19:                               ;   in Loop: Header=BB332_5 Depth=1
	v_dual_mov_b32 v23, 0 :: v_dual_mov_b32 v24, 0
	s_and_saveexec_b32 s41, s3
	s_cbranch_execnz .LBB332_28
; %bb.20:                               ;   in Loop: Header=BB332_5 Depth=1
	s_wait_alu 0xfffe
	s_or_b32 exec_lo, exec_lo, s41
	s_and_saveexec_b32 s41, s4
	s_cbranch_execnz .LBB332_31
.LBB332_21:                             ;   in Loop: Header=BB332_5 Depth=1
	s_wait_alu 0xfffe
	s_or_b32 exec_lo, exec_lo, s41
	s_and_saveexec_b32 s41, s1
.LBB332_22:                             ;   in Loop: Header=BB332_5 Depth=1
	v_mov_b32_e32 v2, v1
	ds_store_b64 v13, v[1:2]
.LBB332_23:                             ;   in Loop: Header=BB332_5 Depth=1
	s_wait_alu 0xfffe
	s_or_b32 exec_lo, exec_lo, s41
	ds_bpermute_b32 v5, v20, v24
	ds_bpermute_b32 v6, v20, v23
	v_cmp_gt_u32_e32 vcc_lo, 24, v18
	s_wait_storecnt_dscnt 0x0
	s_barrier_signal -1
	s_barrier_wait -1
	global_inv scope:SCOPE_SE
	s_wait_alu 0xfffd
	v_cndmask_b32_e64 v2, 0, 8, vcc_lo
	v_cmp_gt_u32_e32 vcc_lo, 28, v18
	s_delay_alu instid0(VALU_DEP_2) | instskip(SKIP_3) | instid1(VALU_DEP_2)
	v_add_lshl_u32 v2, v2, v18, 2
	s_wait_alu 0xfffd
	v_cndmask_b32_e64 v7, 0, 4, vcc_lo
	v_cmp_gt_u32_e32 vcc_lo, 30, v18
	v_add_lshl_u32 v7, v7, v18, 2
	v_dual_add_f32 v5, v24, v5 :: v_dual_add_f32 v6, v23, v6
	ds_bpermute_b32 v8, v2, v5
	ds_bpermute_b32 v9, v2, v6
	s_wait_dscnt 0x0
	v_dual_add_f32 v5, v5, v8 :: v_dual_add_f32 v6, v6, v9
	s_wait_alu 0xfffd
	v_cndmask_b32_e64 v8, 0, 2, vcc_lo
	v_cmp_ne_u32_e32 vcc_lo, 31, v18
	ds_bpermute_b32 v9, v7, v5
	ds_bpermute_b32 v10, v7, v6
	v_add_lshl_u32 v8, v8, v18, 2
	s_wait_dscnt 0x0
	v_dual_add_f32 v5, v5, v9 :: v_dual_add_f32 v6, v6, v10
	s_wait_alu 0xfffd
	v_add_co_ci_u32_e64 v9, null, 0, v18, vcc_lo
	ds_bpermute_b32 v10, v8, v5
	ds_bpermute_b32 v11, v8, v6
	v_lshlrev_b32_e32 v9, 2, v9
	s_wait_dscnt 0x0
	v_dual_add_f32 v5, v5, v10 :: v_dual_add_f32 v6, v6, v11
	ds_bpermute_b32 v10, v9, v5
	ds_bpermute_b32 v11, v9, v6
	s_and_saveexec_b32 s41, s2
	s_cbranch_execz .LBB332_25
; %bb.24:                               ;   in Loop: Header=BB332_5 Depth=1
	s_wait_dscnt 0x0
	v_dual_add_f32 v6, v6, v11 :: v_dual_add_f32 v5, v5, v10
	ds_store_b64 v14, v[5:6]
.LBB332_25:                             ;   in Loop: Header=BB332_5 Depth=1
	s_wait_alu 0xfffe
	s_or_b32 exec_lo, exec_lo, s41
	v_dual_mov_b32 v6, 0 :: v_dual_mov_b32 v5, 0
	s_wait_loadcnt_dscnt 0x0
	s_barrier_signal -1
	s_barrier_wait -1
	global_inv scope:SCOPE_SE
	s_and_saveexec_b32 s41, s1
	s_cbranch_execnz .LBB332_32
; %bb.26:                               ;   in Loop: Header=BB332_5 Depth=1
	s_wait_alu 0xfffe
	s_or_b32 exec_lo, exec_lo, s41
	s_and_saveexec_b32 s41, s1
	s_cbranch_execnz .LBB332_33
.LBB332_27:                             ;   in Loop: Header=BB332_5 Depth=1
	s_wait_alu 0xfffe
	s_or_b32 exec_lo, exec_lo, s41
	s_and_saveexec_b32 s41, s0
	s_cbranch_execz .LBB332_3
	s_branch .LBB332_34
.LBB332_28:                             ;   in Loop: Header=BB332_5 Depth=1
	v_add_co_u32 v9, vcc_lo, v7, v17
	s_wait_alu 0xfffd
	v_add_co_ci_u32_e64 v10, null, v8, v16, vcc_lo
	v_dual_mov_b32 v23, 0 :: v_dual_mov_b32 v2, v0
	v_dual_mov_b32 v11, v15 :: v_dual_mov_b32 v24, 0
	s_mov_b32 s42, 0
.LBB332_29:                             ;   Parent Loop BB332_5 Depth=1
                                        ; =>  This Inner Loop Header: Depth=2
	s_delay_alu instid0(VALU_DEP_1) | instskip(NEXT) | instid1(VALU_DEP_1)
	v_ashrrev_i32_e32 v12, 31, v11
	v_lshlrev_b64_e32 v[25:26], 3, v[11:12]
	v_add_nc_u32_e32 v11, s33, v11
	s_delay_alu instid0(VALU_DEP_2) | instskip(SKIP_1) | instid1(VALU_DEP_3)
	v_add_co_u32 v25, vcc_lo, v5, v25
	s_wait_alu 0xfffd
	v_add_co_ci_u32_e64 v26, null, v6, v26, vcc_lo
	flat_load_b64 v[27:28], v[9:10] offset:-4
	flat_load_b64 v[25:26], v[25:26]
	v_add_co_u32 v9, vcc_lo, 0x2000, v9
	s_wait_alu 0xfffd
	v_add_co_ci_u32_e64 v10, null, 0, v10, vcc_lo
	s_wait_loadcnt_dscnt 0x0
	v_mul_f32_e32 v12, v28, v26
	v_mul_f32_e32 v28, v28, v25
	s_delay_alu instid0(VALU_DEP_2) | instskip(NEXT) | instid1(VALU_DEP_2)
	v_fmac_f32_e32 v12, v27, v25
	v_fma_f32 v25, v27, v26, -v28
	v_add_nc_u32_e32 v2, 0x400, v2
	s_delay_alu instid0(VALU_DEP_2) | instskip(NEXT) | instid1(VALU_DEP_2)
	v_dual_add_f32 v24, v24, v12 :: v_dual_add_f32 v23, v23, v25
	v_cmp_le_i32_e32 vcc_lo, s28, v2
	s_or_b32 s42, vcc_lo, s42
	s_delay_alu instid0(SALU_CYCLE_1)
	s_and_not1_b32 exec_lo, exec_lo, s42
	s_cbranch_execnz .LBB332_29
; %bb.30:                               ;   in Loop: Header=BB332_5 Depth=1
	s_or_b32 exec_lo, exec_lo, s42
	s_wait_alu 0xfffe
	s_or_b32 exec_lo, exec_lo, s41
	s_and_saveexec_b32 s41, s4
	s_cbranch_execz .LBB332_21
.LBB332_31:                             ;   in Loop: Header=BB332_5 Depth=1
	v_add_co_u32 v2, vcc_lo, v7, v19
	s_wait_alu 0xfffd
	v_add_co_ci_u32_e64 v7, null, 0, v8, vcc_lo
	s_delay_alu instid0(VALU_DEP_2) | instskip(SKIP_1) | instid1(VALU_DEP_2)
	v_add_co_u32 v2, vcc_lo, v2, s30
	s_wait_alu 0xfffd
	v_add_co_ci_u32_e64 v8, null, s31, v7, vcc_lo
	v_add_co_u32 v5, vcc_lo, v5, v3
	s_wait_alu 0xfffd
	v_add_co_ci_u32_e64 v6, null, v6, v4, vcc_lo
	v_add_co_u32 v7, vcc_lo, v2, s36
	s_wait_alu 0xfffd
	v_add_co_ci_u32_e64 v8, null, s37, v8, vcc_lo
	flat_load_b64 v[5:6], v[5:6]
	flat_load_b64 v[7:8], v[7:8]
	s_wait_loadcnt_dscnt 0x0
	v_mul_f32_e32 v2, v8, v6
	v_mul_f32_e32 v8, v8, v5
	s_delay_alu instid0(VALU_DEP_2) | instskip(NEXT) | instid1(VALU_DEP_2)
	v_fmac_f32_e32 v2, v7, v5
	v_fma_f32 v5, v7, v6, -v8
	s_delay_alu instid0(VALU_DEP_1)
	v_dual_add_f32 v24, v24, v2 :: v_dual_add_f32 v23, v23, v5
	s_wait_alu 0xfffe
	s_or_b32 exec_lo, exec_lo, s41
	s_and_saveexec_b32 s41, s1
	s_cbranch_execnz .LBB332_22
	s_branch .LBB332_23
.LBB332_32:                             ;   in Loop: Header=BB332_5 Depth=1
	ds_load_b64 v[5:6], v13
	s_wait_alu 0xfffe
	s_or_b32 exec_lo, exec_lo, s41
	s_and_saveexec_b32 s41, s1
	s_cbranch_execz .LBB332_27
.LBB332_33:                             ;   in Loop: Header=BB332_5 Depth=1
	s_wait_dscnt 0x0
	ds_bpermute_b32 v10, v20, v5
	ds_bpermute_b32 v11, v20, v6
	s_wait_dscnt 0x0
	v_dual_add_f32 v5, v5, v10 :: v_dual_add_f32 v6, v6, v11
	ds_bpermute_b32 v10, v2, v5
	ds_bpermute_b32 v2, v2, v6
	s_wait_dscnt 0x0
	v_add_f32_e32 v2, v6, v2
	v_add_f32_e32 v5, v5, v10
	ds_bpermute_b32 v6, v7, v5
	ds_bpermute_b32 v7, v7, v2
	s_wait_dscnt 0x0
	v_add_f32_e32 v2, v2, v7
	ds_bpermute_b32 v7, v8, v2
	s_wait_dscnt 0x0
	v_dual_add_f32 v5, v5, v6 :: v_dual_add_f32 v2, v2, v7
	ds_bpermute_b32 v6, v8, v5
	ds_bpermute_b32 v7, v9, v2
	s_wait_dscnt 0x1
	v_add_f32_e32 v5, v5, v6
	ds_bpermute_b32 v6, v9, v5
	s_wait_dscnt 0x0
	v_dual_add_f32 v5, v5, v6 :: v_dual_add_f32 v6, v2, v7
	s_wait_alu 0xfffe
	s_or_b32 exec_lo, exec_lo, s41
	s_and_saveexec_b32 s41, s0
	s_cbranch_execz .LBB332_3
.LBB332_34:                             ;   in Loop: Header=BB332_5 Depth=1
	s_cmp_neq_f32 s29, 0
	s_wait_dscnt 0x0
	v_mul_f32_e32 v7, s39, v6
	v_mul_f32_e32 v2, s40, v6
	s_cselect_b32 s42, -1, 0
	s_cmp_neq_f32 s38, 0
	s_delay_alu instid0(VALU_DEP_2) | instskip(NEXT) | instid1(VALU_DEP_2)
	v_fmac_f32_e32 v7, s40, v5
	v_fma_f32 v6, v5, s39, -v2
	s_cselect_b32 s43, -1, 0
	s_delay_alu instid0(SALU_CYCLE_1) | instskip(NEXT) | instid1(SALU_CYCLE_1)
	s_or_b32 s42, s42, s43
	s_and_not1_b32 vcc_lo, exec_lo, s42
	s_wait_alu 0xfffe
	s_cbranch_vccnz .LBB332_2
; %bb.35:                               ;   in Loop: Header=BB332_5 Depth=1
	v_add_co_u32 v8, vcc_lo, v21, s34
	s_wait_alu 0xfffd
	v_add_co_ci_u32_e64 v9, null, s35, v22, vcc_lo
	flat_load_b64 v[8:9], v[8:9]
	s_wait_loadcnt_dscnt 0x0
	v_mul_f32_e32 v5, s29, v9
	s_delay_alu instid0(VALU_DEP_1) | instskip(NEXT) | instid1(VALU_DEP_1)
	v_dual_mul_f32 v2, s38, v9 :: v_dual_fmac_f32 v5, s38, v8
	v_fma_f32 v2, s29, v8, -v2
	s_delay_alu instid0(VALU_DEP_1)
	v_dual_add_f32 v7, v7, v5 :: v_dual_add_f32 v6, v6, v2
	s_branch .LBB332_2
.LBB332_36:
	s_endpgm
	.section	.rodata,"a",@progbits
	.p2align	6, 0x0
	.amdhsa_kernel _ZL32rocblas_gemvt_warp_reduce_kernelILb1ELi1024EiPK19rocblas_complex_numIfES3_KPS1_EviiT3_lPKT2_lT1_lS9_lSA_lS6_lPT4_lSA_li
		.amdhsa_group_segment_fixed_size 256
		.amdhsa_private_segment_fixed_size 0
		.amdhsa_kernarg_size 140
		.amdhsa_user_sgpr_count 2
		.amdhsa_user_sgpr_dispatch_ptr 0
		.amdhsa_user_sgpr_queue_ptr 0
		.amdhsa_user_sgpr_kernarg_segment_ptr 1
		.amdhsa_user_sgpr_dispatch_id 0
		.amdhsa_user_sgpr_private_segment_size 0
		.amdhsa_wavefront_size32 1
		.amdhsa_uses_dynamic_stack 0
		.amdhsa_enable_private_segment 0
		.amdhsa_system_sgpr_workgroup_id_x 1
		.amdhsa_system_sgpr_workgroup_id_y 0
		.amdhsa_system_sgpr_workgroup_id_z 1
		.amdhsa_system_sgpr_workgroup_info 0
		.amdhsa_system_vgpr_workitem_id 0
		.amdhsa_next_free_vgpr 29
		.amdhsa_next_free_sgpr 46
		.amdhsa_reserve_vcc 1
		.amdhsa_float_round_mode_32 0
		.amdhsa_float_round_mode_16_64 0
		.amdhsa_float_denorm_mode_32 3
		.amdhsa_float_denorm_mode_16_64 3
		.amdhsa_fp16_overflow 0
		.amdhsa_workgroup_processor_mode 1
		.amdhsa_memory_ordered 1
		.amdhsa_forward_progress 1
		.amdhsa_inst_pref_size 17
		.amdhsa_round_robin_scheduling 0
		.amdhsa_exception_fp_ieee_invalid_op 0
		.amdhsa_exception_fp_denorm_src 0
		.amdhsa_exception_fp_ieee_div_zero 0
		.amdhsa_exception_fp_ieee_overflow 0
		.amdhsa_exception_fp_ieee_underflow 0
		.amdhsa_exception_fp_ieee_inexact 0
		.amdhsa_exception_int_div_zero 0
	.end_amdhsa_kernel
	.section	.text._ZL32rocblas_gemvt_warp_reduce_kernelILb1ELi1024EiPK19rocblas_complex_numIfES3_KPS1_EviiT3_lPKT2_lT1_lS9_lSA_lS6_lPT4_lSA_li,"axG",@progbits,_ZL32rocblas_gemvt_warp_reduce_kernelILb1ELi1024EiPK19rocblas_complex_numIfES3_KPS1_EviiT3_lPKT2_lT1_lS9_lSA_lS6_lPT4_lSA_li,comdat
.Lfunc_end332:
	.size	_ZL32rocblas_gemvt_warp_reduce_kernelILb1ELi1024EiPK19rocblas_complex_numIfES3_KPS1_EviiT3_lPKT2_lT1_lS9_lSA_lS6_lPT4_lSA_li, .Lfunc_end332-_ZL32rocblas_gemvt_warp_reduce_kernelILb1ELi1024EiPK19rocblas_complex_numIfES3_KPS1_EviiT3_lPKT2_lT1_lS9_lSA_lS6_lPT4_lSA_li
                                        ; -- End function
	.set _ZL32rocblas_gemvt_warp_reduce_kernelILb1ELi1024EiPK19rocblas_complex_numIfES3_KPS1_EviiT3_lPKT2_lT1_lS9_lSA_lS6_lPT4_lSA_li.num_vgpr, 29
	.set _ZL32rocblas_gemvt_warp_reduce_kernelILb1ELi1024EiPK19rocblas_complex_numIfES3_KPS1_EviiT3_lPKT2_lT1_lS9_lSA_lS6_lPT4_lSA_li.num_agpr, 0
	.set _ZL32rocblas_gemvt_warp_reduce_kernelILb1ELi1024EiPK19rocblas_complex_numIfES3_KPS1_EviiT3_lPKT2_lT1_lS9_lSA_lS6_lPT4_lSA_li.numbered_sgpr, 46
	.set _ZL32rocblas_gemvt_warp_reduce_kernelILb1ELi1024EiPK19rocblas_complex_numIfES3_KPS1_EviiT3_lPKT2_lT1_lS9_lSA_lS6_lPT4_lSA_li.num_named_barrier, 0
	.set _ZL32rocblas_gemvt_warp_reduce_kernelILb1ELi1024EiPK19rocblas_complex_numIfES3_KPS1_EviiT3_lPKT2_lT1_lS9_lSA_lS6_lPT4_lSA_li.private_seg_size, 0
	.set _ZL32rocblas_gemvt_warp_reduce_kernelILb1ELi1024EiPK19rocblas_complex_numIfES3_KPS1_EviiT3_lPKT2_lT1_lS9_lSA_lS6_lPT4_lSA_li.uses_vcc, 1
	.set _ZL32rocblas_gemvt_warp_reduce_kernelILb1ELi1024EiPK19rocblas_complex_numIfES3_KPS1_EviiT3_lPKT2_lT1_lS9_lSA_lS6_lPT4_lSA_li.uses_flat_scratch, 0
	.set _ZL32rocblas_gemvt_warp_reduce_kernelILb1ELi1024EiPK19rocblas_complex_numIfES3_KPS1_EviiT3_lPKT2_lT1_lS9_lSA_lS6_lPT4_lSA_li.has_dyn_sized_stack, 0
	.set _ZL32rocblas_gemvt_warp_reduce_kernelILb1ELi1024EiPK19rocblas_complex_numIfES3_KPS1_EviiT3_lPKT2_lT1_lS9_lSA_lS6_lPT4_lSA_li.has_recursion, 0
	.set _ZL32rocblas_gemvt_warp_reduce_kernelILb1ELi1024EiPK19rocblas_complex_numIfES3_KPS1_EviiT3_lPKT2_lT1_lS9_lSA_lS6_lPT4_lSA_li.has_indirect_call, 0
	.section	.AMDGPU.csdata,"",@progbits
; Kernel info:
; codeLenInByte = 2104
; TotalNumSgprs: 48
; NumVgprs: 29
; ScratchSize: 0
; MemoryBound: 0
; FloatMode: 240
; IeeeMode: 1
; LDSByteSize: 256 bytes/workgroup (compile time only)
; SGPRBlocks: 0
; VGPRBlocks: 3
; NumSGPRsForWavesPerEU: 48
; NumVGPRsForWavesPerEU: 29
; Occupancy: 16
; WaveLimiterHint : 1
; COMPUTE_PGM_RSRC2:SCRATCH_EN: 0
; COMPUTE_PGM_RSRC2:USER_SGPR: 2
; COMPUTE_PGM_RSRC2:TRAP_HANDLER: 0
; COMPUTE_PGM_RSRC2:TGID_X_EN: 1
; COMPUTE_PGM_RSRC2:TGID_Y_EN: 0
; COMPUTE_PGM_RSRC2:TGID_Z_EN: 1
; COMPUTE_PGM_RSRC2:TIDIG_COMP_CNT: 0
	.section	.text._ZL32rocblas_gemvt_warp_reduce_kernelILb1ELi1024ElPK19rocblas_complex_numIfES3_KPS1_EviiT3_lPKT2_lT1_lS9_lSA_lS6_lPT4_lSA_li,"axG",@progbits,_ZL32rocblas_gemvt_warp_reduce_kernelILb1ELi1024ElPK19rocblas_complex_numIfES3_KPS1_EviiT3_lPKT2_lT1_lS9_lSA_lS6_lPT4_lSA_li,comdat
	.globl	_ZL32rocblas_gemvt_warp_reduce_kernelILb1ELi1024ElPK19rocblas_complex_numIfES3_KPS1_EviiT3_lPKT2_lT1_lS9_lSA_lS6_lPT4_lSA_li ; -- Begin function _ZL32rocblas_gemvt_warp_reduce_kernelILb1ELi1024ElPK19rocblas_complex_numIfES3_KPS1_EviiT3_lPKT2_lT1_lS9_lSA_lS6_lPT4_lSA_li
	.p2align	8
	.type	_ZL32rocblas_gemvt_warp_reduce_kernelILb1ELi1024ElPK19rocblas_complex_numIfES3_KPS1_EviiT3_lPKT2_lT1_lS9_lSA_lS6_lPT4_lSA_li,@function
_ZL32rocblas_gemvt_warp_reduce_kernelILb1ELi1024ElPK19rocblas_complex_numIfES3_KPS1_EviiT3_lPKT2_lT1_lS9_lSA_lS6_lPT4_lSA_li: ; @_ZL32rocblas_gemvt_warp_reduce_kernelILb1ELi1024ElPK19rocblas_complex_numIfES3_KPS1_EviiT3_lPKT2_lT1_lS9_lSA_lS6_lPT4_lSA_li
; %bb.0:
	s_load_b32 s33, s[0:1], 0x88
	s_lshr_b32 s6, ttmp7, 16
	s_wait_kmcnt 0x0
	s_cmp_ge_u32 s6, s33
	s_cbranch_scc1 .LBB333_36
; %bb.1:
	s_clause 0x6
	s_load_b64 s[36:37], s[0:1], 0x48
	s_load_b64 s[28:29], s[0:1], 0x78
	s_load_b32 s40, s[0:1], 0x0
	s_load_b64 s[30:31], s[0:1], 0x28
	s_load_b256 s[8:15], s[0:1], 0x8
	s_load_b128 s[24:27], s[0:1], 0x38
	s_load_b256 s[16:23], s[0:1], 0x58
	v_dual_mov_b32 v1, 0 :: v_dual_and_b32 v2, 31, v0
	s_mov_b32 s4, ttmp9
	s_ashr_i32 s5, ttmp9, 31
	v_lshrrev_b32_e32 v4, 2, v0
	s_delay_alu instid0(VALU_DEP_2)
	v_lshlrev_b32_e32 v15, 3, v2
	v_cmp_eq_u32_e64 s2, 0, v2
	v_cmp_eq_u32_e64 s0, 0, v0
	v_cmp_gt_u32_e64 s1, 32, v0
	v_and_b32_e32 v16, 0xf8, v4
	v_mbcnt_lo_u32_b32 v20, -1, 0
	s_mov_b32 s7, 0
	s_wait_kmcnt 0x0
	v_mad_co_u64_u32 v[2:3], null, s36, v0, 0
	s_ashr_i32 s3, s40, 31
	s_mul_u64 s[38:39], s[28:29], s[4:5]
	s_lshr_b32 s3, s3, 22
	s_mul_u64 s[4:5], s[30:31], s[4:5]
	s_add_co_i32 s3, s40, s3
	v_cmp_gt_i32_e32 vcc_lo, s40, v0
	s_and_b32 s30, s3, 0xfffffc00
	v_mad_co_u64_u32 v[3:4], null, s37, v0, v[3:4]
	v_or_b32_e32 v8, s30, v0
	v_cndmask_b32_e32 v7, 0, v0, vcc_lo
	s_ashr_i32 s31, s30, 31
	s_lshl_b64 s[34:35], s[4:5], 3
	s_wait_alu 0xfffe
	s_mul_i32 s4, s36, s31
	v_mul_lo_u32 v10, s37, v8
	v_mad_co_u64_u32 v[5:6], null, s36, v8, 0
	v_lshlrev_b32_e32 v9, 3, v7
	v_lshlrev_b64_e32 v[3:4], 3, v[2:3]
	v_cmp_gt_i32_e64 s3, s30, v0
	v_lshlrev_b32_e32 v19, 3, v7
	s_lshl_b64 s[28:29], s[36:37], 13
	v_add_co_u32 v2, s5, s34, v9
	v_add3_u32 v6, v6, s4, v10
	v_add_co_ci_u32_e64 v17, null, s35, 0, s5
	v_cmp_gt_i32_e64 s4, s40, v8
	s_delay_alu instid0(VALU_DEP_4) | instskip(NEXT) | instid1(VALU_DEP_4)
	v_or_b32_e32 v18, 4, v2
	v_lshlrev_b64_e32 v[5:6], 3, v[5:6]
	v_or_b32_e32 v3, 4, v3
	s_lshl_b64 s[14:15], s[14:15], 3
	s_lshl_b64 s[26:27], s[26:27], 3
	s_lshl_b64 s[22:23], s[22:23], 3
	s_lshl_b64 s[36:37], s[38:39], 3
	s_lshl_b64 s[38:39], s[30:31], 3
	s_branch .LBB333_5
.LBB333_2:                              ;   in Loop: Header=BB333_5 Depth=1
	v_add_co_u32 v10, vcc_lo, v21, s36
	s_wait_alu 0xfffd
	v_add_co_ci_u32_e64 v11, null, s37, v22, vcc_lo
	flat_store_b64 v[10:11], v[8:9]
.LBB333_3:                              ;   in Loop: Header=BB333_5 Depth=1
	s_wait_alu 0xfffe
	s_or_b32 exec_lo, exec_lo, s5
.LBB333_4:                              ;   in Loop: Header=BB333_5 Depth=1
	s_add_co_i32 s6, s6, 0x10000
	s_delay_alu instid0(SALU_CYCLE_1)
	s_cmp_lt_u32 s6, s33
	s_cbranch_scc0 .LBB333_36
.LBB333_5:                              ; =>This Loop Header: Depth=1
                                        ;     Child Loop BB333_29 Depth 2
	s_mul_u64 s[40:41], s[10:11], s[6:7]
	s_wait_alu 0xfffe
	s_lshl_b64 s[40:41], s[40:41], 3
	s_wait_alu 0xfffe
	s_add_nc_u64 s[40:41], s[8:9], s[40:41]
	s_wait_dscnt 0x0
	global_load_b64 v[7:8], v1, s[40:41]
	s_mul_u64 s[40:41], s[18:19], s[6:7]
	s_wait_alu 0xfffe
	s_lshl_b64 s[40:41], s[40:41], 3
	s_wait_alu 0xfffe
	s_add_nc_u64 s[40:41], s[16:17], s[40:41]
	global_load_b64 v[9:10], v1, s[40:41]
	s_wait_loadcnt 0x1
	v_readfirstlane_b32 s41, v7
	v_readfirstlane_b32 s42, v8
	s_wait_alu 0xfffe
	s_cmp_neq_f32 s41, 0
	s_wait_loadcnt 0x0
	v_readfirstlane_b32 s31, v9
	s_cselect_b32 s5, -1, 0
	s_cmp_neq_f32 s42, 0
	s_cselect_b32 s40, -1, 0
	s_wait_alu 0xfffe
	s_or_b32 s5, s5, s40
	v_readfirstlane_b32 s40, v10
	s_wait_alu 0xfffe
	s_and_b32 vcc_lo, exec_lo, s5
	s_mov_b32 s5, -1
	s_wait_alu 0xfffe
	s_cbranch_vccnz .LBB333_7
; %bb.6:                                ;   in Loop: Header=BB333_5 Depth=1
	s_cmp_neq_f32 s31, 1.0
	s_cselect_b32 s5, -1, 0
	s_cmp_neq_f32 s40, 0
	s_cselect_b32 s43, -1, 0
	s_wait_alu 0xfffe
	s_or_b32 s5, s5, s43
.LBB333_7:                              ;   in Loop: Header=BB333_5 Depth=1
	s_wait_alu 0xfffe
	s_and_not1_b32 vcc_lo, exec_lo, s5
	s_wait_alu 0xfffe
	s_cbranch_vccnz .LBB333_4
; %bb.8:                                ;   in Loop: Header=BB333_5 Depth=1
	s_or_b32 s5, s41, s42
	v_mov_b32_e32 v7, 0
	s_wait_alu 0xfffe
	s_bitset0_b32 s5, 31
	v_dual_mov_b32 v8, 0 :: v_dual_mov_b32 v9, 0
	s_wait_alu 0xfffe
	s_cmp_lg_u32 s5, 0
	v_mov_b32_e32 v10, 0
	s_cselect_b32 s43, -1, 0
	s_cmp_eq_u32 s5, 0
	s_cselect_b32 s5, -1, 0
	s_wait_alu 0xfffe
	s_and_b32 vcc_lo, exec_lo, s5
	s_wait_alu 0xfffe
	s_cbranch_vccnz .LBB333_10
; %bb.9:                                ;   in Loop: Header=BB333_5 Depth=1
	s_lshl_b64 s[44:45], s[6:7], 3
	s_delay_alu instid0(SALU_CYCLE_1)
	s_add_nc_u64 s[44:45], s[12:13], s[44:45]
	global_load_b64 v[9:10], v1, s[44:45]
	s_wait_loadcnt 0x0
	v_add_co_u32 v9, vcc_lo, v9, s14
	s_wait_alu 0xfffd
	v_add_co_ci_u32_e64 v10, null, s15, v10, vcc_lo
.LBB333_10:                             ;   in Loop: Header=BB333_5 Depth=1
	s_and_not1_b32 vcc_lo, exec_lo, s43
	s_wait_alu 0xfffe
	s_cbranch_vccnz .LBB333_12
; %bb.11:                               ;   in Loop: Header=BB333_5 Depth=1
	s_lshl_b64 s[44:45], s[6:7], 3
	s_delay_alu instid0(SALU_CYCLE_1)
	s_add_nc_u64 s[44:45], s[24:25], s[44:45]
	global_load_b64 v[7:8], v1, s[44:45]
	s_wait_loadcnt 0x0
	v_add_co_u32 v7, vcc_lo, v7, s26
	s_wait_alu 0xfffd
	v_add_co_ci_u32_e64 v8, null, s27, v8, vcc_lo
.LBB333_12:                             ;   in Loop: Header=BB333_5 Depth=1
	s_lshl_b64 s[44:45], s[6:7], 3
	s_delay_alu instid0(SALU_CYCLE_1)
	s_add_nc_u64 s[44:45], s[20:21], s[44:45]
	global_load_b64 v[11:12], v1, s[44:45]
	s_wait_loadcnt 0x0
	v_add_co_u32 v21, vcc_lo, v11, s22
	s_wait_alu 0xfffd
	v_add_co_ci_u32_e64 v22, null, s23, v12, vcc_lo
	s_and_not1_b32 vcc_lo, exec_lo, s5
	s_mov_b32 s5, -1
	s_wait_alu 0xfffe
	s_cbranch_vccnz .LBB333_18
; %bb.13:                               ;   in Loop: Header=BB333_5 Depth=1
	s_and_saveexec_b32 s5, s0
	s_cbranch_execz .LBB333_17
; %bb.14:                               ;   in Loop: Header=BB333_5 Depth=1
	s_cmp_neq_f32 s31, 0
	v_dual_mov_b32 v11, 0 :: v_dual_mov_b32 v12, 0
	s_cselect_b32 s43, -1, 0
	s_cmp_neq_f32 s40, 0
	s_cselect_b32 s44, -1, 0
	s_wait_alu 0xfffe
	s_or_b32 s43, s43, s44
	s_wait_alu 0xfffe
	s_and_not1_b32 vcc_lo, exec_lo, s43
	s_wait_alu 0xfffe
	s_cbranch_vccnz .LBB333_16
; %bb.15:                               ;   in Loop: Header=BB333_5 Depth=1
	v_add_co_u32 v11, vcc_lo, v21, s36
	s_wait_alu 0xfffd
	v_add_co_ci_u32_e64 v12, null, s37, v22, vcc_lo
	flat_load_b64 v[13:14], v[11:12]
	s_wait_loadcnt_dscnt 0x0
	v_mul_f32_e32 v2, s40, v14
	v_mul_f32_e32 v12, s31, v14
	s_delay_alu instid0(VALU_DEP_2) | instskip(NEXT) | instid1(VALU_DEP_2)
	v_fma_f32 v11, s31, v13, -v2
	v_fmac_f32_e32 v12, s40, v13
.LBB333_16:                             ;   in Loop: Header=BB333_5 Depth=1
	v_add_co_u32 v13, vcc_lo, v21, s36
	s_wait_alu 0xfffd
	v_add_co_ci_u32_e64 v14, null, s37, v22, vcc_lo
	flat_store_b64 v[13:14], v[11:12]
.LBB333_17:                             ;   in Loop: Header=BB333_5 Depth=1
	s_wait_alu 0xfffe
	s_or_b32 exec_lo, exec_lo, s5
	s_mov_b32 s5, 0
.LBB333_18:                             ;   in Loop: Header=BB333_5 Depth=1
	s_wait_alu 0xfffe
	s_and_not1_b32 vcc_lo, exec_lo, s5
	s_wait_alu 0xfffe
	s_cbranch_vccnz .LBB333_4
; %bb.19:                               ;   in Loop: Header=BB333_5 Depth=1
	v_dual_mov_b32 v23, 0 :: v_dual_mov_b32 v24, 0
	s_and_saveexec_b32 s43, s3
	s_cbranch_execnz .LBB333_28
; %bb.20:                               ;   in Loop: Header=BB333_5 Depth=1
	s_wait_alu 0xfffe
	s_or_b32 exec_lo, exec_lo, s43
	s_and_saveexec_b32 s5, s4
	s_cbranch_execnz .LBB333_31
.LBB333_21:                             ;   in Loop: Header=BB333_5 Depth=1
	s_wait_alu 0xfffe
	s_or_b32 exec_lo, exec_lo, s5
	s_and_saveexec_b32 s5, s1
.LBB333_22:                             ;   in Loop: Header=BB333_5 Depth=1
	v_mov_b32_e32 v2, v1
	ds_store_b64 v15, v[1:2]
.LBB333_23:                             ;   in Loop: Header=BB333_5 Depth=1
	s_wait_alu 0xfffe
	s_or_b32 exec_lo, exec_lo, s5
	v_lshl_or_b32 v2, v20, 2, 64
	v_cmp_gt_u32_e32 vcc_lo, 24, v20
	s_wait_storecnt_dscnt 0x0
	s_barrier_signal -1
	s_barrier_wait -1
	ds_bpermute_b32 v7, v2, v24
	ds_bpermute_b32 v8, v2, v23
	s_wait_alu 0xfffd
	v_cndmask_b32_e64 v9, 0, 8, vcc_lo
	v_cmp_gt_u32_e32 vcc_lo, 28, v20
	s_wait_dscnt 0x0
	global_inv scope:SCOPE_SE
	v_add_lshl_u32 v9, v9, v20, 2
	s_wait_alu 0xfffd
	v_cndmask_b32_e64 v10, 0, 4, vcc_lo
	v_cmp_gt_u32_e32 vcc_lo, 30, v20
	s_delay_alu instid0(VALU_DEP_2)
	v_add_lshl_u32 v10, v10, v20, 2
	v_dual_add_f32 v7, v24, v7 :: v_dual_add_f32 v8, v23, v8
	ds_bpermute_b32 v11, v9, v7
	ds_bpermute_b32 v12, v9, v8
	s_wait_dscnt 0x0
	v_dual_add_f32 v7, v7, v11 :: v_dual_add_f32 v8, v8, v12
	s_wait_alu 0xfffd
	v_cndmask_b32_e64 v11, 0, 2, vcc_lo
	v_cmp_ne_u32_e32 vcc_lo, 31, v20
	ds_bpermute_b32 v12, v10, v7
	ds_bpermute_b32 v13, v10, v8
	v_add_lshl_u32 v11, v11, v20, 2
	s_wait_dscnt 0x0
	v_dual_add_f32 v7, v7, v12 :: v_dual_add_f32 v8, v8, v13
	s_wait_alu 0xfffd
	v_add_co_ci_u32_e64 v12, null, 0, v20, vcc_lo
	ds_bpermute_b32 v13, v11, v7
	ds_bpermute_b32 v14, v11, v8
	s_wait_dscnt 0x1
	v_dual_add_f32 v7, v7, v13 :: v_dual_lshlrev_b32 v12, 2, v12
	s_wait_dscnt 0x0
	v_add_f32_e32 v8, v8, v14
	ds_bpermute_b32 v13, v12, v7
	ds_bpermute_b32 v14, v12, v8
	s_and_saveexec_b32 s5, s2
	s_cbranch_execz .LBB333_25
; %bb.24:                               ;   in Loop: Header=BB333_5 Depth=1
	s_wait_dscnt 0x0
	v_dual_add_f32 v8, v8, v14 :: v_dual_add_f32 v7, v7, v13
	ds_store_b64 v16, v[7:8]
.LBB333_25:                             ;   in Loop: Header=BB333_5 Depth=1
	s_wait_alu 0xfffe
	s_or_b32 exec_lo, exec_lo, s5
	v_dual_mov_b32 v8, 0 :: v_dual_mov_b32 v7, 0
	s_wait_loadcnt_dscnt 0x0
	s_barrier_signal -1
	s_barrier_wait -1
	global_inv scope:SCOPE_SE
	s_and_saveexec_b32 s5, s1
	s_cbranch_execnz .LBB333_32
; %bb.26:                               ;   in Loop: Header=BB333_5 Depth=1
	s_wait_alu 0xfffe
	s_or_b32 exec_lo, exec_lo, s5
	s_and_saveexec_b32 s5, s1
	s_cbranch_execnz .LBB333_33
.LBB333_27:                             ;   in Loop: Header=BB333_5 Depth=1
	s_wait_alu 0xfffe
	s_or_b32 exec_lo, exec_lo, s5
	s_and_saveexec_b32 s5, s0
	s_cbranch_execz .LBB333_3
	s_branch .LBB333_34
.LBB333_28:                             ;   in Loop: Header=BB333_5 Depth=1
	v_add_co_u32 v11, vcc_lo, v9, v18
	s_wait_alu 0xfffd
	v_add_co_ci_u32_e64 v12, null, v10, v17, vcc_lo
	v_add_co_u32 v13, vcc_lo, v7, v3
	s_wait_alu 0xfffd
	v_add_co_ci_u32_e64 v14, null, v8, v4, vcc_lo
	v_dual_mov_b32 v23, 0 :: v_dual_mov_b32 v2, v0
	v_mov_b32_e32 v24, 0
	s_mov_b32 s44, 0
.LBB333_29:                             ;   Parent Loop BB333_5 Depth=1
                                        ; =>  This Inner Loop Header: Depth=2
	flat_load_b64 v[25:26], v[11:12] offset:-4
	flat_load_b64 v[27:28], v[13:14] offset:-4
	v_add_nc_u32_e32 v2, 0x400, v2
	v_add_co_u32 v11, vcc_lo, 0x2000, v11
	s_wait_alu 0xfffd
	v_add_co_ci_u32_e64 v12, null, 0, v12, vcc_lo
	v_add_co_u32 v13, vcc_lo, v13, s28
	s_wait_alu 0xfffd
	v_add_co_ci_u32_e64 v14, null, s29, v14, vcc_lo
	s_wait_loadcnt_dscnt 0x0
	v_mul_f32_e32 v29, v26, v28
	v_mul_f32_e32 v26, v26, v27
	v_cmp_le_i32_e64 s5, s30, v2
	s_delay_alu instid0(VALU_DEP_3) | instskip(NEXT) | instid1(VALU_DEP_3)
	v_fmac_f32_e32 v29, v25, v27
	v_fma_f32 v25, v25, v28, -v26
	s_or_b32 s44, s5, s44
	s_delay_alu instid0(VALU_DEP_2) | instskip(NEXT) | instid1(VALU_DEP_2)
	v_add_f32_e32 v24, v24, v29
	v_add_f32_e32 v23, v23, v25
	s_and_not1_b32 exec_lo, exec_lo, s44
	s_cbranch_execnz .LBB333_29
; %bb.30:                               ;   in Loop: Header=BB333_5 Depth=1
	s_or_b32 exec_lo, exec_lo, s44
	s_wait_alu 0xfffe
	s_or_b32 exec_lo, exec_lo, s43
	s_and_saveexec_b32 s5, s4
	s_cbranch_execz .LBB333_21
.LBB333_31:                             ;   in Loop: Header=BB333_5 Depth=1
	v_add_co_u32 v2, vcc_lo, v9, v19
	s_wait_alu 0xfffd
	v_add_co_ci_u32_e64 v9, null, 0, v10, vcc_lo
	s_delay_alu instid0(VALU_DEP_2) | instskip(SKIP_1) | instid1(VALU_DEP_2)
	v_add_co_u32 v2, vcc_lo, v2, s34
	s_wait_alu 0xfffd
	v_add_co_ci_u32_e64 v10, null, s35, v9, vcc_lo
	v_add_co_u32 v7, vcc_lo, v7, v5
	s_wait_alu 0xfffd
	v_add_co_ci_u32_e64 v8, null, v8, v6, vcc_lo
	;; [unrolled: 3-line block ×3, first 2 shown]
	flat_load_b64 v[7:8], v[7:8]
	flat_load_b64 v[9:10], v[9:10]
	s_wait_loadcnt_dscnt 0x0
	v_mul_f32_e32 v2, v10, v8
	v_mul_f32_e32 v10, v10, v7
	s_delay_alu instid0(VALU_DEP_2) | instskip(NEXT) | instid1(VALU_DEP_2)
	v_fmac_f32_e32 v2, v9, v7
	v_fma_f32 v7, v9, v8, -v10
	s_delay_alu instid0(VALU_DEP_1)
	v_dual_add_f32 v24, v24, v2 :: v_dual_add_f32 v23, v23, v7
	s_wait_alu 0xfffe
	s_or_b32 exec_lo, exec_lo, s5
	s_and_saveexec_b32 s5, s1
	s_cbranch_execnz .LBB333_22
	s_branch .LBB333_23
.LBB333_32:                             ;   in Loop: Header=BB333_5 Depth=1
	ds_load_b64 v[7:8], v15
	s_wait_alu 0xfffe
	s_or_b32 exec_lo, exec_lo, s5
	s_and_saveexec_b32 s5, s1
	s_cbranch_execz .LBB333_27
.LBB333_33:                             ;   in Loop: Header=BB333_5 Depth=1
	s_wait_dscnt 0x0
	ds_bpermute_b32 v13, v2, v7
	ds_bpermute_b32 v2, v2, v8
	s_wait_dscnt 0x0
	v_dual_add_f32 v7, v7, v13 :: v_dual_add_f32 v2, v8, v2
	ds_bpermute_b32 v8, v9, v7
	ds_bpermute_b32 v9, v9, v2
	s_wait_dscnt 0x0
	v_dual_add_f32 v7, v7, v8 :: v_dual_add_f32 v2, v2, v9
	;; [unrolled: 4-line block ×5, first 2 shown]
	s_wait_alu 0xfffe
	s_or_b32 exec_lo, exec_lo, s5
	s_and_saveexec_b32 s5, s0
	s_cbranch_execz .LBB333_3
.LBB333_34:                             ;   in Loop: Header=BB333_5 Depth=1
	s_cmp_neq_f32 s31, 0
	s_wait_dscnt 0x0
	v_mul_f32_e32 v9, s41, v8
	v_mul_f32_e32 v2, s42, v8
	s_cselect_b32 s43, -1, 0
	s_cmp_neq_f32 s40, 0
	s_delay_alu instid0(VALU_DEP_2) | instskip(NEXT) | instid1(VALU_DEP_2)
	v_fmac_f32_e32 v9, s42, v7
	v_fma_f32 v8, v7, s41, -v2
	s_cselect_b32 s44, -1, 0
	s_wait_alu 0xfffe
	s_or_b32 s43, s43, s44
	s_wait_alu 0xfffe
	s_and_not1_b32 vcc_lo, exec_lo, s43
	s_wait_alu 0xfffe
	s_cbranch_vccnz .LBB333_2
; %bb.35:                               ;   in Loop: Header=BB333_5 Depth=1
	v_add_co_u32 v10, vcc_lo, v21, s36
	s_wait_alu 0xfffd
	v_add_co_ci_u32_e64 v11, null, s37, v22, vcc_lo
	flat_load_b64 v[10:11], v[10:11]
	s_wait_loadcnt_dscnt 0x0
	v_mul_f32_e32 v7, s31, v11
	s_delay_alu instid0(VALU_DEP_1) | instskip(NEXT) | instid1(VALU_DEP_1)
	v_dual_mul_f32 v2, s40, v11 :: v_dual_fmac_f32 v7, s40, v10
	v_fma_f32 v2, s31, v10, -v2
	s_delay_alu instid0(VALU_DEP_1)
	v_dual_add_f32 v9, v9, v7 :: v_dual_add_f32 v8, v8, v2
	s_branch .LBB333_2
.LBB333_36:
	s_endpgm
	.section	.rodata,"a",@progbits
	.p2align	6, 0x0
	.amdhsa_kernel _ZL32rocblas_gemvt_warp_reduce_kernelILb1ELi1024ElPK19rocblas_complex_numIfES3_KPS1_EviiT3_lPKT2_lT1_lS9_lSA_lS6_lPT4_lSA_li
		.amdhsa_group_segment_fixed_size 256
		.amdhsa_private_segment_fixed_size 0
		.amdhsa_kernarg_size 140
		.amdhsa_user_sgpr_count 2
		.amdhsa_user_sgpr_dispatch_ptr 0
		.amdhsa_user_sgpr_queue_ptr 0
		.amdhsa_user_sgpr_kernarg_segment_ptr 1
		.amdhsa_user_sgpr_dispatch_id 0
		.amdhsa_user_sgpr_private_segment_size 0
		.amdhsa_wavefront_size32 1
		.amdhsa_uses_dynamic_stack 0
		.amdhsa_enable_private_segment 0
		.amdhsa_system_sgpr_workgroup_id_x 1
		.amdhsa_system_sgpr_workgroup_id_y 0
		.amdhsa_system_sgpr_workgroup_id_z 1
		.amdhsa_system_sgpr_workgroup_info 0
		.amdhsa_system_vgpr_workitem_id 0
		.amdhsa_next_free_vgpr 30
		.amdhsa_next_free_sgpr 46
		.amdhsa_reserve_vcc 1
		.amdhsa_float_round_mode_32 0
		.amdhsa_float_round_mode_16_64 0
		.amdhsa_float_denorm_mode_32 3
		.amdhsa_float_denorm_mode_16_64 3
		.amdhsa_fp16_overflow 0
		.amdhsa_workgroup_processor_mode 1
		.amdhsa_memory_ordered 1
		.amdhsa_forward_progress 1
		.amdhsa_inst_pref_size 17
		.amdhsa_round_robin_scheduling 0
		.amdhsa_exception_fp_ieee_invalid_op 0
		.amdhsa_exception_fp_denorm_src 0
		.amdhsa_exception_fp_ieee_div_zero 0
		.amdhsa_exception_fp_ieee_overflow 0
		.amdhsa_exception_fp_ieee_underflow 0
		.amdhsa_exception_fp_ieee_inexact 0
		.amdhsa_exception_int_div_zero 0
	.end_amdhsa_kernel
	.section	.text._ZL32rocblas_gemvt_warp_reduce_kernelILb1ELi1024ElPK19rocblas_complex_numIfES3_KPS1_EviiT3_lPKT2_lT1_lS9_lSA_lS6_lPT4_lSA_li,"axG",@progbits,_ZL32rocblas_gemvt_warp_reduce_kernelILb1ELi1024ElPK19rocblas_complex_numIfES3_KPS1_EviiT3_lPKT2_lT1_lS9_lSA_lS6_lPT4_lSA_li,comdat
.Lfunc_end333:
	.size	_ZL32rocblas_gemvt_warp_reduce_kernelILb1ELi1024ElPK19rocblas_complex_numIfES3_KPS1_EviiT3_lPKT2_lT1_lS9_lSA_lS6_lPT4_lSA_li, .Lfunc_end333-_ZL32rocblas_gemvt_warp_reduce_kernelILb1ELi1024ElPK19rocblas_complex_numIfES3_KPS1_EviiT3_lPKT2_lT1_lS9_lSA_lS6_lPT4_lSA_li
                                        ; -- End function
	.set _ZL32rocblas_gemvt_warp_reduce_kernelILb1ELi1024ElPK19rocblas_complex_numIfES3_KPS1_EviiT3_lPKT2_lT1_lS9_lSA_lS6_lPT4_lSA_li.num_vgpr, 30
	.set _ZL32rocblas_gemvt_warp_reduce_kernelILb1ELi1024ElPK19rocblas_complex_numIfES3_KPS1_EviiT3_lPKT2_lT1_lS9_lSA_lS6_lPT4_lSA_li.num_agpr, 0
	.set _ZL32rocblas_gemvt_warp_reduce_kernelILb1ELi1024ElPK19rocblas_complex_numIfES3_KPS1_EviiT3_lPKT2_lT1_lS9_lSA_lS6_lPT4_lSA_li.numbered_sgpr, 46
	.set _ZL32rocblas_gemvt_warp_reduce_kernelILb1ELi1024ElPK19rocblas_complex_numIfES3_KPS1_EviiT3_lPKT2_lT1_lS9_lSA_lS6_lPT4_lSA_li.num_named_barrier, 0
	.set _ZL32rocblas_gemvt_warp_reduce_kernelILb1ELi1024ElPK19rocblas_complex_numIfES3_KPS1_EviiT3_lPKT2_lT1_lS9_lSA_lS6_lPT4_lSA_li.private_seg_size, 0
	.set _ZL32rocblas_gemvt_warp_reduce_kernelILb1ELi1024ElPK19rocblas_complex_numIfES3_KPS1_EviiT3_lPKT2_lT1_lS9_lSA_lS6_lPT4_lSA_li.uses_vcc, 1
	.set _ZL32rocblas_gemvt_warp_reduce_kernelILb1ELi1024ElPK19rocblas_complex_numIfES3_KPS1_EviiT3_lPKT2_lT1_lS9_lSA_lS6_lPT4_lSA_li.uses_flat_scratch, 0
	.set _ZL32rocblas_gemvt_warp_reduce_kernelILb1ELi1024ElPK19rocblas_complex_numIfES3_KPS1_EviiT3_lPKT2_lT1_lS9_lSA_lS6_lPT4_lSA_li.has_dyn_sized_stack, 0
	.set _ZL32rocblas_gemvt_warp_reduce_kernelILb1ELi1024ElPK19rocblas_complex_numIfES3_KPS1_EviiT3_lPKT2_lT1_lS9_lSA_lS6_lPT4_lSA_li.has_recursion, 0
	.set _ZL32rocblas_gemvt_warp_reduce_kernelILb1ELi1024ElPK19rocblas_complex_numIfES3_KPS1_EviiT3_lPKT2_lT1_lS9_lSA_lS6_lPT4_lSA_li.has_indirect_call, 0
	.section	.AMDGPU.csdata,"",@progbits
; Kernel info:
; codeLenInByte = 2144
; TotalNumSgprs: 48
; NumVgprs: 30
; ScratchSize: 0
; MemoryBound: 0
; FloatMode: 240
; IeeeMode: 1
; LDSByteSize: 256 bytes/workgroup (compile time only)
; SGPRBlocks: 0
; VGPRBlocks: 3
; NumSGPRsForWavesPerEU: 48
; NumVGPRsForWavesPerEU: 30
; Occupancy: 16
; WaveLimiterHint : 1
; COMPUTE_PGM_RSRC2:SCRATCH_EN: 0
; COMPUTE_PGM_RSRC2:USER_SGPR: 2
; COMPUTE_PGM_RSRC2:TRAP_HANDLER: 0
; COMPUTE_PGM_RSRC2:TGID_X_EN: 1
; COMPUTE_PGM_RSRC2:TGID_Y_EN: 0
; COMPUTE_PGM_RSRC2:TGID_Z_EN: 1
; COMPUTE_PGM_RSRC2:TIDIG_COMP_CNT: 0
	.section	.text._ZL32rocblas_gemvt_warp_reduce_kernelILb1ELi1024EiPK19rocblas_complex_numIfES1_KPS1_EviiT3_lPKT2_lT1_lS9_lSA_lS6_lPT4_lSA_li,"axG",@progbits,_ZL32rocblas_gemvt_warp_reduce_kernelILb1ELi1024EiPK19rocblas_complex_numIfES1_KPS1_EviiT3_lPKT2_lT1_lS9_lSA_lS6_lPT4_lSA_li,comdat
	.globl	_ZL32rocblas_gemvt_warp_reduce_kernelILb1ELi1024EiPK19rocblas_complex_numIfES1_KPS1_EviiT3_lPKT2_lT1_lS9_lSA_lS6_lPT4_lSA_li ; -- Begin function _ZL32rocblas_gemvt_warp_reduce_kernelILb1ELi1024EiPK19rocblas_complex_numIfES1_KPS1_EviiT3_lPKT2_lT1_lS9_lSA_lS6_lPT4_lSA_li
	.p2align	8
	.type	_ZL32rocblas_gemvt_warp_reduce_kernelILb1ELi1024EiPK19rocblas_complex_numIfES1_KPS1_EviiT3_lPKT2_lT1_lS9_lSA_lS6_lPT4_lSA_li,@function
_ZL32rocblas_gemvt_warp_reduce_kernelILb1ELi1024EiPK19rocblas_complex_numIfES1_KPS1_EviiT3_lPKT2_lT1_lS9_lSA_lS6_lPT4_lSA_li: ; @_ZL32rocblas_gemvt_warp_reduce_kernelILb1ELi1024EiPK19rocblas_complex_numIfES1_KPS1_EviiT3_lPKT2_lT1_lS9_lSA_lS6_lPT4_lSA_li
; %bb.0:
	s_load_b32 s5, s[0:1], 0x88
	s_lshr_b32 s6, ttmp7, 16
	s_wait_kmcnt 0x0
	s_cmp_ge_u32 s6, s5
	s_cbranch_scc1 .LBB334_37
; %bb.1:
	s_clause 0x8
	s_load_b64 s[20:21], s[0:1], 0x8
	s_load_b64 s[22:23], s[0:1], 0x58
	s_load_b32 s4, s[0:1], 0x0
	s_load_b128 s[8:11], s[0:1], 0x68
	s_load_b128 s[12:15], s[0:1], 0x18
	s_load_b32 s3, s[0:1], 0x28
	s_load_b32 s24, s[0:1], 0x78
	s_load_b128 s[16:19], s[0:1], 0x38
	s_load_b32 s25, s[0:1], 0x48
	v_dual_mov_b32 v1, 0 :: v_dual_and_b32 v2, 31, v0
	v_lshrrev_b32_e32 v3, 2, v0
	v_mbcnt_lo_u32_b32 v18, -1, 0
	v_cmp_eq_u32_e64 s0, 0, v0
	s_mov_b32 s7, 0
	v_and_b32_e32 v14, 0xf8, v3
	v_lshl_or_b32 v20, v18, 2, 64
	s_wait_kmcnt 0x0
	s_cmp_neq_f32 s20, 0
	v_cmp_gt_i32_e32 vcc_lo, s4, v0
	v_lshlrev_b32_e32 v13, 3, v2
	s_cselect_b32 s2, -1, 0
	s_cmp_neq_f32 s21, 0
	s_mul_i32 s28, s24, ttmp9
	v_cndmask_b32_e32 v4, 0, v0, vcc_lo
	v_mul_lo_u32 v15, v0, s25
	s_cselect_b32 s1, -1, 0
	s_delay_alu instid0(SALU_CYCLE_1)
	s_or_b32 s30, s2, s1
	s_cmp_neq_f32 s22, 1.0
	v_lshlrev_b32_e32 v3, 3, v4
	v_cmp_eq_u32_e64 s2, 0, v2
	v_lshlrev_b32_e32 v19, 3, v4
	s_cselect_b32 s31, -1, 0
	s_cmp_neq_f32 s23, 0
	v_cmp_gt_u32_e64 s1, 32, v0
	s_cselect_b32 s37, -1, 0
	s_or_b32 s26, s20, s21
	s_delay_alu instid0(SALU_CYCLE_1)
	s_and_b32 s24, s26, 0x7fffffff
	s_mul_i32 s26, s3, ttmp9
	s_wait_alu 0xfffe
	s_cmp_lg_u32 s24, 0
	s_cselect_b32 s33, -1, 0
	s_cmp_eq_u32 s24, 0
	s_cselect_b32 s34, -1, 0
	s_cmp_neq_f32 s22, 0
	s_cselect_b32 s38, -1, 0
	s_ashr_i32 s3, s4, 31
	s_ashr_i32 s27, s26, 31
	s_lshr_b32 s3, s3, 22
	s_lshl_b64 s[26:27], s[26:27], 3
	s_add_co_i32 s3, s4, s3
	s_ashr_i32 s29, s28, 31
	s_and_b32 s24, s3, 0xfffffc00
	v_add_co_u32 v3, s3, s26, v3
	s_wait_alu 0xfffe
	v_or_b32_e32 v5, s24, v0
	v_add_co_ci_u32_e64 v16, null, s27, 0, s3
	s_delay_alu instid0(VALU_DEP_3) | instskip(SKIP_1) | instid1(VALU_DEP_4)
	v_or_b32_e32 v17, 4, v3
	v_cmp_gt_i32_e64 s3, s24, v0
	v_mul_lo_u32 v2, s25, v5
	v_cmp_gt_i32_e64 s4, s4, v5
	s_or_b32 s30, s30, s31
	s_lshl_b32 s35, s25, 10
	s_ashr_i32 s25, s24, 31
	s_lshl_b64 s[14:15], s[14:15], 3
	s_or_b32 s36, s30, s37
	s_lshl_b64 s[18:19], s[18:19], 3
	v_ashrrev_i32_e32 v3, 31, v2
	s_or_b32 s37, s38, s37
	s_lshl_b64 s[10:11], s[10:11], 3
	s_lshl_b64 s[28:29], s[28:29], 3
	s_wait_alu 0xfffe
	s_lshl_b64 s[30:31], s[24:25], 3
	v_lshlrev_b64_e32 v[3:4], 3, v[2:3]
	s_branch .LBB334_5
.LBB334_2:                              ;   in Loop: Header=BB334_5 Depth=1
	v_add_co_u32 v8, vcc_lo, v21, s28
	s_wait_alu 0xfffd
	v_add_co_ci_u32_e64 v9, null, s29, v22, vcc_lo
	flat_store_b64 v[8:9], v[6:7]
.LBB334_3:                              ;   in Loop: Header=BB334_5 Depth=1
	s_wait_alu 0xfffe
	s_or_b32 exec_lo, exec_lo, s25
.LBB334_4:                              ;   in Loop: Header=BB334_5 Depth=1
	s_add_co_i32 s6, s6, 0x10000
	s_delay_alu instid0(SALU_CYCLE_1)
	s_cmp_lt_u32 s6, s5
	s_cbranch_scc0 .LBB334_37
.LBB334_5:                              ; =>This Loop Header: Depth=1
                                        ;     Child Loop BB334_30 Depth 2
	s_and_not1_b32 vcc_lo, exec_lo, s36
	s_wait_alu 0xfffe
	s_cbranch_vccnz .LBB334_4
; %bb.6:                                ;   in Loop: Header=BB334_5 Depth=1
	s_and_not1_b32 vcc_lo, exec_lo, s34
	s_wait_alu 0xfffe
	s_cbranch_vccnz .LBB334_8
; %bb.7:                                ;   in Loop: Header=BB334_5 Depth=1
	s_mov_b32 s25, 0
	s_branch .LBB334_9
.LBB334_8:                              ;   in Loop: Header=BB334_5 Depth=1
	s_mov_b32 s25, -1
.LBB334_9:                              ;   in Loop: Header=BB334_5 Depth=1
	s_wait_dscnt 0x0
	v_mov_b32_e32 v5, 0
	v_dual_mov_b32 v6, 0 :: v_dual_mov_b32 v7, 0
	v_mov_b32_e32 v8, 0
	s_wait_alu 0xfffe
	s_and_not1_b32 vcc_lo, exec_lo, s25
	s_wait_alu 0xfffe
	s_cbranch_vccnz .LBB334_11
; %bb.10:                               ;   in Loop: Header=BB334_5 Depth=1
	s_lshl_b64 s[38:39], s[6:7], 3
	s_delay_alu instid0(SALU_CYCLE_1)
	s_add_nc_u64 s[38:39], s[12:13], s[38:39]
	global_load_b64 v[7:8], v1, s[38:39]
	s_wait_loadcnt 0x0
	v_add_co_u32 v7, vcc_lo, v7, s14
	s_wait_alu 0xfffd
	v_add_co_ci_u32_e64 v8, null, s15, v8, vcc_lo
.LBB334_11:                             ;   in Loop: Header=BB334_5 Depth=1
	s_and_not1_b32 vcc_lo, exec_lo, s33
	s_wait_alu 0xfffe
	s_cbranch_vccnz .LBB334_13
; %bb.12:                               ;   in Loop: Header=BB334_5 Depth=1
	s_lshl_b64 s[38:39], s[6:7], 3
	s_delay_alu instid0(SALU_CYCLE_1)
	s_add_nc_u64 s[38:39], s[16:17], s[38:39]
	global_load_b64 v[5:6], v1, s[38:39]
	s_wait_loadcnt 0x0
	v_add_co_u32 v5, vcc_lo, v5, s18
	s_wait_alu 0xfffd
	v_add_co_ci_u32_e64 v6, null, s19, v6, vcc_lo
.LBB334_13:                             ;   in Loop: Header=BB334_5 Depth=1
	s_lshl_b64 s[38:39], s[6:7], 3
	s_mov_b32 s25, -1
	s_add_nc_u64 s[38:39], s[8:9], s[38:39]
	global_load_b64 v[9:10], v1, s[38:39]
	s_wait_loadcnt 0x0
	v_add_co_u32 v21, vcc_lo, v9, s10
	s_wait_alu 0xfffd
	v_add_co_ci_u32_e64 v22, null, s11, v10, vcc_lo
	s_and_not1_b32 vcc_lo, exec_lo, s34
	s_wait_alu 0xfffe
	s_cbranch_vccnz .LBB334_19
; %bb.14:                               ;   in Loop: Header=BB334_5 Depth=1
	s_and_saveexec_b32 s25, s0
	s_cbranch_execz .LBB334_18
; %bb.15:                               ;   in Loop: Header=BB334_5 Depth=1
	v_dual_mov_b32 v9, 0 :: v_dual_mov_b32 v10, 0
	s_and_not1_b32 vcc_lo, exec_lo, s37
	s_wait_alu 0xfffe
	s_cbranch_vccnz .LBB334_17
; %bb.16:                               ;   in Loop: Header=BB334_5 Depth=1
	v_add_co_u32 v9, vcc_lo, v21, s28
	s_wait_alu 0xfffd
	v_add_co_ci_u32_e64 v10, null, s29, v22, vcc_lo
	flat_load_b64 v[11:12], v[9:10]
	s_wait_loadcnt_dscnt 0x0
	v_mul_f32_e32 v2, s23, v12
	v_mul_f32_e32 v10, s22, v12
	s_delay_alu instid0(VALU_DEP_2) | instskip(NEXT) | instid1(VALU_DEP_2)
	v_fma_f32 v9, s22, v11, -v2
	v_fmac_f32_e32 v10, s23, v11
.LBB334_17:                             ;   in Loop: Header=BB334_5 Depth=1
	v_add_co_u32 v11, vcc_lo, v21, s28
	s_wait_alu 0xfffd
	v_add_co_ci_u32_e64 v12, null, s29, v22, vcc_lo
	flat_store_b64 v[11:12], v[9:10]
.LBB334_18:                             ;   in Loop: Header=BB334_5 Depth=1
	s_wait_alu 0xfffe
	s_or_b32 exec_lo, exec_lo, s25
	s_mov_b32 s25, 0
.LBB334_19:                             ;   in Loop: Header=BB334_5 Depth=1
	s_wait_alu 0xfffe
	s_and_not1_b32 vcc_lo, exec_lo, s25
	s_wait_alu 0xfffe
	s_cbranch_vccnz .LBB334_4
; %bb.20:                               ;   in Loop: Header=BB334_5 Depth=1
	v_dual_mov_b32 v23, 0 :: v_dual_mov_b32 v24, 0
	s_and_saveexec_b32 s25, s3
	s_cbranch_execnz .LBB334_29
; %bb.21:                               ;   in Loop: Header=BB334_5 Depth=1
	s_wait_alu 0xfffe
	s_or_b32 exec_lo, exec_lo, s25
	s_and_saveexec_b32 s25, s4
	s_cbranch_execnz .LBB334_32
.LBB334_22:                             ;   in Loop: Header=BB334_5 Depth=1
	s_wait_alu 0xfffe
	s_or_b32 exec_lo, exec_lo, s25
	s_and_saveexec_b32 s25, s1
.LBB334_23:                             ;   in Loop: Header=BB334_5 Depth=1
	v_mov_b32_e32 v2, v1
	ds_store_b64 v13, v[1:2]
.LBB334_24:                             ;   in Loop: Header=BB334_5 Depth=1
	s_wait_alu 0xfffe
	s_or_b32 exec_lo, exec_lo, s25
	ds_bpermute_b32 v5, v20, v24
	ds_bpermute_b32 v6, v20, v23
	v_cmp_gt_u32_e32 vcc_lo, 24, v18
	s_wait_storecnt_dscnt 0x0
	s_barrier_signal -1
	s_barrier_wait -1
	global_inv scope:SCOPE_SE
	s_wait_alu 0xfffd
	v_cndmask_b32_e64 v2, 0, 8, vcc_lo
	v_cmp_gt_u32_e32 vcc_lo, 28, v18
	s_delay_alu instid0(VALU_DEP_2) | instskip(SKIP_3) | instid1(VALU_DEP_2)
	v_add_lshl_u32 v2, v2, v18, 2
	s_wait_alu 0xfffd
	v_cndmask_b32_e64 v7, 0, 4, vcc_lo
	v_cmp_gt_u32_e32 vcc_lo, 30, v18
	v_add_lshl_u32 v7, v7, v18, 2
	v_dual_add_f32 v5, v24, v5 :: v_dual_add_f32 v6, v23, v6
	ds_bpermute_b32 v8, v2, v5
	ds_bpermute_b32 v9, v2, v6
	s_wait_dscnt 0x0
	v_dual_add_f32 v5, v5, v8 :: v_dual_add_f32 v6, v6, v9
	s_wait_alu 0xfffd
	v_cndmask_b32_e64 v8, 0, 2, vcc_lo
	v_cmp_ne_u32_e32 vcc_lo, 31, v18
	ds_bpermute_b32 v9, v7, v5
	ds_bpermute_b32 v10, v7, v6
	v_add_lshl_u32 v8, v8, v18, 2
	s_wait_dscnt 0x0
	v_dual_add_f32 v5, v5, v9 :: v_dual_add_f32 v6, v6, v10
	s_wait_alu 0xfffd
	v_add_co_ci_u32_e64 v9, null, 0, v18, vcc_lo
	ds_bpermute_b32 v10, v8, v5
	ds_bpermute_b32 v11, v8, v6
	v_lshlrev_b32_e32 v9, 2, v9
	s_wait_dscnt 0x0
	v_dual_add_f32 v5, v5, v10 :: v_dual_add_f32 v6, v6, v11
	ds_bpermute_b32 v10, v9, v5
	ds_bpermute_b32 v11, v9, v6
	s_and_saveexec_b32 s25, s2
	s_cbranch_execz .LBB334_26
; %bb.25:                               ;   in Loop: Header=BB334_5 Depth=1
	s_wait_dscnt 0x0
	v_dual_add_f32 v6, v6, v11 :: v_dual_add_f32 v5, v5, v10
	ds_store_b64 v14, v[5:6]
.LBB334_26:                             ;   in Loop: Header=BB334_5 Depth=1
	s_wait_alu 0xfffe
	s_or_b32 exec_lo, exec_lo, s25
	v_dual_mov_b32 v6, 0 :: v_dual_mov_b32 v5, 0
	s_wait_loadcnt_dscnt 0x0
	s_barrier_signal -1
	s_barrier_wait -1
	global_inv scope:SCOPE_SE
	s_and_saveexec_b32 s25, s1
	s_cbranch_execnz .LBB334_33
; %bb.27:                               ;   in Loop: Header=BB334_5 Depth=1
	s_wait_alu 0xfffe
	s_or_b32 exec_lo, exec_lo, s25
	s_and_saveexec_b32 s25, s1
	s_cbranch_execnz .LBB334_34
.LBB334_28:                             ;   in Loop: Header=BB334_5 Depth=1
	s_wait_alu 0xfffe
	s_or_b32 exec_lo, exec_lo, s25
	s_and_saveexec_b32 s25, s0
	s_cbranch_execz .LBB334_3
	s_branch .LBB334_35
.LBB334_29:                             ;   in Loop: Header=BB334_5 Depth=1
	v_add_co_u32 v9, vcc_lo, v7, v17
	s_wait_alu 0xfffd
	v_add_co_ci_u32_e64 v10, null, v8, v16, vcc_lo
	v_dual_mov_b32 v23, 0 :: v_dual_mov_b32 v2, v0
	v_dual_mov_b32 v11, v15 :: v_dual_mov_b32 v24, 0
	s_mov_b32 s38, 0
.LBB334_30:                             ;   Parent Loop BB334_5 Depth=1
                                        ; =>  This Inner Loop Header: Depth=2
	s_delay_alu instid0(VALU_DEP_1) | instskip(NEXT) | instid1(VALU_DEP_1)
	v_ashrrev_i32_e32 v12, 31, v11
	v_lshlrev_b64_e32 v[25:26], 3, v[11:12]
	v_add_nc_u32_e32 v11, s35, v11
	s_delay_alu instid0(VALU_DEP_2) | instskip(SKIP_1) | instid1(VALU_DEP_3)
	v_add_co_u32 v25, vcc_lo, v5, v25
	s_wait_alu 0xfffd
	v_add_co_ci_u32_e64 v26, null, v6, v26, vcc_lo
	flat_load_b64 v[27:28], v[9:10] offset:-4
	flat_load_b64 v[25:26], v[25:26]
	v_add_co_u32 v9, vcc_lo, 0x2000, v9
	s_wait_alu 0xfffd
	v_add_co_ci_u32_e64 v10, null, 0, v10, vcc_lo
	s_wait_loadcnt_dscnt 0x0
	v_mul_f32_e32 v12, v28, v26
	v_mul_f32_e32 v28, v28, v25
	s_delay_alu instid0(VALU_DEP_2) | instskip(NEXT) | instid1(VALU_DEP_2)
	v_fmac_f32_e32 v12, v27, v25
	v_fma_f32 v25, v27, v26, -v28
	v_add_nc_u32_e32 v2, 0x400, v2
	s_delay_alu instid0(VALU_DEP_2) | instskip(NEXT) | instid1(VALU_DEP_2)
	v_dual_add_f32 v24, v24, v12 :: v_dual_add_f32 v23, v23, v25
	v_cmp_le_i32_e32 vcc_lo, s24, v2
	s_or_b32 s38, vcc_lo, s38
	s_delay_alu instid0(SALU_CYCLE_1)
	s_and_not1_b32 exec_lo, exec_lo, s38
	s_cbranch_execnz .LBB334_30
; %bb.31:                               ;   in Loop: Header=BB334_5 Depth=1
	s_or_b32 exec_lo, exec_lo, s38
	s_wait_alu 0xfffe
	s_or_b32 exec_lo, exec_lo, s25
	s_and_saveexec_b32 s25, s4
	s_cbranch_execz .LBB334_22
.LBB334_32:                             ;   in Loop: Header=BB334_5 Depth=1
	v_add_co_u32 v2, vcc_lo, v7, v19
	s_wait_alu 0xfffd
	v_add_co_ci_u32_e64 v7, null, 0, v8, vcc_lo
	s_delay_alu instid0(VALU_DEP_2) | instskip(SKIP_1) | instid1(VALU_DEP_2)
	v_add_co_u32 v2, vcc_lo, v2, s26
	s_wait_alu 0xfffd
	v_add_co_ci_u32_e64 v8, null, s27, v7, vcc_lo
	v_add_co_u32 v5, vcc_lo, v5, v3
	s_wait_alu 0xfffd
	v_add_co_ci_u32_e64 v6, null, v6, v4, vcc_lo
	;; [unrolled: 3-line block ×3, first 2 shown]
	flat_load_b64 v[5:6], v[5:6]
	flat_load_b64 v[7:8], v[7:8]
	s_wait_loadcnt_dscnt 0x0
	v_mul_f32_e32 v2, v8, v6
	v_mul_f32_e32 v8, v8, v5
	s_delay_alu instid0(VALU_DEP_2) | instskip(NEXT) | instid1(VALU_DEP_2)
	v_fmac_f32_e32 v2, v7, v5
	v_fma_f32 v5, v7, v6, -v8
	s_delay_alu instid0(VALU_DEP_1)
	v_dual_add_f32 v24, v24, v2 :: v_dual_add_f32 v23, v23, v5
	s_wait_alu 0xfffe
	s_or_b32 exec_lo, exec_lo, s25
	s_and_saveexec_b32 s25, s1
	s_cbranch_execnz .LBB334_23
	s_branch .LBB334_24
.LBB334_33:                             ;   in Loop: Header=BB334_5 Depth=1
	ds_load_b64 v[5:6], v13
	s_wait_alu 0xfffe
	s_or_b32 exec_lo, exec_lo, s25
	s_and_saveexec_b32 s25, s1
	s_cbranch_execz .LBB334_28
.LBB334_34:                             ;   in Loop: Header=BB334_5 Depth=1
	s_wait_dscnt 0x0
	ds_bpermute_b32 v10, v20, v5
	ds_bpermute_b32 v11, v20, v6
	s_wait_dscnt 0x0
	v_dual_add_f32 v5, v5, v10 :: v_dual_add_f32 v6, v6, v11
	ds_bpermute_b32 v10, v2, v5
	ds_bpermute_b32 v2, v2, v6
	s_wait_dscnt 0x0
	v_add_f32_e32 v2, v6, v2
	v_add_f32_e32 v5, v5, v10
	ds_bpermute_b32 v6, v7, v5
	ds_bpermute_b32 v7, v7, v2
	s_wait_dscnt 0x0
	v_add_f32_e32 v2, v2, v7
	ds_bpermute_b32 v7, v8, v2
	s_wait_dscnt 0x0
	v_dual_add_f32 v5, v5, v6 :: v_dual_add_f32 v2, v2, v7
	ds_bpermute_b32 v6, v8, v5
	ds_bpermute_b32 v7, v9, v2
	s_wait_dscnt 0x1
	v_add_f32_e32 v5, v5, v6
	ds_bpermute_b32 v6, v9, v5
	s_wait_dscnt 0x0
	v_dual_add_f32 v5, v5, v6 :: v_dual_add_f32 v6, v2, v7
	s_wait_alu 0xfffe
	s_or_b32 exec_lo, exec_lo, s25
	s_and_saveexec_b32 s25, s0
	s_cbranch_execz .LBB334_3
.LBB334_35:                             ;   in Loop: Header=BB334_5 Depth=1
	s_wait_dscnt 0x0
	v_mul_f32_e32 v7, s20, v6
	v_mul_f32_e32 v2, s21, v6
	s_and_not1_b32 vcc_lo, exec_lo, s37
	s_delay_alu instid0(VALU_DEP_2) | instskip(NEXT) | instid1(VALU_DEP_2)
	v_fmac_f32_e32 v7, s21, v5
	v_fma_f32 v6, v5, s20, -v2
	s_wait_alu 0xfffe
	s_cbranch_vccnz .LBB334_2
; %bb.36:                               ;   in Loop: Header=BB334_5 Depth=1
	v_add_co_u32 v8, vcc_lo, v21, s28
	s_wait_alu 0xfffd
	v_add_co_ci_u32_e64 v9, null, s29, v22, vcc_lo
	flat_load_b64 v[8:9], v[8:9]
	s_wait_loadcnt_dscnt 0x0
	v_mul_f32_e32 v5, s22, v9
	s_delay_alu instid0(VALU_DEP_1) | instskip(NEXT) | instid1(VALU_DEP_1)
	v_dual_mul_f32 v2, s23, v9 :: v_dual_fmac_f32 v5, s23, v8
	v_fma_f32 v2, s22, v8, -v2
	s_delay_alu instid0(VALU_DEP_1)
	v_dual_add_f32 v7, v7, v5 :: v_dual_add_f32 v6, v6, v2
	s_branch .LBB334_2
.LBB334_37:
	s_endpgm
	.section	.rodata,"a",@progbits
	.p2align	6, 0x0
	.amdhsa_kernel _ZL32rocblas_gemvt_warp_reduce_kernelILb1ELi1024EiPK19rocblas_complex_numIfES1_KPS1_EviiT3_lPKT2_lT1_lS9_lSA_lS6_lPT4_lSA_li
		.amdhsa_group_segment_fixed_size 256
		.amdhsa_private_segment_fixed_size 0
		.amdhsa_kernarg_size 140
		.amdhsa_user_sgpr_count 2
		.amdhsa_user_sgpr_dispatch_ptr 0
		.amdhsa_user_sgpr_queue_ptr 0
		.amdhsa_user_sgpr_kernarg_segment_ptr 1
		.amdhsa_user_sgpr_dispatch_id 0
		.amdhsa_user_sgpr_private_segment_size 0
		.amdhsa_wavefront_size32 1
		.amdhsa_uses_dynamic_stack 0
		.amdhsa_enable_private_segment 0
		.amdhsa_system_sgpr_workgroup_id_x 1
		.amdhsa_system_sgpr_workgroup_id_y 0
		.amdhsa_system_sgpr_workgroup_id_z 1
		.amdhsa_system_sgpr_workgroup_info 0
		.amdhsa_system_vgpr_workitem_id 0
		.amdhsa_next_free_vgpr 29
		.amdhsa_next_free_sgpr 40
		.amdhsa_reserve_vcc 1
		.amdhsa_float_round_mode_32 0
		.amdhsa_float_round_mode_16_64 0
		.amdhsa_float_denorm_mode_32 3
		.amdhsa_float_denorm_mode_16_64 3
		.amdhsa_fp16_overflow 0
		.amdhsa_workgroup_processor_mode 1
		.amdhsa_memory_ordered 1
		.amdhsa_forward_progress 1
		.amdhsa_inst_pref_size 16
		.amdhsa_round_robin_scheduling 0
		.amdhsa_exception_fp_ieee_invalid_op 0
		.amdhsa_exception_fp_denorm_src 0
		.amdhsa_exception_fp_ieee_div_zero 0
		.amdhsa_exception_fp_ieee_overflow 0
		.amdhsa_exception_fp_ieee_underflow 0
		.amdhsa_exception_fp_ieee_inexact 0
		.amdhsa_exception_int_div_zero 0
	.end_amdhsa_kernel
	.section	.text._ZL32rocblas_gemvt_warp_reduce_kernelILb1ELi1024EiPK19rocblas_complex_numIfES1_KPS1_EviiT3_lPKT2_lT1_lS9_lSA_lS6_lPT4_lSA_li,"axG",@progbits,_ZL32rocblas_gemvt_warp_reduce_kernelILb1ELi1024EiPK19rocblas_complex_numIfES1_KPS1_EviiT3_lPKT2_lT1_lS9_lSA_lS6_lPT4_lSA_li,comdat
.Lfunc_end334:
	.size	_ZL32rocblas_gemvt_warp_reduce_kernelILb1ELi1024EiPK19rocblas_complex_numIfES1_KPS1_EviiT3_lPKT2_lT1_lS9_lSA_lS6_lPT4_lSA_li, .Lfunc_end334-_ZL32rocblas_gemvt_warp_reduce_kernelILb1ELi1024EiPK19rocblas_complex_numIfES1_KPS1_EviiT3_lPKT2_lT1_lS9_lSA_lS6_lPT4_lSA_li
                                        ; -- End function
	.set _ZL32rocblas_gemvt_warp_reduce_kernelILb1ELi1024EiPK19rocblas_complex_numIfES1_KPS1_EviiT3_lPKT2_lT1_lS9_lSA_lS6_lPT4_lSA_li.num_vgpr, 29
	.set _ZL32rocblas_gemvt_warp_reduce_kernelILb1ELi1024EiPK19rocblas_complex_numIfES1_KPS1_EviiT3_lPKT2_lT1_lS9_lSA_lS6_lPT4_lSA_li.num_agpr, 0
	.set _ZL32rocblas_gemvt_warp_reduce_kernelILb1ELi1024EiPK19rocblas_complex_numIfES1_KPS1_EviiT3_lPKT2_lT1_lS9_lSA_lS6_lPT4_lSA_li.numbered_sgpr, 40
	.set _ZL32rocblas_gemvt_warp_reduce_kernelILb1ELi1024EiPK19rocblas_complex_numIfES1_KPS1_EviiT3_lPKT2_lT1_lS9_lSA_lS6_lPT4_lSA_li.num_named_barrier, 0
	.set _ZL32rocblas_gemvt_warp_reduce_kernelILb1ELi1024EiPK19rocblas_complex_numIfES1_KPS1_EviiT3_lPKT2_lT1_lS9_lSA_lS6_lPT4_lSA_li.private_seg_size, 0
	.set _ZL32rocblas_gemvt_warp_reduce_kernelILb1ELi1024EiPK19rocblas_complex_numIfES1_KPS1_EviiT3_lPKT2_lT1_lS9_lSA_lS6_lPT4_lSA_li.uses_vcc, 1
	.set _ZL32rocblas_gemvt_warp_reduce_kernelILb1ELi1024EiPK19rocblas_complex_numIfES1_KPS1_EviiT3_lPKT2_lT1_lS9_lSA_lS6_lPT4_lSA_li.uses_flat_scratch, 0
	.set _ZL32rocblas_gemvt_warp_reduce_kernelILb1ELi1024EiPK19rocblas_complex_numIfES1_KPS1_EviiT3_lPKT2_lT1_lS9_lSA_lS6_lPT4_lSA_li.has_dyn_sized_stack, 0
	.set _ZL32rocblas_gemvt_warp_reduce_kernelILb1ELi1024EiPK19rocblas_complex_numIfES1_KPS1_EviiT3_lPKT2_lT1_lS9_lSA_lS6_lPT4_lSA_li.has_recursion, 0
	.set _ZL32rocblas_gemvt_warp_reduce_kernelILb1ELi1024EiPK19rocblas_complex_numIfES1_KPS1_EviiT3_lPKT2_lT1_lS9_lSA_lS6_lPT4_lSA_li.has_indirect_call, 0
	.section	.AMDGPU.csdata,"",@progbits
; Kernel info:
; codeLenInByte = 1992
; TotalNumSgprs: 42
; NumVgprs: 29
; ScratchSize: 0
; MemoryBound: 0
; FloatMode: 240
; IeeeMode: 1
; LDSByteSize: 256 bytes/workgroup (compile time only)
; SGPRBlocks: 0
; VGPRBlocks: 3
; NumSGPRsForWavesPerEU: 42
; NumVGPRsForWavesPerEU: 29
; Occupancy: 16
; WaveLimiterHint : 1
; COMPUTE_PGM_RSRC2:SCRATCH_EN: 0
; COMPUTE_PGM_RSRC2:USER_SGPR: 2
; COMPUTE_PGM_RSRC2:TRAP_HANDLER: 0
; COMPUTE_PGM_RSRC2:TGID_X_EN: 1
; COMPUTE_PGM_RSRC2:TGID_Y_EN: 0
; COMPUTE_PGM_RSRC2:TGID_Z_EN: 1
; COMPUTE_PGM_RSRC2:TIDIG_COMP_CNT: 0
	.section	.text._ZL32rocblas_gemvt_warp_reduce_kernelILb1ELi1024ElPK19rocblas_complex_numIfES1_KPS1_EviiT3_lPKT2_lT1_lS9_lSA_lS6_lPT4_lSA_li,"axG",@progbits,_ZL32rocblas_gemvt_warp_reduce_kernelILb1ELi1024ElPK19rocblas_complex_numIfES1_KPS1_EviiT3_lPKT2_lT1_lS9_lSA_lS6_lPT4_lSA_li,comdat
	.globl	_ZL32rocblas_gemvt_warp_reduce_kernelILb1ELi1024ElPK19rocblas_complex_numIfES1_KPS1_EviiT3_lPKT2_lT1_lS9_lSA_lS6_lPT4_lSA_li ; -- Begin function _ZL32rocblas_gemvt_warp_reduce_kernelILb1ELi1024ElPK19rocblas_complex_numIfES1_KPS1_EviiT3_lPKT2_lT1_lS9_lSA_lS6_lPT4_lSA_li
	.p2align	8
	.type	_ZL32rocblas_gemvt_warp_reduce_kernelILb1ELi1024ElPK19rocblas_complex_numIfES1_KPS1_EviiT3_lPKT2_lT1_lS9_lSA_lS6_lPT4_lSA_li,@function
_ZL32rocblas_gemvt_warp_reduce_kernelILb1ELi1024ElPK19rocblas_complex_numIfES1_KPS1_EviiT3_lPKT2_lT1_lS9_lSA_lS6_lPT4_lSA_li: ; @_ZL32rocblas_gemvt_warp_reduce_kernelILb1ELi1024ElPK19rocblas_complex_numIfES1_KPS1_EviiT3_lPKT2_lT1_lS9_lSA_lS6_lPT4_lSA_li
; %bb.0:
	s_load_b32 s33, s[0:1], 0x88
	s_lshr_b32 s6, ttmp7, 16
	s_wait_kmcnt 0x0
	s_cmp_ge_u32 s6, s33
	s_cbranch_scc1 .LBB335_37
; %bb.1:
	s_clause 0x8
	s_load_b64 s[20:21], s[0:1], 0x8
	s_load_b64 s[30:31], s[0:1], 0x48
	;; [unrolled: 1-line block ×3, first 2 shown]
	s_load_b32 s39, s[0:1], 0x0
	s_load_b128 s[8:11], s[0:1], 0x38
	s_load_b128 s[12:15], s[0:1], 0x68
	;; [unrolled: 1-line block ×3, first 2 shown]
	s_load_b64 s[28:29], s[0:1], 0x28
	s_load_b64 s[34:35], s[0:1], 0x78
	v_and_b32_e32 v5, 31, v0
	v_lshrrev_b32_e32 v6, 2, v0
	v_mov_b32_e32 v1, 0
	s_mov_b32 s4, ttmp9
	v_mbcnt_lo_u32_b32 v19, -1, 0
	v_lshlrev_b32_e32 v15, 3, v5
	v_and_b32_e32 v16, 0xf8, v6
	v_cmp_eq_u32_e64 s0, 0, v0
	s_mov_b32 s7, 0
	v_lshl_or_b32 v21, v19, 2, 64
	s_wait_kmcnt 0x0
	s_cmp_neq_f32 s20, 0
	v_mad_co_u64_u32 v[2:3], null, s30, v0, 0
	v_cmp_gt_i32_e32 vcc_lo, s39, v0
	s_cselect_b32 s2, -1, 0
	s_cmp_neq_f32 s21, 0
	v_cndmask_b32_e32 v7, 0, v0, vcc_lo
	s_cselect_b32 s1, -1, 0
	s_delay_alu instid0(VALU_DEP_3)
	v_mad_co_u64_u32 v[3:4], null, s31, v0, v[3:4]
	s_or_b32 s3, s2, s1
	s_cmp_neq_f32 s22, 1.0
	v_lshlrev_b32_e32 v8, 3, v7
	v_cmp_gt_u32_e64 s1, 32, v0
	v_lshlrev_b32_e32 v20, 3, v7
	s_cselect_b32 s24, -1, 0
	s_cmp_neq_f32 s23, 0
	v_lshlrev_b64_e32 v[3:4], 3, v[2:3]
	s_cselect_b32 s40, -1, 0
	s_or_b32 s2, s20, s21
	s_delay_alu instid0(SALU_CYCLE_1)
	s_and_b32 s5, s2, 0x7fffffff
	v_cmp_eq_u32_e64 s2, 0, v5
	s_cmp_lg_u32 s5, 0
	v_or_b32_e32 v3, 4, v3
	s_cselect_b32 s36, -1, 0
	s_cmp_eq_u32 s5, 0
	s_cselect_b32 s37, -1, 0
	s_cmp_neq_f32 s22, 0
	s_cselect_b32 s41, -1, 0
	s_ashr_i32 s25, s39, 31
	s_ashr_i32 s5, ttmp9, 31
	s_lshr_b32 s26, s25, 22
	s_mul_u64 s[34:35], s[34:35], s[4:5]
	s_add_co_i32 s26, s39, s26
	s_mul_u64 s[4:5], s[28:29], s[4:5]
	s_and_b32 s26, s26, 0xfffffc00
	s_lshl_b64 s[28:29], s[4:5], 3
	v_or_b32_e32 v2, s26, v0
	s_ashr_i32 s27, s26, 31
	s_or_b32 s3, s3, s24
	s_wait_alu 0xfffe
	s_mul_i32 s5, s30, s27
	s_or_b32 s38, s3, s40
	v_mul_lo_u32 v9, s31, v2
	v_mad_co_u64_u32 v[5:6], null, s30, v2, 0
	v_add_co_u32 v8, s3, s28, v8
	s_delay_alu instid0(VALU_DEP_1) | instskip(SKIP_1) | instid1(VALU_DEP_3)
	v_add_co_ci_u32_e64 v17, null, s29, 0, s3
	v_cmp_gt_i32_e64 s3, s26, v0
	v_or_b32_e32 v18, 4, v8
	v_add3_u32 v6, v6, s5, v9
	v_cmp_gt_i32_e64 s4, s39, v2
	s_lshl_b64 s[24:25], s[30:31], 13
	s_lshl_b64 s[18:19], s[18:19], 3
	;; [unrolled: 1-line block ×3, first 2 shown]
	v_lshlrev_b64_e32 v[5:6], 3, v[5:6]
	s_or_b32 s39, s41, s40
	s_lshl_b64 s[14:15], s[14:15], 3
	s_lshl_b64 s[30:31], s[34:35], 3
	;; [unrolled: 1-line block ×3, first 2 shown]
	s_branch .LBB335_5
.LBB335_2:                              ;   in Loop: Header=BB335_5 Depth=1
	v_add_co_u32 v10, vcc_lo, v22, s30
	s_wait_alu 0xfffd
	v_add_co_ci_u32_e64 v11, null, s31, v23, vcc_lo
	flat_store_b64 v[10:11], v[8:9]
.LBB335_3:                              ;   in Loop: Header=BB335_5 Depth=1
	s_wait_alu 0xfffe
	s_or_b32 exec_lo, exec_lo, s5
.LBB335_4:                              ;   in Loop: Header=BB335_5 Depth=1
	s_add_co_i32 s6, s6, 0x10000
	s_delay_alu instid0(SALU_CYCLE_1)
	s_cmp_lt_u32 s6, s33
	s_cbranch_scc0 .LBB335_37
.LBB335_5:                              ; =>This Loop Header: Depth=1
                                        ;     Child Loop BB335_30 Depth 2
	s_wait_alu 0xfffe
	s_and_not1_b32 vcc_lo, exec_lo, s38
	s_wait_alu 0xfffe
	s_cbranch_vccnz .LBB335_4
; %bb.6:                                ;   in Loop: Header=BB335_5 Depth=1
	s_and_not1_b32 vcc_lo, exec_lo, s37
	s_wait_alu 0xfffe
	s_cbranch_vccnz .LBB335_8
; %bb.7:                                ;   in Loop: Header=BB335_5 Depth=1
	s_mov_b32 s5, 0
	s_branch .LBB335_9
.LBB335_8:                              ;   in Loop: Header=BB335_5 Depth=1
	s_mov_b32 s5, -1
.LBB335_9:                              ;   in Loop: Header=BB335_5 Depth=1
	s_wait_dscnt 0x0
	v_mov_b32_e32 v7, 0
	v_dual_mov_b32 v8, 0 :: v_dual_mov_b32 v9, 0
	v_mov_b32_e32 v10, 0
	s_wait_alu 0xfffe
	s_and_not1_b32 vcc_lo, exec_lo, s5
	s_wait_alu 0xfffe
	s_cbranch_vccnz .LBB335_11
; %bb.10:                               ;   in Loop: Header=BB335_5 Depth=1
	s_lshl_b64 s[40:41], s[6:7], 3
	s_delay_alu instid0(SALU_CYCLE_1)
	s_add_nc_u64 s[40:41], s[16:17], s[40:41]
	global_load_b64 v[9:10], v1, s[40:41]
	s_wait_loadcnt 0x0
	v_add_co_u32 v9, vcc_lo, v9, s18
	s_wait_alu 0xfffd
	v_add_co_ci_u32_e64 v10, null, s19, v10, vcc_lo
.LBB335_11:                             ;   in Loop: Header=BB335_5 Depth=1
	s_and_not1_b32 vcc_lo, exec_lo, s36
	s_wait_alu 0xfffe
	s_cbranch_vccnz .LBB335_13
; %bb.12:                               ;   in Loop: Header=BB335_5 Depth=1
	s_lshl_b64 s[40:41], s[6:7], 3
	s_delay_alu instid0(SALU_CYCLE_1)
	s_add_nc_u64 s[40:41], s[8:9], s[40:41]
	global_load_b64 v[7:8], v1, s[40:41]
	s_wait_loadcnt 0x0
	v_add_co_u32 v7, vcc_lo, v7, s10
	s_wait_alu 0xfffd
	v_add_co_ci_u32_e64 v8, null, s11, v8, vcc_lo
.LBB335_13:                             ;   in Loop: Header=BB335_5 Depth=1
	s_lshl_b64 s[40:41], s[6:7], 3
	s_mov_b32 s5, -1
	s_add_nc_u64 s[40:41], s[12:13], s[40:41]
	global_load_b64 v[11:12], v1, s[40:41]
	s_wait_loadcnt 0x0
	v_add_co_u32 v22, vcc_lo, v11, s14
	s_wait_alu 0xfffd
	v_add_co_ci_u32_e64 v23, null, s15, v12, vcc_lo
	s_and_not1_b32 vcc_lo, exec_lo, s37
	s_wait_alu 0xfffe
	s_cbranch_vccnz .LBB335_19
; %bb.14:                               ;   in Loop: Header=BB335_5 Depth=1
	s_and_saveexec_b32 s5, s0
	s_cbranch_execz .LBB335_18
; %bb.15:                               ;   in Loop: Header=BB335_5 Depth=1
	v_dual_mov_b32 v11, 0 :: v_dual_mov_b32 v12, 0
	s_and_not1_b32 vcc_lo, exec_lo, s39
	s_wait_alu 0xfffe
	s_cbranch_vccnz .LBB335_17
; %bb.16:                               ;   in Loop: Header=BB335_5 Depth=1
	v_add_co_u32 v11, vcc_lo, v22, s30
	s_wait_alu 0xfffd
	v_add_co_ci_u32_e64 v12, null, s31, v23, vcc_lo
	flat_load_b64 v[13:14], v[11:12]
	s_wait_loadcnt_dscnt 0x0
	v_mul_f32_e32 v2, s23, v14
	v_mul_f32_e32 v12, s22, v14
	s_delay_alu instid0(VALU_DEP_2) | instskip(NEXT) | instid1(VALU_DEP_2)
	v_fma_f32 v11, s22, v13, -v2
	v_fmac_f32_e32 v12, s23, v13
.LBB335_17:                             ;   in Loop: Header=BB335_5 Depth=1
	v_add_co_u32 v13, vcc_lo, v22, s30
	s_wait_alu 0xfffd
	v_add_co_ci_u32_e64 v14, null, s31, v23, vcc_lo
	flat_store_b64 v[13:14], v[11:12]
.LBB335_18:                             ;   in Loop: Header=BB335_5 Depth=1
	s_wait_alu 0xfffe
	s_or_b32 exec_lo, exec_lo, s5
	s_mov_b32 s5, 0
.LBB335_19:                             ;   in Loop: Header=BB335_5 Depth=1
	s_wait_alu 0xfffe
	s_and_not1_b32 vcc_lo, exec_lo, s5
	s_wait_alu 0xfffe
	s_cbranch_vccnz .LBB335_4
; %bb.20:                               ;   in Loop: Header=BB335_5 Depth=1
	v_dual_mov_b32 v24, 0 :: v_dual_mov_b32 v25, 0
	s_and_saveexec_b32 s27, s3
	s_cbranch_execnz .LBB335_29
; %bb.21:                               ;   in Loop: Header=BB335_5 Depth=1
	s_wait_alu 0xfffe
	s_or_b32 exec_lo, exec_lo, s27
	s_and_saveexec_b32 s5, s4
	s_cbranch_execnz .LBB335_32
.LBB335_22:                             ;   in Loop: Header=BB335_5 Depth=1
	s_wait_alu 0xfffe
	s_or_b32 exec_lo, exec_lo, s5
	s_and_saveexec_b32 s5, s1
.LBB335_23:                             ;   in Loop: Header=BB335_5 Depth=1
	v_mov_b32_e32 v2, v1
	ds_store_b64 v15, v[1:2]
.LBB335_24:                             ;   in Loop: Header=BB335_5 Depth=1
	s_wait_alu 0xfffe
	s_or_b32 exec_lo, exec_lo, s5
	ds_bpermute_b32 v7, v21, v25
	ds_bpermute_b32 v8, v21, v24
	v_cmp_gt_u32_e32 vcc_lo, 24, v19
	s_wait_storecnt_dscnt 0x0
	s_barrier_signal -1
	s_barrier_wait -1
	global_inv scope:SCOPE_SE
	s_wait_alu 0xfffd
	v_cndmask_b32_e64 v2, 0, 8, vcc_lo
	v_cmp_gt_u32_e32 vcc_lo, 28, v19
	s_delay_alu instid0(VALU_DEP_2) | instskip(SKIP_3) | instid1(VALU_DEP_2)
	v_add_lshl_u32 v2, v2, v19, 2
	s_wait_alu 0xfffd
	v_cndmask_b32_e64 v9, 0, 4, vcc_lo
	v_cmp_gt_u32_e32 vcc_lo, 30, v19
	v_add_lshl_u32 v9, v9, v19, 2
	v_dual_add_f32 v7, v25, v7 :: v_dual_add_f32 v8, v24, v8
	ds_bpermute_b32 v10, v2, v7
	ds_bpermute_b32 v11, v2, v8
	s_wait_dscnt 0x0
	v_dual_add_f32 v7, v7, v10 :: v_dual_add_f32 v8, v8, v11
	s_wait_alu 0xfffd
	v_cndmask_b32_e64 v10, 0, 2, vcc_lo
	v_cmp_ne_u32_e32 vcc_lo, 31, v19
	ds_bpermute_b32 v11, v9, v7
	ds_bpermute_b32 v12, v9, v8
	v_add_lshl_u32 v10, v10, v19, 2
	s_wait_dscnt 0x0
	v_dual_add_f32 v7, v7, v11 :: v_dual_add_f32 v8, v8, v12
	s_wait_alu 0xfffd
	v_add_co_ci_u32_e64 v11, null, 0, v19, vcc_lo
	ds_bpermute_b32 v12, v10, v7
	ds_bpermute_b32 v13, v10, v8
	v_lshlrev_b32_e32 v11, 2, v11
	s_wait_dscnt 0x0
	v_dual_add_f32 v7, v7, v12 :: v_dual_add_f32 v8, v8, v13
	ds_bpermute_b32 v12, v11, v7
	ds_bpermute_b32 v13, v11, v8
	s_and_saveexec_b32 s5, s2
	s_cbranch_execz .LBB335_26
; %bb.25:                               ;   in Loop: Header=BB335_5 Depth=1
	s_wait_dscnt 0x0
	v_dual_add_f32 v8, v8, v13 :: v_dual_add_f32 v7, v7, v12
	ds_store_b64 v16, v[7:8]
.LBB335_26:                             ;   in Loop: Header=BB335_5 Depth=1
	s_wait_alu 0xfffe
	s_or_b32 exec_lo, exec_lo, s5
	v_dual_mov_b32 v8, 0 :: v_dual_mov_b32 v7, 0
	s_wait_loadcnt_dscnt 0x0
	s_barrier_signal -1
	s_barrier_wait -1
	global_inv scope:SCOPE_SE
	s_and_saveexec_b32 s5, s1
	s_cbranch_execnz .LBB335_33
; %bb.27:                               ;   in Loop: Header=BB335_5 Depth=1
	s_wait_alu 0xfffe
	s_or_b32 exec_lo, exec_lo, s5
	s_and_saveexec_b32 s5, s1
	s_cbranch_execnz .LBB335_34
.LBB335_28:                             ;   in Loop: Header=BB335_5 Depth=1
	s_wait_alu 0xfffe
	s_or_b32 exec_lo, exec_lo, s5
	s_and_saveexec_b32 s5, s0
	s_cbranch_execz .LBB335_3
	s_branch .LBB335_35
.LBB335_29:                             ;   in Loop: Header=BB335_5 Depth=1
	v_add_co_u32 v11, vcc_lo, v9, v18
	s_wait_alu 0xfffd
	v_add_co_ci_u32_e64 v12, null, v10, v17, vcc_lo
	v_add_co_u32 v13, vcc_lo, v7, v3
	s_wait_alu 0xfffd
	v_add_co_ci_u32_e64 v14, null, v8, v4, vcc_lo
	v_dual_mov_b32 v24, 0 :: v_dual_mov_b32 v25, 0
	v_mov_b32_e32 v2, v0
	s_mov_b32 s40, 0
.LBB335_30:                             ;   Parent Loop BB335_5 Depth=1
                                        ; =>  This Inner Loop Header: Depth=2
	flat_load_b64 v[26:27], v[11:12] offset:-4
	flat_load_b64 v[28:29], v[13:14] offset:-4
	v_add_nc_u32_e32 v2, 0x400, v2
	v_add_co_u32 v11, vcc_lo, 0x2000, v11
	s_wait_alu 0xfffd
	v_add_co_ci_u32_e64 v12, null, 0, v12, vcc_lo
	v_add_co_u32 v13, vcc_lo, v13, s24
	s_wait_alu 0xfffd
	v_add_co_ci_u32_e64 v14, null, s25, v14, vcc_lo
	s_wait_loadcnt_dscnt 0x0
	v_mul_f32_e32 v30, v27, v29
	v_mul_f32_e32 v27, v27, v28
	v_cmp_le_i32_e64 s5, s26, v2
	s_delay_alu instid0(VALU_DEP_3) | instskip(NEXT) | instid1(VALU_DEP_3)
	v_fmac_f32_e32 v30, v26, v28
	v_fma_f32 v26, v26, v29, -v27
	s_or_b32 s40, s5, s40
	s_delay_alu instid0(VALU_DEP_2) | instskip(NEXT) | instid1(VALU_DEP_2)
	v_add_f32_e32 v25, v25, v30
	v_add_f32_e32 v24, v24, v26
	s_and_not1_b32 exec_lo, exec_lo, s40
	s_cbranch_execnz .LBB335_30
; %bb.31:                               ;   in Loop: Header=BB335_5 Depth=1
	s_or_b32 exec_lo, exec_lo, s40
	s_wait_alu 0xfffe
	s_or_b32 exec_lo, exec_lo, s27
	s_and_saveexec_b32 s5, s4
	s_cbranch_execz .LBB335_22
.LBB335_32:                             ;   in Loop: Header=BB335_5 Depth=1
	v_add_co_u32 v2, vcc_lo, v9, v20
	s_wait_alu 0xfffd
	v_add_co_ci_u32_e64 v9, null, 0, v10, vcc_lo
	s_delay_alu instid0(VALU_DEP_2) | instskip(SKIP_1) | instid1(VALU_DEP_2)
	v_add_co_u32 v2, vcc_lo, v2, s28
	s_wait_alu 0xfffd
	v_add_co_ci_u32_e64 v10, null, s29, v9, vcc_lo
	v_add_co_u32 v7, vcc_lo, v7, v5
	s_wait_alu 0xfffd
	v_add_co_ci_u32_e64 v8, null, v8, v6, vcc_lo
	;; [unrolled: 3-line block ×3, first 2 shown]
	flat_load_b64 v[7:8], v[7:8]
	flat_load_b64 v[9:10], v[9:10]
	s_wait_loadcnt_dscnt 0x0
	v_mul_f32_e32 v2, v10, v8
	s_delay_alu instid0(VALU_DEP_1) | instskip(NEXT) | instid1(VALU_DEP_1)
	v_fmac_f32_e32 v2, v9, v7
	v_dual_mul_f32 v10, v10, v7 :: v_dual_add_f32 v25, v25, v2
	s_delay_alu instid0(VALU_DEP_1) | instskip(NEXT) | instid1(VALU_DEP_1)
	v_fma_f32 v7, v9, v8, -v10
	v_add_f32_e32 v24, v24, v7
	s_wait_alu 0xfffe
	s_or_b32 exec_lo, exec_lo, s5
	s_and_saveexec_b32 s5, s1
	s_cbranch_execnz .LBB335_23
	s_branch .LBB335_24
.LBB335_33:                             ;   in Loop: Header=BB335_5 Depth=1
	ds_load_b64 v[7:8], v15
	s_wait_alu 0xfffe
	s_or_b32 exec_lo, exec_lo, s5
	s_and_saveexec_b32 s5, s1
	s_cbranch_execz .LBB335_28
.LBB335_34:                             ;   in Loop: Header=BB335_5 Depth=1
	s_wait_dscnt 0x0
	ds_bpermute_b32 v12, v21, v7
	ds_bpermute_b32 v13, v21, v8
	s_wait_dscnt 0x0
	v_dual_add_f32 v7, v7, v12 :: v_dual_add_f32 v8, v8, v13
	ds_bpermute_b32 v12, v2, v7
	ds_bpermute_b32 v2, v2, v8
	s_wait_dscnt 0x0
	v_dual_add_f32 v7, v7, v12 :: v_dual_add_f32 v2, v8, v2
	;; [unrolled: 4-line block ×5, first 2 shown]
	s_wait_alu 0xfffe
	s_or_b32 exec_lo, exec_lo, s5
	s_and_saveexec_b32 s5, s0
	s_cbranch_execz .LBB335_3
.LBB335_35:                             ;   in Loop: Header=BB335_5 Depth=1
	s_wait_dscnt 0x0
	v_mul_f32_e32 v9, s20, v8
	v_mul_f32_e32 v2, s21, v8
	s_and_not1_b32 vcc_lo, exec_lo, s39
	s_delay_alu instid0(VALU_DEP_2) | instskip(NEXT) | instid1(VALU_DEP_2)
	v_fmac_f32_e32 v9, s21, v7
	v_fma_f32 v8, v7, s20, -v2
	s_wait_alu 0xfffe
	s_cbranch_vccnz .LBB335_2
; %bb.36:                               ;   in Loop: Header=BB335_5 Depth=1
	v_add_co_u32 v10, vcc_lo, v22, s30
	s_wait_alu 0xfffd
	v_add_co_ci_u32_e64 v11, null, s31, v23, vcc_lo
	flat_load_b64 v[10:11], v[10:11]
	s_wait_loadcnt_dscnt 0x0
	v_mul_f32_e32 v7, s22, v11
	s_delay_alu instid0(VALU_DEP_1) | instskip(NEXT) | instid1(VALU_DEP_1)
	v_dual_mul_f32 v2, s23, v11 :: v_dual_fmac_f32 v7, s23, v10
	v_fma_f32 v2, s22, v10, -v2
	s_delay_alu instid0(VALU_DEP_1)
	v_dual_add_f32 v9, v9, v7 :: v_dual_add_f32 v8, v8, v2
	s_branch .LBB335_2
.LBB335_37:
	s_endpgm
	.section	.rodata,"a",@progbits
	.p2align	6, 0x0
	.amdhsa_kernel _ZL32rocblas_gemvt_warp_reduce_kernelILb1ELi1024ElPK19rocblas_complex_numIfES1_KPS1_EviiT3_lPKT2_lT1_lS9_lSA_lS6_lPT4_lSA_li
		.amdhsa_group_segment_fixed_size 256
		.amdhsa_private_segment_fixed_size 0
		.amdhsa_kernarg_size 140
		.amdhsa_user_sgpr_count 2
		.amdhsa_user_sgpr_dispatch_ptr 0
		.amdhsa_user_sgpr_queue_ptr 0
		.amdhsa_user_sgpr_kernarg_segment_ptr 1
		.amdhsa_user_sgpr_dispatch_id 0
		.amdhsa_user_sgpr_private_segment_size 0
		.amdhsa_wavefront_size32 1
		.amdhsa_uses_dynamic_stack 0
		.amdhsa_enable_private_segment 0
		.amdhsa_system_sgpr_workgroup_id_x 1
		.amdhsa_system_sgpr_workgroup_id_y 0
		.amdhsa_system_sgpr_workgroup_id_z 1
		.amdhsa_system_sgpr_workgroup_info 0
		.amdhsa_system_vgpr_workitem_id 0
		.amdhsa_next_free_vgpr 31
		.amdhsa_next_free_sgpr 42
		.amdhsa_reserve_vcc 1
		.amdhsa_float_round_mode_32 0
		.amdhsa_float_round_mode_16_64 0
		.amdhsa_float_denorm_mode_32 3
		.amdhsa_float_denorm_mode_16_64 3
		.amdhsa_fp16_overflow 0
		.amdhsa_workgroup_processor_mode 1
		.amdhsa_memory_ordered 1
		.amdhsa_forward_progress 1
		.amdhsa_inst_pref_size 16
		.amdhsa_round_robin_scheduling 0
		.amdhsa_exception_fp_ieee_invalid_op 0
		.amdhsa_exception_fp_denorm_src 0
		.amdhsa_exception_fp_ieee_div_zero 0
		.amdhsa_exception_fp_ieee_overflow 0
		.amdhsa_exception_fp_ieee_underflow 0
		.amdhsa_exception_fp_ieee_inexact 0
		.amdhsa_exception_int_div_zero 0
	.end_amdhsa_kernel
	.section	.text._ZL32rocblas_gemvt_warp_reduce_kernelILb1ELi1024ElPK19rocblas_complex_numIfES1_KPS1_EviiT3_lPKT2_lT1_lS9_lSA_lS6_lPT4_lSA_li,"axG",@progbits,_ZL32rocblas_gemvt_warp_reduce_kernelILb1ELi1024ElPK19rocblas_complex_numIfES1_KPS1_EviiT3_lPKT2_lT1_lS9_lSA_lS6_lPT4_lSA_li,comdat
.Lfunc_end335:
	.size	_ZL32rocblas_gemvt_warp_reduce_kernelILb1ELi1024ElPK19rocblas_complex_numIfES1_KPS1_EviiT3_lPKT2_lT1_lS9_lSA_lS6_lPT4_lSA_li, .Lfunc_end335-_ZL32rocblas_gemvt_warp_reduce_kernelILb1ELi1024ElPK19rocblas_complex_numIfES1_KPS1_EviiT3_lPKT2_lT1_lS9_lSA_lS6_lPT4_lSA_li
                                        ; -- End function
	.set _ZL32rocblas_gemvt_warp_reduce_kernelILb1ELi1024ElPK19rocblas_complex_numIfES1_KPS1_EviiT3_lPKT2_lT1_lS9_lSA_lS6_lPT4_lSA_li.num_vgpr, 31
	.set _ZL32rocblas_gemvt_warp_reduce_kernelILb1ELi1024ElPK19rocblas_complex_numIfES1_KPS1_EviiT3_lPKT2_lT1_lS9_lSA_lS6_lPT4_lSA_li.num_agpr, 0
	.set _ZL32rocblas_gemvt_warp_reduce_kernelILb1ELi1024ElPK19rocblas_complex_numIfES1_KPS1_EviiT3_lPKT2_lT1_lS9_lSA_lS6_lPT4_lSA_li.numbered_sgpr, 42
	.set _ZL32rocblas_gemvt_warp_reduce_kernelILb1ELi1024ElPK19rocblas_complex_numIfES1_KPS1_EviiT3_lPKT2_lT1_lS9_lSA_lS6_lPT4_lSA_li.num_named_barrier, 0
	.set _ZL32rocblas_gemvt_warp_reduce_kernelILb1ELi1024ElPK19rocblas_complex_numIfES1_KPS1_EviiT3_lPKT2_lT1_lS9_lSA_lS6_lPT4_lSA_li.private_seg_size, 0
	.set _ZL32rocblas_gemvt_warp_reduce_kernelILb1ELi1024ElPK19rocblas_complex_numIfES1_KPS1_EviiT3_lPKT2_lT1_lS9_lSA_lS6_lPT4_lSA_li.uses_vcc, 1
	.set _ZL32rocblas_gemvt_warp_reduce_kernelILb1ELi1024ElPK19rocblas_complex_numIfES1_KPS1_EviiT3_lPKT2_lT1_lS9_lSA_lS6_lPT4_lSA_li.uses_flat_scratch, 0
	.set _ZL32rocblas_gemvt_warp_reduce_kernelILb1ELi1024ElPK19rocblas_complex_numIfES1_KPS1_EviiT3_lPKT2_lT1_lS9_lSA_lS6_lPT4_lSA_li.has_dyn_sized_stack, 0
	.set _ZL32rocblas_gemvt_warp_reduce_kernelILb1ELi1024ElPK19rocblas_complex_numIfES1_KPS1_EviiT3_lPKT2_lT1_lS9_lSA_lS6_lPT4_lSA_li.has_recursion, 0
	.set _ZL32rocblas_gemvt_warp_reduce_kernelILb1ELi1024ElPK19rocblas_complex_numIfES1_KPS1_EviiT3_lPKT2_lT1_lS9_lSA_lS6_lPT4_lSA_li.has_indirect_call, 0
	.section	.AMDGPU.csdata,"",@progbits
; Kernel info:
; codeLenInByte = 2012
; TotalNumSgprs: 44
; NumVgprs: 31
; ScratchSize: 0
; MemoryBound: 0
; FloatMode: 240
; IeeeMode: 1
; LDSByteSize: 256 bytes/workgroup (compile time only)
; SGPRBlocks: 0
; VGPRBlocks: 3
; NumSGPRsForWavesPerEU: 44
; NumVGPRsForWavesPerEU: 31
; Occupancy: 16
; WaveLimiterHint : 1
; COMPUTE_PGM_RSRC2:SCRATCH_EN: 0
; COMPUTE_PGM_RSRC2:USER_SGPR: 2
; COMPUTE_PGM_RSRC2:TRAP_HANDLER: 0
; COMPUTE_PGM_RSRC2:TGID_X_EN: 1
; COMPUTE_PGM_RSRC2:TGID_Y_EN: 0
; COMPUTE_PGM_RSRC2:TGID_Z_EN: 1
; COMPUTE_PGM_RSRC2:TIDIG_COMP_CNT: 0
	.section	.text._ZL34rocblas_gemvn_sm_mn_batched_kernelILi32ELi24EPK19rocblas_complex_numIdES3_KPS1_EviiT2_lPKT1_lilS9_lilS6_lPT3_lili,"axG",@progbits,_ZL34rocblas_gemvn_sm_mn_batched_kernelILi32ELi24EPK19rocblas_complex_numIdES3_KPS1_EviiT2_lPKT1_lilS9_lilS6_lPT3_lili,comdat
	.globl	_ZL34rocblas_gemvn_sm_mn_batched_kernelILi32ELi24EPK19rocblas_complex_numIdES3_KPS1_EviiT2_lPKT1_lilS9_lilS6_lPT3_lili ; -- Begin function _ZL34rocblas_gemvn_sm_mn_batched_kernelILi32ELi24EPK19rocblas_complex_numIdES3_KPS1_EviiT2_lPKT1_lilS9_lilS6_lPT3_lili
	.p2align	8
	.type	_ZL34rocblas_gemvn_sm_mn_batched_kernelILi32ELi24EPK19rocblas_complex_numIdES3_KPS1_EviiT2_lPKT1_lilS9_lilS6_lPT3_lili,@function
_ZL34rocblas_gemvn_sm_mn_batched_kernelILi32ELi24EPK19rocblas_complex_numIdES3_KPS1_EviiT2_lPKT1_lilS9_lilS6_lPT3_lili: ; @_ZL34rocblas_gemvn_sm_mn_batched_kernelILi32ELi24EPK19rocblas_complex_numIdES3_KPS1_EviiT2_lPKT1_lilS9_lilS6_lPT3_lili
; %bb.0:
	s_endpgm
	.section	.rodata,"a",@progbits
	.p2align	6, 0x0
	.amdhsa_kernel _ZL34rocblas_gemvn_sm_mn_batched_kernelILi32ELi24EPK19rocblas_complex_numIdES3_KPS1_EviiT2_lPKT1_lilS9_lilS6_lPT3_lili
		.amdhsa_group_segment_fixed_size 0
		.amdhsa_private_segment_fixed_size 0
		.amdhsa_kernarg_size 140
		.amdhsa_user_sgpr_count 2
		.amdhsa_user_sgpr_dispatch_ptr 0
		.amdhsa_user_sgpr_queue_ptr 0
		.amdhsa_user_sgpr_kernarg_segment_ptr 1
		.amdhsa_user_sgpr_dispatch_id 0
		.amdhsa_user_sgpr_private_segment_size 0
		.amdhsa_wavefront_size32 1
		.amdhsa_uses_dynamic_stack 0
		.amdhsa_enable_private_segment 0
		.amdhsa_system_sgpr_workgroup_id_x 1
		.amdhsa_system_sgpr_workgroup_id_y 0
		.amdhsa_system_sgpr_workgroup_id_z 0
		.amdhsa_system_sgpr_workgroup_info 0
		.amdhsa_system_vgpr_workitem_id 0
		.amdhsa_next_free_vgpr 1
		.amdhsa_next_free_sgpr 1
		.amdhsa_reserve_vcc 0
		.amdhsa_float_round_mode_32 0
		.amdhsa_float_round_mode_16_64 0
		.amdhsa_float_denorm_mode_32 3
		.amdhsa_float_denorm_mode_16_64 3
		.amdhsa_fp16_overflow 0
		.amdhsa_workgroup_processor_mode 1
		.amdhsa_memory_ordered 1
		.amdhsa_forward_progress 1
		.amdhsa_inst_pref_size 1
		.amdhsa_round_robin_scheduling 0
		.amdhsa_exception_fp_ieee_invalid_op 0
		.amdhsa_exception_fp_denorm_src 0
		.amdhsa_exception_fp_ieee_div_zero 0
		.amdhsa_exception_fp_ieee_overflow 0
		.amdhsa_exception_fp_ieee_underflow 0
		.amdhsa_exception_fp_ieee_inexact 0
		.amdhsa_exception_int_div_zero 0
	.end_amdhsa_kernel
	.section	.text._ZL34rocblas_gemvn_sm_mn_batched_kernelILi32ELi24EPK19rocblas_complex_numIdES3_KPS1_EviiT2_lPKT1_lilS9_lilS6_lPT3_lili,"axG",@progbits,_ZL34rocblas_gemvn_sm_mn_batched_kernelILi32ELi24EPK19rocblas_complex_numIdES3_KPS1_EviiT2_lPKT1_lilS9_lilS6_lPT3_lili,comdat
.Lfunc_end336:
	.size	_ZL34rocblas_gemvn_sm_mn_batched_kernelILi32ELi24EPK19rocblas_complex_numIdES3_KPS1_EviiT2_lPKT1_lilS9_lilS6_lPT3_lili, .Lfunc_end336-_ZL34rocblas_gemvn_sm_mn_batched_kernelILi32ELi24EPK19rocblas_complex_numIdES3_KPS1_EviiT2_lPKT1_lilS9_lilS6_lPT3_lili
                                        ; -- End function
	.set _ZL34rocblas_gemvn_sm_mn_batched_kernelILi32ELi24EPK19rocblas_complex_numIdES3_KPS1_EviiT2_lPKT1_lilS9_lilS6_lPT3_lili.num_vgpr, 0
	.set _ZL34rocblas_gemvn_sm_mn_batched_kernelILi32ELi24EPK19rocblas_complex_numIdES3_KPS1_EviiT2_lPKT1_lilS9_lilS6_lPT3_lili.num_agpr, 0
	.set _ZL34rocblas_gemvn_sm_mn_batched_kernelILi32ELi24EPK19rocblas_complex_numIdES3_KPS1_EviiT2_lPKT1_lilS9_lilS6_lPT3_lili.numbered_sgpr, 0
	.set _ZL34rocblas_gemvn_sm_mn_batched_kernelILi32ELi24EPK19rocblas_complex_numIdES3_KPS1_EviiT2_lPKT1_lilS9_lilS6_lPT3_lili.num_named_barrier, 0
	.set _ZL34rocblas_gemvn_sm_mn_batched_kernelILi32ELi24EPK19rocblas_complex_numIdES3_KPS1_EviiT2_lPKT1_lilS9_lilS6_lPT3_lili.private_seg_size, 0
	.set _ZL34rocblas_gemvn_sm_mn_batched_kernelILi32ELi24EPK19rocblas_complex_numIdES3_KPS1_EviiT2_lPKT1_lilS9_lilS6_lPT3_lili.uses_vcc, 0
	.set _ZL34rocblas_gemvn_sm_mn_batched_kernelILi32ELi24EPK19rocblas_complex_numIdES3_KPS1_EviiT2_lPKT1_lilS9_lilS6_lPT3_lili.uses_flat_scratch, 0
	.set _ZL34rocblas_gemvn_sm_mn_batched_kernelILi32ELi24EPK19rocblas_complex_numIdES3_KPS1_EviiT2_lPKT1_lilS9_lilS6_lPT3_lili.has_dyn_sized_stack, 0
	.set _ZL34rocblas_gemvn_sm_mn_batched_kernelILi32ELi24EPK19rocblas_complex_numIdES3_KPS1_EviiT2_lPKT1_lilS9_lilS6_lPT3_lili.has_recursion, 0
	.set _ZL34rocblas_gemvn_sm_mn_batched_kernelILi32ELi24EPK19rocblas_complex_numIdES3_KPS1_EviiT2_lPKT1_lilS9_lilS6_lPT3_lili.has_indirect_call, 0
	.section	.AMDGPU.csdata,"",@progbits
; Kernel info:
; codeLenInByte = 4
; TotalNumSgprs: 0
; NumVgprs: 0
; ScratchSize: 0
; MemoryBound: 0
; FloatMode: 240
; IeeeMode: 1
; LDSByteSize: 0 bytes/workgroup (compile time only)
; SGPRBlocks: 0
; VGPRBlocks: 0
; NumSGPRsForWavesPerEU: 1
; NumVGPRsForWavesPerEU: 1
; Occupancy: 16
; WaveLimiterHint : 0
; COMPUTE_PGM_RSRC2:SCRATCH_EN: 0
; COMPUTE_PGM_RSRC2:USER_SGPR: 2
; COMPUTE_PGM_RSRC2:TRAP_HANDLER: 0
; COMPUTE_PGM_RSRC2:TGID_X_EN: 1
; COMPUTE_PGM_RSRC2:TGID_Y_EN: 0
; COMPUTE_PGM_RSRC2:TGID_Z_EN: 0
; COMPUTE_PGM_RSRC2:TIDIG_COMP_CNT: 0
	.section	.text._ZL34rocblas_gemvn_sm_mn_batched_kernelILi32ELi24EPK19rocblas_complex_numIdES1_KPS1_EviiT2_lPKT1_lilS9_lilS6_lPT3_lili,"axG",@progbits,_ZL34rocblas_gemvn_sm_mn_batched_kernelILi32ELi24EPK19rocblas_complex_numIdES1_KPS1_EviiT2_lPKT1_lilS9_lilS6_lPT3_lili,comdat
	.globl	_ZL34rocblas_gemvn_sm_mn_batched_kernelILi32ELi24EPK19rocblas_complex_numIdES1_KPS1_EviiT2_lPKT1_lilS9_lilS6_lPT3_lili ; -- Begin function _ZL34rocblas_gemvn_sm_mn_batched_kernelILi32ELi24EPK19rocblas_complex_numIdES1_KPS1_EviiT2_lPKT1_lilS9_lilS6_lPT3_lili
	.p2align	8
	.type	_ZL34rocblas_gemvn_sm_mn_batched_kernelILi32ELi24EPK19rocblas_complex_numIdES1_KPS1_EviiT2_lPKT1_lilS9_lilS6_lPT3_lili,@function
_ZL34rocblas_gemvn_sm_mn_batched_kernelILi32ELi24EPK19rocblas_complex_numIdES1_KPS1_EviiT2_lPKT1_lilS9_lilS6_lPT3_lili: ; @_ZL34rocblas_gemvn_sm_mn_batched_kernelILi32ELi24EPK19rocblas_complex_numIdES1_KPS1_EviiT2_lPKT1_lilS9_lilS6_lPT3_lili
; %bb.0:
	s_endpgm
	.section	.rodata,"a",@progbits
	.p2align	6, 0x0
	.amdhsa_kernel _ZL34rocblas_gemvn_sm_mn_batched_kernelILi32ELi24EPK19rocblas_complex_numIdES1_KPS1_EviiT2_lPKT1_lilS9_lilS6_lPT3_lili
		.amdhsa_group_segment_fixed_size 0
		.amdhsa_private_segment_fixed_size 0
		.amdhsa_kernarg_size 156
		.amdhsa_user_sgpr_count 2
		.amdhsa_user_sgpr_dispatch_ptr 0
		.amdhsa_user_sgpr_queue_ptr 0
		.amdhsa_user_sgpr_kernarg_segment_ptr 1
		.amdhsa_user_sgpr_dispatch_id 0
		.amdhsa_user_sgpr_private_segment_size 0
		.amdhsa_wavefront_size32 1
		.amdhsa_uses_dynamic_stack 0
		.amdhsa_enable_private_segment 0
		.amdhsa_system_sgpr_workgroup_id_x 1
		.amdhsa_system_sgpr_workgroup_id_y 0
		.amdhsa_system_sgpr_workgroup_id_z 0
		.amdhsa_system_sgpr_workgroup_info 0
		.amdhsa_system_vgpr_workitem_id 0
		.amdhsa_next_free_vgpr 1
		.amdhsa_next_free_sgpr 1
		.amdhsa_reserve_vcc 0
		.amdhsa_float_round_mode_32 0
		.amdhsa_float_round_mode_16_64 0
		.amdhsa_float_denorm_mode_32 3
		.amdhsa_float_denorm_mode_16_64 3
		.amdhsa_fp16_overflow 0
		.amdhsa_workgroup_processor_mode 1
		.amdhsa_memory_ordered 1
		.amdhsa_forward_progress 1
		.amdhsa_inst_pref_size 1
		.amdhsa_round_robin_scheduling 0
		.amdhsa_exception_fp_ieee_invalid_op 0
		.amdhsa_exception_fp_denorm_src 0
		.amdhsa_exception_fp_ieee_div_zero 0
		.amdhsa_exception_fp_ieee_overflow 0
		.amdhsa_exception_fp_ieee_underflow 0
		.amdhsa_exception_fp_ieee_inexact 0
		.amdhsa_exception_int_div_zero 0
	.end_amdhsa_kernel
	.section	.text._ZL34rocblas_gemvn_sm_mn_batched_kernelILi32ELi24EPK19rocblas_complex_numIdES1_KPS1_EviiT2_lPKT1_lilS9_lilS6_lPT3_lili,"axG",@progbits,_ZL34rocblas_gemvn_sm_mn_batched_kernelILi32ELi24EPK19rocblas_complex_numIdES1_KPS1_EviiT2_lPKT1_lilS9_lilS6_lPT3_lili,comdat
.Lfunc_end337:
	.size	_ZL34rocblas_gemvn_sm_mn_batched_kernelILi32ELi24EPK19rocblas_complex_numIdES1_KPS1_EviiT2_lPKT1_lilS9_lilS6_lPT3_lili, .Lfunc_end337-_ZL34rocblas_gemvn_sm_mn_batched_kernelILi32ELi24EPK19rocblas_complex_numIdES1_KPS1_EviiT2_lPKT1_lilS9_lilS6_lPT3_lili
                                        ; -- End function
	.set _ZL34rocblas_gemvn_sm_mn_batched_kernelILi32ELi24EPK19rocblas_complex_numIdES1_KPS1_EviiT2_lPKT1_lilS9_lilS6_lPT3_lili.num_vgpr, 0
	.set _ZL34rocblas_gemvn_sm_mn_batched_kernelILi32ELi24EPK19rocblas_complex_numIdES1_KPS1_EviiT2_lPKT1_lilS9_lilS6_lPT3_lili.num_agpr, 0
	.set _ZL34rocblas_gemvn_sm_mn_batched_kernelILi32ELi24EPK19rocblas_complex_numIdES1_KPS1_EviiT2_lPKT1_lilS9_lilS6_lPT3_lili.numbered_sgpr, 0
	.set _ZL34rocblas_gemvn_sm_mn_batched_kernelILi32ELi24EPK19rocblas_complex_numIdES1_KPS1_EviiT2_lPKT1_lilS9_lilS6_lPT3_lili.num_named_barrier, 0
	.set _ZL34rocblas_gemvn_sm_mn_batched_kernelILi32ELi24EPK19rocblas_complex_numIdES1_KPS1_EviiT2_lPKT1_lilS9_lilS6_lPT3_lili.private_seg_size, 0
	.set _ZL34rocblas_gemvn_sm_mn_batched_kernelILi32ELi24EPK19rocblas_complex_numIdES1_KPS1_EviiT2_lPKT1_lilS9_lilS6_lPT3_lili.uses_vcc, 0
	.set _ZL34rocblas_gemvn_sm_mn_batched_kernelILi32ELi24EPK19rocblas_complex_numIdES1_KPS1_EviiT2_lPKT1_lilS9_lilS6_lPT3_lili.uses_flat_scratch, 0
	.set _ZL34rocblas_gemvn_sm_mn_batched_kernelILi32ELi24EPK19rocblas_complex_numIdES1_KPS1_EviiT2_lPKT1_lilS9_lilS6_lPT3_lili.has_dyn_sized_stack, 0
	.set _ZL34rocblas_gemvn_sm_mn_batched_kernelILi32ELi24EPK19rocblas_complex_numIdES1_KPS1_EviiT2_lPKT1_lilS9_lilS6_lPT3_lili.has_recursion, 0
	.set _ZL34rocblas_gemvn_sm_mn_batched_kernelILi32ELi24EPK19rocblas_complex_numIdES1_KPS1_EviiT2_lPKT1_lilS9_lilS6_lPT3_lili.has_indirect_call, 0
	.section	.AMDGPU.csdata,"",@progbits
; Kernel info:
; codeLenInByte = 4
; TotalNumSgprs: 0
; NumVgprs: 0
; ScratchSize: 0
; MemoryBound: 0
; FloatMode: 240
; IeeeMode: 1
; LDSByteSize: 0 bytes/workgroup (compile time only)
; SGPRBlocks: 0
; VGPRBlocks: 0
; NumSGPRsForWavesPerEU: 1
; NumVGPRsForWavesPerEU: 1
; Occupancy: 16
; WaveLimiterHint : 0
; COMPUTE_PGM_RSRC2:SCRATCH_EN: 0
; COMPUTE_PGM_RSRC2:USER_SGPR: 2
; COMPUTE_PGM_RSRC2:TRAP_HANDLER: 0
; COMPUTE_PGM_RSRC2:TGID_X_EN: 1
; COMPUTE_PGM_RSRC2:TGID_Y_EN: 0
; COMPUTE_PGM_RSRC2:TGID_Z_EN: 0
; COMPUTE_PGM_RSRC2:TIDIG_COMP_CNT: 0
	.section	.text._ZL20rocblas_gemvn_kernelILi64ELi4EiPK19rocblas_complex_numIdES3_KPS1_EviiT3_lPKT2_lT1_lS9_lSA_lS6_lPT4_lSA_li,"axG",@progbits,_ZL20rocblas_gemvn_kernelILi64ELi4EiPK19rocblas_complex_numIdES3_KPS1_EviiT3_lPKT2_lT1_lS9_lSA_lS6_lPT4_lSA_li,comdat
	.globl	_ZL20rocblas_gemvn_kernelILi64ELi4EiPK19rocblas_complex_numIdES3_KPS1_EviiT3_lPKT2_lT1_lS9_lSA_lS6_lPT4_lSA_li ; -- Begin function _ZL20rocblas_gemvn_kernelILi64ELi4EiPK19rocblas_complex_numIdES3_KPS1_EviiT3_lPKT2_lT1_lS9_lSA_lS6_lPT4_lSA_li
	.p2align	8
	.type	_ZL20rocblas_gemvn_kernelILi64ELi4EiPK19rocblas_complex_numIdES3_KPS1_EviiT3_lPKT2_lT1_lS9_lSA_lS6_lPT4_lSA_li,@function
_ZL20rocblas_gemvn_kernelILi64ELi4EiPK19rocblas_complex_numIdES3_KPS1_EviiT3_lPKT2_lT1_lS9_lSA_lS6_lPT4_lSA_li: ; @_ZL20rocblas_gemvn_kernelILi64ELi4EiPK19rocblas_complex_numIdES3_KPS1_EviiT3_lPKT2_lT1_lS9_lSA_lS6_lPT4_lSA_li
; %bb.0:
	s_clause 0x1
	s_load_b64 s[2:3], s[0:1], 0x9c
	s_load_b32 s28, s[0:1], 0x88
	s_lshr_b32 s6, ttmp7, 16
	s_wait_kmcnt 0x0
	s_lshr_b32 s4, s2, 16
	s_and_b32 s2, s2, 0xffff
	s_and_b32 s3, s3, 0xffff
	s_mul_i32 s4, s4, s2
	s_delay_alu instid0(SALU_CYCLE_1) | instskip(NEXT) | instid1(SALU_CYCLE_1)
	s_mul_i32 s4, s4, s3
	s_cmp_lg_u32 s4, 0x100
	s_cselect_b32 s3, -1, 0
	s_cmp_ge_u32 s6, s28
	s_cselect_b32 s4, -1, 0
	s_delay_alu instid0(SALU_CYCLE_1) | instskip(NEXT) | instid1(SALU_CYCLE_1)
	s_or_b32 s3, s3, s4
	s_and_b32 vcc_lo, exec_lo, s3
	s_cbranch_vccnz .LBB338_39
; %bb.1:
	s_clause 0x1
	s_load_b32 s3, s[0:1], 0x78
	s_load_b64 s[4:5], s[0:1], 0x0
	v_dual_mov_b32 v16, 0 :: v_dual_and_b32 v1, 0x3ff, v0
	v_bfe_u32 v0, v0, 10, 10
	s_lshl_b32 s36, ttmp9, 6
	s_clause 0x4
	s_load_b256 s[8:15], s[0:1], 0x8
	s_load_b32 s29, s[0:1], 0x28
	s_load_b128 s[24:27], s[0:1], 0x38
	s_load_b32 s30, s[0:1], 0x48
	s_load_b256 s[16:23], s[0:1], 0x58
	s_mov_b32 s7, 0
	v_mad_u32_u24 v0, v0, s2, v1
	s_delay_alu instid0(VALU_DEP_1)
	v_add_nc_u32_e32 v15, s36, v0
	v_and_b32_e32 v2, 63, v0
	v_lshrrev_b32_e32 v27, 6, v0
	v_lshlrev_b32_e32 v28, 4, v0
	v_cmp_gt_u32_e64 s0, 64, v0
	v_or_b32_e32 v1, s36, v0
	s_wait_kmcnt 0x0
	v_mad_co_u64_u32 v[17:18], null, v15, s3, 0
	s_ashr_i32 s31, s3, 31
	v_or_b32_e32 v29, s36, v2
	v_cmp_gt_i32_e64 s2, s4, v1
	v_mul_lo_u32 v19, v1, s3
	s_ashr_i32 s33, s5, 31
	s_ashr_i32 s35, s4, 31
	v_mov_b32_e32 v0, v18
	s_mov_b32 s34, s4
	v_cmp_gt_i32_e64 s1, s4, v29
	s_lshr_b32 s4, s33, 30
	v_cmp_gt_i64_e32 vcc_lo, s[34:35], v[15:16]
	v_mad_co_u64_u32 v[0:1], null, v15, s31, v[0:1]
	v_mul_lo_u32 v1, s29, v27
	s_wait_alu 0xfffe
	s_add_co_i32 s3, s5, s4
	v_mul_lo_u32 v30, s30, v27
	s_wait_alu 0xfffe
	s_and_b32 s31, s3, -4
	v_ashrrev_i32_e32 v20, 31, v19
	s_wait_alu 0xfffe
	s_sub_co_i32 s3, s5, s31
	v_mov_b32_e32 v18, v0
	s_wait_alu 0xfffe
	s_cmp_gt_i32 s3, 0
	v_cmp_gt_i32_e64 s3, s31, v27
	v_add3_u32 v31, v1, s36, v2
	s_cselect_b32 s33, -1, 0
	v_lshlrev_b64_e32 v[21:22], 4, v[17:18]
	s_and_b32 s34, s0, vcc_lo
	s_lshl_b32 s35, s30, 2
	s_lshl_b32 s36, s29, 2
	s_lshl_b64 s[14:15], s[14:15], 4
	s_lshl_b64 s[26:27], s[26:27], 4
	;; [unrolled: 1-line block ×3, first 2 shown]
	s_branch .LBB338_4
.LBB338_2:                              ;   in Loop: Header=BB338_4 Depth=1
	s_wait_alu 0xfffe
	s_or_b32 exec_lo, exec_lo, s4
.LBB338_3:                              ;   in Loop: Header=BB338_4 Depth=1
	s_add_co_i32 s6, s6, 0x10000
	s_delay_alu instid0(SALU_CYCLE_1)
	s_cmp_lt_u32 s6, s28
	s_cbranch_scc0 .LBB338_39
.LBB338_4:                              ; =>This Loop Header: Depth=1
                                        ;     Child Loop BB338_20 Depth 2
	s_mul_u64 s[38:39], s[10:11], s[6:7]
	s_delay_alu instid0(SALU_CYCLE_1) | instskip(NEXT) | instid1(SALU_CYCLE_1)
	s_lshl_b64 s[38:39], s[38:39], 4
	s_add_nc_u64 s[38:39], s[8:9], s[38:39]
	global_load_b128 v[4:7], v16, s[38:39]
	s_mul_u64 s[38:39], s[18:19], s[6:7]
	s_delay_alu instid0(SALU_CYCLE_1) | instskip(NEXT) | instid1(SALU_CYCLE_1)
	s_lshl_b64 s[38:39], s[38:39], 4
	s_add_nc_u64 s[38:39], s[16:17], s[38:39]
	s_wait_loadcnt 0x1
	global_load_b128 v[0:3], v16, s[38:39]
	s_mov_b32 s38, -1
	s_wait_loadcnt 0x1
	v_cmp_neq_f64_e32 vcc_lo, 0, v[4:5]
	v_cmp_neq_f64_e64 s4, 0, v[6:7]
	s_or_b32 s37, vcc_lo, s4
	s_mov_b32 s4, s7
	s_wait_alu 0xfffe
	s_and_b32 vcc_lo, exec_lo, s37
	s_wait_alu 0xfffe
	s_cbranch_vccz .LBB338_7
; %bb.5:                                ;   in Loop: Header=BB338_4 Depth=1
	v_mov_b32_e32 v23, 0
	v_mov_b32_e32 v24, 0
	s_and_not1_b32 vcc_lo, exec_lo, s38
	s_wait_alu 0xfffe
	s_cbranch_vccz .LBB338_8
.LBB338_6:                              ;   in Loop: Header=BB338_4 Depth=1
	s_wait_alu 0xfffe
	s_and_not1_b32 vcc_lo, exec_lo, s4
	s_wait_alu 0xfffe
	s_cbranch_vccnz .LBB338_3
	s_branch .LBB338_9
.LBB338_7:                              ;   in Loop: Header=BB338_4 Depth=1
	s_wait_loadcnt 0x0
	v_cmp_neq_f64_e32 vcc_lo, 1.0, v[0:1]
	v_cmp_neq_f64_e64 s4, 0, v[2:3]
	s_or_b32 s4, vcc_lo, s4
	v_mov_b32_e32 v23, 0
	v_mov_b32_e32 v24, 0
	s_cbranch_execnz .LBB338_6
.LBB338_8:                              ;   in Loop: Header=BB338_4 Depth=1
	s_lshl_b64 s[38:39], s[6:7], 3
	s_delay_alu instid0(SALU_CYCLE_1)
	s_add_nc_u64 s[38:39], s[12:13], s[38:39]
	global_load_b64 v[8:9], v16, s[38:39]
	s_wait_loadcnt 0x0
	v_add_co_u32 v23, vcc_lo, v8, s14
	s_wait_alu 0xfffd
	v_add_co_ci_u32_e64 v24, null, s15, v9, vcc_lo
.LBB338_9:                              ;   in Loop: Header=BB338_4 Depth=1
	v_mov_b32_e32 v25, 0
	v_mov_b32_e32 v26, 0
	s_and_not1_b32 vcc_lo, exec_lo, s37
	s_wait_alu 0xfffe
	s_cbranch_vccnz .LBB338_11
; %bb.10:                               ;   in Loop: Header=BB338_4 Depth=1
	s_lshl_b64 s[38:39], s[6:7], 3
	s_delay_alu instid0(SALU_CYCLE_1)
	s_add_nc_u64 s[38:39], s[24:25], s[38:39]
	global_load_b64 v[8:9], v16, s[38:39]
	s_wait_loadcnt 0x0
	v_add_co_u32 v25, vcc_lo, v8, s26
	s_wait_alu 0xfffd
	v_add_co_ci_u32_e64 v26, null, s27, v9, vcc_lo
.LBB338_11:                             ;   in Loop: Header=BB338_4 Depth=1
	s_lshl_b64 s[38:39], s[6:7], 3
	s_xor_b32 s4, s37, -1
	s_add_nc_u64 s[38:39], s[20:21], s[38:39]
	global_load_b64 v[8:9], v16, s[38:39]
	s_wait_loadcnt 0x0
	v_add_co_u32 v32, vcc_lo, v8, s22
	s_wait_alu 0xfffd
	v_add_co_ci_u32_e64 v33, null, s23, v9, vcc_lo
	s_wait_alu 0xfffe
	s_and_not1_b32 vcc_lo, exec_lo, s4
	s_wait_alu 0xfffe
	s_cbranch_vccnz .LBB338_16
; %bb.12:                               ;   in Loop: Header=BB338_4 Depth=1
	s_mov_b32 s38, 0
	s_mov_b32 s37, 0
                                        ; implicit-def: $vgpr10_vgpr11
	s_and_saveexec_b32 s39, s34
	s_cbranch_execz .LBB338_22
; %bb.13:                               ;   in Loop: Header=BB338_4 Depth=1
	v_cmp_neq_f64_e32 vcc_lo, 0, v[0:1]
	v_cmp_neq_f64_e64 s4, 0, v[2:3]
	v_mov_b32_e32 v10, 0
	v_dual_mov_b32 v11, 0 :: v_dual_mov_b32 v8, 0
	v_mov_b32_e32 v9, 0
	s_or_b32 s4, vcc_lo, s4
	s_wait_alu 0xfffe
	s_and_not1_b32 vcc_lo, exec_lo, s4
	s_wait_alu 0xfffe
	s_cbranch_vccnz .LBB338_15
; %bb.14:                               ;   in Loop: Header=BB338_4 Depth=1
	v_add_co_u32 v8, vcc_lo, v32, v21
	s_wait_alu 0xfffd
	v_add_co_ci_u32_e64 v9, null, v33, v22, vcc_lo
	flat_load_b128 v[10:13], v[8:9]
	s_wait_loadcnt_dscnt 0x0
	v_mul_f64_e32 v[8:9], v[2:3], v[12:13]
	v_mul_f64_e32 v[12:13], v[0:1], v[12:13]
	s_delay_alu instid0(VALU_DEP_2) | instskip(NEXT) | instid1(VALU_DEP_2)
	v_fma_f64 v[8:9], v[0:1], v[10:11], -v[8:9]
	v_fma_f64 v[10:11], v[2:3], v[10:11], v[12:13]
.LBB338_15:                             ;   in Loop: Header=BB338_4 Depth=1
	s_mov_b32 s37, exec_lo
	s_or_b32 exec_lo, exec_lo, s39
	s_delay_alu instid0(SALU_CYCLE_1)
	s_and_b32 vcc_lo, exec_lo, s38
	s_wait_alu 0xfffe
	s_cbranch_vccnz .LBB338_17
	s_branch .LBB338_23
.LBB338_16:                             ;   in Loop: Header=BB338_4 Depth=1
	s_mov_b32 s37, 0
                                        ; implicit-def: $vgpr10_vgpr11
	s_cbranch_execz .LBB338_23
.LBB338_17:                             ;   in Loop: Header=BB338_4 Depth=1
	v_mov_b32_e32 v10, 0
	v_dual_mov_b32 v11, 0 :: v_dual_mov_b32 v8, 0
	v_dual_mov_b32 v9, 0 :: v_dual_mov_b32 v34, v27
	s_and_saveexec_b32 s4, s3
	s_cbranch_execz .LBB338_25
; %bb.18:                               ;   in Loop: Header=BB338_4 Depth=1
	v_mov_b32_e32 v10, 0
	v_dual_mov_b32 v11, 0 :: v_dual_mov_b32 v12, v31
	s_delay_alu instid0(VALU_DEP_2) | instskip(SKIP_1) | instid1(VALU_DEP_3)
	v_mov_b32_e32 v8, v10
	v_mov_b32_e32 v14, v30
	v_dual_mov_b32 v34, v27 :: v_dual_mov_b32 v9, v11
	s_mov_b32 s38, 0
	s_branch .LBB338_20
.LBB338_19:                             ;   in Loop: Header=BB338_20 Depth=2
	s_or_b32 exec_lo, exec_lo, s39
	v_add_nc_u32_e32 v34, 4, v34
	v_add_nc_u32_e32 v14, s35, v14
	;; [unrolled: 1-line block ×3, first 2 shown]
	s_delay_alu instid0(VALU_DEP_3) | instskip(SKIP_1) | instid1(SALU_CYCLE_1)
	v_cmp_le_i32_e32 vcc_lo, s31, v34
	s_or_b32 s38, vcc_lo, s38
	s_and_not1_b32 exec_lo, exec_lo, s38
	s_cbranch_execz .LBB338_24
.LBB338_20:                             ;   Parent Loop BB338_4 Depth=1
                                        ; =>  This Inner Loop Header: Depth=2
	s_and_saveexec_b32 s39, s1
	s_cbranch_execz .LBB338_19
; %bb.21:                               ;   in Loop: Header=BB338_20 Depth=2
	v_ashrrev_i32_e32 v15, 31, v14
	v_ashrrev_i32_e32 v13, 31, v12
	s_delay_alu instid0(VALU_DEP_2) | instskip(NEXT) | instid1(VALU_DEP_2)
	v_lshlrev_b64_e32 v[35:36], 4, v[14:15]
	v_lshlrev_b64_e32 v[37:38], 4, v[12:13]
	s_delay_alu instid0(VALU_DEP_2) | instskip(SKIP_1) | instid1(VALU_DEP_3)
	v_add_co_u32 v35, vcc_lo, v25, v35
	s_wait_alu 0xfffd
	v_add_co_ci_u32_e64 v36, null, v26, v36, vcc_lo
	s_delay_alu instid0(VALU_DEP_3)
	v_add_co_u32 v39, vcc_lo, v23, v37
	s_wait_alu 0xfffd
	v_add_co_ci_u32_e64 v40, null, v24, v38, vcc_lo
	flat_load_b128 v[35:38], v[35:36]
	flat_load_b128 v[39:42], v[39:40]
	s_wait_loadcnt_dscnt 0x0
	v_mul_f64_e32 v[43:44], v[37:38], v[41:42]
	v_mul_f64_e32 v[41:42], v[35:36], v[41:42]
	s_delay_alu instid0(VALU_DEP_2) | instskip(NEXT) | instid1(VALU_DEP_2)
	v_fma_f64 v[35:36], v[35:36], v[39:40], -v[43:44]
	v_fma_f64 v[37:38], v[37:38], v[39:40], v[41:42]
	s_delay_alu instid0(VALU_DEP_2) | instskip(NEXT) | instid1(VALU_DEP_2)
	v_add_f64_e32 v[8:9], v[8:9], v[35:36]
	v_add_f64_e32 v[10:11], v[10:11], v[37:38]
	s_branch .LBB338_19
.LBB338_22:                             ;   in Loop: Header=BB338_4 Depth=1
	s_or_b32 exec_lo, exec_lo, s39
	s_delay_alu instid0(SALU_CYCLE_1)
	s_and_b32 vcc_lo, exec_lo, s38
	s_wait_alu 0xfffe
	s_cbranch_vccnz .LBB338_17
.LBB338_23:                             ;   in Loop: Header=BB338_4 Depth=1
	v_dual_mov_b32 v0, v17 :: v_dual_mov_b32 v1, v18
	s_wait_alu 0xfffe
	s_and_saveexec_b32 s4, s37
	s_cbranch_execz .LBB338_2
	s_branch .LBB338_38
.LBB338_24:                             ;   in Loop: Header=BB338_4 Depth=1
	s_or_b32 exec_lo, exec_lo, s38
.LBB338_25:                             ;   in Loop: Header=BB338_4 Depth=1
	s_wait_alu 0xfffe
	s_or_b32 exec_lo, exec_lo, s4
	s_delay_alu instid0(SALU_CYCLE_1)
	s_and_not1_b32 vcc_lo, exec_lo, s33
	s_wait_alu 0xfffe
	s_cbranch_vccnz .LBB338_31
; %bb.26:                               ;   in Loop: Header=BB338_4 Depth=1
	v_mov_b32_e32 v12, 0
	v_dual_mov_b32 v13, 0 :: v_dual_mov_b32 v14, 0
	v_mov_b32_e32 v15, 0
	v_cmp_gt_i32_e32 vcc_lo, s5, v34
	s_and_saveexec_b32 s38, vcc_lo
	s_cbranch_execz .LBB338_28
; %bb.27:                               ;   in Loop: Header=BB338_4 Depth=1
	v_mul_lo_u32 v12, v34, s30
	s_delay_alu instid0(VALU_DEP_1) | instskip(NEXT) | instid1(VALU_DEP_1)
	v_ashrrev_i32_e32 v13, 31, v12
	v_lshlrev_b64_e32 v[12:13], 4, v[12:13]
	s_delay_alu instid0(VALU_DEP_1) | instskip(SKIP_1) | instid1(VALU_DEP_2)
	v_add_co_u32 v12, s4, v25, v12
	s_wait_alu 0xf1ff
	v_add_co_ci_u32_e64 v13, null, v26, v13, s4
	flat_load_b128 v[12:15], v[12:13]
.LBB338_28:                             ;   in Loop: Header=BB338_4 Depth=1
	s_or_b32 exec_lo, exec_lo, s38
	s_and_saveexec_b32 s4, s1
	s_cbranch_execz .LBB338_30
; %bb.29:                               ;   in Loop: Header=BB338_4 Depth=1
	v_mul_lo_u32 v25, v34, s29
	s_delay_alu instid0(VALU_DEP_1) | instskip(NEXT) | instid1(VALU_DEP_1)
	v_cndmask_b32_e32 v25, 0, v25, vcc_lo
	v_add_nc_u32_e32 v25, v25, v29
	s_delay_alu instid0(VALU_DEP_1) | instskip(NEXT) | instid1(VALU_DEP_1)
	v_ashrrev_i32_e32 v26, 31, v25
	v_lshlrev_b64_e32 v[25:26], 4, v[25:26]
	s_delay_alu instid0(VALU_DEP_1) | instskip(SKIP_1) | instid1(VALU_DEP_2)
	v_add_co_u32 v23, vcc_lo, v23, v25
	s_wait_alu 0xfffd
	v_add_co_ci_u32_e64 v24, null, v24, v26, vcc_lo
	flat_load_b128 v[23:26], v[23:24]
	s_wait_loadcnt_dscnt 0x0
	v_mul_f64_e32 v[34:35], v[14:15], v[25:26]
	v_mul_f64_e32 v[25:26], v[12:13], v[25:26]
	s_delay_alu instid0(VALU_DEP_2) | instskip(NEXT) | instid1(VALU_DEP_2)
	v_fma_f64 v[12:13], v[12:13], v[23:24], -v[34:35]
	v_fma_f64 v[14:15], v[14:15], v[23:24], v[25:26]
	s_delay_alu instid0(VALU_DEP_2) | instskip(NEXT) | instid1(VALU_DEP_2)
	v_add_f64_e32 v[8:9], v[8:9], v[12:13]
	v_add_f64_e32 v[10:11], v[10:11], v[14:15]
.LBB338_30:                             ;   in Loop: Header=BB338_4 Depth=1
	s_wait_alu 0xfffe
	s_or_b32 exec_lo, exec_lo, s4
.LBB338_31:                             ;   in Loop: Header=BB338_4 Depth=1
	ds_store_b128 v28, v[8:11]
	s_wait_loadcnt_dscnt 0x0
	s_barrier_signal -1
	s_barrier_wait -1
	global_inv scope:SCOPE_SE
                                        ; implicit-def: $vgpr10_vgpr11
	s_and_saveexec_b32 s38, s0
	s_cbranch_execz .LBB338_37
; %bb.32:                               ;   in Loop: Header=BB338_4 Depth=1
	ds_load_b128 v[8:11], v28
	ds_load_b128 v[12:15], v28 offset:1024
	s_mov_b32 s4, s37
	s_wait_dscnt 0x0
	v_add_f64_e32 v[23:24], v[8:9], v[12:13]
	v_add_f64_e32 v[25:26], v[10:11], v[14:15]
	ds_load_b128 v[8:11], v28 offset:2048
	ds_load_b128 v[12:15], v28 offset:3072
	s_wait_dscnt 0x1
	v_add_f64_e32 v[8:9], v[23:24], v[8:9]
	v_add_f64_e32 v[10:11], v[25:26], v[10:11]
	s_wait_dscnt 0x0
	s_delay_alu instid0(VALU_DEP_2) | instskip(NEXT) | instid1(VALU_DEP_2)
	v_add_f64_e32 v[12:13], v[8:9], v[12:13]
	v_add_f64_e32 v[14:15], v[10:11], v[14:15]
                                        ; implicit-def: $vgpr10_vgpr11
	ds_store_b128 v28, v[12:15]
	s_and_saveexec_b32 s39, s2
	s_cbranch_execz .LBB338_36
; %bb.33:                               ;   in Loop: Header=BB338_4 Depth=1
	v_mul_f64_e32 v[8:9], v[6:7], v[14:15]
	v_mul_f64_e32 v[10:11], v[4:5], v[14:15]
	v_cmp_neq_f64_e32 vcc_lo, 0, v[0:1]
	v_cmp_neq_f64_e64 s4, 0, v[2:3]
	s_delay_alu instid0(VALU_DEP_4) | instskip(NEXT) | instid1(VALU_DEP_4)
	v_fma_f64 v[8:9], v[4:5], v[12:13], -v[8:9]
	v_fma_f64 v[10:11], v[6:7], v[12:13], v[10:11]
	s_wait_alu 0xfffe
	s_or_b32 s4, vcc_lo, s4
	s_wait_alu 0xfffe
	s_and_not1_b32 vcc_lo, exec_lo, s4
	s_wait_alu 0xfffe
	s_cbranch_vccnz .LBB338_35
; %bb.34:                               ;   in Loop: Header=BB338_4 Depth=1
	v_lshlrev_b64_e32 v[4:5], 4, v[19:20]
	s_delay_alu instid0(VALU_DEP_1) | instskip(SKIP_1) | instid1(VALU_DEP_2)
	v_add_co_u32 v4, vcc_lo, v32, v4
	s_wait_alu 0xfffd
	v_add_co_ci_u32_e64 v5, null, v33, v5, vcc_lo
	flat_load_b128 v[4:7], v[4:5]
	s_wait_loadcnt_dscnt 0x0
	v_mul_f64_e32 v[12:13], v[2:3], v[6:7]
	v_mul_f64_e32 v[6:7], v[0:1], v[6:7]
	s_delay_alu instid0(VALU_DEP_2) | instskip(NEXT) | instid1(VALU_DEP_2)
	v_fma_f64 v[0:1], v[0:1], v[4:5], -v[12:13]
	v_fma_f64 v[2:3], v[2:3], v[4:5], v[6:7]
	s_delay_alu instid0(VALU_DEP_2) | instskip(NEXT) | instid1(VALU_DEP_2)
	v_add_f64_e32 v[8:9], v[8:9], v[0:1]
	v_add_f64_e32 v[10:11], v[10:11], v[2:3]
.LBB338_35:                             ;   in Loop: Header=BB338_4 Depth=1
	s_or_b32 s4, s37, exec_lo
.LBB338_36:                             ;   in Loop: Header=BB338_4 Depth=1
	s_or_b32 exec_lo, exec_lo, s39
	s_delay_alu instid0(SALU_CYCLE_1)
	s_and_not1_b32 s37, s37, exec_lo
	s_wait_alu 0xfffe
	s_and_b32 s4, s4, exec_lo
	s_wait_alu 0xfffe
	s_or_b32 s37, s37, s4
.LBB338_37:                             ;   in Loop: Header=BB338_4 Depth=1
	s_or_b32 exec_lo, exec_lo, s38
	v_dual_mov_b32 v0, v19 :: v_dual_mov_b32 v1, v20
	s_wait_alu 0xfffe
	s_and_saveexec_b32 s4, s37
	s_cbranch_execz .LBB338_2
.LBB338_38:                             ;   in Loop: Header=BB338_4 Depth=1
	s_delay_alu instid0(VALU_DEP_1) | instskip(NEXT) | instid1(VALU_DEP_1)
	v_lshlrev_b64_e32 v[0:1], 4, v[0:1]
	v_add_co_u32 v0, vcc_lo, v32, v0
	s_wait_alu 0xfffd
	s_delay_alu instid0(VALU_DEP_2)
	v_add_co_ci_u32_e64 v1, null, v33, v1, vcc_lo
	flat_store_b128 v[0:1], v[8:11]
	s_branch .LBB338_2
.LBB338_39:
	s_endpgm
	.section	.rodata,"a",@progbits
	.p2align	6, 0x0
	.amdhsa_kernel _ZL20rocblas_gemvn_kernelILi64ELi4EiPK19rocblas_complex_numIdES3_KPS1_EviiT3_lPKT2_lT1_lS9_lSA_lS6_lPT4_lSA_li
		.amdhsa_group_segment_fixed_size 4096
		.amdhsa_private_segment_fixed_size 0
		.amdhsa_kernarg_size 400
		.amdhsa_user_sgpr_count 2
		.amdhsa_user_sgpr_dispatch_ptr 0
		.amdhsa_user_sgpr_queue_ptr 0
		.amdhsa_user_sgpr_kernarg_segment_ptr 1
		.amdhsa_user_sgpr_dispatch_id 0
		.amdhsa_user_sgpr_private_segment_size 0
		.amdhsa_wavefront_size32 1
		.amdhsa_uses_dynamic_stack 0
		.amdhsa_enable_private_segment 0
		.amdhsa_system_sgpr_workgroup_id_x 1
		.amdhsa_system_sgpr_workgroup_id_y 0
		.amdhsa_system_sgpr_workgroup_id_z 1
		.amdhsa_system_sgpr_workgroup_info 0
		.amdhsa_system_vgpr_workitem_id 1
		.amdhsa_next_free_vgpr 45
		.amdhsa_next_free_sgpr 40
		.amdhsa_reserve_vcc 1
		.amdhsa_float_round_mode_32 0
		.amdhsa_float_round_mode_16_64 0
		.amdhsa_float_denorm_mode_32 3
		.amdhsa_float_denorm_mode_16_64 3
		.amdhsa_fp16_overflow 0
		.amdhsa_workgroup_processor_mode 1
		.amdhsa_memory_ordered 1
		.amdhsa_forward_progress 1
		.amdhsa_inst_pref_size 15
		.amdhsa_round_robin_scheduling 0
		.amdhsa_exception_fp_ieee_invalid_op 0
		.amdhsa_exception_fp_denorm_src 0
		.amdhsa_exception_fp_ieee_div_zero 0
		.amdhsa_exception_fp_ieee_overflow 0
		.amdhsa_exception_fp_ieee_underflow 0
		.amdhsa_exception_fp_ieee_inexact 0
		.amdhsa_exception_int_div_zero 0
	.end_amdhsa_kernel
	.section	.text._ZL20rocblas_gemvn_kernelILi64ELi4EiPK19rocblas_complex_numIdES3_KPS1_EviiT3_lPKT2_lT1_lS9_lSA_lS6_lPT4_lSA_li,"axG",@progbits,_ZL20rocblas_gemvn_kernelILi64ELi4EiPK19rocblas_complex_numIdES3_KPS1_EviiT3_lPKT2_lT1_lS9_lSA_lS6_lPT4_lSA_li,comdat
.Lfunc_end338:
	.size	_ZL20rocblas_gemvn_kernelILi64ELi4EiPK19rocblas_complex_numIdES3_KPS1_EviiT3_lPKT2_lT1_lS9_lSA_lS6_lPT4_lSA_li, .Lfunc_end338-_ZL20rocblas_gemvn_kernelILi64ELi4EiPK19rocblas_complex_numIdES3_KPS1_EviiT3_lPKT2_lT1_lS9_lSA_lS6_lPT4_lSA_li
                                        ; -- End function
	.set _ZL20rocblas_gemvn_kernelILi64ELi4EiPK19rocblas_complex_numIdES3_KPS1_EviiT3_lPKT2_lT1_lS9_lSA_lS6_lPT4_lSA_li.num_vgpr, 45
	.set _ZL20rocblas_gemvn_kernelILi64ELi4EiPK19rocblas_complex_numIdES3_KPS1_EviiT3_lPKT2_lT1_lS9_lSA_lS6_lPT4_lSA_li.num_agpr, 0
	.set _ZL20rocblas_gemvn_kernelILi64ELi4EiPK19rocblas_complex_numIdES3_KPS1_EviiT3_lPKT2_lT1_lS9_lSA_lS6_lPT4_lSA_li.numbered_sgpr, 40
	.set _ZL20rocblas_gemvn_kernelILi64ELi4EiPK19rocblas_complex_numIdES3_KPS1_EviiT3_lPKT2_lT1_lS9_lSA_lS6_lPT4_lSA_li.num_named_barrier, 0
	.set _ZL20rocblas_gemvn_kernelILi64ELi4EiPK19rocblas_complex_numIdES3_KPS1_EviiT3_lPKT2_lT1_lS9_lSA_lS6_lPT4_lSA_li.private_seg_size, 0
	.set _ZL20rocblas_gemvn_kernelILi64ELi4EiPK19rocblas_complex_numIdES3_KPS1_EviiT3_lPKT2_lT1_lS9_lSA_lS6_lPT4_lSA_li.uses_vcc, 1
	.set _ZL20rocblas_gemvn_kernelILi64ELi4EiPK19rocblas_complex_numIdES3_KPS1_EviiT3_lPKT2_lT1_lS9_lSA_lS6_lPT4_lSA_li.uses_flat_scratch, 0
	.set _ZL20rocblas_gemvn_kernelILi64ELi4EiPK19rocblas_complex_numIdES3_KPS1_EviiT3_lPKT2_lT1_lS9_lSA_lS6_lPT4_lSA_li.has_dyn_sized_stack, 0
	.set _ZL20rocblas_gemvn_kernelILi64ELi4EiPK19rocblas_complex_numIdES3_KPS1_EviiT3_lPKT2_lT1_lS9_lSA_lS6_lPT4_lSA_li.has_recursion, 0
	.set _ZL20rocblas_gemvn_kernelILi64ELi4EiPK19rocblas_complex_numIdES3_KPS1_EviiT3_lPKT2_lT1_lS9_lSA_lS6_lPT4_lSA_li.has_indirect_call, 0
	.section	.AMDGPU.csdata,"",@progbits
; Kernel info:
; codeLenInByte = 1888
; TotalNumSgprs: 42
; NumVgprs: 45
; ScratchSize: 0
; MemoryBound: 1
; FloatMode: 240
; IeeeMode: 1
; LDSByteSize: 4096 bytes/workgroup (compile time only)
; SGPRBlocks: 0
; VGPRBlocks: 5
; NumSGPRsForWavesPerEU: 42
; NumVGPRsForWavesPerEU: 45
; Occupancy: 16
; WaveLimiterHint : 1
; COMPUTE_PGM_RSRC2:SCRATCH_EN: 0
; COMPUTE_PGM_RSRC2:USER_SGPR: 2
; COMPUTE_PGM_RSRC2:TRAP_HANDLER: 0
; COMPUTE_PGM_RSRC2:TGID_X_EN: 1
; COMPUTE_PGM_RSRC2:TGID_Y_EN: 0
; COMPUTE_PGM_RSRC2:TGID_Z_EN: 1
; COMPUTE_PGM_RSRC2:TIDIG_COMP_CNT: 1
	.section	.text._ZL20rocblas_gemvn_kernelILi64ELi4ElPK19rocblas_complex_numIdES3_KPS1_EviiT3_lPKT2_lT1_lS9_lSA_lS6_lPT4_lSA_li,"axG",@progbits,_ZL20rocblas_gemvn_kernelILi64ELi4ElPK19rocblas_complex_numIdES3_KPS1_EviiT3_lPKT2_lT1_lS9_lSA_lS6_lPT4_lSA_li,comdat
	.globl	_ZL20rocblas_gemvn_kernelILi64ELi4ElPK19rocblas_complex_numIdES3_KPS1_EviiT3_lPKT2_lT1_lS9_lSA_lS6_lPT4_lSA_li ; -- Begin function _ZL20rocblas_gemvn_kernelILi64ELi4ElPK19rocblas_complex_numIdES3_KPS1_EviiT3_lPKT2_lT1_lS9_lSA_lS6_lPT4_lSA_li
	.p2align	8
	.type	_ZL20rocblas_gemvn_kernelILi64ELi4ElPK19rocblas_complex_numIdES3_KPS1_EviiT3_lPKT2_lT1_lS9_lSA_lS6_lPT4_lSA_li,@function
_ZL20rocblas_gemvn_kernelILi64ELi4ElPK19rocblas_complex_numIdES3_KPS1_EviiT3_lPKT2_lT1_lS9_lSA_lS6_lPT4_lSA_li: ; @_ZL20rocblas_gemvn_kernelILi64ELi4ElPK19rocblas_complex_numIdES3_KPS1_EviiT3_lPKT2_lT1_lS9_lSA_lS6_lPT4_lSA_li
; %bb.0:
	s_clause 0x1
	s_load_b64 s[2:3], s[0:1], 0x9c
	s_load_b32 s33, s[0:1], 0x88
	s_lshr_b32 s6, ttmp7, 16
	s_wait_kmcnt 0x0
	s_lshr_b32 s4, s2, 16
	s_and_b32 s2, s2, 0xffff
	s_and_b32 s3, s3, 0xffff
	s_mul_i32 s4, s4, s2
	s_delay_alu instid0(SALU_CYCLE_1) | instskip(NEXT) | instid1(SALU_CYCLE_1)
	s_mul_i32 s4, s4, s3
	s_cmp_lg_u32 s4, 0x100
	s_cselect_b32 s3, -1, 0
	s_cmp_ge_u32 s6, s33
	s_cselect_b32 s4, -1, 0
	s_delay_alu instid0(SALU_CYCLE_1) | instskip(NEXT) | instid1(SALU_CYCLE_1)
	s_or_b32 s3, s3, s4
	s_and_b32 vcc_lo, exec_lo, s3
	s_cbranch_vccnz .LBB339_39
; %bb.1:
	s_clause 0x1
	s_load_b64 s[4:5], s[0:1], 0x0
	s_load_b64 s[34:35], s[0:1], 0x78
	v_dual_mov_b32 v16, 0 :: v_dual_and_b32 v1, 0x3ff, v0
	v_bfe_u32 v0, v0, 10, 10
	s_clause 0x1
	s_load_b64 s[28:29], s[0:1], 0x48
	s_load_b64 s[30:31], s[0:1], 0x28
	s_lshl_b32 s36, ttmp9, 6
	s_clause 0x2
	s_load_b256 s[8:15], s[0:1], 0x8
	s_load_b128 s[24:27], s[0:1], 0x38
	s_load_b256 s[16:23], s[0:1], 0x58
	v_mad_u32_u24 v10, v0, s2, v1
	s_mov_b32 s7, 0
	s_delay_alu instid0(VALU_DEP_1)
	v_add_nc_u32_e32 v15, s36, v10
	v_lshrrev_b32_e32 v31, 6, v10
	v_and_or_b32 v0, v10, 63, s36
	s_wait_kmcnt 0x0
	s_ashr_i32 s1, s5, 31
	v_mad_co_u64_u32 v[17:18], null, s34, v15, 0
	s_lshr_b32 s1, s1, 30
	v_mad_co_u64_u32 v[2:3], null, s28, v31, 0
	v_mad_co_u64_u32 v[4:5], null, s30, v31, 0
	v_ashrrev_i32_e32 v1, 31, v0
	v_mov_b32_e32 v6, v18
	s_add_co_i32 s1, s5, s1
	s_ashr_i32 s3, s4, 31
	s_mov_b32 s2, s4
	s_and_b32 s38, s1, -4
	v_mad_co_u64_u32 v[6:7], null, s35, v15, v[6:7]
	s_wait_alu 0xfffe
	v_cmp_gt_i64_e32 vcc_lo, s[2:3], v[15:16]
	s_sub_co_i32 s2, s5, s38
	v_lshlrev_b64_e32 v[21:22], 4, v[0:1]
	s_wait_alu 0xfffe
	s_cmp_gt_i32 s2, 0
	v_cmp_gt_u32_e64 s2, 64, v10
	v_cmp_gt_i32_e64 s0, s4, v0
	v_mad_co_u64_u32 v[7:8], null, s31, v31, v[5:6]
	v_mad_co_u64_u32 v[8:9], null, s29, v31, v[3:4]
	v_mov_b32_e32 v18, v6
	v_or_b32_e32 v6, s36, v10
	v_lshlrev_b32_e32 v32, 4, v10
	s_cselect_b32 s39, -1, 0
	v_mov_b32_e32 v5, v7
	s_and_b32 s40, s2, vcc_lo
	v_mov_b32_e32 v3, v8
	v_mul_lo_u32 v9, s35, v6
	v_mad_co_u64_u32 v[19:20], null, s34, v6, 0
	v_lshlrev_b64_e32 v[4:5], 4, v[4:5]
	s_delay_alu instid0(VALU_DEP_4)
	v_lshlrev_b64_e32 v[23:24], 4, v[2:3]
	s_ashr_i32 s3, s36, 31
	v_lshlrev_b64_e32 v[25:26], 4, v[17:18]
	s_wait_alu 0xfffe
	s_mul_i32 s34, s34, s3
	v_cmp_gt_i32_e64 s1, s38, v31
	v_add_co_u32 v0, vcc_lo, v4, v21
	v_cmp_gt_i32_e64 s3, s4, v6
	s_wait_alu 0xfffe
	v_add3_u32 v20, v20, s34, v9
	v_or_b32_e32 v23, 8, v23
	v_add_co_ci_u32_e64 v33, null, v5, v22, vcc_lo
	v_or_b32_e32 v34, 8, v0
	s_lshl_b64 s[34:35], s[28:29], 6
	s_lshl_b64 s[36:37], s[30:31], 6
	;; [unrolled: 1-line block ×5, first 2 shown]
	s_branch .LBB339_4
.LBB339_2:                              ;   in Loop: Header=BB339_4 Depth=1
	s_wait_alu 0xfffe
	s_or_b32 exec_lo, exec_lo, s4
.LBB339_3:                              ;   in Loop: Header=BB339_4 Depth=1
	s_add_co_i32 s6, s6, 0x10000
	s_delay_alu instid0(SALU_CYCLE_1)
	s_cmp_lt_u32 s6, s33
	s_cbranch_scc0 .LBB339_39
.LBB339_4:                              ; =>This Loop Header: Depth=1
                                        ;     Child Loop BB339_20 Depth 2
	s_mul_u64 s[42:43], s[10:11], s[6:7]
	s_delay_alu instid0(SALU_CYCLE_1) | instskip(NEXT) | instid1(SALU_CYCLE_1)
	s_lshl_b64 s[42:43], s[42:43], 4
	s_add_nc_u64 s[42:43], s[8:9], s[42:43]
	global_load_b128 v[4:7], v16, s[42:43]
	s_mul_u64 s[42:43], s[18:19], s[6:7]
	s_delay_alu instid0(SALU_CYCLE_1) | instskip(NEXT) | instid1(SALU_CYCLE_1)
	s_lshl_b64 s[42:43], s[42:43], 4
	s_add_nc_u64 s[42:43], s[16:17], s[42:43]
	s_wait_loadcnt 0x1
	global_load_b128 v[0:3], v16, s[42:43]
	s_mov_b32 s42, -1
	s_wait_loadcnt 0x1
	v_cmp_neq_f64_e32 vcc_lo, 0, v[4:5]
	v_cmp_neq_f64_e64 s4, 0, v[6:7]
	s_or_b32 s41, vcc_lo, s4
	s_mov_b32 s4, s7
	s_and_b32 vcc_lo, exec_lo, s41
	s_wait_alu 0xfffe
	s_cbranch_vccz .LBB339_7
; %bb.5:                                ;   in Loop: Header=BB339_4 Depth=1
	v_mov_b32_e32 v27, 0
	v_mov_b32_e32 v28, 0
	s_and_not1_b32 vcc_lo, exec_lo, s42
	s_wait_alu 0xfffe
	s_cbranch_vccz .LBB339_8
.LBB339_6:                              ;   in Loop: Header=BB339_4 Depth=1
	s_wait_alu 0xfffe
	s_and_not1_b32 vcc_lo, exec_lo, s4
	s_wait_alu 0xfffe
	s_cbranch_vccnz .LBB339_3
	s_branch .LBB339_9
.LBB339_7:                              ;   in Loop: Header=BB339_4 Depth=1
	s_wait_loadcnt 0x0
	v_cmp_neq_f64_e32 vcc_lo, 1.0, v[0:1]
	v_cmp_neq_f64_e64 s4, 0, v[2:3]
	s_or_b32 s4, vcc_lo, s4
	v_mov_b32_e32 v27, 0
	v_mov_b32_e32 v28, 0
	s_cbranch_execnz .LBB339_6
.LBB339_8:                              ;   in Loop: Header=BB339_4 Depth=1
	s_lshl_b64 s[42:43], s[6:7], 3
	s_delay_alu instid0(SALU_CYCLE_1)
	s_add_nc_u64 s[42:43], s[12:13], s[42:43]
	global_load_b64 v[8:9], v16, s[42:43]
	s_wait_loadcnt 0x0
	v_add_co_u32 v27, vcc_lo, v8, s14
	s_wait_alu 0xfffd
	v_add_co_ci_u32_e64 v28, null, s15, v9, vcc_lo
.LBB339_9:                              ;   in Loop: Header=BB339_4 Depth=1
	v_mov_b32_e32 v29, 0
	v_mov_b32_e32 v30, 0
	s_and_not1_b32 vcc_lo, exec_lo, s41
	s_wait_alu 0xfffe
	s_cbranch_vccnz .LBB339_11
; %bb.10:                               ;   in Loop: Header=BB339_4 Depth=1
	s_lshl_b64 s[42:43], s[6:7], 3
	s_delay_alu instid0(SALU_CYCLE_1)
	s_add_nc_u64 s[42:43], s[24:25], s[42:43]
	global_load_b64 v[8:9], v16, s[42:43]
	s_wait_loadcnt 0x0
	v_add_co_u32 v29, vcc_lo, v8, s26
	s_wait_alu 0xfffd
	v_add_co_ci_u32_e64 v30, null, s27, v9, vcc_lo
.LBB339_11:                             ;   in Loop: Header=BB339_4 Depth=1
	s_lshl_b64 s[42:43], s[6:7], 3
	s_xor_b32 s4, s41, -1
	s_add_nc_u64 s[42:43], s[20:21], s[42:43]
	global_load_b64 v[8:9], v16, s[42:43]
	s_wait_loadcnt 0x0
	v_add_co_u32 v35, vcc_lo, v8, s22
	s_wait_alu 0xfffd
	v_add_co_ci_u32_e64 v36, null, s23, v9, vcc_lo
	s_wait_alu 0xfffe
	s_and_not1_b32 vcc_lo, exec_lo, s4
	s_wait_alu 0xfffe
	s_cbranch_vccnz .LBB339_16
; %bb.12:                               ;   in Loop: Header=BB339_4 Depth=1
	s_mov_b32 s42, 0
	s_mov_b32 s41, 0
                                        ; implicit-def: $vgpr10_vgpr11
	s_and_saveexec_b32 s43, s40
	s_cbranch_execz .LBB339_22
; %bb.13:                               ;   in Loop: Header=BB339_4 Depth=1
	v_cmp_neq_f64_e32 vcc_lo, 0, v[0:1]
	v_cmp_neq_f64_e64 s4, 0, v[2:3]
	v_mov_b32_e32 v10, 0
	v_dual_mov_b32 v11, 0 :: v_dual_mov_b32 v8, 0
	v_mov_b32_e32 v9, 0
	s_or_b32 s4, vcc_lo, s4
	s_wait_alu 0xfffe
	s_and_not1_b32 vcc_lo, exec_lo, s4
	s_wait_alu 0xfffe
	s_cbranch_vccnz .LBB339_15
; %bb.14:                               ;   in Loop: Header=BB339_4 Depth=1
	v_add_co_u32 v8, vcc_lo, v35, v25
	s_wait_alu 0xfffd
	v_add_co_ci_u32_e64 v9, null, v36, v26, vcc_lo
	flat_load_b128 v[10:13], v[8:9]
	s_wait_loadcnt_dscnt 0x0
	v_mul_f64_e32 v[8:9], v[2:3], v[12:13]
	v_mul_f64_e32 v[12:13], v[0:1], v[12:13]
	s_delay_alu instid0(VALU_DEP_2) | instskip(NEXT) | instid1(VALU_DEP_2)
	v_fma_f64 v[8:9], v[0:1], v[10:11], -v[8:9]
	v_fma_f64 v[10:11], v[2:3], v[10:11], v[12:13]
.LBB339_15:                             ;   in Loop: Header=BB339_4 Depth=1
	s_mov_b32 s41, exec_lo
	s_or_b32 exec_lo, exec_lo, s43
	s_delay_alu instid0(SALU_CYCLE_1)
	s_and_b32 vcc_lo, exec_lo, s42
	s_wait_alu 0xfffe
	s_cbranch_vccnz .LBB339_17
	s_branch .LBB339_23
.LBB339_16:                             ;   in Loop: Header=BB339_4 Depth=1
	s_mov_b32 s41, 0
                                        ; implicit-def: $vgpr10_vgpr11
	s_cbranch_execz .LBB339_23
.LBB339_17:                             ;   in Loop: Header=BB339_4 Depth=1
	v_mov_b32_e32 v10, 0
	v_dual_mov_b32 v11, 0 :: v_dual_mov_b32 v8, 0
	v_mov_b32_e32 v9, 0
	v_mov_b32_e32 v37, v31
	s_and_saveexec_b32 s42, s1
	s_cbranch_execz .LBB339_25
; %bb.18:                               ;   in Loop: Header=BB339_4 Depth=1
	v_dual_mov_b32 v10, 0 :: v_dual_mov_b32 v37, v31
	v_mov_b32_e32 v11, 0
	v_add_co_u32 v12, vcc_lo, v29, v23
	s_wait_alu 0xfffd
	v_add_co_ci_u32_e64 v13, null, v30, v24, vcc_lo
	v_add_co_u32 v14, vcc_lo, v27, v34
	s_wait_alu 0xfffd
	v_add_co_ci_u32_e64 v15, null, v28, v33, vcc_lo
	v_dual_mov_b32 v8, v10 :: v_dual_mov_b32 v9, v11
	s_mov_b32 s43, 0
	s_branch .LBB339_20
.LBB339_19:                             ;   in Loop: Header=BB339_20 Depth=2
	s_wait_alu 0xfffe
	s_or_b32 exec_lo, exec_lo, s4
	v_add_nc_u32_e32 v37, 4, v37
	v_add_co_u32 v12, vcc_lo, v12, s34
	s_wait_alu 0xfffd
	v_add_co_ci_u32_e64 v13, null, s35, v13, vcc_lo
	s_delay_alu instid0(VALU_DEP_3) | instskip(SKIP_4) | instid1(SALU_CYCLE_1)
	v_cmp_le_i32_e32 vcc_lo, s38, v37
	v_add_co_u32 v14, s4, v14, s36
	s_wait_alu 0xf1ff
	v_add_co_ci_u32_e64 v15, null, s37, v15, s4
	s_or_b32 s43, vcc_lo, s43
	s_and_not1_b32 exec_lo, exec_lo, s43
	s_cbranch_execz .LBB339_24
.LBB339_20:                             ;   Parent Loop BB339_4 Depth=1
                                        ; =>  This Inner Loop Header: Depth=2
	s_and_saveexec_b32 s4, s0
	s_cbranch_execz .LBB339_19
; %bb.21:                               ;   in Loop: Header=BB339_20 Depth=2
	flat_load_b128 v[38:41], v[12:13] offset:-8
	flat_load_b128 v[42:45], v[14:15] offset:-8
	s_wait_loadcnt_dscnt 0x0
	v_mul_f64_e32 v[46:47], v[40:41], v[44:45]
	v_mul_f64_e32 v[44:45], v[38:39], v[44:45]
	s_delay_alu instid0(VALU_DEP_2) | instskip(NEXT) | instid1(VALU_DEP_2)
	v_fma_f64 v[38:39], v[38:39], v[42:43], -v[46:47]
	v_fma_f64 v[40:41], v[40:41], v[42:43], v[44:45]
	s_delay_alu instid0(VALU_DEP_2) | instskip(NEXT) | instid1(VALU_DEP_2)
	v_add_f64_e32 v[8:9], v[8:9], v[38:39]
	v_add_f64_e32 v[10:11], v[10:11], v[40:41]
	s_branch .LBB339_19
.LBB339_22:                             ;   in Loop: Header=BB339_4 Depth=1
	s_or_b32 exec_lo, exec_lo, s43
	s_delay_alu instid0(SALU_CYCLE_1)
	s_and_b32 vcc_lo, exec_lo, s42
	s_wait_alu 0xfffe
	s_cbranch_vccnz .LBB339_17
.LBB339_23:                             ;   in Loop: Header=BB339_4 Depth=1
	v_dual_mov_b32 v0, v17 :: v_dual_mov_b32 v1, v18
	s_and_saveexec_b32 s4, s41
	s_cbranch_execz .LBB339_2
	s_branch .LBB339_38
.LBB339_24:                             ;   in Loop: Header=BB339_4 Depth=1
	s_or_b32 exec_lo, exec_lo, s43
.LBB339_25:                             ;   in Loop: Header=BB339_4 Depth=1
	s_delay_alu instid0(SALU_CYCLE_1) | instskip(NEXT) | instid1(SALU_CYCLE_1)
	s_or_b32 exec_lo, exec_lo, s42
	s_and_not1_b32 vcc_lo, exec_lo, s39
	s_wait_alu 0xfffe
	s_cbranch_vccnz .LBB339_31
; %bb.26:                               ;   in Loop: Header=BB339_4 Depth=1
	v_mov_b32_e32 v12, 0
	v_dual_mov_b32 v13, 0 :: v_dual_mov_b32 v14, 0
	v_mov_b32_e32 v15, 0
	v_cmp_gt_i32_e32 vcc_lo, s5, v37
	s_and_saveexec_b32 s42, vcc_lo
	s_cbranch_execz .LBB339_28
; %bb.27:                               ;   in Loop: Header=BB339_4 Depth=1
	v_mad_co_u64_u32 v[12:13], null, s28, v37, 0
	s_delay_alu instid0(VALU_DEP_1) | instskip(NEXT) | instid1(VALU_DEP_1)
	v_mad_co_u64_u32 v[13:14], null, s29, v37, v[13:14]
	v_lshlrev_b64_e32 v[12:13], 4, v[12:13]
	s_delay_alu instid0(VALU_DEP_1) | instskip(SKIP_1) | instid1(VALU_DEP_2)
	v_add_co_u32 v12, s4, v29, v12
	s_wait_alu 0xf1ff
	v_add_co_ci_u32_e64 v13, null, v30, v13, s4
	flat_load_b128 v[12:15], v[12:13]
.LBB339_28:                             ;   in Loop: Header=BB339_4 Depth=1
	s_or_b32 exec_lo, exec_lo, s42
	s_and_saveexec_b32 s4, s0
	s_cbranch_execz .LBB339_30
; %bb.29:                               ;   in Loop: Header=BB339_4 Depth=1
	v_mad_co_u64_u32 v[29:30], null, s30, v37, 0
	s_delay_alu instid0(VALU_DEP_1) | instskip(NEXT) | instid1(VALU_DEP_2)
	v_mad_co_u64_u32 v[37:38], null, s31, v37, v[30:31]
	v_cndmask_b32_e32 v29, 0, v29, vcc_lo
	s_delay_alu instid0(VALU_DEP_2) | instskip(NEXT) | instid1(VALU_DEP_1)
	v_cndmask_b32_e32 v30, 0, v37, vcc_lo
	v_lshlrev_b64_e32 v[29:30], 4, v[29:30]
	s_delay_alu instid0(VALU_DEP_1) | instskip(SKIP_1) | instid1(VALU_DEP_2)
	v_add_co_u32 v27, vcc_lo, v27, v29
	s_wait_alu 0xfffd
	v_add_co_ci_u32_e64 v28, null, v28, v30, vcc_lo
	s_delay_alu instid0(VALU_DEP_2) | instskip(SKIP_1) | instid1(VALU_DEP_2)
	v_add_co_u32 v27, vcc_lo, v27, v21
	s_wait_alu 0xfffd
	v_add_co_ci_u32_e64 v28, null, v28, v22, vcc_lo
	flat_load_b128 v[27:30], v[27:28]
	s_wait_loadcnt_dscnt 0x0
	v_mul_f64_e32 v[37:38], v[14:15], v[29:30]
	v_mul_f64_e32 v[29:30], v[12:13], v[29:30]
	s_delay_alu instid0(VALU_DEP_2) | instskip(NEXT) | instid1(VALU_DEP_2)
	v_fma_f64 v[12:13], v[12:13], v[27:28], -v[37:38]
	v_fma_f64 v[14:15], v[14:15], v[27:28], v[29:30]
	s_delay_alu instid0(VALU_DEP_2) | instskip(NEXT) | instid1(VALU_DEP_2)
	v_add_f64_e32 v[8:9], v[8:9], v[12:13]
	v_add_f64_e32 v[10:11], v[10:11], v[14:15]
.LBB339_30:                             ;   in Loop: Header=BB339_4 Depth=1
	s_wait_alu 0xfffe
	s_or_b32 exec_lo, exec_lo, s4
.LBB339_31:                             ;   in Loop: Header=BB339_4 Depth=1
	ds_store_b128 v32, v[8:11]
	s_wait_loadcnt_dscnt 0x0
	s_barrier_signal -1
	s_barrier_wait -1
	global_inv scope:SCOPE_SE
                                        ; implicit-def: $vgpr10_vgpr11
	s_and_saveexec_b32 s42, s2
	s_cbranch_execz .LBB339_37
; %bb.32:                               ;   in Loop: Header=BB339_4 Depth=1
	ds_load_b128 v[8:11], v32
	ds_load_b128 v[12:15], v32 offset:1024
	s_mov_b32 s4, s41
	s_wait_dscnt 0x0
	v_add_f64_e32 v[27:28], v[8:9], v[12:13]
	v_add_f64_e32 v[29:30], v[10:11], v[14:15]
	ds_load_b128 v[8:11], v32 offset:2048
	ds_load_b128 v[12:15], v32 offset:3072
	s_wait_dscnt 0x1
	v_add_f64_e32 v[8:9], v[27:28], v[8:9]
	v_add_f64_e32 v[10:11], v[29:30], v[10:11]
	s_wait_dscnt 0x0
	s_delay_alu instid0(VALU_DEP_2) | instskip(NEXT) | instid1(VALU_DEP_2)
	v_add_f64_e32 v[12:13], v[8:9], v[12:13]
	v_add_f64_e32 v[14:15], v[10:11], v[14:15]
                                        ; implicit-def: $vgpr10_vgpr11
	ds_store_b128 v32, v[12:15]
	s_and_saveexec_b32 s43, s3
	s_cbranch_execz .LBB339_36
; %bb.33:                               ;   in Loop: Header=BB339_4 Depth=1
	v_mul_f64_e32 v[8:9], v[6:7], v[14:15]
	v_mul_f64_e32 v[10:11], v[4:5], v[14:15]
	v_cmp_neq_f64_e32 vcc_lo, 0, v[0:1]
	v_cmp_neq_f64_e64 s4, 0, v[2:3]
	s_delay_alu instid0(VALU_DEP_4) | instskip(NEXT) | instid1(VALU_DEP_4)
	v_fma_f64 v[8:9], v[4:5], v[12:13], -v[8:9]
	v_fma_f64 v[10:11], v[6:7], v[12:13], v[10:11]
	s_wait_alu 0xfffe
	s_or_b32 s4, vcc_lo, s4
	s_wait_alu 0xfffe
	s_and_not1_b32 vcc_lo, exec_lo, s4
	s_wait_alu 0xfffe
	s_cbranch_vccnz .LBB339_35
; %bb.34:                               ;   in Loop: Header=BB339_4 Depth=1
	v_lshlrev_b64_e32 v[4:5], 4, v[19:20]
	s_delay_alu instid0(VALU_DEP_1) | instskip(SKIP_1) | instid1(VALU_DEP_2)
	v_add_co_u32 v4, vcc_lo, v35, v4
	s_wait_alu 0xfffd
	v_add_co_ci_u32_e64 v5, null, v36, v5, vcc_lo
	flat_load_b128 v[4:7], v[4:5]
	s_wait_loadcnt_dscnt 0x0
	v_mul_f64_e32 v[12:13], v[2:3], v[6:7]
	v_mul_f64_e32 v[6:7], v[0:1], v[6:7]
	s_delay_alu instid0(VALU_DEP_2) | instskip(NEXT) | instid1(VALU_DEP_2)
	v_fma_f64 v[0:1], v[0:1], v[4:5], -v[12:13]
	v_fma_f64 v[2:3], v[2:3], v[4:5], v[6:7]
	s_delay_alu instid0(VALU_DEP_2) | instskip(NEXT) | instid1(VALU_DEP_2)
	v_add_f64_e32 v[8:9], v[8:9], v[0:1]
	v_add_f64_e32 v[10:11], v[10:11], v[2:3]
.LBB339_35:                             ;   in Loop: Header=BB339_4 Depth=1
	s_or_b32 s4, s41, exec_lo
.LBB339_36:                             ;   in Loop: Header=BB339_4 Depth=1
	s_or_b32 exec_lo, exec_lo, s43
	s_delay_alu instid0(SALU_CYCLE_1)
	s_and_not1_b32 s41, s41, exec_lo
	s_wait_alu 0xfffe
	s_and_b32 s4, s4, exec_lo
	s_wait_alu 0xfffe
	s_or_b32 s41, s41, s4
.LBB339_37:                             ;   in Loop: Header=BB339_4 Depth=1
	s_or_b32 exec_lo, exec_lo, s42
	v_dual_mov_b32 v0, v19 :: v_dual_mov_b32 v1, v20
	s_and_saveexec_b32 s4, s41
	s_cbranch_execz .LBB339_2
.LBB339_38:                             ;   in Loop: Header=BB339_4 Depth=1
	s_delay_alu instid0(VALU_DEP_1) | instskip(NEXT) | instid1(VALU_DEP_1)
	v_lshlrev_b64_e32 v[0:1], 4, v[0:1]
	v_add_co_u32 v0, vcc_lo, v35, v0
	s_wait_alu 0xfffd
	s_delay_alu instid0(VALU_DEP_2)
	v_add_co_ci_u32_e64 v1, null, v36, v1, vcc_lo
	flat_store_b128 v[0:1], v[8:11]
	s_branch .LBB339_2
.LBB339_39:
	s_endpgm
	.section	.rodata,"a",@progbits
	.p2align	6, 0x0
	.amdhsa_kernel _ZL20rocblas_gemvn_kernelILi64ELi4ElPK19rocblas_complex_numIdES3_KPS1_EviiT3_lPKT2_lT1_lS9_lSA_lS6_lPT4_lSA_li
		.amdhsa_group_segment_fixed_size 4096
		.amdhsa_private_segment_fixed_size 0
		.amdhsa_kernarg_size 400
		.amdhsa_user_sgpr_count 2
		.amdhsa_user_sgpr_dispatch_ptr 0
		.amdhsa_user_sgpr_queue_ptr 0
		.amdhsa_user_sgpr_kernarg_segment_ptr 1
		.amdhsa_user_sgpr_dispatch_id 0
		.amdhsa_user_sgpr_private_segment_size 0
		.amdhsa_wavefront_size32 1
		.amdhsa_uses_dynamic_stack 0
		.amdhsa_enable_private_segment 0
		.amdhsa_system_sgpr_workgroup_id_x 1
		.amdhsa_system_sgpr_workgroup_id_y 0
		.amdhsa_system_sgpr_workgroup_id_z 1
		.amdhsa_system_sgpr_workgroup_info 0
		.amdhsa_system_vgpr_workitem_id 1
		.amdhsa_next_free_vgpr 48
		.amdhsa_next_free_sgpr 44
		.amdhsa_reserve_vcc 1
		.amdhsa_float_round_mode_32 0
		.amdhsa_float_round_mode_16_64 0
		.amdhsa_float_denorm_mode_32 3
		.amdhsa_float_denorm_mode_16_64 3
		.amdhsa_fp16_overflow 0
		.amdhsa_workgroup_processor_mode 1
		.amdhsa_memory_ordered 1
		.amdhsa_forward_progress 1
		.amdhsa_inst_pref_size 16
		.amdhsa_round_robin_scheduling 0
		.amdhsa_exception_fp_ieee_invalid_op 0
		.amdhsa_exception_fp_denorm_src 0
		.amdhsa_exception_fp_ieee_div_zero 0
		.amdhsa_exception_fp_ieee_overflow 0
		.amdhsa_exception_fp_ieee_underflow 0
		.amdhsa_exception_fp_ieee_inexact 0
		.amdhsa_exception_int_div_zero 0
	.end_amdhsa_kernel
	.section	.text._ZL20rocblas_gemvn_kernelILi64ELi4ElPK19rocblas_complex_numIdES3_KPS1_EviiT3_lPKT2_lT1_lS9_lSA_lS6_lPT4_lSA_li,"axG",@progbits,_ZL20rocblas_gemvn_kernelILi64ELi4ElPK19rocblas_complex_numIdES3_KPS1_EviiT3_lPKT2_lT1_lS9_lSA_lS6_lPT4_lSA_li,comdat
.Lfunc_end339:
	.size	_ZL20rocblas_gemvn_kernelILi64ELi4ElPK19rocblas_complex_numIdES3_KPS1_EviiT3_lPKT2_lT1_lS9_lSA_lS6_lPT4_lSA_li, .Lfunc_end339-_ZL20rocblas_gemvn_kernelILi64ELi4ElPK19rocblas_complex_numIdES3_KPS1_EviiT3_lPKT2_lT1_lS9_lSA_lS6_lPT4_lSA_li
                                        ; -- End function
	.set _ZL20rocblas_gemvn_kernelILi64ELi4ElPK19rocblas_complex_numIdES3_KPS1_EviiT3_lPKT2_lT1_lS9_lSA_lS6_lPT4_lSA_li.num_vgpr, 48
	.set _ZL20rocblas_gemvn_kernelILi64ELi4ElPK19rocblas_complex_numIdES3_KPS1_EviiT3_lPKT2_lT1_lS9_lSA_lS6_lPT4_lSA_li.num_agpr, 0
	.set _ZL20rocblas_gemvn_kernelILi64ELi4ElPK19rocblas_complex_numIdES3_KPS1_EviiT3_lPKT2_lT1_lS9_lSA_lS6_lPT4_lSA_li.numbered_sgpr, 44
	.set _ZL20rocblas_gemvn_kernelILi64ELi4ElPK19rocblas_complex_numIdES3_KPS1_EviiT3_lPKT2_lT1_lS9_lSA_lS6_lPT4_lSA_li.num_named_barrier, 0
	.set _ZL20rocblas_gemvn_kernelILi64ELi4ElPK19rocblas_complex_numIdES3_KPS1_EviiT3_lPKT2_lT1_lS9_lSA_lS6_lPT4_lSA_li.private_seg_size, 0
	.set _ZL20rocblas_gemvn_kernelILi64ELi4ElPK19rocblas_complex_numIdES3_KPS1_EviiT3_lPKT2_lT1_lS9_lSA_lS6_lPT4_lSA_li.uses_vcc, 1
	.set _ZL20rocblas_gemvn_kernelILi64ELi4ElPK19rocblas_complex_numIdES3_KPS1_EviiT3_lPKT2_lT1_lS9_lSA_lS6_lPT4_lSA_li.uses_flat_scratch, 0
	.set _ZL20rocblas_gemvn_kernelILi64ELi4ElPK19rocblas_complex_numIdES3_KPS1_EviiT3_lPKT2_lT1_lS9_lSA_lS6_lPT4_lSA_li.has_dyn_sized_stack, 0
	.set _ZL20rocblas_gemvn_kernelILi64ELi4ElPK19rocblas_complex_numIdES3_KPS1_EviiT3_lPKT2_lT1_lS9_lSA_lS6_lPT4_lSA_li.has_recursion, 0
	.set _ZL20rocblas_gemvn_kernelILi64ELi4ElPK19rocblas_complex_numIdES3_KPS1_EviiT3_lPKT2_lT1_lS9_lSA_lS6_lPT4_lSA_li.has_indirect_call, 0
	.section	.AMDGPU.csdata,"",@progbits
; Kernel info:
; codeLenInByte = 1980
; TotalNumSgprs: 46
; NumVgprs: 48
; ScratchSize: 0
; MemoryBound: 1
; FloatMode: 240
; IeeeMode: 1
; LDSByteSize: 4096 bytes/workgroup (compile time only)
; SGPRBlocks: 0
; VGPRBlocks: 5
; NumSGPRsForWavesPerEU: 46
; NumVGPRsForWavesPerEU: 48
; Occupancy: 16
; WaveLimiterHint : 1
; COMPUTE_PGM_RSRC2:SCRATCH_EN: 0
; COMPUTE_PGM_RSRC2:USER_SGPR: 2
; COMPUTE_PGM_RSRC2:TRAP_HANDLER: 0
; COMPUTE_PGM_RSRC2:TGID_X_EN: 1
; COMPUTE_PGM_RSRC2:TGID_Y_EN: 0
; COMPUTE_PGM_RSRC2:TGID_Z_EN: 1
; COMPUTE_PGM_RSRC2:TIDIG_COMP_CNT: 1
	.section	.text._ZL20rocblas_gemvn_kernelILi64ELi4EiPK19rocblas_complex_numIdES1_KPS1_EviiT3_lPKT2_lT1_lS9_lSA_lS6_lPT4_lSA_li,"axG",@progbits,_ZL20rocblas_gemvn_kernelILi64ELi4EiPK19rocblas_complex_numIdES1_KPS1_EviiT3_lPKT2_lT1_lS9_lSA_lS6_lPT4_lSA_li,comdat
	.globl	_ZL20rocblas_gemvn_kernelILi64ELi4EiPK19rocblas_complex_numIdES1_KPS1_EviiT3_lPKT2_lT1_lS9_lSA_lS6_lPT4_lSA_li ; -- Begin function _ZL20rocblas_gemvn_kernelILi64ELi4EiPK19rocblas_complex_numIdES1_KPS1_EviiT3_lPKT2_lT1_lS9_lSA_lS6_lPT4_lSA_li
	.p2align	8
	.type	_ZL20rocblas_gemvn_kernelILi64ELi4EiPK19rocblas_complex_numIdES1_KPS1_EviiT3_lPKT2_lT1_lS9_lSA_lS6_lPT4_lSA_li,@function
_ZL20rocblas_gemvn_kernelILi64ELi4EiPK19rocblas_complex_numIdES1_KPS1_EviiT3_lPKT2_lT1_lS9_lSA_lS6_lPT4_lSA_li: ; @_ZL20rocblas_gemvn_kernelILi64ELi4EiPK19rocblas_complex_numIdES1_KPS1_EviiT3_lPKT2_lT1_lS9_lSA_lS6_lPT4_lSA_li
; %bb.0:
	s_clause 0x1
	s_load_b64 s[2:3], s[0:1], 0xac
	s_load_b32 s28, s[0:1], 0x98
	s_lshr_b32 s6, ttmp7, 16
	s_wait_kmcnt 0x0
	s_lshr_b32 s4, s2, 16
	s_and_b32 s2, s2, 0xffff
	s_and_b32 s3, s3, 0xffff
	s_mul_i32 s4, s4, s2
	s_delay_alu instid0(SALU_CYCLE_1) | instskip(NEXT) | instid1(SALU_CYCLE_1)
	s_mul_i32 s4, s4, s3
	s_cmp_lg_u32 s4, 0x100
	s_cselect_b32 s3, -1, 0
	s_cmp_ge_u32 s6, s28
	s_cselect_b32 s4, -1, 0
	s_delay_alu instid0(SALU_CYCLE_1) | instskip(NEXT) | instid1(SALU_CYCLE_1)
	s_or_b32 s3, s3, s4
	s_and_b32 vcc_lo, exec_lo, s3
	s_cbranch_vccnz .LBB340_40
; %bb.1:
	s_clause 0x2
	s_load_b128 s[8:11], s[0:1], 0x8
	s_load_b128 s[12:15], s[0:1], 0x60
	s_load_b32 s3, s[0:1], 0x88
	v_dual_mov_b32 v8, 0 :: v_dual_and_b32 v1, 0x3ff, v0
	v_bfe_u32 v0, v0, 10, 10
	s_lshl_b32 s40, ttmp9, 6
	s_clause 0x5
	s_load_b64 s[4:5], s[0:1], 0x0
	s_load_b128 s[16:19], s[0:1], 0x78
	s_load_b128 s[20:23], s[0:1], 0x20
	s_load_b32 s29, s[0:1], 0x30
	s_load_b128 s[24:27], s[0:1], 0x40
	s_load_b32 s30, s[0:1], 0x50
	s_mov_b32 s7, 0
	v_mad_u32_u24 v0, v0, s2, v1
	s_delay_alu instid0(VALU_DEP_1)
	v_add_nc_u32_e32 v7, s40, v0
	v_and_b32_e32 v2, 63, v0
	v_lshrrev_b32_e32 v19, 6, v0
	v_lshlrev_b32_e32 v20, 4, v0
	v_cmp_gt_u32_e64 s0, 64, v0
	s_wait_kmcnt 0x0
	v_cmp_neq_f64_e64 s36, s[8:9], 0
	v_cmp_neq_f64_e64 s37, s[10:11], 0
	v_cmp_neq_f64_e64 s33, s[12:13], 1.0
	v_cmp_neq_f64_e64 s38, s[14:15], 0
	v_cmp_neq_f64_e64 s39, s[12:13], 0
	v_mad_co_u64_u32 v[9:10], null, v7, s3, 0
	v_or_b32_e32 v3, s40, v0
	s_ashr_i32 s31, s3, 31
	s_ashr_i32 s41, s5, 31
	v_or_b32_e32 v21, s40, v2
	s_ashr_i32 s35, s4, 31
	v_mul_lo_u32 v11, v3, s3
	s_delay_alu instid0(VALU_DEP_4)
	v_mov_b32_e32 v0, v10
	s_wait_alu 0xfffe
	s_lshr_b32 s3, s41, 30
	s_mov_b32 s34, s4
	s_wait_alu 0xfffe
	s_add_co_i32 s3, s5, s3
	v_mul_lo_u32 v22, s30, v19
	v_mad_co_u64_u32 v[0:1], null, v7, s31, v[0:1]
	v_mul_lo_u32 v1, s29, v19
	v_cmp_gt_i64_e32 vcc_lo, s[34:35], v[7:8]
	s_wait_alu 0xfffe
	s_and_b32 s31, s3, -4
	v_cmp_gt_i32_e64 s1, s4, v21
	v_cmp_gt_i32_e64 s2, s4, v3
	s_wait_alu 0xfffe
	s_sub_co_i32 s4, s5, s31
	v_mov_b32_e32 v10, v0
	v_cmp_gt_i32_e64 s3, s31, v19
	v_ashrrev_i32_e32 v12, 31, v11
	v_add3_u32 v23, v1, s40, v2
	s_delay_alu instid0(VALU_DEP_4)
	v_lshlrev_b64_e32 v[13:14], 4, v[9:10]
	s_or_b32 s35, s36, s37
	s_or_b32 s33, s33, s38
	s_wait_alu 0xfffe
	v_cndmask_b32_e64 v24, 0, 1, s35
	s_or_b32 s34, s39, s38
	s_xor_b32 s35, s35, -1
	s_cmp_gt_i32 s4, 0
	s_cselect_b32 s36, -1, 0
	s_and_b32 s37, s0, vcc_lo
	s_lshl_b32 s38, s30, 2
	s_lshl_b32 s39, s29, 2
	s_lshl_b64 s[22:23], s[22:23], 4
	s_lshl_b64 s[26:27], s[26:27], 4
	;; [unrolled: 1-line block ×3, first 2 shown]
	s_branch .LBB340_4
.LBB340_2:                              ;   in Loop: Header=BB340_4 Depth=1
	s_wait_alu 0xfffe
	s_or_b32 exec_lo, exec_lo, s4
.LBB340_3:                              ;   in Loop: Header=BB340_4 Depth=1
	s_add_co_i32 s6, s6, 0x10000
	s_delay_alu instid0(SALU_CYCLE_1)
	s_cmp_lt_u32 s6, s28
	s_cbranch_scc0 .LBB340_40
.LBB340_4:                              ; =>This Loop Header: Depth=1
                                        ;     Child Loop BB340_21 Depth 2
	s_wait_alu 0xfffe
	s_and_not1_b32 vcc_lo, exec_lo, s35
	s_mov_b32 s4, s7
	s_mov_b32 s40, -1
	s_wait_alu 0xfffe
	s_cbranch_vccnz .LBB340_7
; %bb.5:                                ;   in Loop: Header=BB340_4 Depth=1
	s_mov_b32 s40, 0
	s_and_b32 vcc_lo, exec_lo, s33
	s_mov_b32 s4, 0
	s_wait_alu 0xfffe
	s_cbranch_vccz .LBB340_7
; %bb.6:                                ;   in Loop: Header=BB340_4 Depth=1
	s_mov_b32 s4, -1
.LBB340_7:                              ;   in Loop: Header=BB340_4 Depth=1
	v_mov_b32_e32 v15, 0
	v_mov_b32_e32 v16, 0
	s_wait_alu 0xfffe
	s_and_b32 vcc_lo, exec_lo, s40
	s_wait_alu 0xfffe
	s_cbranch_vccnz .LBB340_9
; %bb.8:                                ;   in Loop: Header=BB340_4 Depth=1
	s_and_not1_b32 vcc_lo, exec_lo, s4
	s_wait_alu 0xfffe
	s_cbranch_vccnz .LBB340_3
	s_branch .LBB340_10
.LBB340_9:                              ;   in Loop: Header=BB340_4 Depth=1
	s_lshl_b64 s[40:41], s[6:7], 3
	s_wait_alu 0xfffe
	s_add_nc_u64 s[40:41], s[20:21], s[40:41]
	global_load_b64 v[0:1], v8, s[40:41]
	s_wait_loadcnt 0x0
	v_add_co_u32 v15, vcc_lo, v0, s22
	s_wait_alu 0xfffd
	v_add_co_ci_u32_e64 v16, null, s23, v1, vcc_lo
.LBB340_10:                             ;   in Loop: Header=BB340_4 Depth=1
	v_cmp_ne_u32_e32 vcc_lo, 1, v24
	v_mov_b32_e32 v17, 0
	v_mov_b32_e32 v18, 0
	s_cbranch_vccnz .LBB340_12
; %bb.11:                               ;   in Loop: Header=BB340_4 Depth=1
	s_lshl_b64 s[40:41], s[6:7], 3
	s_wait_alu 0xfffe
	s_add_nc_u64 s[40:41], s[24:25], s[40:41]
	global_load_b64 v[0:1], v8, s[40:41]
	s_wait_loadcnt 0x0
	v_add_co_u32 v17, vcc_lo, v0, s26
	s_wait_alu 0xfffd
	v_add_co_ci_u32_e64 v18, null, s27, v1, vcc_lo
.LBB340_12:                             ;   in Loop: Header=BB340_4 Depth=1
	s_lshl_b64 s[40:41], s[6:7], 3
	s_wait_alu 0xfffe
	s_add_nc_u64 s[40:41], s[16:17], s[40:41]
	global_load_b64 v[0:1], v8, s[40:41]
	s_wait_loadcnt 0x0
	v_add_co_u32 v25, vcc_lo, v0, s18
	s_wait_alu 0xfffd
	v_add_co_ci_u32_e64 v26, null, s19, v1, vcc_lo
	s_and_not1_b32 vcc_lo, exec_lo, s35
	s_wait_alu 0xfffe
	s_cbranch_vccnz .LBB340_17
; %bb.13:                               ;   in Loop: Header=BB340_4 Depth=1
	s_mov_b32 s4, 0
	s_mov_b32 s40, 0
                                        ; implicit-def: $vgpr2_vgpr3
	s_and_saveexec_b32 s41, s37
	s_cbranch_execz .LBB340_23
; %bb.14:                               ;   in Loop: Header=BB340_4 Depth=1
	v_mov_b32_e32 v2, 0
	v_dual_mov_b32 v3, 0 :: v_dual_mov_b32 v0, 0
	v_mov_b32_e32 v1, 0
	s_and_not1_b32 vcc_lo, exec_lo, s34
	s_wait_alu 0xfffe
	s_cbranch_vccnz .LBB340_16
; %bb.15:                               ;   in Loop: Header=BB340_4 Depth=1
	v_add_co_u32 v0, vcc_lo, v25, v13
	s_wait_alu 0xfffd
	v_add_co_ci_u32_e64 v1, null, v26, v14, vcc_lo
	flat_load_b128 v[2:5], v[0:1]
	s_wait_loadcnt_dscnt 0x0
	v_mul_f64_e32 v[0:1], s[14:15], v[4:5]
	v_mul_f64_e32 v[4:5], s[12:13], v[4:5]
	s_delay_alu instid0(VALU_DEP_2) | instskip(NEXT) | instid1(VALU_DEP_2)
	v_fma_f64 v[0:1], s[12:13], v[2:3], -v[0:1]
	v_fma_f64 v[2:3], s[14:15], v[2:3], v[4:5]
.LBB340_16:                             ;   in Loop: Header=BB340_4 Depth=1
	s_mov_b32 s40, exec_lo
	s_or_b32 exec_lo, exec_lo, s41
	s_delay_alu instid0(SALU_CYCLE_1)
	s_and_b32 vcc_lo, exec_lo, s4
	s_wait_alu 0xfffe
	s_cbranch_vccnz .LBB340_18
	s_branch .LBB340_24
.LBB340_17:                             ;   in Loop: Header=BB340_4 Depth=1
	s_mov_b32 s40, 0
                                        ; implicit-def: $vgpr2_vgpr3
	s_cbranch_execz .LBB340_24
.LBB340_18:                             ;   in Loop: Header=BB340_4 Depth=1
	v_mov_b32_e32 v2, 0
	v_dual_mov_b32 v3, 0 :: v_dual_mov_b32 v0, 0
	v_mov_b32_e32 v1, 0
	v_mov_b32_e32 v27, v19
	s_and_saveexec_b32 s4, s3
	s_cbranch_execz .LBB340_26
; %bb.19:                               ;   in Loop: Header=BB340_4 Depth=1
	v_dual_mov_b32 v2, 0 :: v_dual_mov_b32 v27, v19
	v_dual_mov_b32 v3, 0 :: v_dual_mov_b32 v4, v23
	s_delay_alu instid0(VALU_DEP_2) | instskip(SKIP_2) | instid1(VALU_DEP_3)
	v_mov_b32_e32 v0, v2
	v_mov_b32_e32 v6, v22
	s_mov_b32 s41, 0
	v_mov_b32_e32 v1, v3
	s_branch .LBB340_21
.LBB340_20:                             ;   in Loop: Header=BB340_21 Depth=2
	s_or_b32 exec_lo, exec_lo, s42
	v_add_nc_u32_e32 v27, 4, v27
	v_add_nc_u32_e32 v6, s38, v6
	;; [unrolled: 1-line block ×3, first 2 shown]
	s_delay_alu instid0(VALU_DEP_3)
	v_cmp_le_i32_e32 vcc_lo, s31, v27
	s_wait_alu 0xfffe
	s_or_b32 s41, vcc_lo, s41
	s_wait_alu 0xfffe
	s_and_not1_b32 exec_lo, exec_lo, s41
	s_cbranch_execz .LBB340_25
.LBB340_21:                             ;   Parent Loop BB340_4 Depth=1
                                        ; =>  This Inner Loop Header: Depth=2
	s_and_saveexec_b32 s42, s1
	s_cbranch_execz .LBB340_20
; %bb.22:                               ;   in Loop: Header=BB340_21 Depth=2
	v_ashrrev_i32_e32 v7, 31, v6
	v_ashrrev_i32_e32 v5, 31, v4
	s_delay_alu instid0(VALU_DEP_2) | instskip(NEXT) | instid1(VALU_DEP_2)
	v_lshlrev_b64_e32 v[28:29], 4, v[6:7]
	v_lshlrev_b64_e32 v[30:31], 4, v[4:5]
	s_delay_alu instid0(VALU_DEP_2) | instskip(SKIP_1) | instid1(VALU_DEP_3)
	v_add_co_u32 v28, vcc_lo, v17, v28
	s_wait_alu 0xfffd
	v_add_co_ci_u32_e64 v29, null, v18, v29, vcc_lo
	s_delay_alu instid0(VALU_DEP_3)
	v_add_co_u32 v32, vcc_lo, v15, v30
	s_wait_alu 0xfffd
	v_add_co_ci_u32_e64 v33, null, v16, v31, vcc_lo
	flat_load_b128 v[28:31], v[28:29]
	flat_load_b128 v[32:35], v[32:33]
	s_wait_loadcnt_dscnt 0x0
	v_mul_f64_e32 v[36:37], v[30:31], v[34:35]
	v_mul_f64_e32 v[34:35], v[28:29], v[34:35]
	s_delay_alu instid0(VALU_DEP_2) | instskip(NEXT) | instid1(VALU_DEP_2)
	v_fma_f64 v[28:29], v[28:29], v[32:33], -v[36:37]
	v_fma_f64 v[30:31], v[30:31], v[32:33], v[34:35]
	s_delay_alu instid0(VALU_DEP_2) | instskip(NEXT) | instid1(VALU_DEP_2)
	v_add_f64_e32 v[0:1], v[0:1], v[28:29]
	v_add_f64_e32 v[2:3], v[2:3], v[30:31]
	s_branch .LBB340_20
.LBB340_23:                             ;   in Loop: Header=BB340_4 Depth=1
	s_wait_alu 0xfffe
	s_or_b32 exec_lo, exec_lo, s41
	s_delay_alu instid0(SALU_CYCLE_1)
	s_and_b32 vcc_lo, exec_lo, s4
	s_wait_alu 0xfffe
	s_cbranch_vccnz .LBB340_18
.LBB340_24:                             ;   in Loop: Header=BB340_4 Depth=1
	v_dual_mov_b32 v4, v9 :: v_dual_mov_b32 v5, v10
	s_wait_alu 0xfffe
	s_and_saveexec_b32 s4, s40
	s_cbranch_execz .LBB340_2
	s_branch .LBB340_39
.LBB340_25:                             ;   in Loop: Header=BB340_4 Depth=1
	s_or_b32 exec_lo, exec_lo, s41
.LBB340_26:                             ;   in Loop: Header=BB340_4 Depth=1
	s_wait_alu 0xfffe
	s_or_b32 exec_lo, exec_lo, s4
	s_delay_alu instid0(SALU_CYCLE_1)
	s_and_not1_b32 vcc_lo, exec_lo, s36
	s_wait_alu 0xfffe
	s_cbranch_vccnz .LBB340_32
; %bb.27:                               ;   in Loop: Header=BB340_4 Depth=1
	v_mov_b32_e32 v4, 0
	v_dual_mov_b32 v5, 0 :: v_dual_mov_b32 v6, 0
	v_mov_b32_e32 v7, 0
	v_cmp_gt_i32_e32 vcc_lo, s5, v27
	s_and_saveexec_b32 s41, vcc_lo
	s_cbranch_execz .LBB340_29
; %bb.28:                               ;   in Loop: Header=BB340_4 Depth=1
	v_mul_lo_u32 v4, v27, s30
	s_delay_alu instid0(VALU_DEP_1) | instskip(NEXT) | instid1(VALU_DEP_1)
	v_ashrrev_i32_e32 v5, 31, v4
	v_lshlrev_b64_e32 v[4:5], 4, v[4:5]
	s_delay_alu instid0(VALU_DEP_1) | instskip(SKIP_1) | instid1(VALU_DEP_2)
	v_add_co_u32 v4, s4, v17, v4
	s_wait_alu 0xf1ff
	v_add_co_ci_u32_e64 v5, null, v18, v5, s4
	flat_load_b128 v[4:7], v[4:5]
.LBB340_29:                             ;   in Loop: Header=BB340_4 Depth=1
	s_wait_alu 0xfffe
	s_or_b32 exec_lo, exec_lo, s41
	s_and_saveexec_b32 s4, s1
	s_cbranch_execz .LBB340_31
; %bb.30:                               ;   in Loop: Header=BB340_4 Depth=1
	v_mul_lo_u32 v17, v27, s29
	s_delay_alu instid0(VALU_DEP_1) | instskip(NEXT) | instid1(VALU_DEP_1)
	v_cndmask_b32_e32 v17, 0, v17, vcc_lo
	v_add_nc_u32_e32 v17, v17, v21
	s_delay_alu instid0(VALU_DEP_1) | instskip(NEXT) | instid1(VALU_DEP_1)
	v_ashrrev_i32_e32 v18, 31, v17
	v_lshlrev_b64_e32 v[17:18], 4, v[17:18]
	s_delay_alu instid0(VALU_DEP_1) | instskip(SKIP_1) | instid1(VALU_DEP_2)
	v_add_co_u32 v15, vcc_lo, v15, v17
	s_wait_alu 0xfffd
	v_add_co_ci_u32_e64 v16, null, v16, v18, vcc_lo
	flat_load_b128 v[15:18], v[15:16]
	s_wait_loadcnt_dscnt 0x0
	v_mul_f64_e32 v[27:28], v[6:7], v[17:18]
	v_mul_f64_e32 v[17:18], v[4:5], v[17:18]
	s_delay_alu instid0(VALU_DEP_2) | instskip(NEXT) | instid1(VALU_DEP_2)
	v_fma_f64 v[4:5], v[4:5], v[15:16], -v[27:28]
	v_fma_f64 v[6:7], v[6:7], v[15:16], v[17:18]
	s_delay_alu instid0(VALU_DEP_2) | instskip(NEXT) | instid1(VALU_DEP_2)
	v_add_f64_e32 v[0:1], v[0:1], v[4:5]
	v_add_f64_e32 v[2:3], v[2:3], v[6:7]
.LBB340_31:                             ;   in Loop: Header=BB340_4 Depth=1
	s_wait_alu 0xfffe
	s_or_b32 exec_lo, exec_lo, s4
.LBB340_32:                             ;   in Loop: Header=BB340_4 Depth=1
	ds_store_b128 v20, v[0:3]
	s_wait_loadcnt_dscnt 0x0
	s_barrier_signal -1
	s_barrier_wait -1
	global_inv scope:SCOPE_SE
                                        ; implicit-def: $vgpr2_vgpr3
	s_and_saveexec_b32 s4, s0
	s_cbranch_execz .LBB340_38
; %bb.33:                               ;   in Loop: Header=BB340_4 Depth=1
	ds_load_b128 v[0:3], v20
	ds_load_b128 v[4:7], v20 offset:1024
	s_mov_b32 s42, s40
	s_wait_dscnt 0x0
	v_add_f64_e32 v[15:16], v[0:1], v[4:5]
	v_add_f64_e32 v[17:18], v[2:3], v[6:7]
	ds_load_b128 v[0:3], v20 offset:2048
	ds_load_b128 v[4:7], v20 offset:3072
	s_wait_dscnt 0x1
	v_add_f64_e32 v[0:1], v[15:16], v[0:1]
	v_add_f64_e32 v[2:3], v[17:18], v[2:3]
	s_wait_dscnt 0x0
	s_delay_alu instid0(VALU_DEP_2) | instskip(NEXT) | instid1(VALU_DEP_2)
	v_add_f64_e32 v[4:5], v[0:1], v[4:5]
	v_add_f64_e32 v[6:7], v[2:3], v[6:7]
                                        ; implicit-def: $vgpr2_vgpr3
	ds_store_b128 v20, v[4:7]
	s_and_saveexec_b32 s41, s2
	s_cbranch_execz .LBB340_37
; %bb.34:                               ;   in Loop: Header=BB340_4 Depth=1
	v_mul_f64_e32 v[0:1], s[10:11], v[6:7]
	v_mul_f64_e32 v[2:3], s[8:9], v[6:7]
	s_and_not1_b32 vcc_lo, exec_lo, s34
	s_delay_alu instid0(VALU_DEP_2) | instskip(NEXT) | instid1(VALU_DEP_2)
	v_fma_f64 v[0:1], s[8:9], v[4:5], -v[0:1]
	v_fma_f64 v[2:3], s[10:11], v[4:5], v[2:3]
	s_wait_alu 0xfffe
	s_cbranch_vccnz .LBB340_36
; %bb.35:                               ;   in Loop: Header=BB340_4 Depth=1
	v_lshlrev_b64_e32 v[4:5], 4, v[11:12]
	s_delay_alu instid0(VALU_DEP_1) | instskip(SKIP_1) | instid1(VALU_DEP_2)
	v_add_co_u32 v4, vcc_lo, v25, v4
	s_wait_alu 0xfffd
	v_add_co_ci_u32_e64 v5, null, v26, v5, vcc_lo
	flat_load_b128 v[4:7], v[4:5]
	s_wait_loadcnt_dscnt 0x0
	v_mul_f64_e32 v[15:16], s[14:15], v[6:7]
	v_mul_f64_e32 v[6:7], s[12:13], v[6:7]
	s_delay_alu instid0(VALU_DEP_2) | instskip(NEXT) | instid1(VALU_DEP_2)
	v_fma_f64 v[15:16], s[12:13], v[4:5], -v[15:16]
	v_fma_f64 v[4:5], s[14:15], v[4:5], v[6:7]
	s_delay_alu instid0(VALU_DEP_2) | instskip(NEXT) | instid1(VALU_DEP_2)
	v_add_f64_e32 v[0:1], v[0:1], v[15:16]
	v_add_f64_e32 v[2:3], v[2:3], v[4:5]
.LBB340_36:                             ;   in Loop: Header=BB340_4 Depth=1
	s_or_b32 s42, s40, exec_lo
.LBB340_37:                             ;   in Loop: Header=BB340_4 Depth=1
	s_wait_alu 0xfffe
	s_or_b32 exec_lo, exec_lo, s41
	s_delay_alu instid0(SALU_CYCLE_1)
	s_and_not1_b32 s40, s40, exec_lo
	s_and_b32 s41, s42, exec_lo
	s_wait_alu 0xfffe
	s_or_b32 s40, s40, s41
.LBB340_38:                             ;   in Loop: Header=BB340_4 Depth=1
	s_wait_alu 0xfffe
	s_or_b32 exec_lo, exec_lo, s4
	v_dual_mov_b32 v4, v11 :: v_dual_mov_b32 v5, v12
	s_and_saveexec_b32 s4, s40
	s_cbranch_execz .LBB340_2
.LBB340_39:                             ;   in Loop: Header=BB340_4 Depth=1
	s_delay_alu instid0(VALU_DEP_1) | instskip(NEXT) | instid1(VALU_DEP_1)
	v_lshlrev_b64_e32 v[4:5], 4, v[4:5]
	v_add_co_u32 v4, vcc_lo, v25, v4
	s_wait_alu 0xfffd
	s_delay_alu instid0(VALU_DEP_2)
	v_add_co_ci_u32_e64 v5, null, v26, v5, vcc_lo
	flat_store_b128 v[4:5], v[0:3]
	s_branch .LBB340_2
.LBB340_40:
	s_endpgm
	.section	.rodata,"a",@progbits
	.p2align	6, 0x0
	.amdhsa_kernel _ZL20rocblas_gemvn_kernelILi64ELi4EiPK19rocblas_complex_numIdES1_KPS1_EviiT3_lPKT2_lT1_lS9_lSA_lS6_lPT4_lSA_li
		.amdhsa_group_segment_fixed_size 4096
		.amdhsa_private_segment_fixed_size 0
		.amdhsa_kernarg_size 416
		.amdhsa_user_sgpr_count 2
		.amdhsa_user_sgpr_dispatch_ptr 0
		.amdhsa_user_sgpr_queue_ptr 0
		.amdhsa_user_sgpr_kernarg_segment_ptr 1
		.amdhsa_user_sgpr_dispatch_id 0
		.amdhsa_user_sgpr_private_segment_size 0
		.amdhsa_wavefront_size32 1
		.amdhsa_uses_dynamic_stack 0
		.amdhsa_enable_private_segment 0
		.amdhsa_system_sgpr_workgroup_id_x 1
		.amdhsa_system_sgpr_workgroup_id_y 0
		.amdhsa_system_sgpr_workgroup_id_z 1
		.amdhsa_system_sgpr_workgroup_info 0
		.amdhsa_system_vgpr_workitem_id 1
		.amdhsa_next_free_vgpr 38
		.amdhsa_next_free_sgpr 43
		.amdhsa_reserve_vcc 1
		.amdhsa_float_round_mode_32 0
		.amdhsa_float_round_mode_16_64 0
		.amdhsa_float_denorm_mode_32 3
		.amdhsa_float_denorm_mode_16_64 3
		.amdhsa_fp16_overflow 0
		.amdhsa_workgroup_processor_mode 1
		.amdhsa_memory_ordered 1
		.amdhsa_forward_progress 1
		.amdhsa_inst_pref_size 15
		.amdhsa_round_robin_scheduling 0
		.amdhsa_exception_fp_ieee_invalid_op 0
		.amdhsa_exception_fp_denorm_src 0
		.amdhsa_exception_fp_ieee_div_zero 0
		.amdhsa_exception_fp_ieee_overflow 0
		.amdhsa_exception_fp_ieee_underflow 0
		.amdhsa_exception_fp_ieee_inexact 0
		.amdhsa_exception_int_div_zero 0
	.end_amdhsa_kernel
	.section	.text._ZL20rocblas_gemvn_kernelILi64ELi4EiPK19rocblas_complex_numIdES1_KPS1_EviiT3_lPKT2_lT1_lS9_lSA_lS6_lPT4_lSA_li,"axG",@progbits,_ZL20rocblas_gemvn_kernelILi64ELi4EiPK19rocblas_complex_numIdES1_KPS1_EviiT3_lPKT2_lT1_lS9_lSA_lS6_lPT4_lSA_li,comdat
.Lfunc_end340:
	.size	_ZL20rocblas_gemvn_kernelILi64ELi4EiPK19rocblas_complex_numIdES1_KPS1_EviiT3_lPKT2_lT1_lS9_lSA_lS6_lPT4_lSA_li, .Lfunc_end340-_ZL20rocblas_gemvn_kernelILi64ELi4EiPK19rocblas_complex_numIdES1_KPS1_EviiT3_lPKT2_lT1_lS9_lSA_lS6_lPT4_lSA_li
                                        ; -- End function
	.set _ZL20rocblas_gemvn_kernelILi64ELi4EiPK19rocblas_complex_numIdES1_KPS1_EviiT3_lPKT2_lT1_lS9_lSA_lS6_lPT4_lSA_li.num_vgpr, 38
	.set _ZL20rocblas_gemvn_kernelILi64ELi4EiPK19rocblas_complex_numIdES1_KPS1_EviiT3_lPKT2_lT1_lS9_lSA_lS6_lPT4_lSA_li.num_agpr, 0
	.set _ZL20rocblas_gemvn_kernelILi64ELi4EiPK19rocblas_complex_numIdES1_KPS1_EviiT3_lPKT2_lT1_lS9_lSA_lS6_lPT4_lSA_li.numbered_sgpr, 43
	.set _ZL20rocblas_gemvn_kernelILi64ELi4EiPK19rocblas_complex_numIdES1_KPS1_EviiT3_lPKT2_lT1_lS9_lSA_lS6_lPT4_lSA_li.num_named_barrier, 0
	.set _ZL20rocblas_gemvn_kernelILi64ELi4EiPK19rocblas_complex_numIdES1_KPS1_EviiT3_lPKT2_lT1_lS9_lSA_lS6_lPT4_lSA_li.private_seg_size, 0
	.set _ZL20rocblas_gemvn_kernelILi64ELi4EiPK19rocblas_complex_numIdES1_KPS1_EviiT3_lPKT2_lT1_lS9_lSA_lS6_lPT4_lSA_li.uses_vcc, 1
	.set _ZL20rocblas_gemvn_kernelILi64ELi4EiPK19rocblas_complex_numIdES1_KPS1_EviiT3_lPKT2_lT1_lS9_lSA_lS6_lPT4_lSA_li.uses_flat_scratch, 0
	.set _ZL20rocblas_gemvn_kernelILi64ELi4EiPK19rocblas_complex_numIdES1_KPS1_EviiT3_lPKT2_lT1_lS9_lSA_lS6_lPT4_lSA_li.has_dyn_sized_stack, 0
	.set _ZL20rocblas_gemvn_kernelILi64ELi4EiPK19rocblas_complex_numIdES1_KPS1_EviiT3_lPKT2_lT1_lS9_lSA_lS6_lPT4_lSA_li.has_recursion, 0
	.set _ZL20rocblas_gemvn_kernelILi64ELi4EiPK19rocblas_complex_numIdES1_KPS1_EviiT3_lPKT2_lT1_lS9_lSA_lS6_lPT4_lSA_li.has_indirect_call, 0
	.section	.AMDGPU.csdata,"",@progbits
; Kernel info:
; codeLenInByte = 1856
; TotalNumSgprs: 45
; NumVgprs: 38
; ScratchSize: 0
; MemoryBound: 1
; FloatMode: 240
; IeeeMode: 1
; LDSByteSize: 4096 bytes/workgroup (compile time only)
; SGPRBlocks: 0
; VGPRBlocks: 4
; NumSGPRsForWavesPerEU: 45
; NumVGPRsForWavesPerEU: 38
; Occupancy: 16
; WaveLimiterHint : 1
; COMPUTE_PGM_RSRC2:SCRATCH_EN: 0
; COMPUTE_PGM_RSRC2:USER_SGPR: 2
; COMPUTE_PGM_RSRC2:TRAP_HANDLER: 0
; COMPUTE_PGM_RSRC2:TGID_X_EN: 1
; COMPUTE_PGM_RSRC2:TGID_Y_EN: 0
; COMPUTE_PGM_RSRC2:TGID_Z_EN: 1
; COMPUTE_PGM_RSRC2:TIDIG_COMP_CNT: 1
	.section	.text._ZL20rocblas_gemvn_kernelILi64ELi4ElPK19rocblas_complex_numIdES1_KPS1_EviiT3_lPKT2_lT1_lS9_lSA_lS6_lPT4_lSA_li,"axG",@progbits,_ZL20rocblas_gemvn_kernelILi64ELi4ElPK19rocblas_complex_numIdES1_KPS1_EviiT3_lPKT2_lT1_lS9_lSA_lS6_lPT4_lSA_li,comdat
	.globl	_ZL20rocblas_gemvn_kernelILi64ELi4ElPK19rocblas_complex_numIdES1_KPS1_EviiT3_lPKT2_lT1_lS9_lSA_lS6_lPT4_lSA_li ; -- Begin function _ZL20rocblas_gemvn_kernelILi64ELi4ElPK19rocblas_complex_numIdES1_KPS1_EviiT3_lPKT2_lT1_lS9_lSA_lS6_lPT4_lSA_li
	.p2align	8
	.type	_ZL20rocblas_gemvn_kernelILi64ELi4ElPK19rocblas_complex_numIdES1_KPS1_EviiT3_lPKT2_lT1_lS9_lSA_lS6_lPT4_lSA_li,@function
_ZL20rocblas_gemvn_kernelILi64ELi4ElPK19rocblas_complex_numIdES1_KPS1_EviiT3_lPKT2_lT1_lS9_lSA_lS6_lPT4_lSA_li: ; @_ZL20rocblas_gemvn_kernelILi64ELi4ElPK19rocblas_complex_numIdES1_KPS1_EviiT3_lPKT2_lT1_lS9_lSA_lS6_lPT4_lSA_li
; %bb.0:
	s_clause 0x1
	s_load_b64 s[2:3], s[0:1], 0xac
	s_load_b32 s33, s[0:1], 0x98
	s_lshr_b32 s6, ttmp7, 16
	s_wait_kmcnt 0x0
	s_lshr_b32 s4, s2, 16
	s_and_b32 s2, s2, 0xffff
	s_and_b32 s3, s3, 0xffff
	s_mul_i32 s4, s4, s2
	s_delay_alu instid0(SALU_CYCLE_1) | instskip(NEXT) | instid1(SALU_CYCLE_1)
	s_mul_i32 s4, s4, s3
	s_cmp_lg_u32 s4, 0x100
	s_cselect_b32 s3, -1, 0
	s_cmp_ge_u32 s6, s33
	s_cselect_b32 s4, -1, 0
	s_delay_alu instid0(SALU_CYCLE_1) | instskip(NEXT) | instid1(SALU_CYCLE_1)
	s_or_b32 s3, s3, s4
	s_and_b32 vcc_lo, exec_lo, s3
	s_cbranch_vccnz .LBB341_40
; %bb.1:
	s_clause 0x6
	s_load_b128 s[8:11], s[0:1], 0x8
	s_load_b128 s[12:15], s[0:1], 0x60
	s_load_b64 s[4:5], s[0:1], 0x0
	s_load_b128 s[16:19], s[0:1], 0x78
	s_load_b128 s[20:23], s[0:1], 0x20
	s_load_b64 s[28:29], s[0:1], 0x30
	s_load_b64 s[34:35], s[0:1], 0x88
	v_dual_mov_b32 v8, 0 :: v_dual_and_b32 v1, 0x3ff, v0
	v_bfe_u32 v0, v0, 10, 10
	s_clause 0x1
	s_load_b64 s[30:31], s[0:1], 0x50
	s_load_b128 s[24:27], s[0:1], 0x40
	s_lshl_b32 s36, ttmp9, 6
	s_mov_b32 s7, 0
	v_mad_u32_u24 v16, v0, s2, v1
	s_delay_alu instid0(VALU_DEP_1)
	v_add_nc_u32_e32 v7, s36, v16
	s_wait_kmcnt 0x0
	v_cmp_neq_f64_e64 s37, s[8:9], 0
	v_cmp_neq_f64_e64 s42, s[10:11], 0
	v_cmp_neq_f64_e64 s39, s[12:13], 1.0
	v_cmp_neq_f64_e64 s40, s[14:15], 0
	v_cmp_neq_f64_e64 s41, s[12:13], 0
	v_lshrrev_b32_e32 v23, 6, v16
	v_mad_co_u64_u32 v[9:10], null, s34, v7, 0
	s_ashr_i32 s3, s4, 31
	s_mov_b32 s2, s4
	v_mad_co_u64_u32 v[2:3], null, s30, v23, 0
	v_mad_co_u64_u32 v[4:5], null, s28, v23, 0
	v_mov_b32_e32 v6, v10
	s_wait_alu 0xfffe
	v_cmp_gt_i64_e32 vcc_lo, s[2:3], v[7:8]
	v_and_or_b32 v0, v16, 63, s36
	s_ashr_i32 s1, s5, 31
	v_or_b32_e32 v17, s36, v16
	v_mad_co_u64_u32 v[6:7], null, s35, v7, v[6:7]
	v_mad_co_u64_u32 v[13:14], null, s31, v23, v[3:4]
	s_lshr_b32 s1, s1, 30
	v_ashrrev_i32_e32 v1, 31, v0
	s_add_co_i32 s1, s5, s1
	v_mul_lo_u32 v18, s35, v17
	v_mad_co_u64_u32 v[14:15], null, s29, v23, v[5:6]
	v_lshlrev_b32_e32 v24, 4, v16
	s_and_b32 s38, s1, -4
	v_dual_mov_b32 v10, v6 :: v_dual_mov_b32 v3, v13
	s_sub_co_i32 s2, s5, s38
	v_mad_co_u64_u32 v[11:12], null, s34, v17, 0
	s_delay_alu instid0(VALU_DEP_4)
	v_mov_b32_e32 v5, v14
	v_lshlrev_b64_e32 v[13:14], 4, v[0:1]
	v_cmp_gt_i32_e64 s0, s4, v0
	s_or_b32 s3, s37, s42
	v_cmp_gt_i32_e64 s1, s38, v23
	s_or_b32 s39, s39, s40
	s_or_b32 s40, s41, s40
	s_wait_alu 0xfffe
	s_xor_b32 s41, s3, -1
	v_lshlrev_b64_e32 v[4:5], 4, v[4:5]
	s_cmp_gt_i32 s2, 0
	v_cmp_gt_u32_e64 s2, 64, v16
	v_lshlrev_b64_e32 v[15:16], 4, v[2:3]
	v_cndmask_b32_e64 v25, 0, 1, s3
	s_cselect_b32 s42, -1, 0
	s_ashr_i32 s3, s36, 31
	s_and_b32 s43, s2, vcc_lo
	v_add_co_u32 v0, vcc_lo, v4, v13
	s_wait_alu 0xfffe
	s_mul_i32 s34, s34, s3
	v_cmp_gt_i32_e64 s3, s4, v17
	s_wait_alu 0xfffe
	v_add3_u32 v12, v12, s34, v18
	v_lshlrev_b64_e32 v[17:18], 4, v[9:10]
	v_or_b32_e32 v15, 8, v15
	v_add_co_ci_u32_e64 v26, null, v5, v14, vcc_lo
	v_or_b32_e32 v27, 8, v0
	s_lshl_b64 s[34:35], s[30:31], 6
	s_lshl_b64 s[36:37], s[28:29], 6
	;; [unrolled: 1-line block ×5, first 2 shown]
	s_branch .LBB341_4
.LBB341_2:                              ;   in Loop: Header=BB341_4 Depth=1
	s_wait_alu 0xfffe
	s_or_b32 exec_lo, exec_lo, s4
.LBB341_3:                              ;   in Loop: Header=BB341_4 Depth=1
	s_add_co_i32 s6, s6, 0x10000
	s_delay_alu instid0(SALU_CYCLE_1)
	s_cmp_lt_u32 s6, s33
	s_cbranch_scc0 .LBB341_40
.LBB341_4:                              ; =>This Loop Header: Depth=1
                                        ;     Child Loop BB341_21 Depth 2
	s_and_not1_b32 vcc_lo, exec_lo, s41
	s_mov_b32 s4, s7
	s_mov_b32 s44, -1
	s_wait_alu 0xfffe
	s_cbranch_vccnz .LBB341_7
; %bb.5:                                ;   in Loop: Header=BB341_4 Depth=1
	s_mov_b32 s44, 0
	s_and_b32 vcc_lo, exec_lo, s39
	s_mov_b32 s4, 0
	s_wait_alu 0xfffe
	s_cbranch_vccz .LBB341_7
; %bb.6:                                ;   in Loop: Header=BB341_4 Depth=1
	s_mov_b32 s4, -1
.LBB341_7:                              ;   in Loop: Header=BB341_4 Depth=1
	v_mov_b32_e32 v19, 0
	v_mov_b32_e32 v20, 0
	s_and_b32 vcc_lo, exec_lo, s44
	s_wait_alu 0xfffe
	s_cbranch_vccnz .LBB341_9
; %bb.8:                                ;   in Loop: Header=BB341_4 Depth=1
	s_and_not1_b32 vcc_lo, exec_lo, s4
	s_wait_alu 0xfffe
	s_cbranch_vccnz .LBB341_3
	s_branch .LBB341_10
.LBB341_9:                              ;   in Loop: Header=BB341_4 Depth=1
	s_lshl_b64 s[44:45], s[6:7], 3
	s_delay_alu instid0(SALU_CYCLE_1)
	s_add_nc_u64 s[44:45], s[20:21], s[44:45]
	global_load_b64 v[0:1], v8, s[44:45]
	s_wait_loadcnt 0x0
	v_add_co_u32 v19, vcc_lo, v0, s22
	s_wait_alu 0xfffd
	v_add_co_ci_u32_e64 v20, null, s23, v1, vcc_lo
.LBB341_10:                             ;   in Loop: Header=BB341_4 Depth=1
	v_cmp_ne_u32_e32 vcc_lo, 1, v25
	v_mov_b32_e32 v21, 0
	v_mov_b32_e32 v22, 0
	s_cbranch_vccnz .LBB341_12
; %bb.11:                               ;   in Loop: Header=BB341_4 Depth=1
	s_lshl_b64 s[44:45], s[6:7], 3
	s_delay_alu instid0(SALU_CYCLE_1)
	s_add_nc_u64 s[44:45], s[24:25], s[44:45]
	global_load_b64 v[0:1], v8, s[44:45]
	s_wait_loadcnt 0x0
	v_add_co_u32 v21, vcc_lo, v0, s26
	s_wait_alu 0xfffd
	v_add_co_ci_u32_e64 v22, null, s27, v1, vcc_lo
.LBB341_12:                             ;   in Loop: Header=BB341_4 Depth=1
	s_lshl_b64 s[44:45], s[6:7], 3
	s_delay_alu instid0(SALU_CYCLE_1)
	s_add_nc_u64 s[44:45], s[16:17], s[44:45]
	global_load_b64 v[0:1], v8, s[44:45]
	s_wait_loadcnt 0x0
	v_add_co_u32 v28, vcc_lo, v0, s18
	s_wait_alu 0xfffd
	v_add_co_ci_u32_e64 v29, null, s19, v1, vcc_lo
	s_and_not1_b32 vcc_lo, exec_lo, s41
	s_wait_alu 0xfffe
	s_cbranch_vccnz .LBB341_17
; %bb.13:                               ;   in Loop: Header=BB341_4 Depth=1
	s_mov_b32 s4, 0
	s_mov_b32 s44, 0
                                        ; implicit-def: $vgpr2_vgpr3
	s_and_saveexec_b32 s45, s43
	s_cbranch_execz .LBB341_23
; %bb.14:                               ;   in Loop: Header=BB341_4 Depth=1
	v_mov_b32_e32 v2, 0
	v_dual_mov_b32 v3, 0 :: v_dual_mov_b32 v0, 0
	v_mov_b32_e32 v1, 0
	s_and_not1_b32 vcc_lo, exec_lo, s40
	s_wait_alu 0xfffe
	s_cbranch_vccnz .LBB341_16
; %bb.15:                               ;   in Loop: Header=BB341_4 Depth=1
	v_add_co_u32 v0, vcc_lo, v28, v17
	s_wait_alu 0xfffd
	v_add_co_ci_u32_e64 v1, null, v29, v18, vcc_lo
	flat_load_b128 v[2:5], v[0:1]
	s_wait_loadcnt_dscnt 0x0
	v_mul_f64_e32 v[0:1], s[14:15], v[4:5]
	v_mul_f64_e32 v[4:5], s[12:13], v[4:5]
	s_delay_alu instid0(VALU_DEP_2) | instskip(NEXT) | instid1(VALU_DEP_2)
	v_fma_f64 v[0:1], s[12:13], v[2:3], -v[0:1]
	v_fma_f64 v[2:3], s[14:15], v[2:3], v[4:5]
.LBB341_16:                             ;   in Loop: Header=BB341_4 Depth=1
	s_mov_b32 s44, exec_lo
	s_or_b32 exec_lo, exec_lo, s45
	s_delay_alu instid0(SALU_CYCLE_1)
	s_and_b32 vcc_lo, exec_lo, s4
	s_wait_alu 0xfffe
	s_cbranch_vccnz .LBB341_18
	s_branch .LBB341_24
.LBB341_17:                             ;   in Loop: Header=BB341_4 Depth=1
	s_mov_b32 s44, 0
                                        ; implicit-def: $vgpr2_vgpr3
	s_cbranch_execz .LBB341_24
.LBB341_18:                             ;   in Loop: Header=BB341_4 Depth=1
	v_mov_b32_e32 v2, 0
	v_dual_mov_b32 v3, 0 :: v_dual_mov_b32 v0, 0
	v_dual_mov_b32 v1, 0 :: v_dual_mov_b32 v30, v23
	s_and_saveexec_b32 s45, s1
	s_cbranch_execz .LBB341_26
; %bb.19:                               ;   in Loop: Header=BB341_4 Depth=1
	v_mov_b32_e32 v2, 0
	v_dual_mov_b32 v3, 0 :: v_dual_mov_b32 v30, v23
	v_add_co_u32 v4, vcc_lo, v21, v15
	s_wait_alu 0xfffd
	v_add_co_ci_u32_e64 v5, null, v22, v16, vcc_lo
	v_add_co_u32 v6, vcc_lo, v19, v27
	s_wait_alu 0xfffd
	v_add_co_ci_u32_e64 v7, null, v20, v26, vcc_lo
	v_dual_mov_b32 v0, v2 :: v_dual_mov_b32 v1, v3
	s_mov_b32 s46, 0
	s_branch .LBB341_21
.LBB341_20:                             ;   in Loop: Header=BB341_21 Depth=2
	s_wait_alu 0xfffe
	s_or_b32 exec_lo, exec_lo, s4
	v_add_nc_u32_e32 v30, 4, v30
	v_add_co_u32 v4, vcc_lo, v4, s34
	s_wait_alu 0xfffd
	v_add_co_ci_u32_e64 v5, null, s35, v5, vcc_lo
	s_delay_alu instid0(VALU_DEP_3) | instskip(SKIP_4) | instid1(SALU_CYCLE_1)
	v_cmp_le_i32_e32 vcc_lo, s38, v30
	v_add_co_u32 v6, s4, v6, s36
	s_wait_alu 0xf1ff
	v_add_co_ci_u32_e64 v7, null, s37, v7, s4
	s_or_b32 s46, vcc_lo, s46
	s_and_not1_b32 exec_lo, exec_lo, s46
	s_cbranch_execz .LBB341_25
.LBB341_21:                             ;   Parent Loop BB341_4 Depth=1
                                        ; =>  This Inner Loop Header: Depth=2
	s_and_saveexec_b32 s4, s0
	s_cbranch_execz .LBB341_20
; %bb.22:                               ;   in Loop: Header=BB341_21 Depth=2
	flat_load_b128 v[31:34], v[4:5] offset:-8
	flat_load_b128 v[35:38], v[6:7] offset:-8
	s_wait_loadcnt_dscnt 0x0
	v_mul_f64_e32 v[39:40], v[33:34], v[37:38]
	v_mul_f64_e32 v[37:38], v[31:32], v[37:38]
	s_delay_alu instid0(VALU_DEP_2) | instskip(NEXT) | instid1(VALU_DEP_2)
	v_fma_f64 v[31:32], v[31:32], v[35:36], -v[39:40]
	v_fma_f64 v[33:34], v[33:34], v[35:36], v[37:38]
	s_delay_alu instid0(VALU_DEP_2) | instskip(NEXT) | instid1(VALU_DEP_2)
	v_add_f64_e32 v[0:1], v[0:1], v[31:32]
	v_add_f64_e32 v[2:3], v[2:3], v[33:34]
	s_branch .LBB341_20
.LBB341_23:                             ;   in Loop: Header=BB341_4 Depth=1
	s_or_b32 exec_lo, exec_lo, s45
	s_wait_alu 0xfffe
	s_and_b32 vcc_lo, exec_lo, s4
	s_wait_alu 0xfffe
	s_cbranch_vccnz .LBB341_18
.LBB341_24:                             ;   in Loop: Header=BB341_4 Depth=1
	v_dual_mov_b32 v4, v9 :: v_dual_mov_b32 v5, v10
	s_and_saveexec_b32 s4, s44
	s_cbranch_execz .LBB341_2
	s_branch .LBB341_39
.LBB341_25:                             ;   in Loop: Header=BB341_4 Depth=1
	s_or_b32 exec_lo, exec_lo, s46
.LBB341_26:                             ;   in Loop: Header=BB341_4 Depth=1
	s_delay_alu instid0(SALU_CYCLE_1) | instskip(NEXT) | instid1(SALU_CYCLE_1)
	s_or_b32 exec_lo, exec_lo, s45
	s_and_not1_b32 vcc_lo, exec_lo, s42
	s_wait_alu 0xfffe
	s_cbranch_vccnz .LBB341_32
; %bb.27:                               ;   in Loop: Header=BB341_4 Depth=1
	v_mov_b32_e32 v4, 0
	v_dual_mov_b32 v5, 0 :: v_dual_mov_b32 v6, 0
	v_mov_b32_e32 v7, 0
	v_cmp_gt_i32_e32 vcc_lo, s5, v30
	s_and_saveexec_b32 s45, vcc_lo
	s_cbranch_execz .LBB341_29
; %bb.28:                               ;   in Loop: Header=BB341_4 Depth=1
	v_mad_co_u64_u32 v[4:5], null, s30, v30, 0
	s_delay_alu instid0(VALU_DEP_1) | instskip(NEXT) | instid1(VALU_DEP_1)
	v_mad_co_u64_u32 v[5:6], null, s31, v30, v[5:6]
	v_lshlrev_b64_e32 v[4:5], 4, v[4:5]
	s_delay_alu instid0(VALU_DEP_1) | instskip(SKIP_1) | instid1(VALU_DEP_2)
	v_add_co_u32 v4, s4, v21, v4
	s_wait_alu 0xf1ff
	v_add_co_ci_u32_e64 v5, null, v22, v5, s4
	flat_load_b128 v[4:7], v[4:5]
.LBB341_29:                             ;   in Loop: Header=BB341_4 Depth=1
	s_or_b32 exec_lo, exec_lo, s45
	s_and_saveexec_b32 s4, s0
	s_cbranch_execz .LBB341_31
; %bb.30:                               ;   in Loop: Header=BB341_4 Depth=1
	v_mad_co_u64_u32 v[21:22], null, s28, v30, 0
	s_delay_alu instid0(VALU_DEP_1) | instskip(NEXT) | instid1(VALU_DEP_1)
	v_mad_co_u64_u32 v[30:31], null, s29, v30, v[22:23]
	v_dual_cndmask_b32 v21, 0, v21 :: v_dual_cndmask_b32 v22, 0, v30
	s_delay_alu instid0(VALU_DEP_1) | instskip(NEXT) | instid1(VALU_DEP_1)
	v_lshlrev_b64_e32 v[21:22], 4, v[21:22]
	v_add_co_u32 v19, vcc_lo, v19, v21
	s_wait_alu 0xfffd
	s_delay_alu instid0(VALU_DEP_2) | instskip(NEXT) | instid1(VALU_DEP_2)
	v_add_co_ci_u32_e64 v20, null, v20, v22, vcc_lo
	v_add_co_u32 v19, vcc_lo, v19, v13
	s_wait_alu 0xfffd
	s_delay_alu instid0(VALU_DEP_2) | instskip(SKIP_4) | instid1(VALU_DEP_2)
	v_add_co_ci_u32_e64 v20, null, v20, v14, vcc_lo
	flat_load_b128 v[19:22], v[19:20]
	s_wait_loadcnt_dscnt 0x0
	v_mul_f64_e32 v[30:31], v[6:7], v[21:22]
	v_mul_f64_e32 v[21:22], v[4:5], v[21:22]
	v_fma_f64 v[4:5], v[4:5], v[19:20], -v[30:31]
	s_delay_alu instid0(VALU_DEP_2) | instskip(NEXT) | instid1(VALU_DEP_2)
	v_fma_f64 v[6:7], v[6:7], v[19:20], v[21:22]
	v_add_f64_e32 v[0:1], v[0:1], v[4:5]
	s_delay_alu instid0(VALU_DEP_2)
	v_add_f64_e32 v[2:3], v[2:3], v[6:7]
.LBB341_31:                             ;   in Loop: Header=BB341_4 Depth=1
	s_wait_alu 0xfffe
	s_or_b32 exec_lo, exec_lo, s4
.LBB341_32:                             ;   in Loop: Header=BB341_4 Depth=1
	ds_store_b128 v24, v[0:3]
	s_wait_loadcnt_dscnt 0x0
	s_barrier_signal -1
	s_barrier_wait -1
	global_inv scope:SCOPE_SE
                                        ; implicit-def: $vgpr2_vgpr3
	s_and_saveexec_b32 s4, s2
	s_cbranch_execz .LBB341_38
; %bb.33:                               ;   in Loop: Header=BB341_4 Depth=1
	ds_load_b128 v[0:3], v24
	ds_load_b128 v[4:7], v24 offset:1024
	s_mov_b32 s46, s44
	s_wait_dscnt 0x0
	v_add_f64_e32 v[19:20], v[0:1], v[4:5]
	v_add_f64_e32 v[21:22], v[2:3], v[6:7]
	ds_load_b128 v[0:3], v24 offset:2048
	ds_load_b128 v[4:7], v24 offset:3072
	s_wait_dscnt 0x1
	v_add_f64_e32 v[0:1], v[19:20], v[0:1]
	v_add_f64_e32 v[2:3], v[21:22], v[2:3]
	s_wait_dscnt 0x0
	s_delay_alu instid0(VALU_DEP_2) | instskip(NEXT) | instid1(VALU_DEP_2)
	v_add_f64_e32 v[4:5], v[0:1], v[4:5]
	v_add_f64_e32 v[6:7], v[2:3], v[6:7]
                                        ; implicit-def: $vgpr2_vgpr3
	ds_store_b128 v24, v[4:7]
	s_and_saveexec_b32 s45, s3
	s_cbranch_execz .LBB341_37
; %bb.34:                               ;   in Loop: Header=BB341_4 Depth=1
	v_mul_f64_e32 v[0:1], s[10:11], v[6:7]
	v_mul_f64_e32 v[2:3], s[8:9], v[6:7]
	s_and_not1_b32 vcc_lo, exec_lo, s40
	s_delay_alu instid0(VALU_DEP_2) | instskip(NEXT) | instid1(VALU_DEP_2)
	v_fma_f64 v[0:1], s[8:9], v[4:5], -v[0:1]
	v_fma_f64 v[2:3], s[10:11], v[4:5], v[2:3]
	s_wait_alu 0xfffe
	s_cbranch_vccnz .LBB341_36
; %bb.35:                               ;   in Loop: Header=BB341_4 Depth=1
	v_lshlrev_b64_e32 v[4:5], 4, v[11:12]
	s_delay_alu instid0(VALU_DEP_1) | instskip(SKIP_1) | instid1(VALU_DEP_2)
	v_add_co_u32 v4, vcc_lo, v28, v4
	s_wait_alu 0xfffd
	v_add_co_ci_u32_e64 v5, null, v29, v5, vcc_lo
	flat_load_b128 v[4:7], v[4:5]
	s_wait_loadcnt_dscnt 0x0
	v_mul_f64_e32 v[19:20], s[14:15], v[6:7]
	v_mul_f64_e32 v[6:7], s[12:13], v[6:7]
	s_delay_alu instid0(VALU_DEP_2) | instskip(NEXT) | instid1(VALU_DEP_2)
	v_fma_f64 v[19:20], s[12:13], v[4:5], -v[19:20]
	v_fma_f64 v[4:5], s[14:15], v[4:5], v[6:7]
	s_delay_alu instid0(VALU_DEP_2) | instskip(NEXT) | instid1(VALU_DEP_2)
	v_add_f64_e32 v[0:1], v[0:1], v[19:20]
	v_add_f64_e32 v[2:3], v[2:3], v[4:5]
.LBB341_36:                             ;   in Loop: Header=BB341_4 Depth=1
	s_or_b32 s46, s44, exec_lo
.LBB341_37:                             ;   in Loop: Header=BB341_4 Depth=1
	s_or_b32 exec_lo, exec_lo, s45
	s_delay_alu instid0(SALU_CYCLE_1) | instskip(SKIP_1) | instid1(SALU_CYCLE_1)
	s_and_not1_b32 s44, s44, exec_lo
	s_and_b32 s45, s46, exec_lo
	s_or_b32 s44, s44, s45
.LBB341_38:                             ;   in Loop: Header=BB341_4 Depth=1
	s_wait_alu 0xfffe
	s_or_b32 exec_lo, exec_lo, s4
	v_dual_mov_b32 v4, v11 :: v_dual_mov_b32 v5, v12
	s_and_saveexec_b32 s4, s44
	s_cbranch_execz .LBB341_2
.LBB341_39:                             ;   in Loop: Header=BB341_4 Depth=1
	s_delay_alu instid0(VALU_DEP_1) | instskip(NEXT) | instid1(VALU_DEP_1)
	v_lshlrev_b64_e32 v[4:5], 4, v[4:5]
	v_add_co_u32 v4, vcc_lo, v28, v4
	s_wait_alu 0xfffd
	s_delay_alu instid0(VALU_DEP_2)
	v_add_co_ci_u32_e64 v5, null, v29, v5, vcc_lo
	flat_store_b128 v[4:5], v[0:3]
	s_branch .LBB341_2
.LBB341_40:
	s_endpgm
	.section	.rodata,"a",@progbits
	.p2align	6, 0x0
	.amdhsa_kernel _ZL20rocblas_gemvn_kernelILi64ELi4ElPK19rocblas_complex_numIdES1_KPS1_EviiT3_lPKT2_lT1_lS9_lSA_lS6_lPT4_lSA_li
		.amdhsa_group_segment_fixed_size 4096
		.amdhsa_private_segment_fixed_size 0
		.amdhsa_kernarg_size 416
		.amdhsa_user_sgpr_count 2
		.amdhsa_user_sgpr_dispatch_ptr 0
		.amdhsa_user_sgpr_queue_ptr 0
		.amdhsa_user_sgpr_kernarg_segment_ptr 1
		.amdhsa_user_sgpr_dispatch_id 0
		.amdhsa_user_sgpr_private_segment_size 0
		.amdhsa_wavefront_size32 1
		.amdhsa_uses_dynamic_stack 0
		.amdhsa_enable_private_segment 0
		.amdhsa_system_sgpr_workgroup_id_x 1
		.amdhsa_system_sgpr_workgroup_id_y 0
		.amdhsa_system_sgpr_workgroup_id_z 1
		.amdhsa_system_sgpr_workgroup_info 0
		.amdhsa_system_vgpr_workitem_id 1
		.amdhsa_next_free_vgpr 41
		.amdhsa_next_free_sgpr 47
		.amdhsa_reserve_vcc 1
		.amdhsa_float_round_mode_32 0
		.amdhsa_float_round_mode_16_64 0
		.amdhsa_float_denorm_mode_32 3
		.amdhsa_float_denorm_mode_16_64 3
		.amdhsa_fp16_overflow 0
		.amdhsa_workgroup_processor_mode 1
		.amdhsa_memory_ordered 1
		.amdhsa_forward_progress 1
		.amdhsa_inst_pref_size 15
		.amdhsa_round_robin_scheduling 0
		.amdhsa_exception_fp_ieee_invalid_op 0
		.amdhsa_exception_fp_denorm_src 0
		.amdhsa_exception_fp_ieee_div_zero 0
		.amdhsa_exception_fp_ieee_overflow 0
		.amdhsa_exception_fp_ieee_underflow 0
		.amdhsa_exception_fp_ieee_inexact 0
		.amdhsa_exception_int_div_zero 0
	.end_amdhsa_kernel
	.section	.text._ZL20rocblas_gemvn_kernelILi64ELi4ElPK19rocblas_complex_numIdES1_KPS1_EviiT3_lPKT2_lT1_lS9_lSA_lS6_lPT4_lSA_li,"axG",@progbits,_ZL20rocblas_gemvn_kernelILi64ELi4ElPK19rocblas_complex_numIdES1_KPS1_EviiT3_lPKT2_lT1_lS9_lSA_lS6_lPT4_lSA_li,comdat
.Lfunc_end341:
	.size	_ZL20rocblas_gemvn_kernelILi64ELi4ElPK19rocblas_complex_numIdES1_KPS1_EviiT3_lPKT2_lT1_lS9_lSA_lS6_lPT4_lSA_li, .Lfunc_end341-_ZL20rocblas_gemvn_kernelILi64ELi4ElPK19rocblas_complex_numIdES1_KPS1_EviiT3_lPKT2_lT1_lS9_lSA_lS6_lPT4_lSA_li
                                        ; -- End function
	.set _ZL20rocblas_gemvn_kernelILi64ELi4ElPK19rocblas_complex_numIdES1_KPS1_EviiT3_lPKT2_lT1_lS9_lSA_lS6_lPT4_lSA_li.num_vgpr, 41
	.set _ZL20rocblas_gemvn_kernelILi64ELi4ElPK19rocblas_complex_numIdES1_KPS1_EviiT3_lPKT2_lT1_lS9_lSA_lS6_lPT4_lSA_li.num_agpr, 0
	.set _ZL20rocblas_gemvn_kernelILi64ELi4ElPK19rocblas_complex_numIdES1_KPS1_EviiT3_lPKT2_lT1_lS9_lSA_lS6_lPT4_lSA_li.numbered_sgpr, 47
	.set _ZL20rocblas_gemvn_kernelILi64ELi4ElPK19rocblas_complex_numIdES1_KPS1_EviiT3_lPKT2_lT1_lS9_lSA_lS6_lPT4_lSA_li.num_named_barrier, 0
	.set _ZL20rocblas_gemvn_kernelILi64ELi4ElPK19rocblas_complex_numIdES1_KPS1_EviiT3_lPKT2_lT1_lS9_lSA_lS6_lPT4_lSA_li.private_seg_size, 0
	.set _ZL20rocblas_gemvn_kernelILi64ELi4ElPK19rocblas_complex_numIdES1_KPS1_EviiT3_lPKT2_lT1_lS9_lSA_lS6_lPT4_lSA_li.uses_vcc, 1
	.set _ZL20rocblas_gemvn_kernelILi64ELi4ElPK19rocblas_complex_numIdES1_KPS1_EviiT3_lPKT2_lT1_lS9_lSA_lS6_lPT4_lSA_li.uses_flat_scratch, 0
	.set _ZL20rocblas_gemvn_kernelILi64ELi4ElPK19rocblas_complex_numIdES1_KPS1_EviiT3_lPKT2_lT1_lS9_lSA_lS6_lPT4_lSA_li.has_dyn_sized_stack, 0
	.set _ZL20rocblas_gemvn_kernelILi64ELi4ElPK19rocblas_complex_numIdES1_KPS1_EviiT3_lPKT2_lT1_lS9_lSA_lS6_lPT4_lSA_li.has_recursion, 0
	.set _ZL20rocblas_gemvn_kernelILi64ELi4ElPK19rocblas_complex_numIdES1_KPS1_EviiT3_lPKT2_lT1_lS9_lSA_lS6_lPT4_lSA_li.has_indirect_call, 0
	.section	.AMDGPU.csdata,"",@progbits
; Kernel info:
; codeLenInByte = 1908
; TotalNumSgprs: 49
; NumVgprs: 41
; ScratchSize: 0
; MemoryBound: 1
; FloatMode: 240
; IeeeMode: 1
; LDSByteSize: 4096 bytes/workgroup (compile time only)
; SGPRBlocks: 0
; VGPRBlocks: 5
; NumSGPRsForWavesPerEU: 49
; NumVGPRsForWavesPerEU: 41
; Occupancy: 16
; WaveLimiterHint : 1
; COMPUTE_PGM_RSRC2:SCRATCH_EN: 0
; COMPUTE_PGM_RSRC2:USER_SGPR: 2
; COMPUTE_PGM_RSRC2:TRAP_HANDLER: 0
; COMPUTE_PGM_RSRC2:TGID_X_EN: 1
; COMPUTE_PGM_RSRC2:TGID_Y_EN: 0
; COMPUTE_PGM_RSRC2:TGID_Z_EN: 1
; COMPUTE_PGM_RSRC2:TIDIG_COMP_CNT: 1
	.section	.text._ZL20rocblas_gemvn_kernelILi32ELi16EiPK19rocblas_complex_numIdES3_KPS1_EviiT3_lPKT2_lT1_lS9_lSA_lS6_lPT4_lSA_li,"axG",@progbits,_ZL20rocblas_gemvn_kernelILi32ELi16EiPK19rocblas_complex_numIdES3_KPS1_EviiT3_lPKT2_lT1_lS9_lSA_lS6_lPT4_lSA_li,comdat
	.globl	_ZL20rocblas_gemvn_kernelILi32ELi16EiPK19rocblas_complex_numIdES3_KPS1_EviiT3_lPKT2_lT1_lS9_lSA_lS6_lPT4_lSA_li ; -- Begin function _ZL20rocblas_gemvn_kernelILi32ELi16EiPK19rocblas_complex_numIdES3_KPS1_EviiT3_lPKT2_lT1_lS9_lSA_lS6_lPT4_lSA_li
	.p2align	8
	.type	_ZL20rocblas_gemvn_kernelILi32ELi16EiPK19rocblas_complex_numIdES3_KPS1_EviiT3_lPKT2_lT1_lS9_lSA_lS6_lPT4_lSA_li,@function
_ZL20rocblas_gemvn_kernelILi32ELi16EiPK19rocblas_complex_numIdES3_KPS1_EviiT3_lPKT2_lT1_lS9_lSA_lS6_lPT4_lSA_li: ; @_ZL20rocblas_gemvn_kernelILi32ELi16EiPK19rocblas_complex_numIdES3_KPS1_EviiT3_lPKT2_lT1_lS9_lSA_lS6_lPT4_lSA_li
; %bb.0:
	s_clause 0x1
	s_load_b64 s[2:3], s[0:1], 0x9c
	s_load_b32 s28, s[0:1], 0x88
	s_lshr_b32 s6, ttmp7, 16
	s_wait_kmcnt 0x0
	s_lshr_b32 s4, s2, 16
	s_and_b32 s2, s2, 0xffff
	s_and_b32 s3, s3, 0xffff
	s_mul_i32 s4, s4, s2
	s_delay_alu instid0(SALU_CYCLE_1) | instskip(NEXT) | instid1(SALU_CYCLE_1)
	s_mul_i32 s4, s4, s3
	s_cmp_lg_u32 s4, 0x200
	s_cselect_b32 s3, -1, 0
	s_cmp_ge_u32 s6, s28
	s_cselect_b32 s4, -1, 0
	s_delay_alu instid0(SALU_CYCLE_1) | instskip(NEXT) | instid1(SALU_CYCLE_1)
	s_or_b32 s3, s3, s4
	s_and_b32 vcc_lo, exec_lo, s3
	s_cbranch_vccnz .LBB342_39
; %bb.1:
	s_clause 0x1
	s_load_b32 s3, s[0:1], 0x78
	s_load_b64 s[4:5], s[0:1], 0x0
	v_dual_mov_b32 v16, 0 :: v_dual_and_b32 v1, 0x3ff, v0
	v_bfe_u32 v0, v0, 10, 10
	s_lshl_b32 s36, ttmp9, 5
	s_clause 0x4
	s_load_b256 s[8:15], s[0:1], 0x8
	s_load_b32 s29, s[0:1], 0x28
	s_load_b128 s[24:27], s[0:1], 0x38
	s_load_b32 s30, s[0:1], 0x48
	s_load_b256 s[16:23], s[0:1], 0x58
	s_mov_b32 s7, 0
	v_mad_u32_u24 v0, v0, s2, v1
	s_delay_alu instid0(VALU_DEP_1)
	v_add_nc_u32_e32 v15, s36, v0
	v_and_b32_e32 v2, 31, v0
	v_lshrrev_b32_e32 v27, 5, v0
	v_lshlrev_b32_e32 v28, 4, v0
	v_cmp_gt_u32_e64 s0, 32, v0
	v_or_b32_e32 v1, s36, v0
	s_wait_kmcnt 0x0
	v_mad_co_u64_u32 v[17:18], null, v15, s3, 0
	s_ashr_i32 s31, s3, 31
	v_or_b32_e32 v29, s36, v2
	v_cmp_gt_i32_e64 s2, s4, v1
	v_mul_lo_u32 v19, v1, s3
	s_ashr_i32 s33, s5, 31
	s_ashr_i32 s35, s4, 31
	v_mov_b32_e32 v0, v18
	s_mov_b32 s34, s4
	v_cmp_gt_i32_e64 s1, s4, v29
	s_lshr_b32 s4, s33, 28
	v_cmp_gt_i64_e32 vcc_lo, s[34:35], v[15:16]
	v_mad_co_u64_u32 v[0:1], null, v15, s31, v[0:1]
	v_mul_lo_u32 v1, s29, v27
	s_wait_alu 0xfffe
	s_add_co_i32 s3, s5, s4
	v_mul_lo_u32 v30, s30, v27
	s_wait_alu 0xfffe
	s_and_b32 s31, s3, -16
	v_ashrrev_i32_e32 v20, 31, v19
	s_wait_alu 0xfffe
	s_sub_co_i32 s3, s5, s31
	v_mov_b32_e32 v18, v0
	s_wait_alu 0xfffe
	s_cmp_gt_i32 s3, 0
	v_cmp_gt_i32_e64 s3, s31, v27
	v_add3_u32 v31, v1, s36, v2
	s_cselect_b32 s33, -1, 0
	v_lshlrev_b64_e32 v[21:22], 4, v[17:18]
	s_and_b32 s34, s0, vcc_lo
	s_lshl_b32 s35, s30, 4
	s_lshl_b32 s36, s29, 4
	s_lshl_b64 s[14:15], s[14:15], 4
	s_lshl_b64 s[26:27], s[26:27], 4
	;; [unrolled: 1-line block ×3, first 2 shown]
	s_branch .LBB342_4
.LBB342_2:                              ;   in Loop: Header=BB342_4 Depth=1
	s_wait_alu 0xfffe
	s_or_b32 exec_lo, exec_lo, s4
.LBB342_3:                              ;   in Loop: Header=BB342_4 Depth=1
	s_add_co_i32 s6, s6, 0x10000
	s_delay_alu instid0(SALU_CYCLE_1)
	s_cmp_lt_u32 s6, s28
	s_cbranch_scc0 .LBB342_39
.LBB342_4:                              ; =>This Loop Header: Depth=1
                                        ;     Child Loop BB342_20 Depth 2
	s_mul_u64 s[38:39], s[10:11], s[6:7]
	s_delay_alu instid0(SALU_CYCLE_1) | instskip(NEXT) | instid1(SALU_CYCLE_1)
	s_lshl_b64 s[38:39], s[38:39], 4
	s_add_nc_u64 s[38:39], s[8:9], s[38:39]
	global_load_b128 v[4:7], v16, s[38:39]
	s_mul_u64 s[38:39], s[18:19], s[6:7]
	s_delay_alu instid0(SALU_CYCLE_1) | instskip(NEXT) | instid1(SALU_CYCLE_1)
	s_lshl_b64 s[38:39], s[38:39], 4
	s_add_nc_u64 s[38:39], s[16:17], s[38:39]
	s_wait_loadcnt 0x1
	global_load_b128 v[0:3], v16, s[38:39]
	s_mov_b32 s38, -1
	s_wait_loadcnt 0x1
	v_cmp_neq_f64_e32 vcc_lo, 0, v[4:5]
	v_cmp_neq_f64_e64 s4, 0, v[6:7]
	s_or_b32 s37, vcc_lo, s4
	s_mov_b32 s4, s7
	s_wait_alu 0xfffe
	s_and_b32 vcc_lo, exec_lo, s37
	s_wait_alu 0xfffe
	s_cbranch_vccz .LBB342_7
; %bb.5:                                ;   in Loop: Header=BB342_4 Depth=1
	v_mov_b32_e32 v23, 0
	v_mov_b32_e32 v24, 0
	s_and_not1_b32 vcc_lo, exec_lo, s38
	s_wait_alu 0xfffe
	s_cbranch_vccz .LBB342_8
.LBB342_6:                              ;   in Loop: Header=BB342_4 Depth=1
	s_wait_alu 0xfffe
	s_and_not1_b32 vcc_lo, exec_lo, s4
	s_wait_alu 0xfffe
	s_cbranch_vccnz .LBB342_3
	s_branch .LBB342_9
.LBB342_7:                              ;   in Loop: Header=BB342_4 Depth=1
	s_wait_loadcnt 0x0
	v_cmp_neq_f64_e32 vcc_lo, 1.0, v[0:1]
	v_cmp_neq_f64_e64 s4, 0, v[2:3]
	s_or_b32 s4, vcc_lo, s4
	v_mov_b32_e32 v23, 0
	v_mov_b32_e32 v24, 0
	s_cbranch_execnz .LBB342_6
.LBB342_8:                              ;   in Loop: Header=BB342_4 Depth=1
	s_lshl_b64 s[38:39], s[6:7], 3
	s_delay_alu instid0(SALU_CYCLE_1)
	s_add_nc_u64 s[38:39], s[12:13], s[38:39]
	global_load_b64 v[8:9], v16, s[38:39]
	s_wait_loadcnt 0x0
	v_add_co_u32 v23, vcc_lo, v8, s14
	s_wait_alu 0xfffd
	v_add_co_ci_u32_e64 v24, null, s15, v9, vcc_lo
.LBB342_9:                              ;   in Loop: Header=BB342_4 Depth=1
	v_mov_b32_e32 v25, 0
	v_mov_b32_e32 v26, 0
	s_and_not1_b32 vcc_lo, exec_lo, s37
	s_wait_alu 0xfffe
	s_cbranch_vccnz .LBB342_11
; %bb.10:                               ;   in Loop: Header=BB342_4 Depth=1
	s_lshl_b64 s[38:39], s[6:7], 3
	s_delay_alu instid0(SALU_CYCLE_1)
	s_add_nc_u64 s[38:39], s[24:25], s[38:39]
	global_load_b64 v[8:9], v16, s[38:39]
	s_wait_loadcnt 0x0
	v_add_co_u32 v25, vcc_lo, v8, s26
	s_wait_alu 0xfffd
	v_add_co_ci_u32_e64 v26, null, s27, v9, vcc_lo
.LBB342_11:                             ;   in Loop: Header=BB342_4 Depth=1
	s_lshl_b64 s[38:39], s[6:7], 3
	s_xor_b32 s4, s37, -1
	s_add_nc_u64 s[38:39], s[20:21], s[38:39]
	global_load_b64 v[8:9], v16, s[38:39]
	s_wait_loadcnt 0x0
	v_add_co_u32 v32, vcc_lo, v8, s22
	s_wait_alu 0xfffd
	v_add_co_ci_u32_e64 v33, null, s23, v9, vcc_lo
	s_wait_alu 0xfffe
	s_and_not1_b32 vcc_lo, exec_lo, s4
	s_wait_alu 0xfffe
	s_cbranch_vccnz .LBB342_16
; %bb.12:                               ;   in Loop: Header=BB342_4 Depth=1
	s_mov_b32 s38, 0
	s_mov_b32 s37, 0
                                        ; implicit-def: $vgpr10_vgpr11
	s_and_saveexec_b32 s39, s34
	s_cbranch_execz .LBB342_22
; %bb.13:                               ;   in Loop: Header=BB342_4 Depth=1
	v_cmp_neq_f64_e32 vcc_lo, 0, v[0:1]
	v_cmp_neq_f64_e64 s4, 0, v[2:3]
	v_mov_b32_e32 v10, 0
	v_dual_mov_b32 v11, 0 :: v_dual_mov_b32 v8, 0
	v_mov_b32_e32 v9, 0
	s_or_b32 s4, vcc_lo, s4
	s_wait_alu 0xfffe
	s_and_not1_b32 vcc_lo, exec_lo, s4
	s_wait_alu 0xfffe
	s_cbranch_vccnz .LBB342_15
; %bb.14:                               ;   in Loop: Header=BB342_4 Depth=1
	v_add_co_u32 v8, vcc_lo, v32, v21
	s_wait_alu 0xfffd
	v_add_co_ci_u32_e64 v9, null, v33, v22, vcc_lo
	flat_load_b128 v[10:13], v[8:9]
	s_wait_loadcnt_dscnt 0x0
	v_mul_f64_e32 v[8:9], v[2:3], v[12:13]
	v_mul_f64_e32 v[12:13], v[0:1], v[12:13]
	s_delay_alu instid0(VALU_DEP_2) | instskip(NEXT) | instid1(VALU_DEP_2)
	v_fma_f64 v[8:9], v[0:1], v[10:11], -v[8:9]
	v_fma_f64 v[10:11], v[2:3], v[10:11], v[12:13]
.LBB342_15:                             ;   in Loop: Header=BB342_4 Depth=1
	s_mov_b32 s37, exec_lo
	s_or_b32 exec_lo, exec_lo, s39
	s_delay_alu instid0(SALU_CYCLE_1)
	s_and_b32 vcc_lo, exec_lo, s38
	s_wait_alu 0xfffe
	s_cbranch_vccnz .LBB342_17
	s_branch .LBB342_23
.LBB342_16:                             ;   in Loop: Header=BB342_4 Depth=1
	s_mov_b32 s37, 0
                                        ; implicit-def: $vgpr10_vgpr11
	s_cbranch_execz .LBB342_23
.LBB342_17:                             ;   in Loop: Header=BB342_4 Depth=1
	v_mov_b32_e32 v10, 0
	v_dual_mov_b32 v11, 0 :: v_dual_mov_b32 v8, 0
	v_dual_mov_b32 v9, 0 :: v_dual_mov_b32 v34, v27
	s_and_saveexec_b32 s4, s3
	s_cbranch_execz .LBB342_25
; %bb.18:                               ;   in Loop: Header=BB342_4 Depth=1
	v_mov_b32_e32 v10, 0
	v_dual_mov_b32 v11, 0 :: v_dual_mov_b32 v12, v31
	s_delay_alu instid0(VALU_DEP_2) | instskip(SKIP_1) | instid1(VALU_DEP_3)
	v_mov_b32_e32 v8, v10
	v_mov_b32_e32 v14, v30
	v_dual_mov_b32 v34, v27 :: v_dual_mov_b32 v9, v11
	s_mov_b32 s38, 0
	s_branch .LBB342_20
.LBB342_19:                             ;   in Loop: Header=BB342_20 Depth=2
	s_or_b32 exec_lo, exec_lo, s39
	v_add_nc_u32_e32 v34, 16, v34
	v_add_nc_u32_e32 v14, s35, v14
	;; [unrolled: 1-line block ×3, first 2 shown]
	s_delay_alu instid0(VALU_DEP_3) | instskip(SKIP_1) | instid1(SALU_CYCLE_1)
	v_cmp_le_i32_e32 vcc_lo, s31, v34
	s_or_b32 s38, vcc_lo, s38
	s_and_not1_b32 exec_lo, exec_lo, s38
	s_cbranch_execz .LBB342_24
.LBB342_20:                             ;   Parent Loop BB342_4 Depth=1
                                        ; =>  This Inner Loop Header: Depth=2
	s_and_saveexec_b32 s39, s1
	s_cbranch_execz .LBB342_19
; %bb.21:                               ;   in Loop: Header=BB342_20 Depth=2
	v_ashrrev_i32_e32 v15, 31, v14
	v_ashrrev_i32_e32 v13, 31, v12
	s_delay_alu instid0(VALU_DEP_2) | instskip(NEXT) | instid1(VALU_DEP_2)
	v_lshlrev_b64_e32 v[35:36], 4, v[14:15]
	v_lshlrev_b64_e32 v[37:38], 4, v[12:13]
	s_delay_alu instid0(VALU_DEP_2) | instskip(SKIP_1) | instid1(VALU_DEP_3)
	v_add_co_u32 v35, vcc_lo, v25, v35
	s_wait_alu 0xfffd
	v_add_co_ci_u32_e64 v36, null, v26, v36, vcc_lo
	s_delay_alu instid0(VALU_DEP_3)
	v_add_co_u32 v39, vcc_lo, v23, v37
	s_wait_alu 0xfffd
	v_add_co_ci_u32_e64 v40, null, v24, v38, vcc_lo
	flat_load_b128 v[35:38], v[35:36]
	flat_load_b128 v[39:42], v[39:40]
	s_wait_loadcnt_dscnt 0x0
	v_mul_f64_e32 v[43:44], v[37:38], v[41:42]
	v_mul_f64_e32 v[41:42], v[35:36], v[41:42]
	s_delay_alu instid0(VALU_DEP_2) | instskip(NEXT) | instid1(VALU_DEP_2)
	v_fma_f64 v[35:36], v[35:36], v[39:40], -v[43:44]
	v_fma_f64 v[37:38], v[37:38], v[39:40], v[41:42]
	s_delay_alu instid0(VALU_DEP_2) | instskip(NEXT) | instid1(VALU_DEP_2)
	v_add_f64_e32 v[8:9], v[8:9], v[35:36]
	v_add_f64_e32 v[10:11], v[10:11], v[37:38]
	s_branch .LBB342_19
.LBB342_22:                             ;   in Loop: Header=BB342_4 Depth=1
	s_or_b32 exec_lo, exec_lo, s39
	s_delay_alu instid0(SALU_CYCLE_1)
	s_and_b32 vcc_lo, exec_lo, s38
	s_wait_alu 0xfffe
	s_cbranch_vccnz .LBB342_17
.LBB342_23:                             ;   in Loop: Header=BB342_4 Depth=1
	v_dual_mov_b32 v0, v17 :: v_dual_mov_b32 v1, v18
	s_wait_alu 0xfffe
	s_and_saveexec_b32 s4, s37
	s_cbranch_execz .LBB342_2
	s_branch .LBB342_38
.LBB342_24:                             ;   in Loop: Header=BB342_4 Depth=1
	s_or_b32 exec_lo, exec_lo, s38
.LBB342_25:                             ;   in Loop: Header=BB342_4 Depth=1
	s_wait_alu 0xfffe
	s_or_b32 exec_lo, exec_lo, s4
	s_delay_alu instid0(SALU_CYCLE_1)
	s_and_not1_b32 vcc_lo, exec_lo, s33
	s_wait_alu 0xfffe
	s_cbranch_vccnz .LBB342_31
; %bb.26:                               ;   in Loop: Header=BB342_4 Depth=1
	v_mov_b32_e32 v12, 0
	v_dual_mov_b32 v13, 0 :: v_dual_mov_b32 v14, 0
	v_mov_b32_e32 v15, 0
	v_cmp_gt_i32_e32 vcc_lo, s5, v34
	s_and_saveexec_b32 s38, vcc_lo
	s_cbranch_execz .LBB342_28
; %bb.27:                               ;   in Loop: Header=BB342_4 Depth=1
	v_mul_lo_u32 v12, v34, s30
	s_delay_alu instid0(VALU_DEP_1) | instskip(NEXT) | instid1(VALU_DEP_1)
	v_ashrrev_i32_e32 v13, 31, v12
	v_lshlrev_b64_e32 v[12:13], 4, v[12:13]
	s_delay_alu instid0(VALU_DEP_1) | instskip(SKIP_1) | instid1(VALU_DEP_2)
	v_add_co_u32 v12, s4, v25, v12
	s_wait_alu 0xf1ff
	v_add_co_ci_u32_e64 v13, null, v26, v13, s4
	flat_load_b128 v[12:15], v[12:13]
.LBB342_28:                             ;   in Loop: Header=BB342_4 Depth=1
	s_or_b32 exec_lo, exec_lo, s38
	s_and_saveexec_b32 s4, s1
	s_cbranch_execz .LBB342_30
; %bb.29:                               ;   in Loop: Header=BB342_4 Depth=1
	v_mul_lo_u32 v25, v34, s29
	s_delay_alu instid0(VALU_DEP_1) | instskip(NEXT) | instid1(VALU_DEP_1)
	v_cndmask_b32_e32 v25, 0, v25, vcc_lo
	v_add_nc_u32_e32 v25, v25, v29
	s_delay_alu instid0(VALU_DEP_1) | instskip(NEXT) | instid1(VALU_DEP_1)
	v_ashrrev_i32_e32 v26, 31, v25
	v_lshlrev_b64_e32 v[25:26], 4, v[25:26]
	s_delay_alu instid0(VALU_DEP_1) | instskip(SKIP_1) | instid1(VALU_DEP_2)
	v_add_co_u32 v23, vcc_lo, v23, v25
	s_wait_alu 0xfffd
	v_add_co_ci_u32_e64 v24, null, v24, v26, vcc_lo
	flat_load_b128 v[23:26], v[23:24]
	s_wait_loadcnt_dscnt 0x0
	v_mul_f64_e32 v[34:35], v[14:15], v[25:26]
	v_mul_f64_e32 v[25:26], v[12:13], v[25:26]
	s_delay_alu instid0(VALU_DEP_2) | instskip(NEXT) | instid1(VALU_DEP_2)
	v_fma_f64 v[12:13], v[12:13], v[23:24], -v[34:35]
	v_fma_f64 v[14:15], v[14:15], v[23:24], v[25:26]
	s_delay_alu instid0(VALU_DEP_2) | instskip(NEXT) | instid1(VALU_DEP_2)
	v_add_f64_e32 v[8:9], v[8:9], v[12:13]
	v_add_f64_e32 v[10:11], v[10:11], v[14:15]
.LBB342_30:                             ;   in Loop: Header=BB342_4 Depth=1
	s_wait_alu 0xfffe
	s_or_b32 exec_lo, exec_lo, s4
.LBB342_31:                             ;   in Loop: Header=BB342_4 Depth=1
	ds_store_b128 v28, v[8:11]
	s_wait_loadcnt_dscnt 0x0
	s_barrier_signal -1
	s_barrier_wait -1
	global_inv scope:SCOPE_SE
                                        ; implicit-def: $vgpr10_vgpr11
	s_and_saveexec_b32 s38, s0
	s_cbranch_execz .LBB342_37
; %bb.32:                               ;   in Loop: Header=BB342_4 Depth=1
	ds_load_b128 v[8:11], v28
	ds_load_b128 v[12:15], v28 offset:512
	s_mov_b32 s4, s37
	s_wait_dscnt 0x0
	v_add_f64_e32 v[23:24], v[8:9], v[12:13]
	v_add_f64_e32 v[25:26], v[10:11], v[14:15]
	ds_load_b128 v[8:11], v28 offset:1024
	ds_load_b128 v[12:15], v28 offset:1536
	s_wait_dscnt 0x1
	v_add_f64_e32 v[8:9], v[23:24], v[8:9]
	v_add_f64_e32 v[10:11], v[25:26], v[10:11]
	s_wait_dscnt 0x0
	s_delay_alu instid0(VALU_DEP_2) | instskip(NEXT) | instid1(VALU_DEP_2)
	v_add_f64_e32 v[23:24], v[8:9], v[12:13]
	v_add_f64_e32 v[25:26], v[10:11], v[14:15]
	ds_load_b128 v[8:11], v28 offset:2048
	ds_load_b128 v[12:15], v28 offset:2560
	s_wait_dscnt 0x1
	v_add_f64_e32 v[8:9], v[23:24], v[8:9]
	v_add_f64_e32 v[10:11], v[25:26], v[10:11]
	s_wait_dscnt 0x0
	s_delay_alu instid0(VALU_DEP_2) | instskip(NEXT) | instid1(VALU_DEP_2)
	;; [unrolled: 9-line block ×7, first 2 shown]
	v_add_f64_e32 v[12:13], v[8:9], v[12:13]
	v_add_f64_e32 v[14:15], v[10:11], v[14:15]
                                        ; implicit-def: $vgpr10_vgpr11
	ds_store_b128 v28, v[12:15]
	s_and_saveexec_b32 s39, s2
	s_cbranch_execz .LBB342_36
; %bb.33:                               ;   in Loop: Header=BB342_4 Depth=1
	v_mul_f64_e32 v[8:9], v[6:7], v[14:15]
	v_mul_f64_e32 v[10:11], v[4:5], v[14:15]
	v_cmp_neq_f64_e32 vcc_lo, 0, v[0:1]
	v_cmp_neq_f64_e64 s4, 0, v[2:3]
	s_delay_alu instid0(VALU_DEP_4) | instskip(NEXT) | instid1(VALU_DEP_4)
	v_fma_f64 v[8:9], v[4:5], v[12:13], -v[8:9]
	v_fma_f64 v[10:11], v[6:7], v[12:13], v[10:11]
	s_wait_alu 0xfffe
	s_or_b32 s4, vcc_lo, s4
	s_wait_alu 0xfffe
	s_and_not1_b32 vcc_lo, exec_lo, s4
	s_wait_alu 0xfffe
	s_cbranch_vccnz .LBB342_35
; %bb.34:                               ;   in Loop: Header=BB342_4 Depth=1
	v_lshlrev_b64_e32 v[4:5], 4, v[19:20]
	s_delay_alu instid0(VALU_DEP_1) | instskip(SKIP_1) | instid1(VALU_DEP_2)
	v_add_co_u32 v4, vcc_lo, v32, v4
	s_wait_alu 0xfffd
	v_add_co_ci_u32_e64 v5, null, v33, v5, vcc_lo
	flat_load_b128 v[4:7], v[4:5]
	s_wait_loadcnt_dscnt 0x0
	v_mul_f64_e32 v[12:13], v[2:3], v[6:7]
	v_mul_f64_e32 v[6:7], v[0:1], v[6:7]
	s_delay_alu instid0(VALU_DEP_2) | instskip(NEXT) | instid1(VALU_DEP_2)
	v_fma_f64 v[0:1], v[0:1], v[4:5], -v[12:13]
	v_fma_f64 v[2:3], v[2:3], v[4:5], v[6:7]
	s_delay_alu instid0(VALU_DEP_2) | instskip(NEXT) | instid1(VALU_DEP_2)
	v_add_f64_e32 v[8:9], v[8:9], v[0:1]
	v_add_f64_e32 v[10:11], v[10:11], v[2:3]
.LBB342_35:                             ;   in Loop: Header=BB342_4 Depth=1
	s_or_b32 s4, s37, exec_lo
.LBB342_36:                             ;   in Loop: Header=BB342_4 Depth=1
	s_or_b32 exec_lo, exec_lo, s39
	s_delay_alu instid0(SALU_CYCLE_1)
	s_and_not1_b32 s37, s37, exec_lo
	s_wait_alu 0xfffe
	s_and_b32 s4, s4, exec_lo
	s_wait_alu 0xfffe
	s_or_b32 s37, s37, s4
.LBB342_37:                             ;   in Loop: Header=BB342_4 Depth=1
	s_or_b32 exec_lo, exec_lo, s38
	v_dual_mov_b32 v0, v19 :: v_dual_mov_b32 v1, v20
	s_wait_alu 0xfffe
	s_and_saveexec_b32 s4, s37
	s_cbranch_execz .LBB342_2
.LBB342_38:                             ;   in Loop: Header=BB342_4 Depth=1
	s_delay_alu instid0(VALU_DEP_1) | instskip(NEXT) | instid1(VALU_DEP_1)
	v_lshlrev_b64_e32 v[0:1], 4, v[0:1]
	v_add_co_u32 v0, vcc_lo, v32, v0
	s_wait_alu 0xfffd
	s_delay_alu instid0(VALU_DEP_2)
	v_add_co_ci_u32_e64 v1, null, v33, v1, vcc_lo
	flat_store_b128 v[0:1], v[8:11]
	s_branch .LBB342_2
.LBB342_39:
	s_endpgm
	.section	.rodata,"a",@progbits
	.p2align	6, 0x0
	.amdhsa_kernel _ZL20rocblas_gemvn_kernelILi32ELi16EiPK19rocblas_complex_numIdES3_KPS1_EviiT3_lPKT2_lT1_lS9_lSA_lS6_lPT4_lSA_li
		.amdhsa_group_segment_fixed_size 8192
		.amdhsa_private_segment_fixed_size 0
		.amdhsa_kernarg_size 400
		.amdhsa_user_sgpr_count 2
		.amdhsa_user_sgpr_dispatch_ptr 0
		.amdhsa_user_sgpr_queue_ptr 0
		.amdhsa_user_sgpr_kernarg_segment_ptr 1
		.amdhsa_user_sgpr_dispatch_id 0
		.amdhsa_user_sgpr_private_segment_size 0
		.amdhsa_wavefront_size32 1
		.amdhsa_uses_dynamic_stack 0
		.amdhsa_enable_private_segment 0
		.amdhsa_system_sgpr_workgroup_id_x 1
		.amdhsa_system_sgpr_workgroup_id_y 0
		.amdhsa_system_sgpr_workgroup_id_z 1
		.amdhsa_system_sgpr_workgroup_info 0
		.amdhsa_system_vgpr_workitem_id 1
		.amdhsa_next_free_vgpr 45
		.amdhsa_next_free_sgpr 40
		.amdhsa_reserve_vcc 1
		.amdhsa_float_round_mode_32 0
		.amdhsa_float_round_mode_16_64 0
		.amdhsa_float_denorm_mode_32 3
		.amdhsa_float_denorm_mode_16_64 3
		.amdhsa_fp16_overflow 0
		.amdhsa_workgroup_processor_mode 1
		.amdhsa_memory_ordered 1
		.amdhsa_forward_progress 1
		.amdhsa_inst_pref_size 17
		.amdhsa_round_robin_scheduling 0
		.amdhsa_exception_fp_ieee_invalid_op 0
		.amdhsa_exception_fp_denorm_src 0
		.amdhsa_exception_fp_ieee_div_zero 0
		.amdhsa_exception_fp_ieee_overflow 0
		.amdhsa_exception_fp_ieee_underflow 0
		.amdhsa_exception_fp_ieee_inexact 0
		.amdhsa_exception_int_div_zero 0
	.end_amdhsa_kernel
	.section	.text._ZL20rocblas_gemvn_kernelILi32ELi16EiPK19rocblas_complex_numIdES3_KPS1_EviiT3_lPKT2_lT1_lS9_lSA_lS6_lPT4_lSA_li,"axG",@progbits,_ZL20rocblas_gemvn_kernelILi32ELi16EiPK19rocblas_complex_numIdES3_KPS1_EviiT3_lPKT2_lT1_lS9_lSA_lS6_lPT4_lSA_li,comdat
.Lfunc_end342:
	.size	_ZL20rocblas_gemvn_kernelILi32ELi16EiPK19rocblas_complex_numIdES3_KPS1_EviiT3_lPKT2_lT1_lS9_lSA_lS6_lPT4_lSA_li, .Lfunc_end342-_ZL20rocblas_gemvn_kernelILi32ELi16EiPK19rocblas_complex_numIdES3_KPS1_EviiT3_lPKT2_lT1_lS9_lSA_lS6_lPT4_lSA_li
                                        ; -- End function
	.set _ZL20rocblas_gemvn_kernelILi32ELi16EiPK19rocblas_complex_numIdES3_KPS1_EviiT3_lPKT2_lT1_lS9_lSA_lS6_lPT4_lSA_li.num_vgpr, 45
	.set _ZL20rocblas_gemvn_kernelILi32ELi16EiPK19rocblas_complex_numIdES3_KPS1_EviiT3_lPKT2_lT1_lS9_lSA_lS6_lPT4_lSA_li.num_agpr, 0
	.set _ZL20rocblas_gemvn_kernelILi32ELi16EiPK19rocblas_complex_numIdES3_KPS1_EviiT3_lPKT2_lT1_lS9_lSA_lS6_lPT4_lSA_li.numbered_sgpr, 40
	.set _ZL20rocblas_gemvn_kernelILi32ELi16EiPK19rocblas_complex_numIdES3_KPS1_EviiT3_lPKT2_lT1_lS9_lSA_lS6_lPT4_lSA_li.num_named_barrier, 0
	.set _ZL20rocblas_gemvn_kernelILi32ELi16EiPK19rocblas_complex_numIdES3_KPS1_EviiT3_lPKT2_lT1_lS9_lSA_lS6_lPT4_lSA_li.private_seg_size, 0
	.set _ZL20rocblas_gemvn_kernelILi32ELi16EiPK19rocblas_complex_numIdES3_KPS1_EviiT3_lPKT2_lT1_lS9_lSA_lS6_lPT4_lSA_li.uses_vcc, 1
	.set _ZL20rocblas_gemvn_kernelILi32ELi16EiPK19rocblas_complex_numIdES3_KPS1_EviiT3_lPKT2_lT1_lS9_lSA_lS6_lPT4_lSA_li.uses_flat_scratch, 0
	.set _ZL20rocblas_gemvn_kernelILi32ELi16EiPK19rocblas_complex_numIdES3_KPS1_EviiT3_lPKT2_lT1_lS9_lSA_lS6_lPT4_lSA_li.has_dyn_sized_stack, 0
	.set _ZL20rocblas_gemvn_kernelILi32ELi16EiPK19rocblas_complex_numIdES3_KPS1_EviiT3_lPKT2_lT1_lS9_lSA_lS6_lPT4_lSA_li.has_recursion, 0
	.set _ZL20rocblas_gemvn_kernelILi32ELi16EiPK19rocblas_complex_numIdES3_KPS1_EviiT3_lPKT2_lT1_lS9_lSA_lS6_lPT4_lSA_li.has_indirect_call, 0
	.section	.AMDGPU.csdata,"",@progbits
; Kernel info:
; codeLenInByte = 2152
; TotalNumSgprs: 42
; NumVgprs: 45
; ScratchSize: 0
; MemoryBound: 1
; FloatMode: 240
; IeeeMode: 1
; LDSByteSize: 8192 bytes/workgroup (compile time only)
; SGPRBlocks: 0
; VGPRBlocks: 5
; NumSGPRsForWavesPerEU: 42
; NumVGPRsForWavesPerEU: 45
; Occupancy: 16
; WaveLimiterHint : 1
; COMPUTE_PGM_RSRC2:SCRATCH_EN: 0
; COMPUTE_PGM_RSRC2:USER_SGPR: 2
; COMPUTE_PGM_RSRC2:TRAP_HANDLER: 0
; COMPUTE_PGM_RSRC2:TGID_X_EN: 1
; COMPUTE_PGM_RSRC2:TGID_Y_EN: 0
; COMPUTE_PGM_RSRC2:TGID_Z_EN: 1
; COMPUTE_PGM_RSRC2:TIDIG_COMP_CNT: 1
	.section	.text._ZL20rocblas_gemvn_kernelILi32ELi16ElPK19rocblas_complex_numIdES3_KPS1_EviiT3_lPKT2_lT1_lS9_lSA_lS6_lPT4_lSA_li,"axG",@progbits,_ZL20rocblas_gemvn_kernelILi32ELi16ElPK19rocblas_complex_numIdES3_KPS1_EviiT3_lPKT2_lT1_lS9_lSA_lS6_lPT4_lSA_li,comdat
	.globl	_ZL20rocblas_gemvn_kernelILi32ELi16ElPK19rocblas_complex_numIdES3_KPS1_EviiT3_lPKT2_lT1_lS9_lSA_lS6_lPT4_lSA_li ; -- Begin function _ZL20rocblas_gemvn_kernelILi32ELi16ElPK19rocblas_complex_numIdES3_KPS1_EviiT3_lPKT2_lT1_lS9_lSA_lS6_lPT4_lSA_li
	.p2align	8
	.type	_ZL20rocblas_gemvn_kernelILi32ELi16ElPK19rocblas_complex_numIdES3_KPS1_EviiT3_lPKT2_lT1_lS9_lSA_lS6_lPT4_lSA_li,@function
_ZL20rocblas_gemvn_kernelILi32ELi16ElPK19rocblas_complex_numIdES3_KPS1_EviiT3_lPKT2_lT1_lS9_lSA_lS6_lPT4_lSA_li: ; @_ZL20rocblas_gemvn_kernelILi32ELi16ElPK19rocblas_complex_numIdES3_KPS1_EviiT3_lPKT2_lT1_lS9_lSA_lS6_lPT4_lSA_li
; %bb.0:
	s_clause 0x1
	s_load_b64 s[2:3], s[0:1], 0x9c
	s_load_b32 s33, s[0:1], 0x88
	s_lshr_b32 s6, ttmp7, 16
	s_wait_kmcnt 0x0
	s_lshr_b32 s4, s2, 16
	s_and_b32 s2, s2, 0xffff
	s_and_b32 s3, s3, 0xffff
	s_mul_i32 s4, s4, s2
	s_delay_alu instid0(SALU_CYCLE_1) | instskip(NEXT) | instid1(SALU_CYCLE_1)
	s_mul_i32 s4, s4, s3
	s_cmp_lg_u32 s4, 0x200
	s_cselect_b32 s3, -1, 0
	s_cmp_ge_u32 s6, s33
	s_cselect_b32 s4, -1, 0
	s_delay_alu instid0(SALU_CYCLE_1) | instskip(NEXT) | instid1(SALU_CYCLE_1)
	s_or_b32 s3, s3, s4
	s_and_b32 vcc_lo, exec_lo, s3
	s_cbranch_vccnz .LBB343_39
; %bb.1:
	s_clause 0x1
	s_load_b64 s[4:5], s[0:1], 0x0
	s_load_b64 s[34:35], s[0:1], 0x78
	v_dual_mov_b32 v16, 0 :: v_dual_and_b32 v1, 0x3ff, v0
	v_bfe_u32 v0, v0, 10, 10
	s_clause 0x1
	s_load_b64 s[28:29], s[0:1], 0x48
	s_load_b64 s[30:31], s[0:1], 0x28
	s_lshl_b32 s36, ttmp9, 5
	s_clause 0x2
	s_load_b256 s[8:15], s[0:1], 0x8
	s_load_b128 s[24:27], s[0:1], 0x38
	s_load_b256 s[16:23], s[0:1], 0x58
	v_mad_u32_u24 v10, v0, s2, v1
	s_mov_b32 s7, 0
	s_delay_alu instid0(VALU_DEP_1)
	v_add_nc_u32_e32 v15, s36, v10
	v_lshrrev_b32_e32 v31, 5, v10
	v_and_or_b32 v0, v10, 31, s36
	s_wait_kmcnt 0x0
	s_ashr_i32 s1, s5, 31
	v_mad_co_u64_u32 v[17:18], null, s34, v15, 0
	s_lshr_b32 s1, s1, 28
	v_mad_co_u64_u32 v[2:3], null, s28, v31, 0
	v_mad_co_u64_u32 v[4:5], null, s30, v31, 0
	v_ashrrev_i32_e32 v1, 31, v0
	v_mov_b32_e32 v6, v18
	s_add_co_i32 s1, s5, s1
	s_ashr_i32 s3, s4, 31
	s_mov_b32 s2, s4
	s_and_b32 s38, s1, -16
	v_mad_co_u64_u32 v[6:7], null, s35, v15, v[6:7]
	s_wait_alu 0xfffe
	v_cmp_gt_i64_e32 vcc_lo, s[2:3], v[15:16]
	s_sub_co_i32 s2, s5, s38
	v_lshlrev_b64_e32 v[21:22], 4, v[0:1]
	s_wait_alu 0xfffe
	s_cmp_gt_i32 s2, 0
	v_cmp_gt_u32_e64 s2, 32, v10
	v_cmp_gt_i32_e64 s0, s4, v0
	v_mad_co_u64_u32 v[7:8], null, s31, v31, v[5:6]
	v_mad_co_u64_u32 v[8:9], null, s29, v31, v[3:4]
	v_mov_b32_e32 v18, v6
	v_or_b32_e32 v6, s36, v10
	v_lshlrev_b32_e32 v32, 4, v10
	s_cselect_b32 s39, -1, 0
	v_mov_b32_e32 v5, v7
	s_and_b32 s40, s2, vcc_lo
	v_mov_b32_e32 v3, v8
	v_mul_lo_u32 v9, s35, v6
	v_mad_co_u64_u32 v[19:20], null, s34, v6, 0
	v_lshlrev_b64_e32 v[4:5], 4, v[4:5]
	s_delay_alu instid0(VALU_DEP_4)
	v_lshlrev_b64_e32 v[23:24], 4, v[2:3]
	s_ashr_i32 s3, s36, 31
	v_lshlrev_b64_e32 v[25:26], 4, v[17:18]
	s_wait_alu 0xfffe
	s_mul_i32 s34, s34, s3
	v_cmp_gt_i32_e64 s1, s38, v31
	v_add_co_u32 v0, vcc_lo, v4, v21
	v_cmp_gt_i32_e64 s3, s4, v6
	s_wait_alu 0xfffe
	v_add3_u32 v20, v20, s34, v9
	v_or_b32_e32 v23, 8, v23
	v_add_co_ci_u32_e64 v33, null, v5, v22, vcc_lo
	v_or_b32_e32 v34, 8, v0
	s_lshl_b64 s[34:35], s[28:29], 8
	s_lshl_b64 s[36:37], s[30:31], 8
	;; [unrolled: 1-line block ×5, first 2 shown]
	s_branch .LBB343_4
.LBB343_2:                              ;   in Loop: Header=BB343_4 Depth=1
	s_wait_alu 0xfffe
	s_or_b32 exec_lo, exec_lo, s4
.LBB343_3:                              ;   in Loop: Header=BB343_4 Depth=1
	s_add_co_i32 s6, s6, 0x10000
	s_delay_alu instid0(SALU_CYCLE_1)
	s_cmp_lt_u32 s6, s33
	s_cbranch_scc0 .LBB343_39
.LBB343_4:                              ; =>This Loop Header: Depth=1
                                        ;     Child Loop BB343_20 Depth 2
	s_mul_u64 s[42:43], s[10:11], s[6:7]
	s_delay_alu instid0(SALU_CYCLE_1) | instskip(NEXT) | instid1(SALU_CYCLE_1)
	s_lshl_b64 s[42:43], s[42:43], 4
	s_add_nc_u64 s[42:43], s[8:9], s[42:43]
	global_load_b128 v[4:7], v16, s[42:43]
	s_mul_u64 s[42:43], s[18:19], s[6:7]
	s_delay_alu instid0(SALU_CYCLE_1) | instskip(NEXT) | instid1(SALU_CYCLE_1)
	s_lshl_b64 s[42:43], s[42:43], 4
	s_add_nc_u64 s[42:43], s[16:17], s[42:43]
	s_wait_loadcnt 0x1
	global_load_b128 v[0:3], v16, s[42:43]
	s_mov_b32 s42, -1
	s_wait_loadcnt 0x1
	v_cmp_neq_f64_e32 vcc_lo, 0, v[4:5]
	v_cmp_neq_f64_e64 s4, 0, v[6:7]
	s_or_b32 s41, vcc_lo, s4
	s_mov_b32 s4, s7
	s_and_b32 vcc_lo, exec_lo, s41
	s_wait_alu 0xfffe
	s_cbranch_vccz .LBB343_7
; %bb.5:                                ;   in Loop: Header=BB343_4 Depth=1
	v_mov_b32_e32 v27, 0
	v_mov_b32_e32 v28, 0
	s_and_not1_b32 vcc_lo, exec_lo, s42
	s_wait_alu 0xfffe
	s_cbranch_vccz .LBB343_8
.LBB343_6:                              ;   in Loop: Header=BB343_4 Depth=1
	s_wait_alu 0xfffe
	s_and_not1_b32 vcc_lo, exec_lo, s4
	s_wait_alu 0xfffe
	s_cbranch_vccnz .LBB343_3
	s_branch .LBB343_9
.LBB343_7:                              ;   in Loop: Header=BB343_4 Depth=1
	s_wait_loadcnt 0x0
	v_cmp_neq_f64_e32 vcc_lo, 1.0, v[0:1]
	v_cmp_neq_f64_e64 s4, 0, v[2:3]
	s_or_b32 s4, vcc_lo, s4
	v_mov_b32_e32 v27, 0
	v_mov_b32_e32 v28, 0
	s_cbranch_execnz .LBB343_6
.LBB343_8:                              ;   in Loop: Header=BB343_4 Depth=1
	s_lshl_b64 s[42:43], s[6:7], 3
	s_delay_alu instid0(SALU_CYCLE_1)
	s_add_nc_u64 s[42:43], s[12:13], s[42:43]
	global_load_b64 v[8:9], v16, s[42:43]
	s_wait_loadcnt 0x0
	v_add_co_u32 v27, vcc_lo, v8, s14
	s_wait_alu 0xfffd
	v_add_co_ci_u32_e64 v28, null, s15, v9, vcc_lo
.LBB343_9:                              ;   in Loop: Header=BB343_4 Depth=1
	v_mov_b32_e32 v29, 0
	v_mov_b32_e32 v30, 0
	s_and_not1_b32 vcc_lo, exec_lo, s41
	s_wait_alu 0xfffe
	s_cbranch_vccnz .LBB343_11
; %bb.10:                               ;   in Loop: Header=BB343_4 Depth=1
	s_lshl_b64 s[42:43], s[6:7], 3
	s_delay_alu instid0(SALU_CYCLE_1)
	s_add_nc_u64 s[42:43], s[24:25], s[42:43]
	global_load_b64 v[8:9], v16, s[42:43]
	s_wait_loadcnt 0x0
	v_add_co_u32 v29, vcc_lo, v8, s26
	s_wait_alu 0xfffd
	v_add_co_ci_u32_e64 v30, null, s27, v9, vcc_lo
.LBB343_11:                             ;   in Loop: Header=BB343_4 Depth=1
	s_lshl_b64 s[42:43], s[6:7], 3
	s_xor_b32 s4, s41, -1
	s_add_nc_u64 s[42:43], s[20:21], s[42:43]
	global_load_b64 v[8:9], v16, s[42:43]
	s_wait_loadcnt 0x0
	v_add_co_u32 v35, vcc_lo, v8, s22
	s_wait_alu 0xfffd
	v_add_co_ci_u32_e64 v36, null, s23, v9, vcc_lo
	s_wait_alu 0xfffe
	s_and_not1_b32 vcc_lo, exec_lo, s4
	s_wait_alu 0xfffe
	s_cbranch_vccnz .LBB343_16
; %bb.12:                               ;   in Loop: Header=BB343_4 Depth=1
	s_mov_b32 s42, 0
	s_mov_b32 s41, 0
                                        ; implicit-def: $vgpr10_vgpr11
	s_and_saveexec_b32 s43, s40
	s_cbranch_execz .LBB343_22
; %bb.13:                               ;   in Loop: Header=BB343_4 Depth=1
	v_cmp_neq_f64_e32 vcc_lo, 0, v[0:1]
	v_cmp_neq_f64_e64 s4, 0, v[2:3]
	v_mov_b32_e32 v10, 0
	v_dual_mov_b32 v11, 0 :: v_dual_mov_b32 v8, 0
	v_mov_b32_e32 v9, 0
	s_or_b32 s4, vcc_lo, s4
	s_wait_alu 0xfffe
	s_and_not1_b32 vcc_lo, exec_lo, s4
	s_wait_alu 0xfffe
	s_cbranch_vccnz .LBB343_15
; %bb.14:                               ;   in Loop: Header=BB343_4 Depth=1
	v_add_co_u32 v8, vcc_lo, v35, v25
	s_wait_alu 0xfffd
	v_add_co_ci_u32_e64 v9, null, v36, v26, vcc_lo
	flat_load_b128 v[10:13], v[8:9]
	s_wait_loadcnt_dscnt 0x0
	v_mul_f64_e32 v[8:9], v[2:3], v[12:13]
	v_mul_f64_e32 v[12:13], v[0:1], v[12:13]
	s_delay_alu instid0(VALU_DEP_2) | instskip(NEXT) | instid1(VALU_DEP_2)
	v_fma_f64 v[8:9], v[0:1], v[10:11], -v[8:9]
	v_fma_f64 v[10:11], v[2:3], v[10:11], v[12:13]
.LBB343_15:                             ;   in Loop: Header=BB343_4 Depth=1
	s_mov_b32 s41, exec_lo
	s_or_b32 exec_lo, exec_lo, s43
	s_delay_alu instid0(SALU_CYCLE_1)
	s_and_b32 vcc_lo, exec_lo, s42
	s_wait_alu 0xfffe
	s_cbranch_vccnz .LBB343_17
	s_branch .LBB343_23
.LBB343_16:                             ;   in Loop: Header=BB343_4 Depth=1
	s_mov_b32 s41, 0
                                        ; implicit-def: $vgpr10_vgpr11
	s_cbranch_execz .LBB343_23
.LBB343_17:                             ;   in Loop: Header=BB343_4 Depth=1
	v_mov_b32_e32 v10, 0
	v_dual_mov_b32 v11, 0 :: v_dual_mov_b32 v8, 0
	v_mov_b32_e32 v9, 0
	v_mov_b32_e32 v37, v31
	s_and_saveexec_b32 s42, s1
	s_cbranch_execz .LBB343_25
; %bb.18:                               ;   in Loop: Header=BB343_4 Depth=1
	v_dual_mov_b32 v10, 0 :: v_dual_mov_b32 v37, v31
	v_mov_b32_e32 v11, 0
	v_add_co_u32 v12, vcc_lo, v29, v23
	s_wait_alu 0xfffd
	v_add_co_ci_u32_e64 v13, null, v30, v24, vcc_lo
	v_add_co_u32 v14, vcc_lo, v27, v34
	s_wait_alu 0xfffd
	v_add_co_ci_u32_e64 v15, null, v28, v33, vcc_lo
	v_dual_mov_b32 v8, v10 :: v_dual_mov_b32 v9, v11
	s_mov_b32 s43, 0
	s_branch .LBB343_20
.LBB343_19:                             ;   in Loop: Header=BB343_20 Depth=2
	s_wait_alu 0xfffe
	s_or_b32 exec_lo, exec_lo, s4
	v_add_nc_u32_e32 v37, 16, v37
	v_add_co_u32 v12, vcc_lo, v12, s34
	s_wait_alu 0xfffd
	v_add_co_ci_u32_e64 v13, null, s35, v13, vcc_lo
	s_delay_alu instid0(VALU_DEP_3) | instskip(SKIP_4) | instid1(SALU_CYCLE_1)
	v_cmp_le_i32_e32 vcc_lo, s38, v37
	v_add_co_u32 v14, s4, v14, s36
	s_wait_alu 0xf1ff
	v_add_co_ci_u32_e64 v15, null, s37, v15, s4
	s_or_b32 s43, vcc_lo, s43
	s_and_not1_b32 exec_lo, exec_lo, s43
	s_cbranch_execz .LBB343_24
.LBB343_20:                             ;   Parent Loop BB343_4 Depth=1
                                        ; =>  This Inner Loop Header: Depth=2
	s_and_saveexec_b32 s4, s0
	s_cbranch_execz .LBB343_19
; %bb.21:                               ;   in Loop: Header=BB343_20 Depth=2
	flat_load_b128 v[38:41], v[12:13] offset:-8
	flat_load_b128 v[42:45], v[14:15] offset:-8
	s_wait_loadcnt_dscnt 0x0
	v_mul_f64_e32 v[46:47], v[40:41], v[44:45]
	v_mul_f64_e32 v[44:45], v[38:39], v[44:45]
	s_delay_alu instid0(VALU_DEP_2) | instskip(NEXT) | instid1(VALU_DEP_2)
	v_fma_f64 v[38:39], v[38:39], v[42:43], -v[46:47]
	v_fma_f64 v[40:41], v[40:41], v[42:43], v[44:45]
	s_delay_alu instid0(VALU_DEP_2) | instskip(NEXT) | instid1(VALU_DEP_2)
	v_add_f64_e32 v[8:9], v[8:9], v[38:39]
	v_add_f64_e32 v[10:11], v[10:11], v[40:41]
	s_branch .LBB343_19
.LBB343_22:                             ;   in Loop: Header=BB343_4 Depth=1
	s_or_b32 exec_lo, exec_lo, s43
	s_delay_alu instid0(SALU_CYCLE_1)
	s_and_b32 vcc_lo, exec_lo, s42
	s_wait_alu 0xfffe
	s_cbranch_vccnz .LBB343_17
.LBB343_23:                             ;   in Loop: Header=BB343_4 Depth=1
	v_dual_mov_b32 v0, v17 :: v_dual_mov_b32 v1, v18
	s_and_saveexec_b32 s4, s41
	s_cbranch_execz .LBB343_2
	s_branch .LBB343_38
.LBB343_24:                             ;   in Loop: Header=BB343_4 Depth=1
	s_or_b32 exec_lo, exec_lo, s43
.LBB343_25:                             ;   in Loop: Header=BB343_4 Depth=1
	s_delay_alu instid0(SALU_CYCLE_1) | instskip(NEXT) | instid1(SALU_CYCLE_1)
	s_or_b32 exec_lo, exec_lo, s42
	s_and_not1_b32 vcc_lo, exec_lo, s39
	s_wait_alu 0xfffe
	s_cbranch_vccnz .LBB343_31
; %bb.26:                               ;   in Loop: Header=BB343_4 Depth=1
	v_mov_b32_e32 v12, 0
	v_dual_mov_b32 v13, 0 :: v_dual_mov_b32 v14, 0
	v_mov_b32_e32 v15, 0
	v_cmp_gt_i32_e32 vcc_lo, s5, v37
	s_and_saveexec_b32 s42, vcc_lo
	s_cbranch_execz .LBB343_28
; %bb.27:                               ;   in Loop: Header=BB343_4 Depth=1
	v_mad_co_u64_u32 v[12:13], null, s28, v37, 0
	s_delay_alu instid0(VALU_DEP_1) | instskip(NEXT) | instid1(VALU_DEP_1)
	v_mad_co_u64_u32 v[13:14], null, s29, v37, v[13:14]
	v_lshlrev_b64_e32 v[12:13], 4, v[12:13]
	s_delay_alu instid0(VALU_DEP_1) | instskip(SKIP_1) | instid1(VALU_DEP_2)
	v_add_co_u32 v12, s4, v29, v12
	s_wait_alu 0xf1ff
	v_add_co_ci_u32_e64 v13, null, v30, v13, s4
	flat_load_b128 v[12:15], v[12:13]
.LBB343_28:                             ;   in Loop: Header=BB343_4 Depth=1
	s_or_b32 exec_lo, exec_lo, s42
	s_and_saveexec_b32 s4, s0
	s_cbranch_execz .LBB343_30
; %bb.29:                               ;   in Loop: Header=BB343_4 Depth=1
	v_mad_co_u64_u32 v[29:30], null, s30, v37, 0
	s_delay_alu instid0(VALU_DEP_1) | instskip(NEXT) | instid1(VALU_DEP_2)
	v_mad_co_u64_u32 v[37:38], null, s31, v37, v[30:31]
	v_cndmask_b32_e32 v29, 0, v29, vcc_lo
	s_delay_alu instid0(VALU_DEP_2) | instskip(NEXT) | instid1(VALU_DEP_1)
	v_cndmask_b32_e32 v30, 0, v37, vcc_lo
	v_lshlrev_b64_e32 v[29:30], 4, v[29:30]
	s_delay_alu instid0(VALU_DEP_1) | instskip(SKIP_1) | instid1(VALU_DEP_2)
	v_add_co_u32 v27, vcc_lo, v27, v29
	s_wait_alu 0xfffd
	v_add_co_ci_u32_e64 v28, null, v28, v30, vcc_lo
	s_delay_alu instid0(VALU_DEP_2) | instskip(SKIP_1) | instid1(VALU_DEP_2)
	v_add_co_u32 v27, vcc_lo, v27, v21
	s_wait_alu 0xfffd
	v_add_co_ci_u32_e64 v28, null, v28, v22, vcc_lo
	flat_load_b128 v[27:30], v[27:28]
	s_wait_loadcnt_dscnt 0x0
	v_mul_f64_e32 v[37:38], v[14:15], v[29:30]
	v_mul_f64_e32 v[29:30], v[12:13], v[29:30]
	s_delay_alu instid0(VALU_DEP_2) | instskip(NEXT) | instid1(VALU_DEP_2)
	v_fma_f64 v[12:13], v[12:13], v[27:28], -v[37:38]
	v_fma_f64 v[14:15], v[14:15], v[27:28], v[29:30]
	s_delay_alu instid0(VALU_DEP_2) | instskip(NEXT) | instid1(VALU_DEP_2)
	v_add_f64_e32 v[8:9], v[8:9], v[12:13]
	v_add_f64_e32 v[10:11], v[10:11], v[14:15]
.LBB343_30:                             ;   in Loop: Header=BB343_4 Depth=1
	s_wait_alu 0xfffe
	s_or_b32 exec_lo, exec_lo, s4
.LBB343_31:                             ;   in Loop: Header=BB343_4 Depth=1
	ds_store_b128 v32, v[8:11]
	s_wait_loadcnt_dscnt 0x0
	s_barrier_signal -1
	s_barrier_wait -1
	global_inv scope:SCOPE_SE
                                        ; implicit-def: $vgpr10_vgpr11
	s_and_saveexec_b32 s42, s2
	s_cbranch_execz .LBB343_37
; %bb.32:                               ;   in Loop: Header=BB343_4 Depth=1
	ds_load_b128 v[8:11], v32
	ds_load_b128 v[12:15], v32 offset:512
	s_mov_b32 s4, s41
	s_wait_dscnt 0x0
	v_add_f64_e32 v[27:28], v[8:9], v[12:13]
	v_add_f64_e32 v[29:30], v[10:11], v[14:15]
	ds_load_b128 v[8:11], v32 offset:1024
	ds_load_b128 v[12:15], v32 offset:1536
	s_wait_dscnt 0x1
	v_add_f64_e32 v[8:9], v[27:28], v[8:9]
	v_add_f64_e32 v[10:11], v[29:30], v[10:11]
	s_wait_dscnt 0x0
	s_delay_alu instid0(VALU_DEP_2) | instskip(NEXT) | instid1(VALU_DEP_2)
	v_add_f64_e32 v[27:28], v[8:9], v[12:13]
	v_add_f64_e32 v[29:30], v[10:11], v[14:15]
	ds_load_b128 v[8:11], v32 offset:2048
	ds_load_b128 v[12:15], v32 offset:2560
	s_wait_dscnt 0x1
	v_add_f64_e32 v[8:9], v[27:28], v[8:9]
	v_add_f64_e32 v[10:11], v[29:30], v[10:11]
	s_wait_dscnt 0x0
	s_delay_alu instid0(VALU_DEP_2) | instskip(NEXT) | instid1(VALU_DEP_2)
	;; [unrolled: 9-line block ×7, first 2 shown]
	v_add_f64_e32 v[12:13], v[8:9], v[12:13]
	v_add_f64_e32 v[14:15], v[10:11], v[14:15]
                                        ; implicit-def: $vgpr10_vgpr11
	ds_store_b128 v32, v[12:15]
	s_and_saveexec_b32 s43, s3
	s_cbranch_execz .LBB343_36
; %bb.33:                               ;   in Loop: Header=BB343_4 Depth=1
	v_mul_f64_e32 v[8:9], v[6:7], v[14:15]
	v_mul_f64_e32 v[10:11], v[4:5], v[14:15]
	v_cmp_neq_f64_e32 vcc_lo, 0, v[0:1]
	v_cmp_neq_f64_e64 s4, 0, v[2:3]
	s_delay_alu instid0(VALU_DEP_4) | instskip(NEXT) | instid1(VALU_DEP_4)
	v_fma_f64 v[8:9], v[4:5], v[12:13], -v[8:9]
	v_fma_f64 v[10:11], v[6:7], v[12:13], v[10:11]
	s_wait_alu 0xfffe
	s_or_b32 s4, vcc_lo, s4
	s_wait_alu 0xfffe
	s_and_not1_b32 vcc_lo, exec_lo, s4
	s_wait_alu 0xfffe
	s_cbranch_vccnz .LBB343_35
; %bb.34:                               ;   in Loop: Header=BB343_4 Depth=1
	v_lshlrev_b64_e32 v[4:5], 4, v[19:20]
	s_delay_alu instid0(VALU_DEP_1) | instskip(SKIP_1) | instid1(VALU_DEP_2)
	v_add_co_u32 v4, vcc_lo, v35, v4
	s_wait_alu 0xfffd
	v_add_co_ci_u32_e64 v5, null, v36, v5, vcc_lo
	flat_load_b128 v[4:7], v[4:5]
	s_wait_loadcnt_dscnt 0x0
	v_mul_f64_e32 v[12:13], v[2:3], v[6:7]
	v_mul_f64_e32 v[6:7], v[0:1], v[6:7]
	s_delay_alu instid0(VALU_DEP_2) | instskip(NEXT) | instid1(VALU_DEP_2)
	v_fma_f64 v[0:1], v[0:1], v[4:5], -v[12:13]
	v_fma_f64 v[2:3], v[2:3], v[4:5], v[6:7]
	s_delay_alu instid0(VALU_DEP_2) | instskip(NEXT) | instid1(VALU_DEP_2)
	v_add_f64_e32 v[8:9], v[8:9], v[0:1]
	v_add_f64_e32 v[10:11], v[10:11], v[2:3]
.LBB343_35:                             ;   in Loop: Header=BB343_4 Depth=1
	s_or_b32 s4, s41, exec_lo
.LBB343_36:                             ;   in Loop: Header=BB343_4 Depth=1
	s_or_b32 exec_lo, exec_lo, s43
	s_delay_alu instid0(SALU_CYCLE_1)
	s_and_not1_b32 s41, s41, exec_lo
	s_wait_alu 0xfffe
	s_and_b32 s4, s4, exec_lo
	s_wait_alu 0xfffe
	s_or_b32 s41, s41, s4
.LBB343_37:                             ;   in Loop: Header=BB343_4 Depth=1
	s_or_b32 exec_lo, exec_lo, s42
	v_dual_mov_b32 v0, v19 :: v_dual_mov_b32 v1, v20
	s_and_saveexec_b32 s4, s41
	s_cbranch_execz .LBB343_2
.LBB343_38:                             ;   in Loop: Header=BB343_4 Depth=1
	s_delay_alu instid0(VALU_DEP_1) | instskip(NEXT) | instid1(VALU_DEP_1)
	v_lshlrev_b64_e32 v[0:1], 4, v[0:1]
	v_add_co_u32 v0, vcc_lo, v35, v0
	s_wait_alu 0xfffd
	s_delay_alu instid0(VALU_DEP_2)
	v_add_co_ci_u32_e64 v1, null, v36, v1, vcc_lo
	flat_store_b128 v[0:1], v[8:11]
	s_branch .LBB343_2
.LBB343_39:
	s_endpgm
	.section	.rodata,"a",@progbits
	.p2align	6, 0x0
	.amdhsa_kernel _ZL20rocblas_gemvn_kernelILi32ELi16ElPK19rocblas_complex_numIdES3_KPS1_EviiT3_lPKT2_lT1_lS9_lSA_lS6_lPT4_lSA_li
		.amdhsa_group_segment_fixed_size 8192
		.amdhsa_private_segment_fixed_size 0
		.amdhsa_kernarg_size 400
		.amdhsa_user_sgpr_count 2
		.amdhsa_user_sgpr_dispatch_ptr 0
		.amdhsa_user_sgpr_queue_ptr 0
		.amdhsa_user_sgpr_kernarg_segment_ptr 1
		.amdhsa_user_sgpr_dispatch_id 0
		.amdhsa_user_sgpr_private_segment_size 0
		.amdhsa_wavefront_size32 1
		.amdhsa_uses_dynamic_stack 0
		.amdhsa_enable_private_segment 0
		.amdhsa_system_sgpr_workgroup_id_x 1
		.amdhsa_system_sgpr_workgroup_id_y 0
		.amdhsa_system_sgpr_workgroup_id_z 1
		.amdhsa_system_sgpr_workgroup_info 0
		.amdhsa_system_vgpr_workitem_id 1
		.amdhsa_next_free_vgpr 48
		.amdhsa_next_free_sgpr 44
		.amdhsa_reserve_vcc 1
		.amdhsa_float_round_mode_32 0
		.amdhsa_float_round_mode_16_64 0
		.amdhsa_float_denorm_mode_32 3
		.amdhsa_float_denorm_mode_16_64 3
		.amdhsa_fp16_overflow 0
		.amdhsa_workgroup_processor_mode 1
		.amdhsa_memory_ordered 1
		.amdhsa_forward_progress 1
		.amdhsa_inst_pref_size 18
		.amdhsa_round_robin_scheduling 0
		.amdhsa_exception_fp_ieee_invalid_op 0
		.amdhsa_exception_fp_denorm_src 0
		.amdhsa_exception_fp_ieee_div_zero 0
		.amdhsa_exception_fp_ieee_overflow 0
		.amdhsa_exception_fp_ieee_underflow 0
		.amdhsa_exception_fp_ieee_inexact 0
		.amdhsa_exception_int_div_zero 0
	.end_amdhsa_kernel
	.section	.text._ZL20rocblas_gemvn_kernelILi32ELi16ElPK19rocblas_complex_numIdES3_KPS1_EviiT3_lPKT2_lT1_lS9_lSA_lS6_lPT4_lSA_li,"axG",@progbits,_ZL20rocblas_gemvn_kernelILi32ELi16ElPK19rocblas_complex_numIdES3_KPS1_EviiT3_lPKT2_lT1_lS9_lSA_lS6_lPT4_lSA_li,comdat
.Lfunc_end343:
	.size	_ZL20rocblas_gemvn_kernelILi32ELi16ElPK19rocblas_complex_numIdES3_KPS1_EviiT3_lPKT2_lT1_lS9_lSA_lS6_lPT4_lSA_li, .Lfunc_end343-_ZL20rocblas_gemvn_kernelILi32ELi16ElPK19rocblas_complex_numIdES3_KPS1_EviiT3_lPKT2_lT1_lS9_lSA_lS6_lPT4_lSA_li
                                        ; -- End function
	.set _ZL20rocblas_gemvn_kernelILi32ELi16ElPK19rocblas_complex_numIdES3_KPS1_EviiT3_lPKT2_lT1_lS9_lSA_lS6_lPT4_lSA_li.num_vgpr, 48
	.set _ZL20rocblas_gemvn_kernelILi32ELi16ElPK19rocblas_complex_numIdES3_KPS1_EviiT3_lPKT2_lT1_lS9_lSA_lS6_lPT4_lSA_li.num_agpr, 0
	.set _ZL20rocblas_gemvn_kernelILi32ELi16ElPK19rocblas_complex_numIdES3_KPS1_EviiT3_lPKT2_lT1_lS9_lSA_lS6_lPT4_lSA_li.numbered_sgpr, 44
	.set _ZL20rocblas_gemvn_kernelILi32ELi16ElPK19rocblas_complex_numIdES3_KPS1_EviiT3_lPKT2_lT1_lS9_lSA_lS6_lPT4_lSA_li.num_named_barrier, 0
	.set _ZL20rocblas_gemvn_kernelILi32ELi16ElPK19rocblas_complex_numIdES3_KPS1_EviiT3_lPKT2_lT1_lS9_lSA_lS6_lPT4_lSA_li.private_seg_size, 0
	.set _ZL20rocblas_gemvn_kernelILi32ELi16ElPK19rocblas_complex_numIdES3_KPS1_EviiT3_lPKT2_lT1_lS9_lSA_lS6_lPT4_lSA_li.uses_vcc, 1
	.set _ZL20rocblas_gemvn_kernelILi32ELi16ElPK19rocblas_complex_numIdES3_KPS1_EviiT3_lPKT2_lT1_lS9_lSA_lS6_lPT4_lSA_li.uses_flat_scratch, 0
	.set _ZL20rocblas_gemvn_kernelILi32ELi16ElPK19rocblas_complex_numIdES3_KPS1_EviiT3_lPKT2_lT1_lS9_lSA_lS6_lPT4_lSA_li.has_dyn_sized_stack, 0
	.set _ZL20rocblas_gemvn_kernelILi32ELi16ElPK19rocblas_complex_numIdES3_KPS1_EviiT3_lPKT2_lT1_lS9_lSA_lS6_lPT4_lSA_li.has_recursion, 0
	.set _ZL20rocblas_gemvn_kernelILi32ELi16ElPK19rocblas_complex_numIdES3_KPS1_EviiT3_lPKT2_lT1_lS9_lSA_lS6_lPT4_lSA_li.has_indirect_call, 0
	.section	.AMDGPU.csdata,"",@progbits
; Kernel info:
; codeLenInByte = 2244
; TotalNumSgprs: 46
; NumVgprs: 48
; ScratchSize: 0
; MemoryBound: 1
; FloatMode: 240
; IeeeMode: 1
; LDSByteSize: 8192 bytes/workgroup (compile time only)
; SGPRBlocks: 0
; VGPRBlocks: 5
; NumSGPRsForWavesPerEU: 46
; NumVGPRsForWavesPerEU: 48
; Occupancy: 16
; WaveLimiterHint : 1
; COMPUTE_PGM_RSRC2:SCRATCH_EN: 0
; COMPUTE_PGM_RSRC2:USER_SGPR: 2
; COMPUTE_PGM_RSRC2:TRAP_HANDLER: 0
; COMPUTE_PGM_RSRC2:TGID_X_EN: 1
; COMPUTE_PGM_RSRC2:TGID_Y_EN: 0
; COMPUTE_PGM_RSRC2:TGID_Z_EN: 1
; COMPUTE_PGM_RSRC2:TIDIG_COMP_CNT: 1
	.section	.text._ZL20rocblas_gemvn_kernelILi32ELi16EiPK19rocblas_complex_numIdES1_KPS1_EviiT3_lPKT2_lT1_lS9_lSA_lS6_lPT4_lSA_li,"axG",@progbits,_ZL20rocblas_gemvn_kernelILi32ELi16EiPK19rocblas_complex_numIdES1_KPS1_EviiT3_lPKT2_lT1_lS9_lSA_lS6_lPT4_lSA_li,comdat
	.globl	_ZL20rocblas_gemvn_kernelILi32ELi16EiPK19rocblas_complex_numIdES1_KPS1_EviiT3_lPKT2_lT1_lS9_lSA_lS6_lPT4_lSA_li ; -- Begin function _ZL20rocblas_gemvn_kernelILi32ELi16EiPK19rocblas_complex_numIdES1_KPS1_EviiT3_lPKT2_lT1_lS9_lSA_lS6_lPT4_lSA_li
	.p2align	8
	.type	_ZL20rocblas_gemvn_kernelILi32ELi16EiPK19rocblas_complex_numIdES1_KPS1_EviiT3_lPKT2_lT1_lS9_lSA_lS6_lPT4_lSA_li,@function
_ZL20rocblas_gemvn_kernelILi32ELi16EiPK19rocblas_complex_numIdES1_KPS1_EviiT3_lPKT2_lT1_lS9_lSA_lS6_lPT4_lSA_li: ; @_ZL20rocblas_gemvn_kernelILi32ELi16EiPK19rocblas_complex_numIdES1_KPS1_EviiT3_lPKT2_lT1_lS9_lSA_lS6_lPT4_lSA_li
; %bb.0:
	s_clause 0x1
	s_load_b64 s[2:3], s[0:1], 0xac
	s_load_b32 s28, s[0:1], 0x98
	s_lshr_b32 s6, ttmp7, 16
	s_wait_kmcnt 0x0
	s_lshr_b32 s4, s2, 16
	s_and_b32 s2, s2, 0xffff
	s_and_b32 s3, s3, 0xffff
	s_mul_i32 s4, s4, s2
	s_delay_alu instid0(SALU_CYCLE_1) | instskip(NEXT) | instid1(SALU_CYCLE_1)
	s_mul_i32 s4, s4, s3
	s_cmp_lg_u32 s4, 0x200
	s_cselect_b32 s3, -1, 0
	s_cmp_ge_u32 s6, s28
	s_cselect_b32 s4, -1, 0
	s_delay_alu instid0(SALU_CYCLE_1) | instskip(NEXT) | instid1(SALU_CYCLE_1)
	s_or_b32 s3, s3, s4
	s_and_b32 vcc_lo, exec_lo, s3
	s_cbranch_vccnz .LBB344_40
; %bb.1:
	s_clause 0x4
	s_load_b128 s[8:11], s[0:1], 0x8
	s_load_b128 s[12:15], s[0:1], 0x60
	s_load_b64 s[4:5], s[0:1], 0x0
	s_load_b128 s[16:19], s[0:1], 0x78
	s_load_b32 s3, s[0:1], 0x88
	v_dual_mov_b32 v8, 0 :: v_dual_and_b32 v1, 0x3ff, v0
	v_bfe_u32 v0, v0, 10, 10
	s_lshl_b32 s39, ttmp9, 5
	s_clause 0x3
	s_load_b128 s[20:23], s[0:1], 0x20
	s_load_b32 s29, s[0:1], 0x30
	s_load_b128 s[24:27], s[0:1], 0x40
	s_load_b32 s30, s[0:1], 0x50
	s_mov_b32 s7, 0
	v_mad_u32_u24 v0, v0, s2, v1
	s_delay_alu instid0(VALU_DEP_1)
	v_add_nc_u32_e32 v7, s39, v0
	v_and_b32_e32 v2, 31, v0
	v_lshrrev_b32_e32 v21, 5, v0
	s_wait_kmcnt 0x0
	v_cmp_neq_f64_e64 s36, s[8:9], 0
	v_cmp_neq_f64_e64 s38, s[10:11], 0
	v_cmp_neq_f64_e64 s33, s[12:13], 1.0
	v_cmp_neq_f64_e64 s37, s[14:15], 0
	v_cmp_neq_f64_e64 s40, s[12:13], 0
	v_mad_co_u64_u32 v[9:10], null, v7, s3, 0
	v_lshlrev_b32_e32 v22, 4, v0
	v_cmp_gt_u32_e64 s0, 32, v0
	v_or_b32_e32 v1, s39, v0
	s_ashr_i32 s31, s3, 31
	s_ashr_i32 s41, s5, 31
	v_or_b32_e32 v23, s39, v2
	v_mov_b32_e32 v0, v10
	v_cmp_gt_i32_e64 s2, s4, v1
	v_mul_lo_u32 v11, v1, s3
	s_lshr_b32 s3, s41, 28
	s_ashr_i32 s35, s4, 31
	v_mad_co_u64_u32 v[0:1], null, v7, s31, v[0:1]
	v_mul_lo_u32 v1, s29, v21
	s_mov_b32 s34, s4
	s_wait_alu 0xfffe
	s_add_co_i32 s3, s5, s3
	v_ashrrev_i32_e32 v12, 31, v11
	v_mul_lo_u32 v24, s30, v21
	v_cmp_gt_i64_e32 vcc_lo, s[34:35], v[7:8]
	v_mov_b32_e32 v10, v0
	s_wait_alu 0xfffe
	s_and_b32 s31, s3, -16
	v_cmp_gt_i32_e64 s1, s4, v23
	s_wait_alu 0xfffe
	s_sub_co_i32 s4, s5, s31
	v_lshlrev_b64_e32 v[13:14], 4, v[11:12]
	v_lshlrev_b64_e32 v[15:16], 4, v[9:10]
	v_cmp_gt_i32_e64 s3, s31, v21
	v_add3_u32 v25, v1, s39, v2
	s_or_b32 s35, s36, s38
	s_or_b32 s33, s33, s37
	s_wait_alu 0xfffe
	v_cndmask_b32_e64 v26, 0, 1, s35
	s_or_b32 s34, s40, s37
	s_xor_b32 s35, s35, -1
	s_cmp_gt_i32 s4, 0
	s_cselect_b32 s36, -1, 0
	s_and_b32 s37, s0, vcc_lo
	s_lshl_b32 s38, s30, 4
	s_lshl_b32 s39, s29, 4
	s_lshl_b64 s[22:23], s[22:23], 4
	s_lshl_b64 s[26:27], s[26:27], 4
	s_lshl_b64 s[18:19], s[18:19], 4
	s_branch .LBB344_4
.LBB344_2:                              ;   in Loop: Header=BB344_4 Depth=1
	s_wait_alu 0xfffe
	s_or_b32 exec_lo, exec_lo, s4
.LBB344_3:                              ;   in Loop: Header=BB344_4 Depth=1
	s_add_co_i32 s6, s6, 0x10000
	s_delay_alu instid0(SALU_CYCLE_1)
	s_cmp_lt_u32 s6, s28
	s_cbranch_scc0 .LBB344_40
.LBB344_4:                              ; =>This Loop Header: Depth=1
                                        ;     Child Loop BB344_21 Depth 2
	s_wait_alu 0xfffe
	s_and_not1_b32 vcc_lo, exec_lo, s35
	s_mov_b32 s4, s7
	s_mov_b32 s40, -1
	s_wait_alu 0xfffe
	s_cbranch_vccnz .LBB344_7
; %bb.5:                                ;   in Loop: Header=BB344_4 Depth=1
	s_mov_b32 s40, 0
	s_and_b32 vcc_lo, exec_lo, s33
	s_mov_b32 s4, 0
	s_wait_alu 0xfffe
	s_cbranch_vccz .LBB344_7
; %bb.6:                                ;   in Loop: Header=BB344_4 Depth=1
	s_mov_b32 s4, -1
.LBB344_7:                              ;   in Loop: Header=BB344_4 Depth=1
	v_mov_b32_e32 v17, 0
	v_mov_b32_e32 v18, 0
	s_and_b32 vcc_lo, exec_lo, s40
	s_wait_alu 0xfffe
	s_cbranch_vccnz .LBB344_9
; %bb.8:                                ;   in Loop: Header=BB344_4 Depth=1
	s_and_not1_b32 vcc_lo, exec_lo, s4
	s_wait_alu 0xfffe
	s_cbranch_vccnz .LBB344_3
	s_branch .LBB344_10
.LBB344_9:                              ;   in Loop: Header=BB344_4 Depth=1
	s_lshl_b64 s[40:41], s[6:7], 3
	s_delay_alu instid0(SALU_CYCLE_1)
	s_add_nc_u64 s[40:41], s[20:21], s[40:41]
	global_load_b64 v[0:1], v8, s[40:41]
	s_wait_loadcnt 0x0
	v_add_co_u32 v17, vcc_lo, v0, s22
	s_wait_alu 0xfffd
	v_add_co_ci_u32_e64 v18, null, s23, v1, vcc_lo
.LBB344_10:                             ;   in Loop: Header=BB344_4 Depth=1
	v_cmp_ne_u32_e32 vcc_lo, 1, v26
	v_mov_b32_e32 v19, 0
	v_mov_b32_e32 v20, 0
	s_cbranch_vccnz .LBB344_12
; %bb.11:                               ;   in Loop: Header=BB344_4 Depth=1
	s_lshl_b64 s[40:41], s[6:7], 3
	s_delay_alu instid0(SALU_CYCLE_1)
	s_add_nc_u64 s[40:41], s[24:25], s[40:41]
	global_load_b64 v[0:1], v8, s[40:41]
	s_wait_loadcnt 0x0
	v_add_co_u32 v19, vcc_lo, v0, s26
	s_wait_alu 0xfffd
	v_add_co_ci_u32_e64 v20, null, s27, v1, vcc_lo
.LBB344_12:                             ;   in Loop: Header=BB344_4 Depth=1
	s_lshl_b64 s[40:41], s[6:7], 3
	s_delay_alu instid0(SALU_CYCLE_1)
	s_add_nc_u64 s[40:41], s[16:17], s[40:41]
	global_load_b64 v[0:1], v8, s[40:41]
	s_wait_loadcnt 0x0
	v_add_co_u32 v27, vcc_lo, v0, s18
	s_wait_alu 0xfffd
	v_add_co_ci_u32_e64 v28, null, s19, v1, vcc_lo
	s_and_not1_b32 vcc_lo, exec_lo, s35
	s_wait_alu 0xfffe
	s_cbranch_vccnz .LBB344_17
; %bb.13:                               ;   in Loop: Header=BB344_4 Depth=1
	s_mov_b32 s4, 0
	s_mov_b32 s40, 0
                                        ; implicit-def: $vgpr2_vgpr3
	s_and_saveexec_b32 s41, s37
	s_cbranch_execz .LBB344_23
; %bb.14:                               ;   in Loop: Header=BB344_4 Depth=1
	v_mov_b32_e32 v2, 0
	v_dual_mov_b32 v3, 0 :: v_dual_mov_b32 v0, 0
	v_mov_b32_e32 v1, 0
	s_and_not1_b32 vcc_lo, exec_lo, s34
	s_wait_alu 0xfffe
	s_cbranch_vccnz .LBB344_16
; %bb.15:                               ;   in Loop: Header=BB344_4 Depth=1
	v_add_co_u32 v0, vcc_lo, v27, v15
	s_wait_alu 0xfffd
	v_add_co_ci_u32_e64 v1, null, v28, v16, vcc_lo
	flat_load_b128 v[2:5], v[0:1]
	s_wait_loadcnt_dscnt 0x0
	v_mul_f64_e32 v[0:1], s[14:15], v[4:5]
	v_mul_f64_e32 v[4:5], s[12:13], v[4:5]
	s_delay_alu instid0(VALU_DEP_2) | instskip(NEXT) | instid1(VALU_DEP_2)
	v_fma_f64 v[0:1], s[12:13], v[2:3], -v[0:1]
	v_fma_f64 v[2:3], s[14:15], v[2:3], v[4:5]
.LBB344_16:                             ;   in Loop: Header=BB344_4 Depth=1
	s_mov_b32 s40, exec_lo
	s_or_b32 exec_lo, exec_lo, s41
	s_delay_alu instid0(SALU_CYCLE_1)
	s_and_b32 vcc_lo, exec_lo, s4
	s_wait_alu 0xfffe
	s_cbranch_vccnz .LBB344_18
	s_branch .LBB344_24
.LBB344_17:                             ;   in Loop: Header=BB344_4 Depth=1
	s_mov_b32 s40, 0
                                        ; implicit-def: $vgpr2_vgpr3
	s_cbranch_execz .LBB344_24
.LBB344_18:                             ;   in Loop: Header=BB344_4 Depth=1
	v_mov_b32_e32 v2, 0
	v_dual_mov_b32 v3, 0 :: v_dual_mov_b32 v0, 0
	v_mov_b32_e32 v1, 0
	v_mov_b32_e32 v29, v21
	s_and_saveexec_b32 s4, s3
	s_cbranch_execz .LBB344_26
; %bb.19:                               ;   in Loop: Header=BB344_4 Depth=1
	v_dual_mov_b32 v2, 0 :: v_dual_mov_b32 v29, v21
	v_dual_mov_b32 v3, 0 :: v_dual_mov_b32 v4, v25
	s_delay_alu instid0(VALU_DEP_2) | instskip(SKIP_2) | instid1(VALU_DEP_3)
	v_mov_b32_e32 v0, v2
	v_mov_b32_e32 v6, v24
	s_mov_b32 s41, 0
	v_mov_b32_e32 v1, v3
	s_branch .LBB344_21
.LBB344_20:                             ;   in Loop: Header=BB344_21 Depth=2
	s_or_b32 exec_lo, exec_lo, s42
	v_add_nc_u32_e32 v29, 16, v29
	v_add_nc_u32_e32 v6, s38, v6
	;; [unrolled: 1-line block ×3, first 2 shown]
	s_delay_alu instid0(VALU_DEP_3) | instskip(SKIP_1) | instid1(SALU_CYCLE_1)
	v_cmp_le_i32_e32 vcc_lo, s31, v29
	s_or_b32 s41, vcc_lo, s41
	s_and_not1_b32 exec_lo, exec_lo, s41
	s_cbranch_execz .LBB344_25
.LBB344_21:                             ;   Parent Loop BB344_4 Depth=1
                                        ; =>  This Inner Loop Header: Depth=2
	s_and_saveexec_b32 s42, s1
	s_cbranch_execz .LBB344_20
; %bb.22:                               ;   in Loop: Header=BB344_21 Depth=2
	v_ashrrev_i32_e32 v7, 31, v6
	v_ashrrev_i32_e32 v5, 31, v4
	s_delay_alu instid0(VALU_DEP_2) | instskip(NEXT) | instid1(VALU_DEP_2)
	v_lshlrev_b64_e32 v[30:31], 4, v[6:7]
	v_lshlrev_b64_e32 v[32:33], 4, v[4:5]
	s_delay_alu instid0(VALU_DEP_2) | instskip(SKIP_1) | instid1(VALU_DEP_3)
	v_add_co_u32 v30, vcc_lo, v19, v30
	s_wait_alu 0xfffd
	v_add_co_ci_u32_e64 v31, null, v20, v31, vcc_lo
	s_delay_alu instid0(VALU_DEP_3)
	v_add_co_u32 v34, vcc_lo, v17, v32
	s_wait_alu 0xfffd
	v_add_co_ci_u32_e64 v35, null, v18, v33, vcc_lo
	flat_load_b128 v[30:33], v[30:31]
	flat_load_b128 v[34:37], v[34:35]
	s_wait_loadcnt_dscnt 0x0
	v_mul_f64_e32 v[38:39], v[32:33], v[36:37]
	v_mul_f64_e32 v[36:37], v[30:31], v[36:37]
	s_delay_alu instid0(VALU_DEP_2) | instskip(NEXT) | instid1(VALU_DEP_2)
	v_fma_f64 v[30:31], v[30:31], v[34:35], -v[38:39]
	v_fma_f64 v[32:33], v[32:33], v[34:35], v[36:37]
	s_delay_alu instid0(VALU_DEP_2) | instskip(NEXT) | instid1(VALU_DEP_2)
	v_add_f64_e32 v[0:1], v[0:1], v[30:31]
	v_add_f64_e32 v[2:3], v[2:3], v[32:33]
	s_branch .LBB344_20
.LBB344_23:                             ;   in Loop: Header=BB344_4 Depth=1
	s_or_b32 exec_lo, exec_lo, s41
	s_wait_alu 0xfffe
	s_and_b32 vcc_lo, exec_lo, s4
	s_wait_alu 0xfffe
	s_cbranch_vccnz .LBB344_18
.LBB344_24:                             ;   in Loop: Header=BB344_4 Depth=1
	v_dual_mov_b32 v4, v9 :: v_dual_mov_b32 v5, v10
	s_and_saveexec_b32 s4, s40
	s_cbranch_execz .LBB344_2
	s_branch .LBB344_39
.LBB344_25:                             ;   in Loop: Header=BB344_4 Depth=1
	s_or_b32 exec_lo, exec_lo, s41
.LBB344_26:                             ;   in Loop: Header=BB344_4 Depth=1
	s_wait_alu 0xfffe
	s_or_b32 exec_lo, exec_lo, s4
	s_delay_alu instid0(SALU_CYCLE_1)
	s_and_not1_b32 vcc_lo, exec_lo, s36
	s_wait_alu 0xfffe
	s_cbranch_vccnz .LBB344_32
; %bb.27:                               ;   in Loop: Header=BB344_4 Depth=1
	v_mov_b32_e32 v4, 0
	v_dual_mov_b32 v5, 0 :: v_dual_mov_b32 v6, 0
	v_mov_b32_e32 v7, 0
	v_cmp_gt_i32_e32 vcc_lo, s5, v29
	s_and_saveexec_b32 s41, vcc_lo
	s_cbranch_execz .LBB344_29
; %bb.28:                               ;   in Loop: Header=BB344_4 Depth=1
	v_mul_lo_u32 v4, v29, s30
	s_delay_alu instid0(VALU_DEP_1) | instskip(NEXT) | instid1(VALU_DEP_1)
	v_ashrrev_i32_e32 v5, 31, v4
	v_lshlrev_b64_e32 v[4:5], 4, v[4:5]
	s_delay_alu instid0(VALU_DEP_1) | instskip(SKIP_1) | instid1(VALU_DEP_2)
	v_add_co_u32 v4, s4, v19, v4
	s_wait_alu 0xf1ff
	v_add_co_ci_u32_e64 v5, null, v20, v5, s4
	flat_load_b128 v[4:7], v[4:5]
.LBB344_29:                             ;   in Loop: Header=BB344_4 Depth=1
	s_or_b32 exec_lo, exec_lo, s41
	s_and_saveexec_b32 s4, s1
	s_cbranch_execz .LBB344_31
; %bb.30:                               ;   in Loop: Header=BB344_4 Depth=1
	v_mul_lo_u32 v19, v29, s29
	s_delay_alu instid0(VALU_DEP_1) | instskip(NEXT) | instid1(VALU_DEP_1)
	v_cndmask_b32_e32 v19, 0, v19, vcc_lo
	v_add_nc_u32_e32 v19, v19, v23
	s_delay_alu instid0(VALU_DEP_1) | instskip(NEXT) | instid1(VALU_DEP_1)
	v_ashrrev_i32_e32 v20, 31, v19
	v_lshlrev_b64_e32 v[19:20], 4, v[19:20]
	s_delay_alu instid0(VALU_DEP_1) | instskip(SKIP_1) | instid1(VALU_DEP_2)
	v_add_co_u32 v17, vcc_lo, v17, v19
	s_wait_alu 0xfffd
	v_add_co_ci_u32_e64 v18, null, v18, v20, vcc_lo
	flat_load_b128 v[17:20], v[17:18]
	s_wait_loadcnt_dscnt 0x0
	v_mul_f64_e32 v[29:30], v[6:7], v[19:20]
	v_mul_f64_e32 v[19:20], v[4:5], v[19:20]
	s_delay_alu instid0(VALU_DEP_2) | instskip(NEXT) | instid1(VALU_DEP_2)
	v_fma_f64 v[4:5], v[4:5], v[17:18], -v[29:30]
	v_fma_f64 v[6:7], v[6:7], v[17:18], v[19:20]
	s_delay_alu instid0(VALU_DEP_2) | instskip(NEXT) | instid1(VALU_DEP_2)
	v_add_f64_e32 v[0:1], v[0:1], v[4:5]
	v_add_f64_e32 v[2:3], v[2:3], v[6:7]
.LBB344_31:                             ;   in Loop: Header=BB344_4 Depth=1
	s_wait_alu 0xfffe
	s_or_b32 exec_lo, exec_lo, s4
.LBB344_32:                             ;   in Loop: Header=BB344_4 Depth=1
	ds_store_b128 v22, v[0:3]
	s_wait_loadcnt_dscnt 0x0
	s_barrier_signal -1
	s_barrier_wait -1
	global_inv scope:SCOPE_SE
                                        ; implicit-def: $vgpr2_vgpr3
	s_and_saveexec_b32 s4, s0
	s_cbranch_execz .LBB344_38
; %bb.33:                               ;   in Loop: Header=BB344_4 Depth=1
	ds_load_b128 v[0:3], v22
	ds_load_b128 v[4:7], v22 offset:512
	s_mov_b32 s42, s40
	s_wait_dscnt 0x0
	v_add_f64_e32 v[17:18], v[0:1], v[4:5]
	v_add_f64_e32 v[19:20], v[2:3], v[6:7]
	ds_load_b128 v[0:3], v22 offset:1024
	ds_load_b128 v[4:7], v22 offset:1536
	s_wait_dscnt 0x1
	v_add_f64_e32 v[0:1], v[17:18], v[0:1]
	v_add_f64_e32 v[2:3], v[19:20], v[2:3]
	s_wait_dscnt 0x0
	s_delay_alu instid0(VALU_DEP_2) | instskip(NEXT) | instid1(VALU_DEP_2)
	v_add_f64_e32 v[17:18], v[0:1], v[4:5]
	v_add_f64_e32 v[19:20], v[2:3], v[6:7]
	ds_load_b128 v[0:3], v22 offset:2048
	ds_load_b128 v[4:7], v22 offset:2560
	s_wait_dscnt 0x1
	v_add_f64_e32 v[0:1], v[17:18], v[0:1]
	v_add_f64_e32 v[2:3], v[19:20], v[2:3]
	s_wait_dscnt 0x0
	s_delay_alu instid0(VALU_DEP_2) | instskip(NEXT) | instid1(VALU_DEP_2)
	;; [unrolled: 9-line block ×7, first 2 shown]
	v_add_f64_e32 v[4:5], v[0:1], v[4:5]
	v_add_f64_e32 v[6:7], v[2:3], v[6:7]
                                        ; implicit-def: $vgpr2_vgpr3
	ds_store_b128 v22, v[4:7]
	s_and_saveexec_b32 s41, s2
	s_cbranch_execz .LBB344_37
; %bb.34:                               ;   in Loop: Header=BB344_4 Depth=1
	v_mul_f64_e32 v[0:1], s[10:11], v[6:7]
	v_mul_f64_e32 v[2:3], s[8:9], v[6:7]
	s_and_not1_b32 vcc_lo, exec_lo, s34
	s_delay_alu instid0(VALU_DEP_2) | instskip(NEXT) | instid1(VALU_DEP_2)
	v_fma_f64 v[0:1], s[8:9], v[4:5], -v[0:1]
	v_fma_f64 v[2:3], s[10:11], v[4:5], v[2:3]
	s_wait_alu 0xfffe
	s_cbranch_vccnz .LBB344_36
; %bb.35:                               ;   in Loop: Header=BB344_4 Depth=1
	v_add_co_u32 v4, vcc_lo, v27, v13
	s_wait_alu 0xfffd
	v_add_co_ci_u32_e64 v5, null, v28, v14, vcc_lo
	flat_load_b128 v[4:7], v[4:5]
	s_wait_loadcnt_dscnt 0x0
	v_mul_f64_e32 v[17:18], s[14:15], v[6:7]
	v_mul_f64_e32 v[6:7], s[12:13], v[6:7]
	s_delay_alu instid0(VALU_DEP_2) | instskip(NEXT) | instid1(VALU_DEP_2)
	v_fma_f64 v[17:18], s[12:13], v[4:5], -v[17:18]
	v_fma_f64 v[4:5], s[14:15], v[4:5], v[6:7]
	s_delay_alu instid0(VALU_DEP_2) | instskip(NEXT) | instid1(VALU_DEP_2)
	v_add_f64_e32 v[0:1], v[0:1], v[17:18]
	v_add_f64_e32 v[2:3], v[2:3], v[4:5]
.LBB344_36:                             ;   in Loop: Header=BB344_4 Depth=1
	s_or_b32 s42, s40, exec_lo
.LBB344_37:                             ;   in Loop: Header=BB344_4 Depth=1
	s_or_b32 exec_lo, exec_lo, s41
	s_delay_alu instid0(SALU_CYCLE_1) | instskip(SKIP_1) | instid1(SALU_CYCLE_1)
	s_and_not1_b32 s40, s40, exec_lo
	s_and_b32 s41, s42, exec_lo
	s_or_b32 s40, s40, s41
.LBB344_38:                             ;   in Loop: Header=BB344_4 Depth=1
	s_wait_alu 0xfffe
	s_or_b32 exec_lo, exec_lo, s4
	v_dual_mov_b32 v4, v11 :: v_dual_mov_b32 v5, v12
	s_and_saveexec_b32 s4, s40
	s_cbranch_execz .LBB344_2
.LBB344_39:                             ;   in Loop: Header=BB344_4 Depth=1
	s_delay_alu instid0(VALU_DEP_1) | instskip(NEXT) | instid1(VALU_DEP_1)
	v_lshlrev_b64_e32 v[4:5], 4, v[4:5]
	v_add_co_u32 v4, vcc_lo, v27, v4
	s_wait_alu 0xfffd
	s_delay_alu instid0(VALU_DEP_2)
	v_add_co_ci_u32_e64 v5, null, v28, v5, vcc_lo
	flat_store_b128 v[4:5], v[0:3]
	s_branch .LBB344_2
.LBB344_40:
	s_endpgm
	.section	.rodata,"a",@progbits
	.p2align	6, 0x0
	.amdhsa_kernel _ZL20rocblas_gemvn_kernelILi32ELi16EiPK19rocblas_complex_numIdES1_KPS1_EviiT3_lPKT2_lT1_lS9_lSA_lS6_lPT4_lSA_li
		.amdhsa_group_segment_fixed_size 8192
		.amdhsa_private_segment_fixed_size 0
		.amdhsa_kernarg_size 416
		.amdhsa_user_sgpr_count 2
		.amdhsa_user_sgpr_dispatch_ptr 0
		.amdhsa_user_sgpr_queue_ptr 0
		.amdhsa_user_sgpr_kernarg_segment_ptr 1
		.amdhsa_user_sgpr_dispatch_id 0
		.amdhsa_user_sgpr_private_segment_size 0
		.amdhsa_wavefront_size32 1
		.amdhsa_uses_dynamic_stack 0
		.amdhsa_enable_private_segment 0
		.amdhsa_system_sgpr_workgroup_id_x 1
		.amdhsa_system_sgpr_workgroup_id_y 0
		.amdhsa_system_sgpr_workgroup_id_z 1
		.amdhsa_system_sgpr_workgroup_info 0
		.amdhsa_system_vgpr_workitem_id 1
		.amdhsa_next_free_vgpr 40
		.amdhsa_next_free_sgpr 43
		.amdhsa_reserve_vcc 1
		.amdhsa_float_round_mode_32 0
		.amdhsa_float_round_mode_16_64 0
		.amdhsa_float_denorm_mode_32 3
		.amdhsa_float_denorm_mode_16_64 3
		.amdhsa_fp16_overflow 0
		.amdhsa_workgroup_processor_mode 1
		.amdhsa_memory_ordered 1
		.amdhsa_forward_progress 1
		.amdhsa_inst_pref_size 17
		.amdhsa_round_robin_scheduling 0
		.amdhsa_exception_fp_ieee_invalid_op 0
		.amdhsa_exception_fp_denorm_src 0
		.amdhsa_exception_fp_ieee_div_zero 0
		.amdhsa_exception_fp_ieee_overflow 0
		.amdhsa_exception_fp_ieee_underflow 0
		.amdhsa_exception_fp_ieee_inexact 0
		.amdhsa_exception_int_div_zero 0
	.end_amdhsa_kernel
	.section	.text._ZL20rocblas_gemvn_kernelILi32ELi16EiPK19rocblas_complex_numIdES1_KPS1_EviiT3_lPKT2_lT1_lS9_lSA_lS6_lPT4_lSA_li,"axG",@progbits,_ZL20rocblas_gemvn_kernelILi32ELi16EiPK19rocblas_complex_numIdES1_KPS1_EviiT3_lPKT2_lT1_lS9_lSA_lS6_lPT4_lSA_li,comdat
.Lfunc_end344:
	.size	_ZL20rocblas_gemvn_kernelILi32ELi16EiPK19rocblas_complex_numIdES1_KPS1_EviiT3_lPKT2_lT1_lS9_lSA_lS6_lPT4_lSA_li, .Lfunc_end344-_ZL20rocblas_gemvn_kernelILi32ELi16EiPK19rocblas_complex_numIdES1_KPS1_EviiT3_lPKT2_lT1_lS9_lSA_lS6_lPT4_lSA_li
                                        ; -- End function
	.set _ZL20rocblas_gemvn_kernelILi32ELi16EiPK19rocblas_complex_numIdES1_KPS1_EviiT3_lPKT2_lT1_lS9_lSA_lS6_lPT4_lSA_li.num_vgpr, 40
	.set _ZL20rocblas_gemvn_kernelILi32ELi16EiPK19rocblas_complex_numIdES1_KPS1_EviiT3_lPKT2_lT1_lS9_lSA_lS6_lPT4_lSA_li.num_agpr, 0
	.set _ZL20rocblas_gemvn_kernelILi32ELi16EiPK19rocblas_complex_numIdES1_KPS1_EviiT3_lPKT2_lT1_lS9_lSA_lS6_lPT4_lSA_li.numbered_sgpr, 43
	.set _ZL20rocblas_gemvn_kernelILi32ELi16EiPK19rocblas_complex_numIdES1_KPS1_EviiT3_lPKT2_lT1_lS9_lSA_lS6_lPT4_lSA_li.num_named_barrier, 0
	.set _ZL20rocblas_gemvn_kernelILi32ELi16EiPK19rocblas_complex_numIdES1_KPS1_EviiT3_lPKT2_lT1_lS9_lSA_lS6_lPT4_lSA_li.private_seg_size, 0
	.set _ZL20rocblas_gemvn_kernelILi32ELi16EiPK19rocblas_complex_numIdES1_KPS1_EviiT3_lPKT2_lT1_lS9_lSA_lS6_lPT4_lSA_li.uses_vcc, 1
	.set _ZL20rocblas_gemvn_kernelILi32ELi16EiPK19rocblas_complex_numIdES1_KPS1_EviiT3_lPKT2_lT1_lS9_lSA_lS6_lPT4_lSA_li.uses_flat_scratch, 0
	.set _ZL20rocblas_gemvn_kernelILi32ELi16EiPK19rocblas_complex_numIdES1_KPS1_EviiT3_lPKT2_lT1_lS9_lSA_lS6_lPT4_lSA_li.has_dyn_sized_stack, 0
	.set _ZL20rocblas_gemvn_kernelILi32ELi16EiPK19rocblas_complex_numIdES1_KPS1_EviiT3_lPKT2_lT1_lS9_lSA_lS6_lPT4_lSA_li.has_recursion, 0
	.set _ZL20rocblas_gemvn_kernelILi32ELi16EiPK19rocblas_complex_numIdES1_KPS1_EviiT3_lPKT2_lT1_lS9_lSA_lS6_lPT4_lSA_li.has_indirect_call, 0
	.section	.AMDGPU.csdata,"",@progbits
; Kernel info:
; codeLenInByte = 2072
; TotalNumSgprs: 45
; NumVgprs: 40
; ScratchSize: 0
; MemoryBound: 1
; FloatMode: 240
; IeeeMode: 1
; LDSByteSize: 8192 bytes/workgroup (compile time only)
; SGPRBlocks: 0
; VGPRBlocks: 4
; NumSGPRsForWavesPerEU: 45
; NumVGPRsForWavesPerEU: 40
; Occupancy: 16
; WaveLimiterHint : 1
; COMPUTE_PGM_RSRC2:SCRATCH_EN: 0
; COMPUTE_PGM_RSRC2:USER_SGPR: 2
; COMPUTE_PGM_RSRC2:TRAP_HANDLER: 0
; COMPUTE_PGM_RSRC2:TGID_X_EN: 1
; COMPUTE_PGM_RSRC2:TGID_Y_EN: 0
; COMPUTE_PGM_RSRC2:TGID_Z_EN: 1
; COMPUTE_PGM_RSRC2:TIDIG_COMP_CNT: 1
	.section	.text._ZL20rocblas_gemvn_kernelILi32ELi16ElPK19rocblas_complex_numIdES1_KPS1_EviiT3_lPKT2_lT1_lS9_lSA_lS6_lPT4_lSA_li,"axG",@progbits,_ZL20rocblas_gemvn_kernelILi32ELi16ElPK19rocblas_complex_numIdES1_KPS1_EviiT3_lPKT2_lT1_lS9_lSA_lS6_lPT4_lSA_li,comdat
	.globl	_ZL20rocblas_gemvn_kernelILi32ELi16ElPK19rocblas_complex_numIdES1_KPS1_EviiT3_lPKT2_lT1_lS9_lSA_lS6_lPT4_lSA_li ; -- Begin function _ZL20rocblas_gemvn_kernelILi32ELi16ElPK19rocblas_complex_numIdES1_KPS1_EviiT3_lPKT2_lT1_lS9_lSA_lS6_lPT4_lSA_li
	.p2align	8
	.type	_ZL20rocblas_gemvn_kernelILi32ELi16ElPK19rocblas_complex_numIdES1_KPS1_EviiT3_lPKT2_lT1_lS9_lSA_lS6_lPT4_lSA_li,@function
_ZL20rocblas_gemvn_kernelILi32ELi16ElPK19rocblas_complex_numIdES1_KPS1_EviiT3_lPKT2_lT1_lS9_lSA_lS6_lPT4_lSA_li: ; @_ZL20rocblas_gemvn_kernelILi32ELi16ElPK19rocblas_complex_numIdES1_KPS1_EviiT3_lPKT2_lT1_lS9_lSA_lS6_lPT4_lSA_li
; %bb.0:
	s_clause 0x1
	s_load_b64 s[2:3], s[0:1], 0xac
	s_load_b32 s33, s[0:1], 0x98
	s_lshr_b32 s6, ttmp7, 16
	s_wait_kmcnt 0x0
	s_lshr_b32 s4, s2, 16
	s_and_b32 s2, s2, 0xffff
	s_and_b32 s3, s3, 0xffff
	s_mul_i32 s4, s4, s2
	s_delay_alu instid0(SALU_CYCLE_1) | instskip(NEXT) | instid1(SALU_CYCLE_1)
	s_mul_i32 s4, s4, s3
	s_cmp_lg_u32 s4, 0x200
	s_cselect_b32 s3, -1, 0
	s_cmp_ge_u32 s6, s33
	s_cselect_b32 s4, -1, 0
	s_delay_alu instid0(SALU_CYCLE_1) | instskip(NEXT) | instid1(SALU_CYCLE_1)
	s_or_b32 s3, s3, s4
	s_and_b32 vcc_lo, exec_lo, s3
	s_cbranch_vccnz .LBB345_40
; %bb.1:
	s_clause 0x6
	s_load_b128 s[8:11], s[0:1], 0x8
	s_load_b128 s[12:15], s[0:1], 0x60
	s_load_b64 s[4:5], s[0:1], 0x0
	s_load_b128 s[16:19], s[0:1], 0x78
	s_load_b128 s[20:23], s[0:1], 0x20
	s_load_b64 s[28:29], s[0:1], 0x30
	s_load_b64 s[34:35], s[0:1], 0x88
	v_dual_mov_b32 v8, 0 :: v_dual_and_b32 v1, 0x3ff, v0
	v_bfe_u32 v0, v0, 10, 10
	s_clause 0x1
	s_load_b64 s[30:31], s[0:1], 0x50
	s_load_b128 s[24:27], s[0:1], 0x40
	s_lshl_b32 s36, ttmp9, 5
	s_mov_b32 s7, 0
	v_mad_u32_u24 v16, v0, s2, v1
	s_delay_alu instid0(VALU_DEP_1)
	v_add_nc_u32_e32 v7, s36, v16
	s_wait_kmcnt 0x0
	v_cmp_neq_f64_e64 s37, s[8:9], 0
	v_cmp_neq_f64_e64 s42, s[10:11], 0
	v_cmp_neq_f64_e64 s39, s[12:13], 1.0
	v_cmp_neq_f64_e64 s40, s[14:15], 0
	v_cmp_neq_f64_e64 s41, s[12:13], 0
	v_lshrrev_b32_e32 v23, 5, v16
	v_mad_co_u64_u32 v[9:10], null, s34, v7, 0
	s_ashr_i32 s3, s4, 31
	s_mov_b32 s2, s4
	v_mad_co_u64_u32 v[2:3], null, s30, v23, 0
	v_mad_co_u64_u32 v[4:5], null, s28, v23, 0
	v_mov_b32_e32 v6, v10
	s_wait_alu 0xfffe
	v_cmp_gt_i64_e32 vcc_lo, s[2:3], v[7:8]
	v_and_or_b32 v0, v16, 31, s36
	s_ashr_i32 s1, s5, 31
	v_or_b32_e32 v17, s36, v16
	v_mad_co_u64_u32 v[6:7], null, s35, v7, v[6:7]
	v_mad_co_u64_u32 v[13:14], null, s31, v23, v[3:4]
	s_lshr_b32 s1, s1, 28
	v_ashrrev_i32_e32 v1, 31, v0
	s_add_co_i32 s1, s5, s1
	v_mul_lo_u32 v18, s35, v17
	v_mad_co_u64_u32 v[14:15], null, s29, v23, v[5:6]
	v_lshlrev_b32_e32 v24, 4, v16
	s_and_b32 s38, s1, -16
	v_dual_mov_b32 v10, v6 :: v_dual_mov_b32 v3, v13
	s_sub_co_i32 s2, s5, s38
	v_mad_co_u64_u32 v[11:12], null, s34, v17, 0
	s_delay_alu instid0(VALU_DEP_4)
	v_mov_b32_e32 v5, v14
	v_lshlrev_b64_e32 v[13:14], 4, v[0:1]
	v_cmp_gt_i32_e64 s0, s4, v0
	s_or_b32 s3, s37, s42
	v_cmp_gt_i32_e64 s1, s38, v23
	s_or_b32 s39, s39, s40
	s_or_b32 s40, s41, s40
	s_wait_alu 0xfffe
	s_xor_b32 s41, s3, -1
	v_lshlrev_b64_e32 v[4:5], 4, v[4:5]
	s_cmp_gt_i32 s2, 0
	v_cmp_gt_u32_e64 s2, 32, v16
	v_lshlrev_b64_e32 v[15:16], 4, v[2:3]
	v_cndmask_b32_e64 v25, 0, 1, s3
	s_cselect_b32 s42, -1, 0
	s_ashr_i32 s3, s36, 31
	s_and_b32 s43, s2, vcc_lo
	v_add_co_u32 v0, vcc_lo, v4, v13
	s_wait_alu 0xfffe
	s_mul_i32 s34, s34, s3
	v_cmp_gt_i32_e64 s3, s4, v17
	s_wait_alu 0xfffe
	v_add3_u32 v12, v12, s34, v18
	v_lshlrev_b64_e32 v[17:18], 4, v[9:10]
	v_or_b32_e32 v15, 8, v15
	v_add_co_ci_u32_e64 v26, null, v5, v14, vcc_lo
	v_or_b32_e32 v27, 8, v0
	s_lshl_b64 s[34:35], s[30:31], 8
	s_lshl_b64 s[36:37], s[28:29], 8
	;; [unrolled: 1-line block ×5, first 2 shown]
	s_branch .LBB345_4
.LBB345_2:                              ;   in Loop: Header=BB345_4 Depth=1
	s_wait_alu 0xfffe
	s_or_b32 exec_lo, exec_lo, s4
.LBB345_3:                              ;   in Loop: Header=BB345_4 Depth=1
	s_add_co_i32 s6, s6, 0x10000
	s_delay_alu instid0(SALU_CYCLE_1)
	s_cmp_lt_u32 s6, s33
	s_cbranch_scc0 .LBB345_40
.LBB345_4:                              ; =>This Loop Header: Depth=1
                                        ;     Child Loop BB345_21 Depth 2
	s_and_not1_b32 vcc_lo, exec_lo, s41
	s_mov_b32 s4, s7
	s_mov_b32 s44, -1
	s_wait_alu 0xfffe
	s_cbranch_vccnz .LBB345_7
; %bb.5:                                ;   in Loop: Header=BB345_4 Depth=1
	s_mov_b32 s44, 0
	s_and_b32 vcc_lo, exec_lo, s39
	s_mov_b32 s4, 0
	s_wait_alu 0xfffe
	s_cbranch_vccz .LBB345_7
; %bb.6:                                ;   in Loop: Header=BB345_4 Depth=1
	s_mov_b32 s4, -1
.LBB345_7:                              ;   in Loop: Header=BB345_4 Depth=1
	v_mov_b32_e32 v19, 0
	v_mov_b32_e32 v20, 0
	s_and_b32 vcc_lo, exec_lo, s44
	s_wait_alu 0xfffe
	s_cbranch_vccnz .LBB345_9
; %bb.8:                                ;   in Loop: Header=BB345_4 Depth=1
	s_and_not1_b32 vcc_lo, exec_lo, s4
	s_wait_alu 0xfffe
	s_cbranch_vccnz .LBB345_3
	s_branch .LBB345_10
.LBB345_9:                              ;   in Loop: Header=BB345_4 Depth=1
	s_lshl_b64 s[44:45], s[6:7], 3
	s_delay_alu instid0(SALU_CYCLE_1)
	s_add_nc_u64 s[44:45], s[20:21], s[44:45]
	global_load_b64 v[0:1], v8, s[44:45]
	s_wait_loadcnt 0x0
	v_add_co_u32 v19, vcc_lo, v0, s22
	s_wait_alu 0xfffd
	v_add_co_ci_u32_e64 v20, null, s23, v1, vcc_lo
.LBB345_10:                             ;   in Loop: Header=BB345_4 Depth=1
	v_cmp_ne_u32_e32 vcc_lo, 1, v25
	v_mov_b32_e32 v21, 0
	v_mov_b32_e32 v22, 0
	s_cbranch_vccnz .LBB345_12
; %bb.11:                               ;   in Loop: Header=BB345_4 Depth=1
	s_lshl_b64 s[44:45], s[6:7], 3
	s_delay_alu instid0(SALU_CYCLE_1)
	s_add_nc_u64 s[44:45], s[24:25], s[44:45]
	global_load_b64 v[0:1], v8, s[44:45]
	s_wait_loadcnt 0x0
	v_add_co_u32 v21, vcc_lo, v0, s26
	s_wait_alu 0xfffd
	v_add_co_ci_u32_e64 v22, null, s27, v1, vcc_lo
.LBB345_12:                             ;   in Loop: Header=BB345_4 Depth=1
	s_lshl_b64 s[44:45], s[6:7], 3
	s_delay_alu instid0(SALU_CYCLE_1)
	s_add_nc_u64 s[44:45], s[16:17], s[44:45]
	global_load_b64 v[0:1], v8, s[44:45]
	s_wait_loadcnt 0x0
	v_add_co_u32 v28, vcc_lo, v0, s18
	s_wait_alu 0xfffd
	v_add_co_ci_u32_e64 v29, null, s19, v1, vcc_lo
	s_and_not1_b32 vcc_lo, exec_lo, s41
	s_wait_alu 0xfffe
	s_cbranch_vccnz .LBB345_17
; %bb.13:                               ;   in Loop: Header=BB345_4 Depth=1
	s_mov_b32 s4, 0
	s_mov_b32 s44, 0
                                        ; implicit-def: $vgpr2_vgpr3
	s_and_saveexec_b32 s45, s43
	s_cbranch_execz .LBB345_23
; %bb.14:                               ;   in Loop: Header=BB345_4 Depth=1
	v_mov_b32_e32 v2, 0
	v_dual_mov_b32 v3, 0 :: v_dual_mov_b32 v0, 0
	v_mov_b32_e32 v1, 0
	s_and_not1_b32 vcc_lo, exec_lo, s40
	s_wait_alu 0xfffe
	s_cbranch_vccnz .LBB345_16
; %bb.15:                               ;   in Loop: Header=BB345_4 Depth=1
	v_add_co_u32 v0, vcc_lo, v28, v17
	s_wait_alu 0xfffd
	v_add_co_ci_u32_e64 v1, null, v29, v18, vcc_lo
	flat_load_b128 v[2:5], v[0:1]
	s_wait_loadcnt_dscnt 0x0
	v_mul_f64_e32 v[0:1], s[14:15], v[4:5]
	v_mul_f64_e32 v[4:5], s[12:13], v[4:5]
	s_delay_alu instid0(VALU_DEP_2) | instskip(NEXT) | instid1(VALU_DEP_2)
	v_fma_f64 v[0:1], s[12:13], v[2:3], -v[0:1]
	v_fma_f64 v[2:3], s[14:15], v[2:3], v[4:5]
.LBB345_16:                             ;   in Loop: Header=BB345_4 Depth=1
	s_mov_b32 s44, exec_lo
	s_or_b32 exec_lo, exec_lo, s45
	s_delay_alu instid0(SALU_CYCLE_1)
	s_and_b32 vcc_lo, exec_lo, s4
	s_wait_alu 0xfffe
	s_cbranch_vccnz .LBB345_18
	s_branch .LBB345_24
.LBB345_17:                             ;   in Loop: Header=BB345_4 Depth=1
	s_mov_b32 s44, 0
                                        ; implicit-def: $vgpr2_vgpr3
	s_cbranch_execz .LBB345_24
.LBB345_18:                             ;   in Loop: Header=BB345_4 Depth=1
	v_mov_b32_e32 v2, 0
	v_dual_mov_b32 v3, 0 :: v_dual_mov_b32 v0, 0
	v_dual_mov_b32 v1, 0 :: v_dual_mov_b32 v30, v23
	s_and_saveexec_b32 s45, s1
	s_cbranch_execz .LBB345_26
; %bb.19:                               ;   in Loop: Header=BB345_4 Depth=1
	v_mov_b32_e32 v2, 0
	v_dual_mov_b32 v3, 0 :: v_dual_mov_b32 v30, v23
	v_add_co_u32 v4, vcc_lo, v21, v15
	s_wait_alu 0xfffd
	v_add_co_ci_u32_e64 v5, null, v22, v16, vcc_lo
	v_add_co_u32 v6, vcc_lo, v19, v27
	s_wait_alu 0xfffd
	v_add_co_ci_u32_e64 v7, null, v20, v26, vcc_lo
	v_dual_mov_b32 v0, v2 :: v_dual_mov_b32 v1, v3
	s_mov_b32 s46, 0
	s_branch .LBB345_21
.LBB345_20:                             ;   in Loop: Header=BB345_21 Depth=2
	s_wait_alu 0xfffe
	s_or_b32 exec_lo, exec_lo, s4
	v_add_nc_u32_e32 v30, 16, v30
	v_add_co_u32 v4, vcc_lo, v4, s34
	s_wait_alu 0xfffd
	v_add_co_ci_u32_e64 v5, null, s35, v5, vcc_lo
	s_delay_alu instid0(VALU_DEP_3) | instskip(SKIP_4) | instid1(SALU_CYCLE_1)
	v_cmp_le_i32_e32 vcc_lo, s38, v30
	v_add_co_u32 v6, s4, v6, s36
	s_wait_alu 0xf1ff
	v_add_co_ci_u32_e64 v7, null, s37, v7, s4
	s_or_b32 s46, vcc_lo, s46
	s_and_not1_b32 exec_lo, exec_lo, s46
	s_cbranch_execz .LBB345_25
.LBB345_21:                             ;   Parent Loop BB345_4 Depth=1
                                        ; =>  This Inner Loop Header: Depth=2
	s_and_saveexec_b32 s4, s0
	s_cbranch_execz .LBB345_20
; %bb.22:                               ;   in Loop: Header=BB345_21 Depth=2
	flat_load_b128 v[31:34], v[4:5] offset:-8
	flat_load_b128 v[35:38], v[6:7] offset:-8
	s_wait_loadcnt_dscnt 0x0
	v_mul_f64_e32 v[39:40], v[33:34], v[37:38]
	v_mul_f64_e32 v[37:38], v[31:32], v[37:38]
	s_delay_alu instid0(VALU_DEP_2) | instskip(NEXT) | instid1(VALU_DEP_2)
	v_fma_f64 v[31:32], v[31:32], v[35:36], -v[39:40]
	v_fma_f64 v[33:34], v[33:34], v[35:36], v[37:38]
	s_delay_alu instid0(VALU_DEP_2) | instskip(NEXT) | instid1(VALU_DEP_2)
	v_add_f64_e32 v[0:1], v[0:1], v[31:32]
	v_add_f64_e32 v[2:3], v[2:3], v[33:34]
	s_branch .LBB345_20
.LBB345_23:                             ;   in Loop: Header=BB345_4 Depth=1
	s_or_b32 exec_lo, exec_lo, s45
	s_wait_alu 0xfffe
	s_and_b32 vcc_lo, exec_lo, s4
	s_wait_alu 0xfffe
	s_cbranch_vccnz .LBB345_18
.LBB345_24:                             ;   in Loop: Header=BB345_4 Depth=1
	v_dual_mov_b32 v4, v9 :: v_dual_mov_b32 v5, v10
	s_and_saveexec_b32 s4, s44
	s_cbranch_execz .LBB345_2
	s_branch .LBB345_39
.LBB345_25:                             ;   in Loop: Header=BB345_4 Depth=1
	s_or_b32 exec_lo, exec_lo, s46
.LBB345_26:                             ;   in Loop: Header=BB345_4 Depth=1
	s_delay_alu instid0(SALU_CYCLE_1) | instskip(NEXT) | instid1(SALU_CYCLE_1)
	s_or_b32 exec_lo, exec_lo, s45
	s_and_not1_b32 vcc_lo, exec_lo, s42
	s_wait_alu 0xfffe
	s_cbranch_vccnz .LBB345_32
; %bb.27:                               ;   in Loop: Header=BB345_4 Depth=1
	v_mov_b32_e32 v4, 0
	v_dual_mov_b32 v5, 0 :: v_dual_mov_b32 v6, 0
	v_mov_b32_e32 v7, 0
	v_cmp_gt_i32_e32 vcc_lo, s5, v30
	s_and_saveexec_b32 s45, vcc_lo
	s_cbranch_execz .LBB345_29
; %bb.28:                               ;   in Loop: Header=BB345_4 Depth=1
	v_mad_co_u64_u32 v[4:5], null, s30, v30, 0
	s_delay_alu instid0(VALU_DEP_1) | instskip(NEXT) | instid1(VALU_DEP_1)
	v_mad_co_u64_u32 v[5:6], null, s31, v30, v[5:6]
	v_lshlrev_b64_e32 v[4:5], 4, v[4:5]
	s_delay_alu instid0(VALU_DEP_1) | instskip(SKIP_1) | instid1(VALU_DEP_2)
	v_add_co_u32 v4, s4, v21, v4
	s_wait_alu 0xf1ff
	v_add_co_ci_u32_e64 v5, null, v22, v5, s4
	flat_load_b128 v[4:7], v[4:5]
.LBB345_29:                             ;   in Loop: Header=BB345_4 Depth=1
	s_or_b32 exec_lo, exec_lo, s45
	s_and_saveexec_b32 s4, s0
	s_cbranch_execz .LBB345_31
; %bb.30:                               ;   in Loop: Header=BB345_4 Depth=1
	v_mad_co_u64_u32 v[21:22], null, s28, v30, 0
	s_delay_alu instid0(VALU_DEP_1) | instskip(NEXT) | instid1(VALU_DEP_1)
	v_mad_co_u64_u32 v[30:31], null, s29, v30, v[22:23]
	v_dual_cndmask_b32 v21, 0, v21 :: v_dual_cndmask_b32 v22, 0, v30
	s_delay_alu instid0(VALU_DEP_1) | instskip(NEXT) | instid1(VALU_DEP_1)
	v_lshlrev_b64_e32 v[21:22], 4, v[21:22]
	v_add_co_u32 v19, vcc_lo, v19, v21
	s_wait_alu 0xfffd
	s_delay_alu instid0(VALU_DEP_2) | instskip(NEXT) | instid1(VALU_DEP_2)
	v_add_co_ci_u32_e64 v20, null, v20, v22, vcc_lo
	v_add_co_u32 v19, vcc_lo, v19, v13
	s_wait_alu 0xfffd
	s_delay_alu instid0(VALU_DEP_2) | instskip(SKIP_4) | instid1(VALU_DEP_2)
	v_add_co_ci_u32_e64 v20, null, v20, v14, vcc_lo
	flat_load_b128 v[19:22], v[19:20]
	s_wait_loadcnt_dscnt 0x0
	v_mul_f64_e32 v[30:31], v[6:7], v[21:22]
	v_mul_f64_e32 v[21:22], v[4:5], v[21:22]
	v_fma_f64 v[4:5], v[4:5], v[19:20], -v[30:31]
	s_delay_alu instid0(VALU_DEP_2) | instskip(NEXT) | instid1(VALU_DEP_2)
	v_fma_f64 v[6:7], v[6:7], v[19:20], v[21:22]
	v_add_f64_e32 v[0:1], v[0:1], v[4:5]
	s_delay_alu instid0(VALU_DEP_2)
	v_add_f64_e32 v[2:3], v[2:3], v[6:7]
.LBB345_31:                             ;   in Loop: Header=BB345_4 Depth=1
	s_wait_alu 0xfffe
	s_or_b32 exec_lo, exec_lo, s4
.LBB345_32:                             ;   in Loop: Header=BB345_4 Depth=1
	ds_store_b128 v24, v[0:3]
	s_wait_loadcnt_dscnt 0x0
	s_barrier_signal -1
	s_barrier_wait -1
	global_inv scope:SCOPE_SE
                                        ; implicit-def: $vgpr2_vgpr3
	s_and_saveexec_b32 s4, s2
	s_cbranch_execz .LBB345_38
; %bb.33:                               ;   in Loop: Header=BB345_4 Depth=1
	ds_load_b128 v[0:3], v24
	ds_load_b128 v[4:7], v24 offset:512
	s_mov_b32 s46, s44
	s_wait_dscnt 0x0
	v_add_f64_e32 v[19:20], v[0:1], v[4:5]
	v_add_f64_e32 v[21:22], v[2:3], v[6:7]
	ds_load_b128 v[0:3], v24 offset:1024
	ds_load_b128 v[4:7], v24 offset:1536
	s_wait_dscnt 0x1
	v_add_f64_e32 v[0:1], v[19:20], v[0:1]
	v_add_f64_e32 v[2:3], v[21:22], v[2:3]
	s_wait_dscnt 0x0
	s_delay_alu instid0(VALU_DEP_2) | instskip(NEXT) | instid1(VALU_DEP_2)
	v_add_f64_e32 v[19:20], v[0:1], v[4:5]
	v_add_f64_e32 v[21:22], v[2:3], v[6:7]
	ds_load_b128 v[0:3], v24 offset:2048
	ds_load_b128 v[4:7], v24 offset:2560
	s_wait_dscnt 0x1
	v_add_f64_e32 v[0:1], v[19:20], v[0:1]
	v_add_f64_e32 v[2:3], v[21:22], v[2:3]
	s_wait_dscnt 0x0
	s_delay_alu instid0(VALU_DEP_2) | instskip(NEXT) | instid1(VALU_DEP_2)
	;; [unrolled: 9-line block ×7, first 2 shown]
	v_add_f64_e32 v[4:5], v[0:1], v[4:5]
	v_add_f64_e32 v[6:7], v[2:3], v[6:7]
                                        ; implicit-def: $vgpr2_vgpr3
	ds_store_b128 v24, v[4:7]
	s_and_saveexec_b32 s45, s3
	s_cbranch_execz .LBB345_37
; %bb.34:                               ;   in Loop: Header=BB345_4 Depth=1
	v_mul_f64_e32 v[0:1], s[10:11], v[6:7]
	v_mul_f64_e32 v[2:3], s[8:9], v[6:7]
	s_and_not1_b32 vcc_lo, exec_lo, s40
	s_delay_alu instid0(VALU_DEP_2) | instskip(NEXT) | instid1(VALU_DEP_2)
	v_fma_f64 v[0:1], s[8:9], v[4:5], -v[0:1]
	v_fma_f64 v[2:3], s[10:11], v[4:5], v[2:3]
	s_wait_alu 0xfffe
	s_cbranch_vccnz .LBB345_36
; %bb.35:                               ;   in Loop: Header=BB345_4 Depth=1
	v_lshlrev_b64_e32 v[4:5], 4, v[11:12]
	s_delay_alu instid0(VALU_DEP_1) | instskip(SKIP_1) | instid1(VALU_DEP_2)
	v_add_co_u32 v4, vcc_lo, v28, v4
	s_wait_alu 0xfffd
	v_add_co_ci_u32_e64 v5, null, v29, v5, vcc_lo
	flat_load_b128 v[4:7], v[4:5]
	s_wait_loadcnt_dscnt 0x0
	v_mul_f64_e32 v[19:20], s[14:15], v[6:7]
	v_mul_f64_e32 v[6:7], s[12:13], v[6:7]
	s_delay_alu instid0(VALU_DEP_2) | instskip(NEXT) | instid1(VALU_DEP_2)
	v_fma_f64 v[19:20], s[12:13], v[4:5], -v[19:20]
	v_fma_f64 v[4:5], s[14:15], v[4:5], v[6:7]
	s_delay_alu instid0(VALU_DEP_2) | instskip(NEXT) | instid1(VALU_DEP_2)
	v_add_f64_e32 v[0:1], v[0:1], v[19:20]
	v_add_f64_e32 v[2:3], v[2:3], v[4:5]
.LBB345_36:                             ;   in Loop: Header=BB345_4 Depth=1
	s_or_b32 s46, s44, exec_lo
.LBB345_37:                             ;   in Loop: Header=BB345_4 Depth=1
	s_or_b32 exec_lo, exec_lo, s45
	s_delay_alu instid0(SALU_CYCLE_1) | instskip(SKIP_1) | instid1(SALU_CYCLE_1)
	s_and_not1_b32 s44, s44, exec_lo
	s_and_b32 s45, s46, exec_lo
	s_or_b32 s44, s44, s45
.LBB345_38:                             ;   in Loop: Header=BB345_4 Depth=1
	s_wait_alu 0xfffe
	s_or_b32 exec_lo, exec_lo, s4
	v_dual_mov_b32 v4, v11 :: v_dual_mov_b32 v5, v12
	s_and_saveexec_b32 s4, s44
	s_cbranch_execz .LBB345_2
.LBB345_39:                             ;   in Loop: Header=BB345_4 Depth=1
	s_delay_alu instid0(VALU_DEP_1) | instskip(NEXT) | instid1(VALU_DEP_1)
	v_lshlrev_b64_e32 v[4:5], 4, v[4:5]
	v_add_co_u32 v4, vcc_lo, v28, v4
	s_wait_alu 0xfffd
	s_delay_alu instid0(VALU_DEP_2)
	v_add_co_ci_u32_e64 v5, null, v29, v5, vcc_lo
	flat_store_b128 v[4:5], v[0:3]
	s_branch .LBB345_2
.LBB345_40:
	s_endpgm
	.section	.rodata,"a",@progbits
	.p2align	6, 0x0
	.amdhsa_kernel _ZL20rocblas_gemvn_kernelILi32ELi16ElPK19rocblas_complex_numIdES1_KPS1_EviiT3_lPKT2_lT1_lS9_lSA_lS6_lPT4_lSA_li
		.amdhsa_group_segment_fixed_size 8192
		.amdhsa_private_segment_fixed_size 0
		.amdhsa_kernarg_size 416
		.amdhsa_user_sgpr_count 2
		.amdhsa_user_sgpr_dispatch_ptr 0
		.amdhsa_user_sgpr_queue_ptr 0
		.amdhsa_user_sgpr_kernarg_segment_ptr 1
		.amdhsa_user_sgpr_dispatch_id 0
		.amdhsa_user_sgpr_private_segment_size 0
		.amdhsa_wavefront_size32 1
		.amdhsa_uses_dynamic_stack 0
		.amdhsa_enable_private_segment 0
		.amdhsa_system_sgpr_workgroup_id_x 1
		.amdhsa_system_sgpr_workgroup_id_y 0
		.amdhsa_system_sgpr_workgroup_id_z 1
		.amdhsa_system_sgpr_workgroup_info 0
		.amdhsa_system_vgpr_workitem_id 1
		.amdhsa_next_free_vgpr 41
		.amdhsa_next_free_sgpr 47
		.amdhsa_reserve_vcc 1
		.amdhsa_float_round_mode_32 0
		.amdhsa_float_round_mode_16_64 0
		.amdhsa_float_denorm_mode_32 3
		.amdhsa_float_denorm_mode_16_64 3
		.amdhsa_fp16_overflow 0
		.amdhsa_workgroup_processor_mode 1
		.amdhsa_memory_ordered 1
		.amdhsa_forward_progress 1
		.amdhsa_inst_pref_size 17
		.amdhsa_round_robin_scheduling 0
		.amdhsa_exception_fp_ieee_invalid_op 0
		.amdhsa_exception_fp_denorm_src 0
		.amdhsa_exception_fp_ieee_div_zero 0
		.amdhsa_exception_fp_ieee_overflow 0
		.amdhsa_exception_fp_ieee_underflow 0
		.amdhsa_exception_fp_ieee_inexact 0
		.amdhsa_exception_int_div_zero 0
	.end_amdhsa_kernel
	.section	.text._ZL20rocblas_gemvn_kernelILi32ELi16ElPK19rocblas_complex_numIdES1_KPS1_EviiT3_lPKT2_lT1_lS9_lSA_lS6_lPT4_lSA_li,"axG",@progbits,_ZL20rocblas_gemvn_kernelILi32ELi16ElPK19rocblas_complex_numIdES1_KPS1_EviiT3_lPKT2_lT1_lS9_lSA_lS6_lPT4_lSA_li,comdat
.Lfunc_end345:
	.size	_ZL20rocblas_gemvn_kernelILi32ELi16ElPK19rocblas_complex_numIdES1_KPS1_EviiT3_lPKT2_lT1_lS9_lSA_lS6_lPT4_lSA_li, .Lfunc_end345-_ZL20rocblas_gemvn_kernelILi32ELi16ElPK19rocblas_complex_numIdES1_KPS1_EviiT3_lPKT2_lT1_lS9_lSA_lS6_lPT4_lSA_li
                                        ; -- End function
	.set _ZL20rocblas_gemvn_kernelILi32ELi16ElPK19rocblas_complex_numIdES1_KPS1_EviiT3_lPKT2_lT1_lS9_lSA_lS6_lPT4_lSA_li.num_vgpr, 41
	.set _ZL20rocblas_gemvn_kernelILi32ELi16ElPK19rocblas_complex_numIdES1_KPS1_EviiT3_lPKT2_lT1_lS9_lSA_lS6_lPT4_lSA_li.num_agpr, 0
	.set _ZL20rocblas_gemvn_kernelILi32ELi16ElPK19rocblas_complex_numIdES1_KPS1_EviiT3_lPKT2_lT1_lS9_lSA_lS6_lPT4_lSA_li.numbered_sgpr, 47
	.set _ZL20rocblas_gemvn_kernelILi32ELi16ElPK19rocblas_complex_numIdES1_KPS1_EviiT3_lPKT2_lT1_lS9_lSA_lS6_lPT4_lSA_li.num_named_barrier, 0
	.set _ZL20rocblas_gemvn_kernelILi32ELi16ElPK19rocblas_complex_numIdES1_KPS1_EviiT3_lPKT2_lT1_lS9_lSA_lS6_lPT4_lSA_li.private_seg_size, 0
	.set _ZL20rocblas_gemvn_kernelILi32ELi16ElPK19rocblas_complex_numIdES1_KPS1_EviiT3_lPKT2_lT1_lS9_lSA_lS6_lPT4_lSA_li.uses_vcc, 1
	.set _ZL20rocblas_gemvn_kernelILi32ELi16ElPK19rocblas_complex_numIdES1_KPS1_EviiT3_lPKT2_lT1_lS9_lSA_lS6_lPT4_lSA_li.uses_flat_scratch, 0
	.set _ZL20rocblas_gemvn_kernelILi32ELi16ElPK19rocblas_complex_numIdES1_KPS1_EviiT3_lPKT2_lT1_lS9_lSA_lS6_lPT4_lSA_li.has_dyn_sized_stack, 0
	.set _ZL20rocblas_gemvn_kernelILi32ELi16ElPK19rocblas_complex_numIdES1_KPS1_EviiT3_lPKT2_lT1_lS9_lSA_lS6_lPT4_lSA_li.has_recursion, 0
	.set _ZL20rocblas_gemvn_kernelILi32ELi16ElPK19rocblas_complex_numIdES1_KPS1_EviiT3_lPKT2_lT1_lS9_lSA_lS6_lPT4_lSA_li.has_indirect_call, 0
	.section	.AMDGPU.csdata,"",@progbits
; Kernel info:
; codeLenInByte = 2172
; TotalNumSgprs: 49
; NumVgprs: 41
; ScratchSize: 0
; MemoryBound: 1
; FloatMode: 240
; IeeeMode: 1
; LDSByteSize: 8192 bytes/workgroup (compile time only)
; SGPRBlocks: 0
; VGPRBlocks: 5
; NumSGPRsForWavesPerEU: 49
; NumVGPRsForWavesPerEU: 41
; Occupancy: 16
; WaveLimiterHint : 1
; COMPUTE_PGM_RSRC2:SCRATCH_EN: 0
; COMPUTE_PGM_RSRC2:USER_SGPR: 2
; COMPUTE_PGM_RSRC2:TRAP_HANDLER: 0
; COMPUTE_PGM_RSRC2:TGID_X_EN: 1
; COMPUTE_PGM_RSRC2:TGID_Y_EN: 0
; COMPUTE_PGM_RSRC2:TGID_Z_EN: 1
; COMPUTE_PGM_RSRC2:TIDIG_COMP_CNT: 1
	.section	.text._ZL20rocblas_gemvn_kernelILi64ELi16EiPK19rocblas_complex_numIdES3_KPS1_EviiT3_lPKT2_lT1_lS9_lSA_lS6_lPT4_lSA_li,"axG",@progbits,_ZL20rocblas_gemvn_kernelILi64ELi16EiPK19rocblas_complex_numIdES3_KPS1_EviiT3_lPKT2_lT1_lS9_lSA_lS6_lPT4_lSA_li,comdat
	.globl	_ZL20rocblas_gemvn_kernelILi64ELi16EiPK19rocblas_complex_numIdES3_KPS1_EviiT3_lPKT2_lT1_lS9_lSA_lS6_lPT4_lSA_li ; -- Begin function _ZL20rocblas_gemvn_kernelILi64ELi16EiPK19rocblas_complex_numIdES3_KPS1_EviiT3_lPKT2_lT1_lS9_lSA_lS6_lPT4_lSA_li
	.p2align	8
	.type	_ZL20rocblas_gemvn_kernelILi64ELi16EiPK19rocblas_complex_numIdES3_KPS1_EviiT3_lPKT2_lT1_lS9_lSA_lS6_lPT4_lSA_li,@function
_ZL20rocblas_gemvn_kernelILi64ELi16EiPK19rocblas_complex_numIdES3_KPS1_EviiT3_lPKT2_lT1_lS9_lSA_lS6_lPT4_lSA_li: ; @_ZL20rocblas_gemvn_kernelILi64ELi16EiPK19rocblas_complex_numIdES3_KPS1_EviiT3_lPKT2_lT1_lS9_lSA_lS6_lPT4_lSA_li
; %bb.0:
	s_clause 0x1
	s_load_b64 s[2:3], s[0:1], 0x9c
	s_load_b32 s28, s[0:1], 0x88
	s_lshr_b32 s6, ttmp7, 16
	s_wait_kmcnt 0x0
	s_lshr_b32 s4, s2, 16
	s_and_b32 s2, s2, 0xffff
	s_and_b32 s3, s3, 0xffff
	s_mul_i32 s4, s4, s2
	s_delay_alu instid0(SALU_CYCLE_1) | instskip(NEXT) | instid1(SALU_CYCLE_1)
	s_mul_i32 s4, s4, s3
	s_cmp_lg_u32 s4, 0x400
	s_cselect_b32 s3, -1, 0
	s_cmp_ge_u32 s6, s28
	s_cselect_b32 s4, -1, 0
	s_delay_alu instid0(SALU_CYCLE_1) | instskip(NEXT) | instid1(SALU_CYCLE_1)
	s_or_b32 s3, s3, s4
	s_and_b32 vcc_lo, exec_lo, s3
	s_cbranch_vccnz .LBB346_39
; %bb.1:
	s_clause 0x1
	s_load_b32 s3, s[0:1], 0x78
	s_load_b64 s[4:5], s[0:1], 0x0
	v_dual_mov_b32 v16, 0 :: v_dual_and_b32 v1, 0x3ff, v0
	v_bfe_u32 v0, v0, 10, 10
	s_lshl_b32 s36, ttmp9, 6
	s_clause 0x4
	s_load_b256 s[8:15], s[0:1], 0x8
	s_load_b32 s29, s[0:1], 0x28
	s_load_b128 s[24:27], s[0:1], 0x38
	s_load_b32 s30, s[0:1], 0x48
	s_load_b256 s[16:23], s[0:1], 0x58
	s_mov_b32 s7, 0
	v_mad_u32_u24 v0, v0, s2, v1
	s_delay_alu instid0(VALU_DEP_1)
	v_add_nc_u32_e32 v15, s36, v0
	v_and_b32_e32 v2, 63, v0
	v_lshrrev_b32_e32 v27, 6, v0
	v_lshlrev_b32_e32 v28, 4, v0
	v_cmp_gt_u32_e64 s0, 64, v0
	v_or_b32_e32 v1, s36, v0
	s_wait_kmcnt 0x0
	v_mad_co_u64_u32 v[17:18], null, v15, s3, 0
	s_ashr_i32 s31, s3, 31
	v_or_b32_e32 v29, s36, v2
	v_cmp_gt_i32_e64 s2, s4, v1
	v_mul_lo_u32 v19, v1, s3
	s_ashr_i32 s33, s5, 31
	s_ashr_i32 s35, s4, 31
	v_mov_b32_e32 v0, v18
	s_mov_b32 s34, s4
	v_cmp_gt_i32_e64 s1, s4, v29
	s_lshr_b32 s4, s33, 28
	v_cmp_gt_i64_e32 vcc_lo, s[34:35], v[15:16]
	v_mad_co_u64_u32 v[0:1], null, v15, s31, v[0:1]
	v_mul_lo_u32 v1, s29, v27
	s_wait_alu 0xfffe
	s_add_co_i32 s3, s5, s4
	v_mul_lo_u32 v30, s30, v27
	s_wait_alu 0xfffe
	s_and_b32 s31, s3, -16
	v_ashrrev_i32_e32 v20, 31, v19
	s_wait_alu 0xfffe
	s_sub_co_i32 s3, s5, s31
	v_mov_b32_e32 v18, v0
	s_wait_alu 0xfffe
	s_cmp_gt_i32 s3, 0
	v_cmp_gt_i32_e64 s3, s31, v27
	v_add3_u32 v31, v1, s36, v2
	s_cselect_b32 s33, -1, 0
	v_lshlrev_b64_e32 v[21:22], 4, v[17:18]
	s_and_b32 s34, s0, vcc_lo
	s_lshl_b32 s35, s30, 4
	s_lshl_b32 s36, s29, 4
	s_lshl_b64 s[14:15], s[14:15], 4
	s_lshl_b64 s[26:27], s[26:27], 4
	;; [unrolled: 1-line block ×3, first 2 shown]
	s_branch .LBB346_4
.LBB346_2:                              ;   in Loop: Header=BB346_4 Depth=1
	s_wait_alu 0xfffe
	s_or_b32 exec_lo, exec_lo, s4
.LBB346_3:                              ;   in Loop: Header=BB346_4 Depth=1
	s_add_co_i32 s6, s6, 0x10000
	s_delay_alu instid0(SALU_CYCLE_1)
	s_cmp_lt_u32 s6, s28
	s_cbranch_scc0 .LBB346_39
.LBB346_4:                              ; =>This Loop Header: Depth=1
                                        ;     Child Loop BB346_20 Depth 2
	s_mul_u64 s[38:39], s[10:11], s[6:7]
	s_delay_alu instid0(SALU_CYCLE_1) | instskip(NEXT) | instid1(SALU_CYCLE_1)
	s_lshl_b64 s[38:39], s[38:39], 4
	s_add_nc_u64 s[38:39], s[8:9], s[38:39]
	global_load_b128 v[4:7], v16, s[38:39]
	s_mul_u64 s[38:39], s[18:19], s[6:7]
	s_delay_alu instid0(SALU_CYCLE_1) | instskip(NEXT) | instid1(SALU_CYCLE_1)
	s_lshl_b64 s[38:39], s[38:39], 4
	s_add_nc_u64 s[38:39], s[16:17], s[38:39]
	s_wait_loadcnt 0x1
	global_load_b128 v[0:3], v16, s[38:39]
	s_mov_b32 s38, -1
	s_wait_loadcnt 0x1
	v_cmp_neq_f64_e32 vcc_lo, 0, v[4:5]
	v_cmp_neq_f64_e64 s4, 0, v[6:7]
	s_or_b32 s37, vcc_lo, s4
	s_mov_b32 s4, s7
	s_wait_alu 0xfffe
	s_and_b32 vcc_lo, exec_lo, s37
	s_wait_alu 0xfffe
	s_cbranch_vccz .LBB346_7
; %bb.5:                                ;   in Loop: Header=BB346_4 Depth=1
	v_mov_b32_e32 v23, 0
	v_mov_b32_e32 v24, 0
	s_and_not1_b32 vcc_lo, exec_lo, s38
	s_wait_alu 0xfffe
	s_cbranch_vccz .LBB346_8
.LBB346_6:                              ;   in Loop: Header=BB346_4 Depth=1
	s_wait_alu 0xfffe
	s_and_not1_b32 vcc_lo, exec_lo, s4
	s_wait_alu 0xfffe
	s_cbranch_vccnz .LBB346_3
	s_branch .LBB346_9
.LBB346_7:                              ;   in Loop: Header=BB346_4 Depth=1
	s_wait_loadcnt 0x0
	v_cmp_neq_f64_e32 vcc_lo, 1.0, v[0:1]
	v_cmp_neq_f64_e64 s4, 0, v[2:3]
	s_or_b32 s4, vcc_lo, s4
	v_mov_b32_e32 v23, 0
	v_mov_b32_e32 v24, 0
	s_cbranch_execnz .LBB346_6
.LBB346_8:                              ;   in Loop: Header=BB346_4 Depth=1
	s_lshl_b64 s[38:39], s[6:7], 3
	s_delay_alu instid0(SALU_CYCLE_1)
	s_add_nc_u64 s[38:39], s[12:13], s[38:39]
	global_load_b64 v[8:9], v16, s[38:39]
	s_wait_loadcnt 0x0
	v_add_co_u32 v23, vcc_lo, v8, s14
	s_wait_alu 0xfffd
	v_add_co_ci_u32_e64 v24, null, s15, v9, vcc_lo
.LBB346_9:                              ;   in Loop: Header=BB346_4 Depth=1
	v_mov_b32_e32 v25, 0
	v_mov_b32_e32 v26, 0
	s_and_not1_b32 vcc_lo, exec_lo, s37
	s_wait_alu 0xfffe
	s_cbranch_vccnz .LBB346_11
; %bb.10:                               ;   in Loop: Header=BB346_4 Depth=1
	s_lshl_b64 s[38:39], s[6:7], 3
	s_delay_alu instid0(SALU_CYCLE_1)
	s_add_nc_u64 s[38:39], s[24:25], s[38:39]
	global_load_b64 v[8:9], v16, s[38:39]
	s_wait_loadcnt 0x0
	v_add_co_u32 v25, vcc_lo, v8, s26
	s_wait_alu 0xfffd
	v_add_co_ci_u32_e64 v26, null, s27, v9, vcc_lo
.LBB346_11:                             ;   in Loop: Header=BB346_4 Depth=1
	s_lshl_b64 s[38:39], s[6:7], 3
	s_xor_b32 s4, s37, -1
	s_add_nc_u64 s[38:39], s[20:21], s[38:39]
	global_load_b64 v[8:9], v16, s[38:39]
	s_wait_loadcnt 0x0
	v_add_co_u32 v32, vcc_lo, v8, s22
	s_wait_alu 0xfffd
	v_add_co_ci_u32_e64 v33, null, s23, v9, vcc_lo
	s_wait_alu 0xfffe
	s_and_not1_b32 vcc_lo, exec_lo, s4
	s_wait_alu 0xfffe
	s_cbranch_vccnz .LBB346_16
; %bb.12:                               ;   in Loop: Header=BB346_4 Depth=1
	s_mov_b32 s38, 0
	s_mov_b32 s37, 0
                                        ; implicit-def: $vgpr10_vgpr11
	s_and_saveexec_b32 s39, s34
	s_cbranch_execz .LBB346_22
; %bb.13:                               ;   in Loop: Header=BB346_4 Depth=1
	v_cmp_neq_f64_e32 vcc_lo, 0, v[0:1]
	v_cmp_neq_f64_e64 s4, 0, v[2:3]
	v_mov_b32_e32 v10, 0
	v_dual_mov_b32 v11, 0 :: v_dual_mov_b32 v8, 0
	v_mov_b32_e32 v9, 0
	s_or_b32 s4, vcc_lo, s4
	s_wait_alu 0xfffe
	s_and_not1_b32 vcc_lo, exec_lo, s4
	s_wait_alu 0xfffe
	s_cbranch_vccnz .LBB346_15
; %bb.14:                               ;   in Loop: Header=BB346_4 Depth=1
	v_add_co_u32 v8, vcc_lo, v32, v21
	s_wait_alu 0xfffd
	v_add_co_ci_u32_e64 v9, null, v33, v22, vcc_lo
	flat_load_b128 v[10:13], v[8:9]
	s_wait_loadcnt_dscnt 0x0
	v_mul_f64_e32 v[8:9], v[2:3], v[12:13]
	v_mul_f64_e32 v[12:13], v[0:1], v[12:13]
	s_delay_alu instid0(VALU_DEP_2) | instskip(NEXT) | instid1(VALU_DEP_2)
	v_fma_f64 v[8:9], v[0:1], v[10:11], -v[8:9]
	v_fma_f64 v[10:11], v[2:3], v[10:11], v[12:13]
.LBB346_15:                             ;   in Loop: Header=BB346_4 Depth=1
	s_mov_b32 s37, exec_lo
	s_or_b32 exec_lo, exec_lo, s39
	s_delay_alu instid0(SALU_CYCLE_1)
	s_and_b32 vcc_lo, exec_lo, s38
	s_wait_alu 0xfffe
	s_cbranch_vccnz .LBB346_17
	s_branch .LBB346_23
.LBB346_16:                             ;   in Loop: Header=BB346_4 Depth=1
	s_mov_b32 s37, 0
                                        ; implicit-def: $vgpr10_vgpr11
	s_cbranch_execz .LBB346_23
.LBB346_17:                             ;   in Loop: Header=BB346_4 Depth=1
	v_mov_b32_e32 v10, 0
	v_dual_mov_b32 v11, 0 :: v_dual_mov_b32 v8, 0
	v_dual_mov_b32 v9, 0 :: v_dual_mov_b32 v34, v27
	s_and_saveexec_b32 s4, s3
	s_cbranch_execz .LBB346_25
; %bb.18:                               ;   in Loop: Header=BB346_4 Depth=1
	v_mov_b32_e32 v10, 0
	v_dual_mov_b32 v11, 0 :: v_dual_mov_b32 v12, v31
	s_delay_alu instid0(VALU_DEP_2) | instskip(SKIP_1) | instid1(VALU_DEP_3)
	v_mov_b32_e32 v8, v10
	v_mov_b32_e32 v14, v30
	v_dual_mov_b32 v34, v27 :: v_dual_mov_b32 v9, v11
	s_mov_b32 s38, 0
	s_branch .LBB346_20
.LBB346_19:                             ;   in Loop: Header=BB346_20 Depth=2
	s_or_b32 exec_lo, exec_lo, s39
	v_add_nc_u32_e32 v34, 16, v34
	v_add_nc_u32_e32 v14, s35, v14
	;; [unrolled: 1-line block ×3, first 2 shown]
	s_delay_alu instid0(VALU_DEP_3) | instskip(SKIP_1) | instid1(SALU_CYCLE_1)
	v_cmp_le_i32_e32 vcc_lo, s31, v34
	s_or_b32 s38, vcc_lo, s38
	s_and_not1_b32 exec_lo, exec_lo, s38
	s_cbranch_execz .LBB346_24
.LBB346_20:                             ;   Parent Loop BB346_4 Depth=1
                                        ; =>  This Inner Loop Header: Depth=2
	s_and_saveexec_b32 s39, s1
	s_cbranch_execz .LBB346_19
; %bb.21:                               ;   in Loop: Header=BB346_20 Depth=2
	v_ashrrev_i32_e32 v15, 31, v14
	v_ashrrev_i32_e32 v13, 31, v12
	s_delay_alu instid0(VALU_DEP_2) | instskip(NEXT) | instid1(VALU_DEP_2)
	v_lshlrev_b64_e32 v[35:36], 4, v[14:15]
	v_lshlrev_b64_e32 v[37:38], 4, v[12:13]
	s_delay_alu instid0(VALU_DEP_2) | instskip(SKIP_1) | instid1(VALU_DEP_3)
	v_add_co_u32 v35, vcc_lo, v25, v35
	s_wait_alu 0xfffd
	v_add_co_ci_u32_e64 v36, null, v26, v36, vcc_lo
	s_delay_alu instid0(VALU_DEP_3)
	v_add_co_u32 v39, vcc_lo, v23, v37
	s_wait_alu 0xfffd
	v_add_co_ci_u32_e64 v40, null, v24, v38, vcc_lo
	flat_load_b128 v[35:38], v[35:36]
	flat_load_b128 v[39:42], v[39:40]
	s_wait_loadcnt_dscnt 0x0
	v_mul_f64_e32 v[43:44], v[37:38], v[41:42]
	v_mul_f64_e32 v[41:42], v[35:36], v[41:42]
	s_delay_alu instid0(VALU_DEP_2) | instskip(NEXT) | instid1(VALU_DEP_2)
	v_fma_f64 v[35:36], v[35:36], v[39:40], -v[43:44]
	v_fma_f64 v[37:38], v[37:38], v[39:40], v[41:42]
	s_delay_alu instid0(VALU_DEP_2) | instskip(NEXT) | instid1(VALU_DEP_2)
	v_add_f64_e32 v[8:9], v[8:9], v[35:36]
	v_add_f64_e32 v[10:11], v[10:11], v[37:38]
	s_branch .LBB346_19
.LBB346_22:                             ;   in Loop: Header=BB346_4 Depth=1
	s_or_b32 exec_lo, exec_lo, s39
	s_delay_alu instid0(SALU_CYCLE_1)
	s_and_b32 vcc_lo, exec_lo, s38
	s_wait_alu 0xfffe
	s_cbranch_vccnz .LBB346_17
.LBB346_23:                             ;   in Loop: Header=BB346_4 Depth=1
	v_dual_mov_b32 v0, v17 :: v_dual_mov_b32 v1, v18
	s_wait_alu 0xfffe
	s_and_saveexec_b32 s4, s37
	s_cbranch_execz .LBB346_2
	s_branch .LBB346_38
.LBB346_24:                             ;   in Loop: Header=BB346_4 Depth=1
	s_or_b32 exec_lo, exec_lo, s38
.LBB346_25:                             ;   in Loop: Header=BB346_4 Depth=1
	s_wait_alu 0xfffe
	s_or_b32 exec_lo, exec_lo, s4
	s_delay_alu instid0(SALU_CYCLE_1)
	s_and_not1_b32 vcc_lo, exec_lo, s33
	s_wait_alu 0xfffe
	s_cbranch_vccnz .LBB346_31
; %bb.26:                               ;   in Loop: Header=BB346_4 Depth=1
	v_mov_b32_e32 v12, 0
	v_dual_mov_b32 v13, 0 :: v_dual_mov_b32 v14, 0
	v_mov_b32_e32 v15, 0
	v_cmp_gt_i32_e32 vcc_lo, s5, v34
	s_and_saveexec_b32 s38, vcc_lo
	s_cbranch_execz .LBB346_28
; %bb.27:                               ;   in Loop: Header=BB346_4 Depth=1
	v_mul_lo_u32 v12, v34, s30
	s_delay_alu instid0(VALU_DEP_1) | instskip(NEXT) | instid1(VALU_DEP_1)
	v_ashrrev_i32_e32 v13, 31, v12
	v_lshlrev_b64_e32 v[12:13], 4, v[12:13]
	s_delay_alu instid0(VALU_DEP_1) | instskip(SKIP_1) | instid1(VALU_DEP_2)
	v_add_co_u32 v12, s4, v25, v12
	s_wait_alu 0xf1ff
	v_add_co_ci_u32_e64 v13, null, v26, v13, s4
	flat_load_b128 v[12:15], v[12:13]
.LBB346_28:                             ;   in Loop: Header=BB346_4 Depth=1
	s_or_b32 exec_lo, exec_lo, s38
	s_and_saveexec_b32 s4, s1
	s_cbranch_execz .LBB346_30
; %bb.29:                               ;   in Loop: Header=BB346_4 Depth=1
	v_mul_lo_u32 v25, v34, s29
	s_delay_alu instid0(VALU_DEP_1) | instskip(NEXT) | instid1(VALU_DEP_1)
	v_cndmask_b32_e32 v25, 0, v25, vcc_lo
	v_add_nc_u32_e32 v25, v25, v29
	s_delay_alu instid0(VALU_DEP_1) | instskip(NEXT) | instid1(VALU_DEP_1)
	v_ashrrev_i32_e32 v26, 31, v25
	v_lshlrev_b64_e32 v[25:26], 4, v[25:26]
	s_delay_alu instid0(VALU_DEP_1) | instskip(SKIP_1) | instid1(VALU_DEP_2)
	v_add_co_u32 v23, vcc_lo, v23, v25
	s_wait_alu 0xfffd
	v_add_co_ci_u32_e64 v24, null, v24, v26, vcc_lo
	flat_load_b128 v[23:26], v[23:24]
	s_wait_loadcnt_dscnt 0x0
	v_mul_f64_e32 v[34:35], v[14:15], v[25:26]
	v_mul_f64_e32 v[25:26], v[12:13], v[25:26]
	s_delay_alu instid0(VALU_DEP_2) | instskip(NEXT) | instid1(VALU_DEP_2)
	v_fma_f64 v[12:13], v[12:13], v[23:24], -v[34:35]
	v_fma_f64 v[14:15], v[14:15], v[23:24], v[25:26]
	s_delay_alu instid0(VALU_DEP_2) | instskip(NEXT) | instid1(VALU_DEP_2)
	v_add_f64_e32 v[8:9], v[8:9], v[12:13]
	v_add_f64_e32 v[10:11], v[10:11], v[14:15]
.LBB346_30:                             ;   in Loop: Header=BB346_4 Depth=1
	s_wait_alu 0xfffe
	s_or_b32 exec_lo, exec_lo, s4
.LBB346_31:                             ;   in Loop: Header=BB346_4 Depth=1
	ds_store_b128 v28, v[8:11]
	s_wait_loadcnt_dscnt 0x0
	s_barrier_signal -1
	s_barrier_wait -1
	global_inv scope:SCOPE_SE
                                        ; implicit-def: $vgpr10_vgpr11
	s_and_saveexec_b32 s38, s0
	s_cbranch_execz .LBB346_37
; %bb.32:                               ;   in Loop: Header=BB346_4 Depth=1
	ds_load_b128 v[8:11], v28
	ds_load_b128 v[12:15], v28 offset:1024
	s_mov_b32 s4, s37
	s_wait_dscnt 0x0
	v_add_f64_e32 v[23:24], v[8:9], v[12:13]
	v_add_f64_e32 v[25:26], v[10:11], v[14:15]
	ds_load_b128 v[8:11], v28 offset:2048
	ds_load_b128 v[12:15], v28 offset:3072
	s_wait_dscnt 0x1
	v_add_f64_e32 v[8:9], v[23:24], v[8:9]
	v_add_f64_e32 v[10:11], v[25:26], v[10:11]
	s_wait_dscnt 0x0
	s_delay_alu instid0(VALU_DEP_2) | instskip(NEXT) | instid1(VALU_DEP_2)
	v_add_f64_e32 v[23:24], v[8:9], v[12:13]
	v_add_f64_e32 v[25:26], v[10:11], v[14:15]
	ds_load_b128 v[8:11], v28 offset:4096
	ds_load_b128 v[12:15], v28 offset:5120
	s_wait_dscnt 0x1
	v_add_f64_e32 v[8:9], v[23:24], v[8:9]
	v_add_f64_e32 v[10:11], v[25:26], v[10:11]
	s_wait_dscnt 0x0
	s_delay_alu instid0(VALU_DEP_2) | instskip(NEXT) | instid1(VALU_DEP_2)
	;; [unrolled: 9-line block ×7, first 2 shown]
	v_add_f64_e32 v[12:13], v[8:9], v[12:13]
	v_add_f64_e32 v[14:15], v[10:11], v[14:15]
                                        ; implicit-def: $vgpr10_vgpr11
	ds_store_b128 v28, v[12:15]
	s_and_saveexec_b32 s39, s2
	s_cbranch_execz .LBB346_36
; %bb.33:                               ;   in Loop: Header=BB346_4 Depth=1
	v_mul_f64_e32 v[8:9], v[6:7], v[14:15]
	v_mul_f64_e32 v[10:11], v[4:5], v[14:15]
	v_cmp_neq_f64_e32 vcc_lo, 0, v[0:1]
	v_cmp_neq_f64_e64 s4, 0, v[2:3]
	s_delay_alu instid0(VALU_DEP_4) | instskip(NEXT) | instid1(VALU_DEP_4)
	v_fma_f64 v[8:9], v[4:5], v[12:13], -v[8:9]
	v_fma_f64 v[10:11], v[6:7], v[12:13], v[10:11]
	s_wait_alu 0xfffe
	s_or_b32 s4, vcc_lo, s4
	s_wait_alu 0xfffe
	s_and_not1_b32 vcc_lo, exec_lo, s4
	s_wait_alu 0xfffe
	s_cbranch_vccnz .LBB346_35
; %bb.34:                               ;   in Loop: Header=BB346_4 Depth=1
	v_lshlrev_b64_e32 v[4:5], 4, v[19:20]
	s_delay_alu instid0(VALU_DEP_1) | instskip(SKIP_1) | instid1(VALU_DEP_2)
	v_add_co_u32 v4, vcc_lo, v32, v4
	s_wait_alu 0xfffd
	v_add_co_ci_u32_e64 v5, null, v33, v5, vcc_lo
	flat_load_b128 v[4:7], v[4:5]
	s_wait_loadcnt_dscnt 0x0
	v_mul_f64_e32 v[12:13], v[2:3], v[6:7]
	v_mul_f64_e32 v[6:7], v[0:1], v[6:7]
	s_delay_alu instid0(VALU_DEP_2) | instskip(NEXT) | instid1(VALU_DEP_2)
	v_fma_f64 v[0:1], v[0:1], v[4:5], -v[12:13]
	v_fma_f64 v[2:3], v[2:3], v[4:5], v[6:7]
	s_delay_alu instid0(VALU_DEP_2) | instskip(NEXT) | instid1(VALU_DEP_2)
	v_add_f64_e32 v[8:9], v[8:9], v[0:1]
	v_add_f64_e32 v[10:11], v[10:11], v[2:3]
.LBB346_35:                             ;   in Loop: Header=BB346_4 Depth=1
	s_or_b32 s4, s37, exec_lo
.LBB346_36:                             ;   in Loop: Header=BB346_4 Depth=1
	s_or_b32 exec_lo, exec_lo, s39
	s_delay_alu instid0(SALU_CYCLE_1)
	s_and_not1_b32 s37, s37, exec_lo
	s_wait_alu 0xfffe
	s_and_b32 s4, s4, exec_lo
	s_wait_alu 0xfffe
	s_or_b32 s37, s37, s4
.LBB346_37:                             ;   in Loop: Header=BB346_4 Depth=1
	s_or_b32 exec_lo, exec_lo, s38
	v_dual_mov_b32 v0, v19 :: v_dual_mov_b32 v1, v20
	s_wait_alu 0xfffe
	s_and_saveexec_b32 s4, s37
	s_cbranch_execz .LBB346_2
.LBB346_38:                             ;   in Loop: Header=BB346_4 Depth=1
	s_delay_alu instid0(VALU_DEP_1) | instskip(NEXT) | instid1(VALU_DEP_1)
	v_lshlrev_b64_e32 v[0:1], 4, v[0:1]
	v_add_co_u32 v0, vcc_lo, v32, v0
	s_wait_alu 0xfffd
	s_delay_alu instid0(VALU_DEP_2)
	v_add_co_ci_u32_e64 v1, null, v33, v1, vcc_lo
	flat_store_b128 v[0:1], v[8:11]
	s_branch .LBB346_2
.LBB346_39:
	s_endpgm
	.section	.rodata,"a",@progbits
	.p2align	6, 0x0
	.amdhsa_kernel _ZL20rocblas_gemvn_kernelILi64ELi16EiPK19rocblas_complex_numIdES3_KPS1_EviiT3_lPKT2_lT1_lS9_lSA_lS6_lPT4_lSA_li
		.amdhsa_group_segment_fixed_size 16384
		.amdhsa_private_segment_fixed_size 0
		.amdhsa_kernarg_size 400
		.amdhsa_user_sgpr_count 2
		.amdhsa_user_sgpr_dispatch_ptr 0
		.amdhsa_user_sgpr_queue_ptr 0
		.amdhsa_user_sgpr_kernarg_segment_ptr 1
		.amdhsa_user_sgpr_dispatch_id 0
		.amdhsa_user_sgpr_private_segment_size 0
		.amdhsa_wavefront_size32 1
		.amdhsa_uses_dynamic_stack 0
		.amdhsa_enable_private_segment 0
		.amdhsa_system_sgpr_workgroup_id_x 1
		.amdhsa_system_sgpr_workgroup_id_y 0
		.amdhsa_system_sgpr_workgroup_id_z 1
		.amdhsa_system_sgpr_workgroup_info 0
		.amdhsa_system_vgpr_workitem_id 1
		.amdhsa_next_free_vgpr 45
		.amdhsa_next_free_sgpr 40
		.amdhsa_reserve_vcc 1
		.amdhsa_float_round_mode_32 0
		.amdhsa_float_round_mode_16_64 0
		.amdhsa_float_denorm_mode_32 3
		.amdhsa_float_denorm_mode_16_64 3
		.amdhsa_fp16_overflow 0
		.amdhsa_workgroup_processor_mode 1
		.amdhsa_memory_ordered 1
		.amdhsa_forward_progress 1
		.amdhsa_inst_pref_size 17
		.amdhsa_round_robin_scheduling 0
		.amdhsa_exception_fp_ieee_invalid_op 0
		.amdhsa_exception_fp_denorm_src 0
		.amdhsa_exception_fp_ieee_div_zero 0
		.amdhsa_exception_fp_ieee_overflow 0
		.amdhsa_exception_fp_ieee_underflow 0
		.amdhsa_exception_fp_ieee_inexact 0
		.amdhsa_exception_int_div_zero 0
	.end_amdhsa_kernel
	.section	.text._ZL20rocblas_gemvn_kernelILi64ELi16EiPK19rocblas_complex_numIdES3_KPS1_EviiT3_lPKT2_lT1_lS9_lSA_lS6_lPT4_lSA_li,"axG",@progbits,_ZL20rocblas_gemvn_kernelILi64ELi16EiPK19rocblas_complex_numIdES3_KPS1_EviiT3_lPKT2_lT1_lS9_lSA_lS6_lPT4_lSA_li,comdat
.Lfunc_end346:
	.size	_ZL20rocblas_gemvn_kernelILi64ELi16EiPK19rocblas_complex_numIdES3_KPS1_EviiT3_lPKT2_lT1_lS9_lSA_lS6_lPT4_lSA_li, .Lfunc_end346-_ZL20rocblas_gemvn_kernelILi64ELi16EiPK19rocblas_complex_numIdES3_KPS1_EviiT3_lPKT2_lT1_lS9_lSA_lS6_lPT4_lSA_li
                                        ; -- End function
	.set _ZL20rocblas_gemvn_kernelILi64ELi16EiPK19rocblas_complex_numIdES3_KPS1_EviiT3_lPKT2_lT1_lS9_lSA_lS6_lPT4_lSA_li.num_vgpr, 45
	.set _ZL20rocblas_gemvn_kernelILi64ELi16EiPK19rocblas_complex_numIdES3_KPS1_EviiT3_lPKT2_lT1_lS9_lSA_lS6_lPT4_lSA_li.num_agpr, 0
	.set _ZL20rocblas_gemvn_kernelILi64ELi16EiPK19rocblas_complex_numIdES3_KPS1_EviiT3_lPKT2_lT1_lS9_lSA_lS6_lPT4_lSA_li.numbered_sgpr, 40
	.set _ZL20rocblas_gemvn_kernelILi64ELi16EiPK19rocblas_complex_numIdES3_KPS1_EviiT3_lPKT2_lT1_lS9_lSA_lS6_lPT4_lSA_li.num_named_barrier, 0
	.set _ZL20rocblas_gemvn_kernelILi64ELi16EiPK19rocblas_complex_numIdES3_KPS1_EviiT3_lPKT2_lT1_lS9_lSA_lS6_lPT4_lSA_li.private_seg_size, 0
	.set _ZL20rocblas_gemvn_kernelILi64ELi16EiPK19rocblas_complex_numIdES3_KPS1_EviiT3_lPKT2_lT1_lS9_lSA_lS6_lPT4_lSA_li.uses_vcc, 1
	.set _ZL20rocblas_gemvn_kernelILi64ELi16EiPK19rocblas_complex_numIdES3_KPS1_EviiT3_lPKT2_lT1_lS9_lSA_lS6_lPT4_lSA_li.uses_flat_scratch, 0
	.set _ZL20rocblas_gemvn_kernelILi64ELi16EiPK19rocblas_complex_numIdES3_KPS1_EviiT3_lPKT2_lT1_lS9_lSA_lS6_lPT4_lSA_li.has_dyn_sized_stack, 0
	.set _ZL20rocblas_gemvn_kernelILi64ELi16EiPK19rocblas_complex_numIdES3_KPS1_EviiT3_lPKT2_lT1_lS9_lSA_lS6_lPT4_lSA_li.has_recursion, 0
	.set _ZL20rocblas_gemvn_kernelILi64ELi16EiPK19rocblas_complex_numIdES3_KPS1_EviiT3_lPKT2_lT1_lS9_lSA_lS6_lPT4_lSA_li.has_indirect_call, 0
	.section	.AMDGPU.csdata,"",@progbits
; Kernel info:
; codeLenInByte = 2152
; TotalNumSgprs: 42
; NumVgprs: 45
; ScratchSize: 0
; MemoryBound: 1
; FloatMode: 240
; IeeeMode: 1
; LDSByteSize: 16384 bytes/workgroup (compile time only)
; SGPRBlocks: 0
; VGPRBlocks: 5
; NumSGPRsForWavesPerEU: 42
; NumVGPRsForWavesPerEU: 45
; Occupancy: 16
; WaveLimiterHint : 1
; COMPUTE_PGM_RSRC2:SCRATCH_EN: 0
; COMPUTE_PGM_RSRC2:USER_SGPR: 2
; COMPUTE_PGM_RSRC2:TRAP_HANDLER: 0
; COMPUTE_PGM_RSRC2:TGID_X_EN: 1
; COMPUTE_PGM_RSRC2:TGID_Y_EN: 0
; COMPUTE_PGM_RSRC2:TGID_Z_EN: 1
; COMPUTE_PGM_RSRC2:TIDIG_COMP_CNT: 1
	.section	.text._ZL20rocblas_gemvn_kernelILi64ELi16ElPK19rocblas_complex_numIdES3_KPS1_EviiT3_lPKT2_lT1_lS9_lSA_lS6_lPT4_lSA_li,"axG",@progbits,_ZL20rocblas_gemvn_kernelILi64ELi16ElPK19rocblas_complex_numIdES3_KPS1_EviiT3_lPKT2_lT1_lS9_lSA_lS6_lPT4_lSA_li,comdat
	.globl	_ZL20rocblas_gemvn_kernelILi64ELi16ElPK19rocblas_complex_numIdES3_KPS1_EviiT3_lPKT2_lT1_lS9_lSA_lS6_lPT4_lSA_li ; -- Begin function _ZL20rocblas_gemvn_kernelILi64ELi16ElPK19rocblas_complex_numIdES3_KPS1_EviiT3_lPKT2_lT1_lS9_lSA_lS6_lPT4_lSA_li
	.p2align	8
	.type	_ZL20rocblas_gemvn_kernelILi64ELi16ElPK19rocblas_complex_numIdES3_KPS1_EviiT3_lPKT2_lT1_lS9_lSA_lS6_lPT4_lSA_li,@function
_ZL20rocblas_gemvn_kernelILi64ELi16ElPK19rocblas_complex_numIdES3_KPS1_EviiT3_lPKT2_lT1_lS9_lSA_lS6_lPT4_lSA_li: ; @_ZL20rocblas_gemvn_kernelILi64ELi16ElPK19rocblas_complex_numIdES3_KPS1_EviiT3_lPKT2_lT1_lS9_lSA_lS6_lPT4_lSA_li
; %bb.0:
	s_clause 0x1
	s_load_b64 s[2:3], s[0:1], 0x9c
	s_load_b32 s33, s[0:1], 0x88
	s_lshr_b32 s6, ttmp7, 16
	s_wait_kmcnt 0x0
	s_lshr_b32 s4, s2, 16
	s_and_b32 s2, s2, 0xffff
	s_and_b32 s3, s3, 0xffff
	s_mul_i32 s4, s4, s2
	s_delay_alu instid0(SALU_CYCLE_1) | instskip(NEXT) | instid1(SALU_CYCLE_1)
	s_mul_i32 s4, s4, s3
	s_cmp_lg_u32 s4, 0x400
	s_cselect_b32 s3, -1, 0
	s_cmp_ge_u32 s6, s33
	s_cselect_b32 s4, -1, 0
	s_delay_alu instid0(SALU_CYCLE_1) | instskip(NEXT) | instid1(SALU_CYCLE_1)
	s_or_b32 s3, s3, s4
	s_and_b32 vcc_lo, exec_lo, s3
	s_cbranch_vccnz .LBB347_39
; %bb.1:
	s_clause 0x1
	s_load_b64 s[4:5], s[0:1], 0x0
	s_load_b64 s[34:35], s[0:1], 0x78
	v_dual_mov_b32 v16, 0 :: v_dual_and_b32 v1, 0x3ff, v0
	v_bfe_u32 v0, v0, 10, 10
	s_clause 0x1
	s_load_b64 s[28:29], s[0:1], 0x48
	s_load_b64 s[30:31], s[0:1], 0x28
	s_lshl_b32 s36, ttmp9, 6
	s_clause 0x2
	s_load_b256 s[8:15], s[0:1], 0x8
	s_load_b128 s[24:27], s[0:1], 0x38
	s_load_b256 s[16:23], s[0:1], 0x58
	v_mad_u32_u24 v10, v0, s2, v1
	s_mov_b32 s7, 0
	s_delay_alu instid0(VALU_DEP_1)
	v_add_nc_u32_e32 v15, s36, v10
	v_lshrrev_b32_e32 v31, 6, v10
	v_and_or_b32 v0, v10, 63, s36
	s_wait_kmcnt 0x0
	s_ashr_i32 s1, s5, 31
	v_mad_co_u64_u32 v[17:18], null, s34, v15, 0
	s_lshr_b32 s1, s1, 28
	v_mad_co_u64_u32 v[2:3], null, s28, v31, 0
	v_mad_co_u64_u32 v[4:5], null, s30, v31, 0
	v_ashrrev_i32_e32 v1, 31, v0
	v_mov_b32_e32 v6, v18
	s_add_co_i32 s1, s5, s1
	s_ashr_i32 s3, s4, 31
	s_mov_b32 s2, s4
	s_and_b32 s38, s1, -16
	v_mad_co_u64_u32 v[6:7], null, s35, v15, v[6:7]
	s_wait_alu 0xfffe
	v_cmp_gt_i64_e32 vcc_lo, s[2:3], v[15:16]
	s_sub_co_i32 s2, s5, s38
	v_lshlrev_b64_e32 v[21:22], 4, v[0:1]
	s_wait_alu 0xfffe
	s_cmp_gt_i32 s2, 0
	v_cmp_gt_u32_e64 s2, 64, v10
	v_cmp_gt_i32_e64 s0, s4, v0
	v_mad_co_u64_u32 v[7:8], null, s31, v31, v[5:6]
	v_mad_co_u64_u32 v[8:9], null, s29, v31, v[3:4]
	v_mov_b32_e32 v18, v6
	v_or_b32_e32 v6, s36, v10
	v_lshlrev_b32_e32 v32, 4, v10
	s_cselect_b32 s39, -1, 0
	v_mov_b32_e32 v5, v7
	s_and_b32 s40, s2, vcc_lo
	v_mov_b32_e32 v3, v8
	v_mul_lo_u32 v9, s35, v6
	v_mad_co_u64_u32 v[19:20], null, s34, v6, 0
	v_lshlrev_b64_e32 v[4:5], 4, v[4:5]
	s_delay_alu instid0(VALU_DEP_4)
	v_lshlrev_b64_e32 v[23:24], 4, v[2:3]
	s_ashr_i32 s3, s36, 31
	v_lshlrev_b64_e32 v[25:26], 4, v[17:18]
	s_wait_alu 0xfffe
	s_mul_i32 s34, s34, s3
	v_cmp_gt_i32_e64 s1, s38, v31
	v_add_co_u32 v0, vcc_lo, v4, v21
	v_cmp_gt_i32_e64 s3, s4, v6
	s_wait_alu 0xfffe
	v_add3_u32 v20, v20, s34, v9
	v_or_b32_e32 v23, 8, v23
	v_add_co_ci_u32_e64 v33, null, v5, v22, vcc_lo
	v_or_b32_e32 v34, 8, v0
	s_lshl_b64 s[34:35], s[28:29], 8
	s_lshl_b64 s[36:37], s[30:31], 8
	;; [unrolled: 1-line block ×5, first 2 shown]
	s_branch .LBB347_4
.LBB347_2:                              ;   in Loop: Header=BB347_4 Depth=1
	s_wait_alu 0xfffe
	s_or_b32 exec_lo, exec_lo, s4
.LBB347_3:                              ;   in Loop: Header=BB347_4 Depth=1
	s_add_co_i32 s6, s6, 0x10000
	s_delay_alu instid0(SALU_CYCLE_1)
	s_cmp_lt_u32 s6, s33
	s_cbranch_scc0 .LBB347_39
.LBB347_4:                              ; =>This Loop Header: Depth=1
                                        ;     Child Loop BB347_20 Depth 2
	s_mul_u64 s[42:43], s[10:11], s[6:7]
	s_delay_alu instid0(SALU_CYCLE_1) | instskip(NEXT) | instid1(SALU_CYCLE_1)
	s_lshl_b64 s[42:43], s[42:43], 4
	s_add_nc_u64 s[42:43], s[8:9], s[42:43]
	global_load_b128 v[4:7], v16, s[42:43]
	s_mul_u64 s[42:43], s[18:19], s[6:7]
	s_delay_alu instid0(SALU_CYCLE_1) | instskip(NEXT) | instid1(SALU_CYCLE_1)
	s_lshl_b64 s[42:43], s[42:43], 4
	s_add_nc_u64 s[42:43], s[16:17], s[42:43]
	s_wait_loadcnt 0x1
	global_load_b128 v[0:3], v16, s[42:43]
	s_mov_b32 s42, -1
	s_wait_loadcnt 0x1
	v_cmp_neq_f64_e32 vcc_lo, 0, v[4:5]
	v_cmp_neq_f64_e64 s4, 0, v[6:7]
	s_or_b32 s41, vcc_lo, s4
	s_mov_b32 s4, s7
	s_and_b32 vcc_lo, exec_lo, s41
	s_wait_alu 0xfffe
	s_cbranch_vccz .LBB347_7
; %bb.5:                                ;   in Loop: Header=BB347_4 Depth=1
	v_mov_b32_e32 v27, 0
	v_mov_b32_e32 v28, 0
	s_and_not1_b32 vcc_lo, exec_lo, s42
	s_wait_alu 0xfffe
	s_cbranch_vccz .LBB347_8
.LBB347_6:                              ;   in Loop: Header=BB347_4 Depth=1
	s_wait_alu 0xfffe
	s_and_not1_b32 vcc_lo, exec_lo, s4
	s_wait_alu 0xfffe
	s_cbranch_vccnz .LBB347_3
	s_branch .LBB347_9
.LBB347_7:                              ;   in Loop: Header=BB347_4 Depth=1
	s_wait_loadcnt 0x0
	v_cmp_neq_f64_e32 vcc_lo, 1.0, v[0:1]
	v_cmp_neq_f64_e64 s4, 0, v[2:3]
	s_or_b32 s4, vcc_lo, s4
	v_mov_b32_e32 v27, 0
	v_mov_b32_e32 v28, 0
	s_cbranch_execnz .LBB347_6
.LBB347_8:                              ;   in Loop: Header=BB347_4 Depth=1
	s_lshl_b64 s[42:43], s[6:7], 3
	s_delay_alu instid0(SALU_CYCLE_1)
	s_add_nc_u64 s[42:43], s[12:13], s[42:43]
	global_load_b64 v[8:9], v16, s[42:43]
	s_wait_loadcnt 0x0
	v_add_co_u32 v27, vcc_lo, v8, s14
	s_wait_alu 0xfffd
	v_add_co_ci_u32_e64 v28, null, s15, v9, vcc_lo
.LBB347_9:                              ;   in Loop: Header=BB347_4 Depth=1
	v_mov_b32_e32 v29, 0
	v_mov_b32_e32 v30, 0
	s_and_not1_b32 vcc_lo, exec_lo, s41
	s_wait_alu 0xfffe
	s_cbranch_vccnz .LBB347_11
; %bb.10:                               ;   in Loop: Header=BB347_4 Depth=1
	s_lshl_b64 s[42:43], s[6:7], 3
	s_delay_alu instid0(SALU_CYCLE_1)
	s_add_nc_u64 s[42:43], s[24:25], s[42:43]
	global_load_b64 v[8:9], v16, s[42:43]
	s_wait_loadcnt 0x0
	v_add_co_u32 v29, vcc_lo, v8, s26
	s_wait_alu 0xfffd
	v_add_co_ci_u32_e64 v30, null, s27, v9, vcc_lo
.LBB347_11:                             ;   in Loop: Header=BB347_4 Depth=1
	s_lshl_b64 s[42:43], s[6:7], 3
	s_xor_b32 s4, s41, -1
	s_add_nc_u64 s[42:43], s[20:21], s[42:43]
	global_load_b64 v[8:9], v16, s[42:43]
	s_wait_loadcnt 0x0
	v_add_co_u32 v35, vcc_lo, v8, s22
	s_wait_alu 0xfffd
	v_add_co_ci_u32_e64 v36, null, s23, v9, vcc_lo
	s_wait_alu 0xfffe
	s_and_not1_b32 vcc_lo, exec_lo, s4
	s_wait_alu 0xfffe
	s_cbranch_vccnz .LBB347_16
; %bb.12:                               ;   in Loop: Header=BB347_4 Depth=1
	s_mov_b32 s42, 0
	s_mov_b32 s41, 0
                                        ; implicit-def: $vgpr10_vgpr11
	s_and_saveexec_b32 s43, s40
	s_cbranch_execz .LBB347_22
; %bb.13:                               ;   in Loop: Header=BB347_4 Depth=1
	v_cmp_neq_f64_e32 vcc_lo, 0, v[0:1]
	v_cmp_neq_f64_e64 s4, 0, v[2:3]
	v_mov_b32_e32 v10, 0
	v_dual_mov_b32 v11, 0 :: v_dual_mov_b32 v8, 0
	v_mov_b32_e32 v9, 0
	s_or_b32 s4, vcc_lo, s4
	s_wait_alu 0xfffe
	s_and_not1_b32 vcc_lo, exec_lo, s4
	s_wait_alu 0xfffe
	s_cbranch_vccnz .LBB347_15
; %bb.14:                               ;   in Loop: Header=BB347_4 Depth=1
	v_add_co_u32 v8, vcc_lo, v35, v25
	s_wait_alu 0xfffd
	v_add_co_ci_u32_e64 v9, null, v36, v26, vcc_lo
	flat_load_b128 v[10:13], v[8:9]
	s_wait_loadcnt_dscnt 0x0
	v_mul_f64_e32 v[8:9], v[2:3], v[12:13]
	v_mul_f64_e32 v[12:13], v[0:1], v[12:13]
	s_delay_alu instid0(VALU_DEP_2) | instskip(NEXT) | instid1(VALU_DEP_2)
	v_fma_f64 v[8:9], v[0:1], v[10:11], -v[8:9]
	v_fma_f64 v[10:11], v[2:3], v[10:11], v[12:13]
.LBB347_15:                             ;   in Loop: Header=BB347_4 Depth=1
	s_mov_b32 s41, exec_lo
	s_or_b32 exec_lo, exec_lo, s43
	s_delay_alu instid0(SALU_CYCLE_1)
	s_and_b32 vcc_lo, exec_lo, s42
	s_wait_alu 0xfffe
	s_cbranch_vccnz .LBB347_17
	s_branch .LBB347_23
.LBB347_16:                             ;   in Loop: Header=BB347_4 Depth=1
	s_mov_b32 s41, 0
                                        ; implicit-def: $vgpr10_vgpr11
	s_cbranch_execz .LBB347_23
.LBB347_17:                             ;   in Loop: Header=BB347_4 Depth=1
	v_mov_b32_e32 v10, 0
	v_dual_mov_b32 v11, 0 :: v_dual_mov_b32 v8, 0
	v_mov_b32_e32 v9, 0
	v_mov_b32_e32 v37, v31
	s_and_saveexec_b32 s42, s1
	s_cbranch_execz .LBB347_25
; %bb.18:                               ;   in Loop: Header=BB347_4 Depth=1
	v_dual_mov_b32 v10, 0 :: v_dual_mov_b32 v37, v31
	v_mov_b32_e32 v11, 0
	v_add_co_u32 v12, vcc_lo, v29, v23
	s_wait_alu 0xfffd
	v_add_co_ci_u32_e64 v13, null, v30, v24, vcc_lo
	v_add_co_u32 v14, vcc_lo, v27, v34
	s_wait_alu 0xfffd
	v_add_co_ci_u32_e64 v15, null, v28, v33, vcc_lo
	v_dual_mov_b32 v8, v10 :: v_dual_mov_b32 v9, v11
	s_mov_b32 s43, 0
	s_branch .LBB347_20
.LBB347_19:                             ;   in Loop: Header=BB347_20 Depth=2
	s_wait_alu 0xfffe
	s_or_b32 exec_lo, exec_lo, s4
	v_add_nc_u32_e32 v37, 16, v37
	v_add_co_u32 v12, vcc_lo, v12, s34
	s_wait_alu 0xfffd
	v_add_co_ci_u32_e64 v13, null, s35, v13, vcc_lo
	s_delay_alu instid0(VALU_DEP_3) | instskip(SKIP_4) | instid1(SALU_CYCLE_1)
	v_cmp_le_i32_e32 vcc_lo, s38, v37
	v_add_co_u32 v14, s4, v14, s36
	s_wait_alu 0xf1ff
	v_add_co_ci_u32_e64 v15, null, s37, v15, s4
	s_or_b32 s43, vcc_lo, s43
	s_and_not1_b32 exec_lo, exec_lo, s43
	s_cbranch_execz .LBB347_24
.LBB347_20:                             ;   Parent Loop BB347_4 Depth=1
                                        ; =>  This Inner Loop Header: Depth=2
	s_and_saveexec_b32 s4, s0
	s_cbranch_execz .LBB347_19
; %bb.21:                               ;   in Loop: Header=BB347_20 Depth=2
	flat_load_b128 v[38:41], v[12:13] offset:-8
	flat_load_b128 v[42:45], v[14:15] offset:-8
	s_wait_loadcnt_dscnt 0x0
	v_mul_f64_e32 v[46:47], v[40:41], v[44:45]
	v_mul_f64_e32 v[44:45], v[38:39], v[44:45]
	s_delay_alu instid0(VALU_DEP_2) | instskip(NEXT) | instid1(VALU_DEP_2)
	v_fma_f64 v[38:39], v[38:39], v[42:43], -v[46:47]
	v_fma_f64 v[40:41], v[40:41], v[42:43], v[44:45]
	s_delay_alu instid0(VALU_DEP_2) | instskip(NEXT) | instid1(VALU_DEP_2)
	v_add_f64_e32 v[8:9], v[8:9], v[38:39]
	v_add_f64_e32 v[10:11], v[10:11], v[40:41]
	s_branch .LBB347_19
.LBB347_22:                             ;   in Loop: Header=BB347_4 Depth=1
	s_or_b32 exec_lo, exec_lo, s43
	s_delay_alu instid0(SALU_CYCLE_1)
	s_and_b32 vcc_lo, exec_lo, s42
	s_wait_alu 0xfffe
	s_cbranch_vccnz .LBB347_17
.LBB347_23:                             ;   in Loop: Header=BB347_4 Depth=1
	v_dual_mov_b32 v0, v17 :: v_dual_mov_b32 v1, v18
	s_and_saveexec_b32 s4, s41
	s_cbranch_execz .LBB347_2
	s_branch .LBB347_38
.LBB347_24:                             ;   in Loop: Header=BB347_4 Depth=1
	s_or_b32 exec_lo, exec_lo, s43
.LBB347_25:                             ;   in Loop: Header=BB347_4 Depth=1
	s_delay_alu instid0(SALU_CYCLE_1) | instskip(NEXT) | instid1(SALU_CYCLE_1)
	s_or_b32 exec_lo, exec_lo, s42
	s_and_not1_b32 vcc_lo, exec_lo, s39
	s_wait_alu 0xfffe
	s_cbranch_vccnz .LBB347_31
; %bb.26:                               ;   in Loop: Header=BB347_4 Depth=1
	v_mov_b32_e32 v12, 0
	v_dual_mov_b32 v13, 0 :: v_dual_mov_b32 v14, 0
	v_mov_b32_e32 v15, 0
	v_cmp_gt_i32_e32 vcc_lo, s5, v37
	s_and_saveexec_b32 s42, vcc_lo
	s_cbranch_execz .LBB347_28
; %bb.27:                               ;   in Loop: Header=BB347_4 Depth=1
	v_mad_co_u64_u32 v[12:13], null, s28, v37, 0
	s_delay_alu instid0(VALU_DEP_1) | instskip(NEXT) | instid1(VALU_DEP_1)
	v_mad_co_u64_u32 v[13:14], null, s29, v37, v[13:14]
	v_lshlrev_b64_e32 v[12:13], 4, v[12:13]
	s_delay_alu instid0(VALU_DEP_1) | instskip(SKIP_1) | instid1(VALU_DEP_2)
	v_add_co_u32 v12, s4, v29, v12
	s_wait_alu 0xf1ff
	v_add_co_ci_u32_e64 v13, null, v30, v13, s4
	flat_load_b128 v[12:15], v[12:13]
.LBB347_28:                             ;   in Loop: Header=BB347_4 Depth=1
	s_or_b32 exec_lo, exec_lo, s42
	s_and_saveexec_b32 s4, s0
	s_cbranch_execz .LBB347_30
; %bb.29:                               ;   in Loop: Header=BB347_4 Depth=1
	v_mad_co_u64_u32 v[29:30], null, s30, v37, 0
	s_delay_alu instid0(VALU_DEP_1) | instskip(NEXT) | instid1(VALU_DEP_2)
	v_mad_co_u64_u32 v[37:38], null, s31, v37, v[30:31]
	v_cndmask_b32_e32 v29, 0, v29, vcc_lo
	s_delay_alu instid0(VALU_DEP_2) | instskip(NEXT) | instid1(VALU_DEP_1)
	v_cndmask_b32_e32 v30, 0, v37, vcc_lo
	v_lshlrev_b64_e32 v[29:30], 4, v[29:30]
	s_delay_alu instid0(VALU_DEP_1) | instskip(SKIP_1) | instid1(VALU_DEP_2)
	v_add_co_u32 v27, vcc_lo, v27, v29
	s_wait_alu 0xfffd
	v_add_co_ci_u32_e64 v28, null, v28, v30, vcc_lo
	s_delay_alu instid0(VALU_DEP_2) | instskip(SKIP_1) | instid1(VALU_DEP_2)
	v_add_co_u32 v27, vcc_lo, v27, v21
	s_wait_alu 0xfffd
	v_add_co_ci_u32_e64 v28, null, v28, v22, vcc_lo
	flat_load_b128 v[27:30], v[27:28]
	s_wait_loadcnt_dscnt 0x0
	v_mul_f64_e32 v[37:38], v[14:15], v[29:30]
	v_mul_f64_e32 v[29:30], v[12:13], v[29:30]
	s_delay_alu instid0(VALU_DEP_2) | instskip(NEXT) | instid1(VALU_DEP_2)
	v_fma_f64 v[12:13], v[12:13], v[27:28], -v[37:38]
	v_fma_f64 v[14:15], v[14:15], v[27:28], v[29:30]
	s_delay_alu instid0(VALU_DEP_2) | instskip(NEXT) | instid1(VALU_DEP_2)
	v_add_f64_e32 v[8:9], v[8:9], v[12:13]
	v_add_f64_e32 v[10:11], v[10:11], v[14:15]
.LBB347_30:                             ;   in Loop: Header=BB347_4 Depth=1
	s_wait_alu 0xfffe
	s_or_b32 exec_lo, exec_lo, s4
.LBB347_31:                             ;   in Loop: Header=BB347_4 Depth=1
	ds_store_b128 v32, v[8:11]
	s_wait_loadcnt_dscnt 0x0
	s_barrier_signal -1
	s_barrier_wait -1
	global_inv scope:SCOPE_SE
                                        ; implicit-def: $vgpr10_vgpr11
	s_and_saveexec_b32 s42, s2
	s_cbranch_execz .LBB347_37
; %bb.32:                               ;   in Loop: Header=BB347_4 Depth=1
	ds_load_b128 v[8:11], v32
	ds_load_b128 v[12:15], v32 offset:1024
	s_mov_b32 s4, s41
	s_wait_dscnt 0x0
	v_add_f64_e32 v[27:28], v[8:9], v[12:13]
	v_add_f64_e32 v[29:30], v[10:11], v[14:15]
	ds_load_b128 v[8:11], v32 offset:2048
	ds_load_b128 v[12:15], v32 offset:3072
	s_wait_dscnt 0x1
	v_add_f64_e32 v[8:9], v[27:28], v[8:9]
	v_add_f64_e32 v[10:11], v[29:30], v[10:11]
	s_wait_dscnt 0x0
	s_delay_alu instid0(VALU_DEP_2) | instskip(NEXT) | instid1(VALU_DEP_2)
	v_add_f64_e32 v[27:28], v[8:9], v[12:13]
	v_add_f64_e32 v[29:30], v[10:11], v[14:15]
	ds_load_b128 v[8:11], v32 offset:4096
	ds_load_b128 v[12:15], v32 offset:5120
	s_wait_dscnt 0x1
	v_add_f64_e32 v[8:9], v[27:28], v[8:9]
	v_add_f64_e32 v[10:11], v[29:30], v[10:11]
	s_wait_dscnt 0x0
	s_delay_alu instid0(VALU_DEP_2) | instskip(NEXT) | instid1(VALU_DEP_2)
	;; [unrolled: 9-line block ×7, first 2 shown]
	v_add_f64_e32 v[12:13], v[8:9], v[12:13]
	v_add_f64_e32 v[14:15], v[10:11], v[14:15]
                                        ; implicit-def: $vgpr10_vgpr11
	ds_store_b128 v32, v[12:15]
	s_and_saveexec_b32 s43, s3
	s_cbranch_execz .LBB347_36
; %bb.33:                               ;   in Loop: Header=BB347_4 Depth=1
	v_mul_f64_e32 v[8:9], v[6:7], v[14:15]
	v_mul_f64_e32 v[10:11], v[4:5], v[14:15]
	v_cmp_neq_f64_e32 vcc_lo, 0, v[0:1]
	v_cmp_neq_f64_e64 s4, 0, v[2:3]
	s_delay_alu instid0(VALU_DEP_4) | instskip(NEXT) | instid1(VALU_DEP_4)
	v_fma_f64 v[8:9], v[4:5], v[12:13], -v[8:9]
	v_fma_f64 v[10:11], v[6:7], v[12:13], v[10:11]
	s_wait_alu 0xfffe
	s_or_b32 s4, vcc_lo, s4
	s_wait_alu 0xfffe
	s_and_not1_b32 vcc_lo, exec_lo, s4
	s_wait_alu 0xfffe
	s_cbranch_vccnz .LBB347_35
; %bb.34:                               ;   in Loop: Header=BB347_4 Depth=1
	v_lshlrev_b64_e32 v[4:5], 4, v[19:20]
	s_delay_alu instid0(VALU_DEP_1) | instskip(SKIP_1) | instid1(VALU_DEP_2)
	v_add_co_u32 v4, vcc_lo, v35, v4
	s_wait_alu 0xfffd
	v_add_co_ci_u32_e64 v5, null, v36, v5, vcc_lo
	flat_load_b128 v[4:7], v[4:5]
	s_wait_loadcnt_dscnt 0x0
	v_mul_f64_e32 v[12:13], v[2:3], v[6:7]
	v_mul_f64_e32 v[6:7], v[0:1], v[6:7]
	s_delay_alu instid0(VALU_DEP_2) | instskip(NEXT) | instid1(VALU_DEP_2)
	v_fma_f64 v[0:1], v[0:1], v[4:5], -v[12:13]
	v_fma_f64 v[2:3], v[2:3], v[4:5], v[6:7]
	s_delay_alu instid0(VALU_DEP_2) | instskip(NEXT) | instid1(VALU_DEP_2)
	v_add_f64_e32 v[8:9], v[8:9], v[0:1]
	v_add_f64_e32 v[10:11], v[10:11], v[2:3]
.LBB347_35:                             ;   in Loop: Header=BB347_4 Depth=1
	s_or_b32 s4, s41, exec_lo
.LBB347_36:                             ;   in Loop: Header=BB347_4 Depth=1
	s_or_b32 exec_lo, exec_lo, s43
	s_delay_alu instid0(SALU_CYCLE_1)
	s_and_not1_b32 s41, s41, exec_lo
	s_wait_alu 0xfffe
	s_and_b32 s4, s4, exec_lo
	s_wait_alu 0xfffe
	s_or_b32 s41, s41, s4
.LBB347_37:                             ;   in Loop: Header=BB347_4 Depth=1
	s_or_b32 exec_lo, exec_lo, s42
	v_dual_mov_b32 v0, v19 :: v_dual_mov_b32 v1, v20
	s_and_saveexec_b32 s4, s41
	s_cbranch_execz .LBB347_2
.LBB347_38:                             ;   in Loop: Header=BB347_4 Depth=1
	s_delay_alu instid0(VALU_DEP_1) | instskip(NEXT) | instid1(VALU_DEP_1)
	v_lshlrev_b64_e32 v[0:1], 4, v[0:1]
	v_add_co_u32 v0, vcc_lo, v35, v0
	s_wait_alu 0xfffd
	s_delay_alu instid0(VALU_DEP_2)
	v_add_co_ci_u32_e64 v1, null, v36, v1, vcc_lo
	flat_store_b128 v[0:1], v[8:11]
	s_branch .LBB347_2
.LBB347_39:
	s_endpgm
	.section	.rodata,"a",@progbits
	.p2align	6, 0x0
	.amdhsa_kernel _ZL20rocblas_gemvn_kernelILi64ELi16ElPK19rocblas_complex_numIdES3_KPS1_EviiT3_lPKT2_lT1_lS9_lSA_lS6_lPT4_lSA_li
		.amdhsa_group_segment_fixed_size 16384
		.amdhsa_private_segment_fixed_size 0
		.amdhsa_kernarg_size 400
		.amdhsa_user_sgpr_count 2
		.amdhsa_user_sgpr_dispatch_ptr 0
		.amdhsa_user_sgpr_queue_ptr 0
		.amdhsa_user_sgpr_kernarg_segment_ptr 1
		.amdhsa_user_sgpr_dispatch_id 0
		.amdhsa_user_sgpr_private_segment_size 0
		.amdhsa_wavefront_size32 1
		.amdhsa_uses_dynamic_stack 0
		.amdhsa_enable_private_segment 0
		.amdhsa_system_sgpr_workgroup_id_x 1
		.amdhsa_system_sgpr_workgroup_id_y 0
		.amdhsa_system_sgpr_workgroup_id_z 1
		.amdhsa_system_sgpr_workgroup_info 0
		.amdhsa_system_vgpr_workitem_id 1
		.amdhsa_next_free_vgpr 48
		.amdhsa_next_free_sgpr 44
		.amdhsa_reserve_vcc 1
		.amdhsa_float_round_mode_32 0
		.amdhsa_float_round_mode_16_64 0
		.amdhsa_float_denorm_mode_32 3
		.amdhsa_float_denorm_mode_16_64 3
		.amdhsa_fp16_overflow 0
		.amdhsa_workgroup_processor_mode 1
		.amdhsa_memory_ordered 1
		.amdhsa_forward_progress 1
		.amdhsa_inst_pref_size 18
		.amdhsa_round_robin_scheduling 0
		.amdhsa_exception_fp_ieee_invalid_op 0
		.amdhsa_exception_fp_denorm_src 0
		.amdhsa_exception_fp_ieee_div_zero 0
		.amdhsa_exception_fp_ieee_overflow 0
		.amdhsa_exception_fp_ieee_underflow 0
		.amdhsa_exception_fp_ieee_inexact 0
		.amdhsa_exception_int_div_zero 0
	.end_amdhsa_kernel
	.section	.text._ZL20rocblas_gemvn_kernelILi64ELi16ElPK19rocblas_complex_numIdES3_KPS1_EviiT3_lPKT2_lT1_lS9_lSA_lS6_lPT4_lSA_li,"axG",@progbits,_ZL20rocblas_gemvn_kernelILi64ELi16ElPK19rocblas_complex_numIdES3_KPS1_EviiT3_lPKT2_lT1_lS9_lSA_lS6_lPT4_lSA_li,comdat
.Lfunc_end347:
	.size	_ZL20rocblas_gemvn_kernelILi64ELi16ElPK19rocblas_complex_numIdES3_KPS1_EviiT3_lPKT2_lT1_lS9_lSA_lS6_lPT4_lSA_li, .Lfunc_end347-_ZL20rocblas_gemvn_kernelILi64ELi16ElPK19rocblas_complex_numIdES3_KPS1_EviiT3_lPKT2_lT1_lS9_lSA_lS6_lPT4_lSA_li
                                        ; -- End function
	.set _ZL20rocblas_gemvn_kernelILi64ELi16ElPK19rocblas_complex_numIdES3_KPS1_EviiT3_lPKT2_lT1_lS9_lSA_lS6_lPT4_lSA_li.num_vgpr, 48
	.set _ZL20rocblas_gemvn_kernelILi64ELi16ElPK19rocblas_complex_numIdES3_KPS1_EviiT3_lPKT2_lT1_lS9_lSA_lS6_lPT4_lSA_li.num_agpr, 0
	.set _ZL20rocblas_gemvn_kernelILi64ELi16ElPK19rocblas_complex_numIdES3_KPS1_EviiT3_lPKT2_lT1_lS9_lSA_lS6_lPT4_lSA_li.numbered_sgpr, 44
	.set _ZL20rocblas_gemvn_kernelILi64ELi16ElPK19rocblas_complex_numIdES3_KPS1_EviiT3_lPKT2_lT1_lS9_lSA_lS6_lPT4_lSA_li.num_named_barrier, 0
	.set _ZL20rocblas_gemvn_kernelILi64ELi16ElPK19rocblas_complex_numIdES3_KPS1_EviiT3_lPKT2_lT1_lS9_lSA_lS6_lPT4_lSA_li.private_seg_size, 0
	.set _ZL20rocblas_gemvn_kernelILi64ELi16ElPK19rocblas_complex_numIdES3_KPS1_EviiT3_lPKT2_lT1_lS9_lSA_lS6_lPT4_lSA_li.uses_vcc, 1
	.set _ZL20rocblas_gemvn_kernelILi64ELi16ElPK19rocblas_complex_numIdES3_KPS1_EviiT3_lPKT2_lT1_lS9_lSA_lS6_lPT4_lSA_li.uses_flat_scratch, 0
	.set _ZL20rocblas_gemvn_kernelILi64ELi16ElPK19rocblas_complex_numIdES3_KPS1_EviiT3_lPKT2_lT1_lS9_lSA_lS6_lPT4_lSA_li.has_dyn_sized_stack, 0
	.set _ZL20rocblas_gemvn_kernelILi64ELi16ElPK19rocblas_complex_numIdES3_KPS1_EviiT3_lPKT2_lT1_lS9_lSA_lS6_lPT4_lSA_li.has_recursion, 0
	.set _ZL20rocblas_gemvn_kernelILi64ELi16ElPK19rocblas_complex_numIdES3_KPS1_EviiT3_lPKT2_lT1_lS9_lSA_lS6_lPT4_lSA_li.has_indirect_call, 0
	.section	.AMDGPU.csdata,"",@progbits
; Kernel info:
; codeLenInByte = 2244
; TotalNumSgprs: 46
; NumVgprs: 48
; ScratchSize: 0
; MemoryBound: 1
; FloatMode: 240
; IeeeMode: 1
; LDSByteSize: 16384 bytes/workgroup (compile time only)
; SGPRBlocks: 0
; VGPRBlocks: 5
; NumSGPRsForWavesPerEU: 46
; NumVGPRsForWavesPerEU: 48
; Occupancy: 16
; WaveLimiterHint : 1
; COMPUTE_PGM_RSRC2:SCRATCH_EN: 0
; COMPUTE_PGM_RSRC2:USER_SGPR: 2
; COMPUTE_PGM_RSRC2:TRAP_HANDLER: 0
; COMPUTE_PGM_RSRC2:TGID_X_EN: 1
; COMPUTE_PGM_RSRC2:TGID_Y_EN: 0
; COMPUTE_PGM_RSRC2:TGID_Z_EN: 1
; COMPUTE_PGM_RSRC2:TIDIG_COMP_CNT: 1
	.section	.text._ZL20rocblas_gemvn_kernelILi64ELi16EiPK19rocblas_complex_numIdES1_KPS1_EviiT3_lPKT2_lT1_lS9_lSA_lS6_lPT4_lSA_li,"axG",@progbits,_ZL20rocblas_gemvn_kernelILi64ELi16EiPK19rocblas_complex_numIdES1_KPS1_EviiT3_lPKT2_lT1_lS9_lSA_lS6_lPT4_lSA_li,comdat
	.globl	_ZL20rocblas_gemvn_kernelILi64ELi16EiPK19rocblas_complex_numIdES1_KPS1_EviiT3_lPKT2_lT1_lS9_lSA_lS6_lPT4_lSA_li ; -- Begin function _ZL20rocblas_gemvn_kernelILi64ELi16EiPK19rocblas_complex_numIdES1_KPS1_EviiT3_lPKT2_lT1_lS9_lSA_lS6_lPT4_lSA_li
	.p2align	8
	.type	_ZL20rocblas_gemvn_kernelILi64ELi16EiPK19rocblas_complex_numIdES1_KPS1_EviiT3_lPKT2_lT1_lS9_lSA_lS6_lPT4_lSA_li,@function
_ZL20rocblas_gemvn_kernelILi64ELi16EiPK19rocblas_complex_numIdES1_KPS1_EviiT3_lPKT2_lT1_lS9_lSA_lS6_lPT4_lSA_li: ; @_ZL20rocblas_gemvn_kernelILi64ELi16EiPK19rocblas_complex_numIdES1_KPS1_EviiT3_lPKT2_lT1_lS9_lSA_lS6_lPT4_lSA_li
; %bb.0:
	s_clause 0x1
	s_load_b64 s[2:3], s[0:1], 0xac
	s_load_b32 s28, s[0:1], 0x98
	s_lshr_b32 s6, ttmp7, 16
	s_wait_kmcnt 0x0
	s_lshr_b32 s4, s2, 16
	s_and_b32 s2, s2, 0xffff
	s_and_b32 s3, s3, 0xffff
	s_mul_i32 s4, s4, s2
	s_delay_alu instid0(SALU_CYCLE_1) | instskip(NEXT) | instid1(SALU_CYCLE_1)
	s_mul_i32 s4, s4, s3
	s_cmp_lg_u32 s4, 0x400
	s_cselect_b32 s3, -1, 0
	s_cmp_ge_u32 s6, s28
	s_cselect_b32 s4, -1, 0
	s_delay_alu instid0(SALU_CYCLE_1) | instskip(NEXT) | instid1(SALU_CYCLE_1)
	s_or_b32 s3, s3, s4
	s_and_b32 vcc_lo, exec_lo, s3
	s_cbranch_vccnz .LBB348_40
; %bb.1:
	s_clause 0x2
	s_load_b128 s[8:11], s[0:1], 0x8
	s_load_b128 s[12:15], s[0:1], 0x60
	s_load_b32 s3, s[0:1], 0x88
	v_dual_mov_b32 v8, 0 :: v_dual_and_b32 v1, 0x3ff, v0
	v_bfe_u32 v0, v0, 10, 10
	s_lshl_b32 s40, ttmp9, 6
	s_clause 0x5
	s_load_b64 s[4:5], s[0:1], 0x0
	s_load_b128 s[16:19], s[0:1], 0x78
	s_load_b128 s[20:23], s[0:1], 0x20
	s_load_b32 s29, s[0:1], 0x30
	s_load_b128 s[24:27], s[0:1], 0x40
	s_load_b32 s30, s[0:1], 0x50
	s_mov_b32 s7, 0
	v_mad_u32_u24 v0, v0, s2, v1
	s_delay_alu instid0(VALU_DEP_1)
	v_add_nc_u32_e32 v7, s40, v0
	v_and_b32_e32 v2, 63, v0
	v_lshrrev_b32_e32 v19, 6, v0
	v_lshlrev_b32_e32 v20, 4, v0
	v_cmp_gt_u32_e64 s0, 64, v0
	s_wait_kmcnt 0x0
	v_cmp_neq_f64_e64 s36, s[8:9], 0
	v_cmp_neq_f64_e64 s37, s[10:11], 0
	v_cmp_neq_f64_e64 s33, s[12:13], 1.0
	v_cmp_neq_f64_e64 s38, s[14:15], 0
	v_cmp_neq_f64_e64 s39, s[12:13], 0
	v_mad_co_u64_u32 v[9:10], null, v7, s3, 0
	v_or_b32_e32 v3, s40, v0
	s_ashr_i32 s31, s3, 31
	s_ashr_i32 s41, s5, 31
	v_or_b32_e32 v21, s40, v2
	s_ashr_i32 s35, s4, 31
	v_mul_lo_u32 v11, v3, s3
	s_delay_alu instid0(VALU_DEP_4)
	v_mov_b32_e32 v0, v10
	s_wait_alu 0xfffe
	s_lshr_b32 s3, s41, 28
	s_mov_b32 s34, s4
	s_wait_alu 0xfffe
	s_add_co_i32 s3, s5, s3
	v_mul_lo_u32 v22, s30, v19
	v_mad_co_u64_u32 v[0:1], null, v7, s31, v[0:1]
	v_mul_lo_u32 v1, s29, v19
	v_cmp_gt_i64_e32 vcc_lo, s[34:35], v[7:8]
	s_wait_alu 0xfffe
	s_and_b32 s31, s3, -16
	v_cmp_gt_i32_e64 s1, s4, v21
	v_cmp_gt_i32_e64 s2, s4, v3
	s_wait_alu 0xfffe
	s_sub_co_i32 s4, s5, s31
	v_mov_b32_e32 v10, v0
	v_cmp_gt_i32_e64 s3, s31, v19
	v_ashrrev_i32_e32 v12, 31, v11
	v_add3_u32 v23, v1, s40, v2
	s_delay_alu instid0(VALU_DEP_4)
	v_lshlrev_b64_e32 v[13:14], 4, v[9:10]
	s_or_b32 s35, s36, s37
	s_or_b32 s33, s33, s38
	s_wait_alu 0xfffe
	v_cndmask_b32_e64 v24, 0, 1, s35
	s_or_b32 s34, s39, s38
	s_xor_b32 s35, s35, -1
	s_cmp_gt_i32 s4, 0
	s_cselect_b32 s36, -1, 0
	s_and_b32 s37, s0, vcc_lo
	s_lshl_b32 s38, s30, 4
	s_lshl_b32 s39, s29, 4
	s_lshl_b64 s[22:23], s[22:23], 4
	s_lshl_b64 s[26:27], s[26:27], 4
	;; [unrolled: 1-line block ×3, first 2 shown]
	s_branch .LBB348_4
.LBB348_2:                              ;   in Loop: Header=BB348_4 Depth=1
	s_wait_alu 0xfffe
	s_or_b32 exec_lo, exec_lo, s4
.LBB348_3:                              ;   in Loop: Header=BB348_4 Depth=1
	s_add_co_i32 s6, s6, 0x10000
	s_delay_alu instid0(SALU_CYCLE_1)
	s_cmp_lt_u32 s6, s28
	s_cbranch_scc0 .LBB348_40
.LBB348_4:                              ; =>This Loop Header: Depth=1
                                        ;     Child Loop BB348_21 Depth 2
	s_wait_alu 0xfffe
	s_and_not1_b32 vcc_lo, exec_lo, s35
	s_mov_b32 s4, s7
	s_mov_b32 s40, -1
	s_wait_alu 0xfffe
	s_cbranch_vccnz .LBB348_7
; %bb.5:                                ;   in Loop: Header=BB348_4 Depth=1
	s_mov_b32 s40, 0
	s_and_b32 vcc_lo, exec_lo, s33
	s_mov_b32 s4, 0
	s_wait_alu 0xfffe
	s_cbranch_vccz .LBB348_7
; %bb.6:                                ;   in Loop: Header=BB348_4 Depth=1
	s_mov_b32 s4, -1
.LBB348_7:                              ;   in Loop: Header=BB348_4 Depth=1
	v_mov_b32_e32 v15, 0
	v_mov_b32_e32 v16, 0
	s_wait_alu 0xfffe
	s_and_b32 vcc_lo, exec_lo, s40
	s_wait_alu 0xfffe
	s_cbranch_vccnz .LBB348_9
; %bb.8:                                ;   in Loop: Header=BB348_4 Depth=1
	s_and_not1_b32 vcc_lo, exec_lo, s4
	s_wait_alu 0xfffe
	s_cbranch_vccnz .LBB348_3
	s_branch .LBB348_10
.LBB348_9:                              ;   in Loop: Header=BB348_4 Depth=1
	s_lshl_b64 s[40:41], s[6:7], 3
	s_wait_alu 0xfffe
	s_add_nc_u64 s[40:41], s[20:21], s[40:41]
	global_load_b64 v[0:1], v8, s[40:41]
	s_wait_loadcnt 0x0
	v_add_co_u32 v15, vcc_lo, v0, s22
	s_wait_alu 0xfffd
	v_add_co_ci_u32_e64 v16, null, s23, v1, vcc_lo
.LBB348_10:                             ;   in Loop: Header=BB348_4 Depth=1
	v_cmp_ne_u32_e32 vcc_lo, 1, v24
	v_mov_b32_e32 v17, 0
	v_mov_b32_e32 v18, 0
	s_cbranch_vccnz .LBB348_12
; %bb.11:                               ;   in Loop: Header=BB348_4 Depth=1
	s_lshl_b64 s[40:41], s[6:7], 3
	s_wait_alu 0xfffe
	s_add_nc_u64 s[40:41], s[24:25], s[40:41]
	global_load_b64 v[0:1], v8, s[40:41]
	s_wait_loadcnt 0x0
	v_add_co_u32 v17, vcc_lo, v0, s26
	s_wait_alu 0xfffd
	v_add_co_ci_u32_e64 v18, null, s27, v1, vcc_lo
.LBB348_12:                             ;   in Loop: Header=BB348_4 Depth=1
	s_lshl_b64 s[40:41], s[6:7], 3
	s_wait_alu 0xfffe
	s_add_nc_u64 s[40:41], s[16:17], s[40:41]
	global_load_b64 v[0:1], v8, s[40:41]
	s_wait_loadcnt 0x0
	v_add_co_u32 v25, vcc_lo, v0, s18
	s_wait_alu 0xfffd
	v_add_co_ci_u32_e64 v26, null, s19, v1, vcc_lo
	s_and_not1_b32 vcc_lo, exec_lo, s35
	s_wait_alu 0xfffe
	s_cbranch_vccnz .LBB348_17
; %bb.13:                               ;   in Loop: Header=BB348_4 Depth=1
	s_mov_b32 s4, 0
	s_mov_b32 s40, 0
                                        ; implicit-def: $vgpr2_vgpr3
	s_and_saveexec_b32 s41, s37
	s_cbranch_execz .LBB348_23
; %bb.14:                               ;   in Loop: Header=BB348_4 Depth=1
	v_mov_b32_e32 v2, 0
	v_dual_mov_b32 v3, 0 :: v_dual_mov_b32 v0, 0
	v_mov_b32_e32 v1, 0
	s_and_not1_b32 vcc_lo, exec_lo, s34
	s_wait_alu 0xfffe
	s_cbranch_vccnz .LBB348_16
; %bb.15:                               ;   in Loop: Header=BB348_4 Depth=1
	v_add_co_u32 v0, vcc_lo, v25, v13
	s_wait_alu 0xfffd
	v_add_co_ci_u32_e64 v1, null, v26, v14, vcc_lo
	flat_load_b128 v[2:5], v[0:1]
	s_wait_loadcnt_dscnt 0x0
	v_mul_f64_e32 v[0:1], s[14:15], v[4:5]
	v_mul_f64_e32 v[4:5], s[12:13], v[4:5]
	s_delay_alu instid0(VALU_DEP_2) | instskip(NEXT) | instid1(VALU_DEP_2)
	v_fma_f64 v[0:1], s[12:13], v[2:3], -v[0:1]
	v_fma_f64 v[2:3], s[14:15], v[2:3], v[4:5]
.LBB348_16:                             ;   in Loop: Header=BB348_4 Depth=1
	s_mov_b32 s40, exec_lo
	s_or_b32 exec_lo, exec_lo, s41
	s_delay_alu instid0(SALU_CYCLE_1)
	s_and_b32 vcc_lo, exec_lo, s4
	s_wait_alu 0xfffe
	s_cbranch_vccnz .LBB348_18
	s_branch .LBB348_24
.LBB348_17:                             ;   in Loop: Header=BB348_4 Depth=1
	s_mov_b32 s40, 0
                                        ; implicit-def: $vgpr2_vgpr3
	s_cbranch_execz .LBB348_24
.LBB348_18:                             ;   in Loop: Header=BB348_4 Depth=1
	v_mov_b32_e32 v2, 0
	v_dual_mov_b32 v3, 0 :: v_dual_mov_b32 v0, 0
	v_mov_b32_e32 v1, 0
	v_mov_b32_e32 v27, v19
	s_and_saveexec_b32 s4, s3
	s_cbranch_execz .LBB348_26
; %bb.19:                               ;   in Loop: Header=BB348_4 Depth=1
	v_dual_mov_b32 v2, 0 :: v_dual_mov_b32 v27, v19
	v_dual_mov_b32 v3, 0 :: v_dual_mov_b32 v4, v23
	s_delay_alu instid0(VALU_DEP_2) | instskip(SKIP_2) | instid1(VALU_DEP_3)
	v_mov_b32_e32 v0, v2
	v_mov_b32_e32 v6, v22
	s_mov_b32 s41, 0
	v_mov_b32_e32 v1, v3
	s_branch .LBB348_21
.LBB348_20:                             ;   in Loop: Header=BB348_21 Depth=2
	s_or_b32 exec_lo, exec_lo, s42
	v_add_nc_u32_e32 v27, 16, v27
	v_add_nc_u32_e32 v6, s38, v6
	;; [unrolled: 1-line block ×3, first 2 shown]
	s_delay_alu instid0(VALU_DEP_3)
	v_cmp_le_i32_e32 vcc_lo, s31, v27
	s_wait_alu 0xfffe
	s_or_b32 s41, vcc_lo, s41
	s_wait_alu 0xfffe
	s_and_not1_b32 exec_lo, exec_lo, s41
	s_cbranch_execz .LBB348_25
.LBB348_21:                             ;   Parent Loop BB348_4 Depth=1
                                        ; =>  This Inner Loop Header: Depth=2
	s_and_saveexec_b32 s42, s1
	s_cbranch_execz .LBB348_20
; %bb.22:                               ;   in Loop: Header=BB348_21 Depth=2
	v_ashrrev_i32_e32 v7, 31, v6
	v_ashrrev_i32_e32 v5, 31, v4
	s_delay_alu instid0(VALU_DEP_2) | instskip(NEXT) | instid1(VALU_DEP_2)
	v_lshlrev_b64_e32 v[28:29], 4, v[6:7]
	v_lshlrev_b64_e32 v[30:31], 4, v[4:5]
	s_delay_alu instid0(VALU_DEP_2) | instskip(SKIP_1) | instid1(VALU_DEP_3)
	v_add_co_u32 v28, vcc_lo, v17, v28
	s_wait_alu 0xfffd
	v_add_co_ci_u32_e64 v29, null, v18, v29, vcc_lo
	s_delay_alu instid0(VALU_DEP_3)
	v_add_co_u32 v32, vcc_lo, v15, v30
	s_wait_alu 0xfffd
	v_add_co_ci_u32_e64 v33, null, v16, v31, vcc_lo
	flat_load_b128 v[28:31], v[28:29]
	flat_load_b128 v[32:35], v[32:33]
	s_wait_loadcnt_dscnt 0x0
	v_mul_f64_e32 v[36:37], v[30:31], v[34:35]
	v_mul_f64_e32 v[34:35], v[28:29], v[34:35]
	s_delay_alu instid0(VALU_DEP_2) | instskip(NEXT) | instid1(VALU_DEP_2)
	v_fma_f64 v[28:29], v[28:29], v[32:33], -v[36:37]
	v_fma_f64 v[30:31], v[30:31], v[32:33], v[34:35]
	s_delay_alu instid0(VALU_DEP_2) | instskip(NEXT) | instid1(VALU_DEP_2)
	v_add_f64_e32 v[0:1], v[0:1], v[28:29]
	v_add_f64_e32 v[2:3], v[2:3], v[30:31]
	s_branch .LBB348_20
.LBB348_23:                             ;   in Loop: Header=BB348_4 Depth=1
	s_wait_alu 0xfffe
	s_or_b32 exec_lo, exec_lo, s41
	s_delay_alu instid0(SALU_CYCLE_1)
	s_and_b32 vcc_lo, exec_lo, s4
	s_wait_alu 0xfffe
	s_cbranch_vccnz .LBB348_18
.LBB348_24:                             ;   in Loop: Header=BB348_4 Depth=1
	v_dual_mov_b32 v4, v9 :: v_dual_mov_b32 v5, v10
	s_wait_alu 0xfffe
	s_and_saveexec_b32 s4, s40
	s_cbranch_execz .LBB348_2
	s_branch .LBB348_39
.LBB348_25:                             ;   in Loop: Header=BB348_4 Depth=1
	s_or_b32 exec_lo, exec_lo, s41
.LBB348_26:                             ;   in Loop: Header=BB348_4 Depth=1
	s_wait_alu 0xfffe
	s_or_b32 exec_lo, exec_lo, s4
	s_delay_alu instid0(SALU_CYCLE_1)
	s_and_not1_b32 vcc_lo, exec_lo, s36
	s_wait_alu 0xfffe
	s_cbranch_vccnz .LBB348_32
; %bb.27:                               ;   in Loop: Header=BB348_4 Depth=1
	v_mov_b32_e32 v4, 0
	v_dual_mov_b32 v5, 0 :: v_dual_mov_b32 v6, 0
	v_mov_b32_e32 v7, 0
	v_cmp_gt_i32_e32 vcc_lo, s5, v27
	s_and_saveexec_b32 s41, vcc_lo
	s_cbranch_execz .LBB348_29
; %bb.28:                               ;   in Loop: Header=BB348_4 Depth=1
	v_mul_lo_u32 v4, v27, s30
	s_delay_alu instid0(VALU_DEP_1) | instskip(NEXT) | instid1(VALU_DEP_1)
	v_ashrrev_i32_e32 v5, 31, v4
	v_lshlrev_b64_e32 v[4:5], 4, v[4:5]
	s_delay_alu instid0(VALU_DEP_1) | instskip(SKIP_1) | instid1(VALU_DEP_2)
	v_add_co_u32 v4, s4, v17, v4
	s_wait_alu 0xf1ff
	v_add_co_ci_u32_e64 v5, null, v18, v5, s4
	flat_load_b128 v[4:7], v[4:5]
.LBB348_29:                             ;   in Loop: Header=BB348_4 Depth=1
	s_wait_alu 0xfffe
	s_or_b32 exec_lo, exec_lo, s41
	s_and_saveexec_b32 s4, s1
	s_cbranch_execz .LBB348_31
; %bb.30:                               ;   in Loop: Header=BB348_4 Depth=1
	v_mul_lo_u32 v17, v27, s29
	s_delay_alu instid0(VALU_DEP_1) | instskip(NEXT) | instid1(VALU_DEP_1)
	v_cndmask_b32_e32 v17, 0, v17, vcc_lo
	v_add_nc_u32_e32 v17, v17, v21
	s_delay_alu instid0(VALU_DEP_1) | instskip(NEXT) | instid1(VALU_DEP_1)
	v_ashrrev_i32_e32 v18, 31, v17
	v_lshlrev_b64_e32 v[17:18], 4, v[17:18]
	s_delay_alu instid0(VALU_DEP_1) | instskip(SKIP_1) | instid1(VALU_DEP_2)
	v_add_co_u32 v15, vcc_lo, v15, v17
	s_wait_alu 0xfffd
	v_add_co_ci_u32_e64 v16, null, v16, v18, vcc_lo
	flat_load_b128 v[15:18], v[15:16]
	s_wait_loadcnt_dscnt 0x0
	v_mul_f64_e32 v[27:28], v[6:7], v[17:18]
	v_mul_f64_e32 v[17:18], v[4:5], v[17:18]
	s_delay_alu instid0(VALU_DEP_2) | instskip(NEXT) | instid1(VALU_DEP_2)
	v_fma_f64 v[4:5], v[4:5], v[15:16], -v[27:28]
	v_fma_f64 v[6:7], v[6:7], v[15:16], v[17:18]
	s_delay_alu instid0(VALU_DEP_2) | instskip(NEXT) | instid1(VALU_DEP_2)
	v_add_f64_e32 v[0:1], v[0:1], v[4:5]
	v_add_f64_e32 v[2:3], v[2:3], v[6:7]
.LBB348_31:                             ;   in Loop: Header=BB348_4 Depth=1
	s_wait_alu 0xfffe
	s_or_b32 exec_lo, exec_lo, s4
.LBB348_32:                             ;   in Loop: Header=BB348_4 Depth=1
	ds_store_b128 v20, v[0:3]
	s_wait_loadcnt_dscnt 0x0
	s_barrier_signal -1
	s_barrier_wait -1
	global_inv scope:SCOPE_SE
                                        ; implicit-def: $vgpr2_vgpr3
	s_and_saveexec_b32 s4, s0
	s_cbranch_execz .LBB348_38
; %bb.33:                               ;   in Loop: Header=BB348_4 Depth=1
	ds_load_b128 v[0:3], v20
	ds_load_b128 v[4:7], v20 offset:1024
	s_mov_b32 s42, s40
	s_wait_dscnt 0x0
	v_add_f64_e32 v[15:16], v[0:1], v[4:5]
	v_add_f64_e32 v[17:18], v[2:3], v[6:7]
	ds_load_b128 v[0:3], v20 offset:2048
	ds_load_b128 v[4:7], v20 offset:3072
	s_wait_dscnt 0x1
	v_add_f64_e32 v[0:1], v[15:16], v[0:1]
	v_add_f64_e32 v[2:3], v[17:18], v[2:3]
	s_wait_dscnt 0x0
	s_delay_alu instid0(VALU_DEP_2) | instskip(NEXT) | instid1(VALU_DEP_2)
	v_add_f64_e32 v[15:16], v[0:1], v[4:5]
	v_add_f64_e32 v[17:18], v[2:3], v[6:7]
	ds_load_b128 v[0:3], v20 offset:4096
	ds_load_b128 v[4:7], v20 offset:5120
	s_wait_dscnt 0x1
	v_add_f64_e32 v[0:1], v[15:16], v[0:1]
	v_add_f64_e32 v[2:3], v[17:18], v[2:3]
	s_wait_dscnt 0x0
	s_delay_alu instid0(VALU_DEP_2) | instskip(NEXT) | instid1(VALU_DEP_2)
	v_add_f64_e32 v[15:16], v[0:1], v[4:5]
	v_add_f64_e32 v[17:18], v[2:3], v[6:7]
	ds_load_b128 v[0:3], v20 offset:6144
	ds_load_b128 v[4:7], v20 offset:7168
	s_wait_dscnt 0x1
	v_add_f64_e32 v[0:1], v[15:16], v[0:1]
	v_add_f64_e32 v[2:3], v[17:18], v[2:3]
	s_wait_dscnt 0x0
	s_delay_alu instid0(VALU_DEP_2) | instskip(NEXT) | instid1(VALU_DEP_2)
	v_add_f64_e32 v[15:16], v[0:1], v[4:5]
	v_add_f64_e32 v[17:18], v[2:3], v[6:7]
	ds_load_b128 v[0:3], v20 offset:8192
	ds_load_b128 v[4:7], v20 offset:9216
	s_wait_dscnt 0x1
	v_add_f64_e32 v[0:1], v[15:16], v[0:1]
	v_add_f64_e32 v[2:3], v[17:18], v[2:3]
	s_wait_dscnt 0x0
	s_delay_alu instid0(VALU_DEP_2) | instskip(NEXT) | instid1(VALU_DEP_2)
	v_add_f64_e32 v[15:16], v[0:1], v[4:5]
	v_add_f64_e32 v[17:18], v[2:3], v[6:7]
	ds_load_b128 v[0:3], v20 offset:10240
	ds_load_b128 v[4:7], v20 offset:11264
	s_wait_dscnt 0x1
	v_add_f64_e32 v[0:1], v[15:16], v[0:1]
	v_add_f64_e32 v[2:3], v[17:18], v[2:3]
	s_wait_dscnt 0x0
	s_delay_alu instid0(VALU_DEP_2) | instskip(NEXT) | instid1(VALU_DEP_2)
	v_add_f64_e32 v[15:16], v[0:1], v[4:5]
	v_add_f64_e32 v[17:18], v[2:3], v[6:7]
	ds_load_b128 v[0:3], v20 offset:12288
	ds_load_b128 v[4:7], v20 offset:13312
	s_wait_dscnt 0x1
	v_add_f64_e32 v[0:1], v[15:16], v[0:1]
	v_add_f64_e32 v[2:3], v[17:18], v[2:3]
	s_wait_dscnt 0x0
	s_delay_alu instid0(VALU_DEP_2) | instskip(NEXT) | instid1(VALU_DEP_2)
	v_add_f64_e32 v[15:16], v[0:1], v[4:5]
	v_add_f64_e32 v[17:18], v[2:3], v[6:7]
	ds_load_b128 v[0:3], v20 offset:14336
	ds_load_b128 v[4:7], v20 offset:15360
	s_wait_dscnt 0x1
	v_add_f64_e32 v[0:1], v[15:16], v[0:1]
	v_add_f64_e32 v[2:3], v[17:18], v[2:3]
	s_wait_dscnt 0x0
	s_delay_alu instid0(VALU_DEP_2) | instskip(NEXT) | instid1(VALU_DEP_2)
	v_add_f64_e32 v[4:5], v[0:1], v[4:5]
	v_add_f64_e32 v[6:7], v[2:3], v[6:7]
                                        ; implicit-def: $vgpr2_vgpr3
	ds_store_b128 v20, v[4:7]
	s_and_saveexec_b32 s41, s2
	s_cbranch_execz .LBB348_37
; %bb.34:                               ;   in Loop: Header=BB348_4 Depth=1
	v_mul_f64_e32 v[0:1], s[10:11], v[6:7]
	v_mul_f64_e32 v[2:3], s[8:9], v[6:7]
	s_and_not1_b32 vcc_lo, exec_lo, s34
	s_delay_alu instid0(VALU_DEP_2) | instskip(NEXT) | instid1(VALU_DEP_2)
	v_fma_f64 v[0:1], s[8:9], v[4:5], -v[0:1]
	v_fma_f64 v[2:3], s[10:11], v[4:5], v[2:3]
	s_wait_alu 0xfffe
	s_cbranch_vccnz .LBB348_36
; %bb.35:                               ;   in Loop: Header=BB348_4 Depth=1
	v_lshlrev_b64_e32 v[4:5], 4, v[11:12]
	s_delay_alu instid0(VALU_DEP_1) | instskip(SKIP_1) | instid1(VALU_DEP_2)
	v_add_co_u32 v4, vcc_lo, v25, v4
	s_wait_alu 0xfffd
	v_add_co_ci_u32_e64 v5, null, v26, v5, vcc_lo
	flat_load_b128 v[4:7], v[4:5]
	s_wait_loadcnt_dscnt 0x0
	v_mul_f64_e32 v[15:16], s[14:15], v[6:7]
	v_mul_f64_e32 v[6:7], s[12:13], v[6:7]
	s_delay_alu instid0(VALU_DEP_2) | instskip(NEXT) | instid1(VALU_DEP_2)
	v_fma_f64 v[15:16], s[12:13], v[4:5], -v[15:16]
	v_fma_f64 v[4:5], s[14:15], v[4:5], v[6:7]
	s_delay_alu instid0(VALU_DEP_2) | instskip(NEXT) | instid1(VALU_DEP_2)
	v_add_f64_e32 v[0:1], v[0:1], v[15:16]
	v_add_f64_e32 v[2:3], v[2:3], v[4:5]
.LBB348_36:                             ;   in Loop: Header=BB348_4 Depth=1
	s_or_b32 s42, s40, exec_lo
.LBB348_37:                             ;   in Loop: Header=BB348_4 Depth=1
	s_wait_alu 0xfffe
	s_or_b32 exec_lo, exec_lo, s41
	s_delay_alu instid0(SALU_CYCLE_1)
	s_and_not1_b32 s40, s40, exec_lo
	s_and_b32 s41, s42, exec_lo
	s_wait_alu 0xfffe
	s_or_b32 s40, s40, s41
.LBB348_38:                             ;   in Loop: Header=BB348_4 Depth=1
	s_wait_alu 0xfffe
	s_or_b32 exec_lo, exec_lo, s4
	v_dual_mov_b32 v4, v11 :: v_dual_mov_b32 v5, v12
	s_and_saveexec_b32 s4, s40
	s_cbranch_execz .LBB348_2
.LBB348_39:                             ;   in Loop: Header=BB348_4 Depth=1
	s_delay_alu instid0(VALU_DEP_1) | instskip(NEXT) | instid1(VALU_DEP_1)
	v_lshlrev_b64_e32 v[4:5], 4, v[4:5]
	v_add_co_u32 v4, vcc_lo, v25, v4
	s_wait_alu 0xfffd
	s_delay_alu instid0(VALU_DEP_2)
	v_add_co_ci_u32_e64 v5, null, v26, v5, vcc_lo
	flat_store_b128 v[4:5], v[0:3]
	s_branch .LBB348_2
.LBB348_40:
	s_endpgm
	.section	.rodata,"a",@progbits
	.p2align	6, 0x0
	.amdhsa_kernel _ZL20rocblas_gemvn_kernelILi64ELi16EiPK19rocblas_complex_numIdES1_KPS1_EviiT3_lPKT2_lT1_lS9_lSA_lS6_lPT4_lSA_li
		.amdhsa_group_segment_fixed_size 16384
		.amdhsa_private_segment_fixed_size 0
		.amdhsa_kernarg_size 416
		.amdhsa_user_sgpr_count 2
		.amdhsa_user_sgpr_dispatch_ptr 0
		.amdhsa_user_sgpr_queue_ptr 0
		.amdhsa_user_sgpr_kernarg_segment_ptr 1
		.amdhsa_user_sgpr_dispatch_id 0
		.amdhsa_user_sgpr_private_segment_size 0
		.amdhsa_wavefront_size32 1
		.amdhsa_uses_dynamic_stack 0
		.amdhsa_enable_private_segment 0
		.amdhsa_system_sgpr_workgroup_id_x 1
		.amdhsa_system_sgpr_workgroup_id_y 0
		.amdhsa_system_sgpr_workgroup_id_z 1
		.amdhsa_system_sgpr_workgroup_info 0
		.amdhsa_system_vgpr_workitem_id 1
		.amdhsa_next_free_vgpr 38
		.amdhsa_next_free_sgpr 43
		.amdhsa_reserve_vcc 1
		.amdhsa_float_round_mode_32 0
		.amdhsa_float_round_mode_16_64 0
		.amdhsa_float_denorm_mode_32 3
		.amdhsa_float_denorm_mode_16_64 3
		.amdhsa_fp16_overflow 0
		.amdhsa_workgroup_processor_mode 1
		.amdhsa_memory_ordered 1
		.amdhsa_forward_progress 1
		.amdhsa_inst_pref_size 17
		.amdhsa_round_robin_scheduling 0
		.amdhsa_exception_fp_ieee_invalid_op 0
		.amdhsa_exception_fp_denorm_src 0
		.amdhsa_exception_fp_ieee_div_zero 0
		.amdhsa_exception_fp_ieee_overflow 0
		.amdhsa_exception_fp_ieee_underflow 0
		.amdhsa_exception_fp_ieee_inexact 0
		.amdhsa_exception_int_div_zero 0
	.end_amdhsa_kernel
	.section	.text._ZL20rocblas_gemvn_kernelILi64ELi16EiPK19rocblas_complex_numIdES1_KPS1_EviiT3_lPKT2_lT1_lS9_lSA_lS6_lPT4_lSA_li,"axG",@progbits,_ZL20rocblas_gemvn_kernelILi64ELi16EiPK19rocblas_complex_numIdES1_KPS1_EviiT3_lPKT2_lT1_lS9_lSA_lS6_lPT4_lSA_li,comdat
.Lfunc_end348:
	.size	_ZL20rocblas_gemvn_kernelILi64ELi16EiPK19rocblas_complex_numIdES1_KPS1_EviiT3_lPKT2_lT1_lS9_lSA_lS6_lPT4_lSA_li, .Lfunc_end348-_ZL20rocblas_gemvn_kernelILi64ELi16EiPK19rocblas_complex_numIdES1_KPS1_EviiT3_lPKT2_lT1_lS9_lSA_lS6_lPT4_lSA_li
                                        ; -- End function
	.set _ZL20rocblas_gemvn_kernelILi64ELi16EiPK19rocblas_complex_numIdES1_KPS1_EviiT3_lPKT2_lT1_lS9_lSA_lS6_lPT4_lSA_li.num_vgpr, 38
	.set _ZL20rocblas_gemvn_kernelILi64ELi16EiPK19rocblas_complex_numIdES1_KPS1_EviiT3_lPKT2_lT1_lS9_lSA_lS6_lPT4_lSA_li.num_agpr, 0
	.set _ZL20rocblas_gemvn_kernelILi64ELi16EiPK19rocblas_complex_numIdES1_KPS1_EviiT3_lPKT2_lT1_lS9_lSA_lS6_lPT4_lSA_li.numbered_sgpr, 43
	.set _ZL20rocblas_gemvn_kernelILi64ELi16EiPK19rocblas_complex_numIdES1_KPS1_EviiT3_lPKT2_lT1_lS9_lSA_lS6_lPT4_lSA_li.num_named_barrier, 0
	.set _ZL20rocblas_gemvn_kernelILi64ELi16EiPK19rocblas_complex_numIdES1_KPS1_EviiT3_lPKT2_lT1_lS9_lSA_lS6_lPT4_lSA_li.private_seg_size, 0
	.set _ZL20rocblas_gemvn_kernelILi64ELi16EiPK19rocblas_complex_numIdES1_KPS1_EviiT3_lPKT2_lT1_lS9_lSA_lS6_lPT4_lSA_li.uses_vcc, 1
	.set _ZL20rocblas_gemvn_kernelILi64ELi16EiPK19rocblas_complex_numIdES1_KPS1_EviiT3_lPKT2_lT1_lS9_lSA_lS6_lPT4_lSA_li.uses_flat_scratch, 0
	.set _ZL20rocblas_gemvn_kernelILi64ELi16EiPK19rocblas_complex_numIdES1_KPS1_EviiT3_lPKT2_lT1_lS9_lSA_lS6_lPT4_lSA_li.has_dyn_sized_stack, 0
	.set _ZL20rocblas_gemvn_kernelILi64ELi16EiPK19rocblas_complex_numIdES1_KPS1_EviiT3_lPKT2_lT1_lS9_lSA_lS6_lPT4_lSA_li.has_recursion, 0
	.set _ZL20rocblas_gemvn_kernelILi64ELi16EiPK19rocblas_complex_numIdES1_KPS1_EviiT3_lPKT2_lT1_lS9_lSA_lS6_lPT4_lSA_li.has_indirect_call, 0
	.section	.AMDGPU.csdata,"",@progbits
; Kernel info:
; codeLenInByte = 2120
; TotalNumSgprs: 45
; NumVgprs: 38
; ScratchSize: 0
; MemoryBound: 1
; FloatMode: 240
; IeeeMode: 1
; LDSByteSize: 16384 bytes/workgroup (compile time only)
; SGPRBlocks: 0
; VGPRBlocks: 4
; NumSGPRsForWavesPerEU: 45
; NumVGPRsForWavesPerEU: 38
; Occupancy: 16
; WaveLimiterHint : 1
; COMPUTE_PGM_RSRC2:SCRATCH_EN: 0
; COMPUTE_PGM_RSRC2:USER_SGPR: 2
; COMPUTE_PGM_RSRC2:TRAP_HANDLER: 0
; COMPUTE_PGM_RSRC2:TGID_X_EN: 1
; COMPUTE_PGM_RSRC2:TGID_Y_EN: 0
; COMPUTE_PGM_RSRC2:TGID_Z_EN: 1
; COMPUTE_PGM_RSRC2:TIDIG_COMP_CNT: 1
	.section	.text._ZL20rocblas_gemvn_kernelILi64ELi16ElPK19rocblas_complex_numIdES1_KPS1_EviiT3_lPKT2_lT1_lS9_lSA_lS6_lPT4_lSA_li,"axG",@progbits,_ZL20rocblas_gemvn_kernelILi64ELi16ElPK19rocblas_complex_numIdES1_KPS1_EviiT3_lPKT2_lT1_lS9_lSA_lS6_lPT4_lSA_li,comdat
	.globl	_ZL20rocblas_gemvn_kernelILi64ELi16ElPK19rocblas_complex_numIdES1_KPS1_EviiT3_lPKT2_lT1_lS9_lSA_lS6_lPT4_lSA_li ; -- Begin function _ZL20rocblas_gemvn_kernelILi64ELi16ElPK19rocblas_complex_numIdES1_KPS1_EviiT3_lPKT2_lT1_lS9_lSA_lS6_lPT4_lSA_li
	.p2align	8
	.type	_ZL20rocblas_gemvn_kernelILi64ELi16ElPK19rocblas_complex_numIdES1_KPS1_EviiT3_lPKT2_lT1_lS9_lSA_lS6_lPT4_lSA_li,@function
_ZL20rocblas_gemvn_kernelILi64ELi16ElPK19rocblas_complex_numIdES1_KPS1_EviiT3_lPKT2_lT1_lS9_lSA_lS6_lPT4_lSA_li: ; @_ZL20rocblas_gemvn_kernelILi64ELi16ElPK19rocblas_complex_numIdES1_KPS1_EviiT3_lPKT2_lT1_lS9_lSA_lS6_lPT4_lSA_li
; %bb.0:
	s_clause 0x1
	s_load_b64 s[2:3], s[0:1], 0xac
	s_load_b32 s33, s[0:1], 0x98
	s_lshr_b32 s6, ttmp7, 16
	s_wait_kmcnt 0x0
	s_lshr_b32 s4, s2, 16
	s_and_b32 s2, s2, 0xffff
	s_and_b32 s3, s3, 0xffff
	s_mul_i32 s4, s4, s2
	s_delay_alu instid0(SALU_CYCLE_1) | instskip(NEXT) | instid1(SALU_CYCLE_1)
	s_mul_i32 s4, s4, s3
	s_cmp_lg_u32 s4, 0x400
	s_cselect_b32 s3, -1, 0
	s_cmp_ge_u32 s6, s33
	s_cselect_b32 s4, -1, 0
	s_delay_alu instid0(SALU_CYCLE_1) | instskip(NEXT) | instid1(SALU_CYCLE_1)
	s_or_b32 s3, s3, s4
	s_and_b32 vcc_lo, exec_lo, s3
	s_cbranch_vccnz .LBB349_40
; %bb.1:
	s_clause 0x6
	s_load_b128 s[8:11], s[0:1], 0x8
	s_load_b128 s[12:15], s[0:1], 0x60
	s_load_b64 s[4:5], s[0:1], 0x0
	s_load_b128 s[16:19], s[0:1], 0x78
	s_load_b128 s[20:23], s[0:1], 0x20
	s_load_b64 s[28:29], s[0:1], 0x30
	s_load_b64 s[34:35], s[0:1], 0x88
	v_dual_mov_b32 v8, 0 :: v_dual_and_b32 v1, 0x3ff, v0
	v_bfe_u32 v0, v0, 10, 10
	s_clause 0x1
	s_load_b64 s[30:31], s[0:1], 0x50
	s_load_b128 s[24:27], s[0:1], 0x40
	s_lshl_b32 s36, ttmp9, 6
	s_mov_b32 s7, 0
	v_mad_u32_u24 v16, v0, s2, v1
	s_delay_alu instid0(VALU_DEP_1)
	v_add_nc_u32_e32 v7, s36, v16
	s_wait_kmcnt 0x0
	v_cmp_neq_f64_e64 s37, s[8:9], 0
	v_cmp_neq_f64_e64 s42, s[10:11], 0
	v_cmp_neq_f64_e64 s39, s[12:13], 1.0
	v_cmp_neq_f64_e64 s40, s[14:15], 0
	v_cmp_neq_f64_e64 s41, s[12:13], 0
	v_lshrrev_b32_e32 v23, 6, v16
	v_mad_co_u64_u32 v[9:10], null, s34, v7, 0
	s_ashr_i32 s3, s4, 31
	s_mov_b32 s2, s4
	v_mad_co_u64_u32 v[2:3], null, s30, v23, 0
	v_mad_co_u64_u32 v[4:5], null, s28, v23, 0
	v_mov_b32_e32 v6, v10
	s_wait_alu 0xfffe
	v_cmp_gt_i64_e32 vcc_lo, s[2:3], v[7:8]
	v_and_or_b32 v0, v16, 63, s36
	s_ashr_i32 s1, s5, 31
	v_or_b32_e32 v17, s36, v16
	v_mad_co_u64_u32 v[6:7], null, s35, v7, v[6:7]
	v_mad_co_u64_u32 v[13:14], null, s31, v23, v[3:4]
	s_lshr_b32 s1, s1, 28
	v_ashrrev_i32_e32 v1, 31, v0
	s_add_co_i32 s1, s5, s1
	v_mul_lo_u32 v18, s35, v17
	v_mad_co_u64_u32 v[14:15], null, s29, v23, v[5:6]
	v_lshlrev_b32_e32 v24, 4, v16
	s_and_b32 s38, s1, -16
	v_dual_mov_b32 v10, v6 :: v_dual_mov_b32 v3, v13
	s_sub_co_i32 s2, s5, s38
	v_mad_co_u64_u32 v[11:12], null, s34, v17, 0
	s_delay_alu instid0(VALU_DEP_4)
	v_mov_b32_e32 v5, v14
	v_lshlrev_b64_e32 v[13:14], 4, v[0:1]
	v_cmp_gt_i32_e64 s0, s4, v0
	s_or_b32 s3, s37, s42
	v_cmp_gt_i32_e64 s1, s38, v23
	s_or_b32 s39, s39, s40
	s_or_b32 s40, s41, s40
	s_wait_alu 0xfffe
	s_xor_b32 s41, s3, -1
	v_lshlrev_b64_e32 v[4:5], 4, v[4:5]
	s_cmp_gt_i32 s2, 0
	v_cmp_gt_u32_e64 s2, 64, v16
	v_lshlrev_b64_e32 v[15:16], 4, v[2:3]
	v_cndmask_b32_e64 v25, 0, 1, s3
	s_cselect_b32 s42, -1, 0
	s_ashr_i32 s3, s36, 31
	s_and_b32 s43, s2, vcc_lo
	v_add_co_u32 v0, vcc_lo, v4, v13
	s_wait_alu 0xfffe
	s_mul_i32 s34, s34, s3
	v_cmp_gt_i32_e64 s3, s4, v17
	s_wait_alu 0xfffe
	v_add3_u32 v12, v12, s34, v18
	v_lshlrev_b64_e32 v[17:18], 4, v[9:10]
	v_or_b32_e32 v15, 8, v15
	v_add_co_ci_u32_e64 v26, null, v5, v14, vcc_lo
	v_or_b32_e32 v27, 8, v0
	s_lshl_b64 s[34:35], s[30:31], 8
	s_lshl_b64 s[36:37], s[28:29], 8
	;; [unrolled: 1-line block ×5, first 2 shown]
	s_branch .LBB349_4
.LBB349_2:                              ;   in Loop: Header=BB349_4 Depth=1
	s_wait_alu 0xfffe
	s_or_b32 exec_lo, exec_lo, s4
.LBB349_3:                              ;   in Loop: Header=BB349_4 Depth=1
	s_add_co_i32 s6, s6, 0x10000
	s_delay_alu instid0(SALU_CYCLE_1)
	s_cmp_lt_u32 s6, s33
	s_cbranch_scc0 .LBB349_40
.LBB349_4:                              ; =>This Loop Header: Depth=1
                                        ;     Child Loop BB349_21 Depth 2
	s_and_not1_b32 vcc_lo, exec_lo, s41
	s_mov_b32 s4, s7
	s_mov_b32 s44, -1
	s_wait_alu 0xfffe
	s_cbranch_vccnz .LBB349_7
; %bb.5:                                ;   in Loop: Header=BB349_4 Depth=1
	s_mov_b32 s44, 0
	s_and_b32 vcc_lo, exec_lo, s39
	s_mov_b32 s4, 0
	s_wait_alu 0xfffe
	s_cbranch_vccz .LBB349_7
; %bb.6:                                ;   in Loop: Header=BB349_4 Depth=1
	s_mov_b32 s4, -1
.LBB349_7:                              ;   in Loop: Header=BB349_4 Depth=1
	v_mov_b32_e32 v19, 0
	v_mov_b32_e32 v20, 0
	s_and_b32 vcc_lo, exec_lo, s44
	s_wait_alu 0xfffe
	s_cbranch_vccnz .LBB349_9
; %bb.8:                                ;   in Loop: Header=BB349_4 Depth=1
	s_and_not1_b32 vcc_lo, exec_lo, s4
	s_wait_alu 0xfffe
	s_cbranch_vccnz .LBB349_3
	s_branch .LBB349_10
.LBB349_9:                              ;   in Loop: Header=BB349_4 Depth=1
	s_lshl_b64 s[44:45], s[6:7], 3
	s_delay_alu instid0(SALU_CYCLE_1)
	s_add_nc_u64 s[44:45], s[20:21], s[44:45]
	global_load_b64 v[0:1], v8, s[44:45]
	s_wait_loadcnt 0x0
	v_add_co_u32 v19, vcc_lo, v0, s22
	s_wait_alu 0xfffd
	v_add_co_ci_u32_e64 v20, null, s23, v1, vcc_lo
.LBB349_10:                             ;   in Loop: Header=BB349_4 Depth=1
	v_cmp_ne_u32_e32 vcc_lo, 1, v25
	v_mov_b32_e32 v21, 0
	v_mov_b32_e32 v22, 0
	s_cbranch_vccnz .LBB349_12
; %bb.11:                               ;   in Loop: Header=BB349_4 Depth=1
	s_lshl_b64 s[44:45], s[6:7], 3
	s_delay_alu instid0(SALU_CYCLE_1)
	s_add_nc_u64 s[44:45], s[24:25], s[44:45]
	global_load_b64 v[0:1], v8, s[44:45]
	s_wait_loadcnt 0x0
	v_add_co_u32 v21, vcc_lo, v0, s26
	s_wait_alu 0xfffd
	v_add_co_ci_u32_e64 v22, null, s27, v1, vcc_lo
.LBB349_12:                             ;   in Loop: Header=BB349_4 Depth=1
	s_lshl_b64 s[44:45], s[6:7], 3
	s_delay_alu instid0(SALU_CYCLE_1)
	s_add_nc_u64 s[44:45], s[16:17], s[44:45]
	global_load_b64 v[0:1], v8, s[44:45]
	s_wait_loadcnt 0x0
	v_add_co_u32 v28, vcc_lo, v0, s18
	s_wait_alu 0xfffd
	v_add_co_ci_u32_e64 v29, null, s19, v1, vcc_lo
	s_and_not1_b32 vcc_lo, exec_lo, s41
	s_wait_alu 0xfffe
	s_cbranch_vccnz .LBB349_17
; %bb.13:                               ;   in Loop: Header=BB349_4 Depth=1
	s_mov_b32 s4, 0
	s_mov_b32 s44, 0
                                        ; implicit-def: $vgpr2_vgpr3
	s_and_saveexec_b32 s45, s43
	s_cbranch_execz .LBB349_23
; %bb.14:                               ;   in Loop: Header=BB349_4 Depth=1
	v_mov_b32_e32 v2, 0
	v_dual_mov_b32 v3, 0 :: v_dual_mov_b32 v0, 0
	v_mov_b32_e32 v1, 0
	s_and_not1_b32 vcc_lo, exec_lo, s40
	s_wait_alu 0xfffe
	s_cbranch_vccnz .LBB349_16
; %bb.15:                               ;   in Loop: Header=BB349_4 Depth=1
	v_add_co_u32 v0, vcc_lo, v28, v17
	s_wait_alu 0xfffd
	v_add_co_ci_u32_e64 v1, null, v29, v18, vcc_lo
	flat_load_b128 v[2:5], v[0:1]
	s_wait_loadcnt_dscnt 0x0
	v_mul_f64_e32 v[0:1], s[14:15], v[4:5]
	v_mul_f64_e32 v[4:5], s[12:13], v[4:5]
	s_delay_alu instid0(VALU_DEP_2) | instskip(NEXT) | instid1(VALU_DEP_2)
	v_fma_f64 v[0:1], s[12:13], v[2:3], -v[0:1]
	v_fma_f64 v[2:3], s[14:15], v[2:3], v[4:5]
.LBB349_16:                             ;   in Loop: Header=BB349_4 Depth=1
	s_mov_b32 s44, exec_lo
	s_or_b32 exec_lo, exec_lo, s45
	s_delay_alu instid0(SALU_CYCLE_1)
	s_and_b32 vcc_lo, exec_lo, s4
	s_wait_alu 0xfffe
	s_cbranch_vccnz .LBB349_18
	s_branch .LBB349_24
.LBB349_17:                             ;   in Loop: Header=BB349_4 Depth=1
	s_mov_b32 s44, 0
                                        ; implicit-def: $vgpr2_vgpr3
	s_cbranch_execz .LBB349_24
.LBB349_18:                             ;   in Loop: Header=BB349_4 Depth=1
	v_mov_b32_e32 v2, 0
	v_dual_mov_b32 v3, 0 :: v_dual_mov_b32 v0, 0
	v_dual_mov_b32 v1, 0 :: v_dual_mov_b32 v30, v23
	s_and_saveexec_b32 s45, s1
	s_cbranch_execz .LBB349_26
; %bb.19:                               ;   in Loop: Header=BB349_4 Depth=1
	v_mov_b32_e32 v2, 0
	v_dual_mov_b32 v3, 0 :: v_dual_mov_b32 v30, v23
	v_add_co_u32 v4, vcc_lo, v21, v15
	s_wait_alu 0xfffd
	v_add_co_ci_u32_e64 v5, null, v22, v16, vcc_lo
	v_add_co_u32 v6, vcc_lo, v19, v27
	s_wait_alu 0xfffd
	v_add_co_ci_u32_e64 v7, null, v20, v26, vcc_lo
	v_dual_mov_b32 v0, v2 :: v_dual_mov_b32 v1, v3
	s_mov_b32 s46, 0
	s_branch .LBB349_21
.LBB349_20:                             ;   in Loop: Header=BB349_21 Depth=2
	s_wait_alu 0xfffe
	s_or_b32 exec_lo, exec_lo, s4
	v_add_nc_u32_e32 v30, 16, v30
	v_add_co_u32 v4, vcc_lo, v4, s34
	s_wait_alu 0xfffd
	v_add_co_ci_u32_e64 v5, null, s35, v5, vcc_lo
	s_delay_alu instid0(VALU_DEP_3) | instskip(SKIP_4) | instid1(SALU_CYCLE_1)
	v_cmp_le_i32_e32 vcc_lo, s38, v30
	v_add_co_u32 v6, s4, v6, s36
	s_wait_alu 0xf1ff
	v_add_co_ci_u32_e64 v7, null, s37, v7, s4
	s_or_b32 s46, vcc_lo, s46
	s_and_not1_b32 exec_lo, exec_lo, s46
	s_cbranch_execz .LBB349_25
.LBB349_21:                             ;   Parent Loop BB349_4 Depth=1
                                        ; =>  This Inner Loop Header: Depth=2
	s_and_saveexec_b32 s4, s0
	s_cbranch_execz .LBB349_20
; %bb.22:                               ;   in Loop: Header=BB349_21 Depth=2
	flat_load_b128 v[31:34], v[4:5] offset:-8
	flat_load_b128 v[35:38], v[6:7] offset:-8
	s_wait_loadcnt_dscnt 0x0
	v_mul_f64_e32 v[39:40], v[33:34], v[37:38]
	v_mul_f64_e32 v[37:38], v[31:32], v[37:38]
	s_delay_alu instid0(VALU_DEP_2) | instskip(NEXT) | instid1(VALU_DEP_2)
	v_fma_f64 v[31:32], v[31:32], v[35:36], -v[39:40]
	v_fma_f64 v[33:34], v[33:34], v[35:36], v[37:38]
	s_delay_alu instid0(VALU_DEP_2) | instskip(NEXT) | instid1(VALU_DEP_2)
	v_add_f64_e32 v[0:1], v[0:1], v[31:32]
	v_add_f64_e32 v[2:3], v[2:3], v[33:34]
	s_branch .LBB349_20
.LBB349_23:                             ;   in Loop: Header=BB349_4 Depth=1
	s_or_b32 exec_lo, exec_lo, s45
	s_wait_alu 0xfffe
	s_and_b32 vcc_lo, exec_lo, s4
	s_wait_alu 0xfffe
	s_cbranch_vccnz .LBB349_18
.LBB349_24:                             ;   in Loop: Header=BB349_4 Depth=1
	v_dual_mov_b32 v4, v9 :: v_dual_mov_b32 v5, v10
	s_and_saveexec_b32 s4, s44
	s_cbranch_execz .LBB349_2
	s_branch .LBB349_39
.LBB349_25:                             ;   in Loop: Header=BB349_4 Depth=1
	s_or_b32 exec_lo, exec_lo, s46
.LBB349_26:                             ;   in Loop: Header=BB349_4 Depth=1
	s_delay_alu instid0(SALU_CYCLE_1) | instskip(NEXT) | instid1(SALU_CYCLE_1)
	s_or_b32 exec_lo, exec_lo, s45
	s_and_not1_b32 vcc_lo, exec_lo, s42
	s_wait_alu 0xfffe
	s_cbranch_vccnz .LBB349_32
; %bb.27:                               ;   in Loop: Header=BB349_4 Depth=1
	v_mov_b32_e32 v4, 0
	v_dual_mov_b32 v5, 0 :: v_dual_mov_b32 v6, 0
	v_mov_b32_e32 v7, 0
	v_cmp_gt_i32_e32 vcc_lo, s5, v30
	s_and_saveexec_b32 s45, vcc_lo
	s_cbranch_execz .LBB349_29
; %bb.28:                               ;   in Loop: Header=BB349_4 Depth=1
	v_mad_co_u64_u32 v[4:5], null, s30, v30, 0
	s_delay_alu instid0(VALU_DEP_1) | instskip(NEXT) | instid1(VALU_DEP_1)
	v_mad_co_u64_u32 v[5:6], null, s31, v30, v[5:6]
	v_lshlrev_b64_e32 v[4:5], 4, v[4:5]
	s_delay_alu instid0(VALU_DEP_1) | instskip(SKIP_1) | instid1(VALU_DEP_2)
	v_add_co_u32 v4, s4, v21, v4
	s_wait_alu 0xf1ff
	v_add_co_ci_u32_e64 v5, null, v22, v5, s4
	flat_load_b128 v[4:7], v[4:5]
.LBB349_29:                             ;   in Loop: Header=BB349_4 Depth=1
	s_or_b32 exec_lo, exec_lo, s45
	s_and_saveexec_b32 s4, s0
	s_cbranch_execz .LBB349_31
; %bb.30:                               ;   in Loop: Header=BB349_4 Depth=1
	v_mad_co_u64_u32 v[21:22], null, s28, v30, 0
	s_delay_alu instid0(VALU_DEP_1) | instskip(NEXT) | instid1(VALU_DEP_1)
	v_mad_co_u64_u32 v[30:31], null, s29, v30, v[22:23]
	v_dual_cndmask_b32 v21, 0, v21 :: v_dual_cndmask_b32 v22, 0, v30
	s_delay_alu instid0(VALU_DEP_1) | instskip(NEXT) | instid1(VALU_DEP_1)
	v_lshlrev_b64_e32 v[21:22], 4, v[21:22]
	v_add_co_u32 v19, vcc_lo, v19, v21
	s_wait_alu 0xfffd
	s_delay_alu instid0(VALU_DEP_2) | instskip(NEXT) | instid1(VALU_DEP_2)
	v_add_co_ci_u32_e64 v20, null, v20, v22, vcc_lo
	v_add_co_u32 v19, vcc_lo, v19, v13
	s_wait_alu 0xfffd
	s_delay_alu instid0(VALU_DEP_2) | instskip(SKIP_4) | instid1(VALU_DEP_2)
	v_add_co_ci_u32_e64 v20, null, v20, v14, vcc_lo
	flat_load_b128 v[19:22], v[19:20]
	s_wait_loadcnt_dscnt 0x0
	v_mul_f64_e32 v[30:31], v[6:7], v[21:22]
	v_mul_f64_e32 v[21:22], v[4:5], v[21:22]
	v_fma_f64 v[4:5], v[4:5], v[19:20], -v[30:31]
	s_delay_alu instid0(VALU_DEP_2) | instskip(NEXT) | instid1(VALU_DEP_2)
	v_fma_f64 v[6:7], v[6:7], v[19:20], v[21:22]
	v_add_f64_e32 v[0:1], v[0:1], v[4:5]
	s_delay_alu instid0(VALU_DEP_2)
	v_add_f64_e32 v[2:3], v[2:3], v[6:7]
.LBB349_31:                             ;   in Loop: Header=BB349_4 Depth=1
	s_wait_alu 0xfffe
	s_or_b32 exec_lo, exec_lo, s4
.LBB349_32:                             ;   in Loop: Header=BB349_4 Depth=1
	ds_store_b128 v24, v[0:3]
	s_wait_loadcnt_dscnt 0x0
	s_barrier_signal -1
	s_barrier_wait -1
	global_inv scope:SCOPE_SE
                                        ; implicit-def: $vgpr2_vgpr3
	s_and_saveexec_b32 s4, s2
	s_cbranch_execz .LBB349_38
; %bb.33:                               ;   in Loop: Header=BB349_4 Depth=1
	ds_load_b128 v[0:3], v24
	ds_load_b128 v[4:7], v24 offset:1024
	s_mov_b32 s46, s44
	s_wait_dscnt 0x0
	v_add_f64_e32 v[19:20], v[0:1], v[4:5]
	v_add_f64_e32 v[21:22], v[2:3], v[6:7]
	ds_load_b128 v[0:3], v24 offset:2048
	ds_load_b128 v[4:7], v24 offset:3072
	s_wait_dscnt 0x1
	v_add_f64_e32 v[0:1], v[19:20], v[0:1]
	v_add_f64_e32 v[2:3], v[21:22], v[2:3]
	s_wait_dscnt 0x0
	s_delay_alu instid0(VALU_DEP_2) | instskip(NEXT) | instid1(VALU_DEP_2)
	v_add_f64_e32 v[19:20], v[0:1], v[4:5]
	v_add_f64_e32 v[21:22], v[2:3], v[6:7]
	ds_load_b128 v[0:3], v24 offset:4096
	ds_load_b128 v[4:7], v24 offset:5120
	s_wait_dscnt 0x1
	v_add_f64_e32 v[0:1], v[19:20], v[0:1]
	v_add_f64_e32 v[2:3], v[21:22], v[2:3]
	s_wait_dscnt 0x0
	s_delay_alu instid0(VALU_DEP_2) | instskip(NEXT) | instid1(VALU_DEP_2)
	;; [unrolled: 9-line block ×7, first 2 shown]
	v_add_f64_e32 v[4:5], v[0:1], v[4:5]
	v_add_f64_e32 v[6:7], v[2:3], v[6:7]
                                        ; implicit-def: $vgpr2_vgpr3
	ds_store_b128 v24, v[4:7]
	s_and_saveexec_b32 s45, s3
	s_cbranch_execz .LBB349_37
; %bb.34:                               ;   in Loop: Header=BB349_4 Depth=1
	v_mul_f64_e32 v[0:1], s[10:11], v[6:7]
	v_mul_f64_e32 v[2:3], s[8:9], v[6:7]
	s_and_not1_b32 vcc_lo, exec_lo, s40
	s_delay_alu instid0(VALU_DEP_2) | instskip(NEXT) | instid1(VALU_DEP_2)
	v_fma_f64 v[0:1], s[8:9], v[4:5], -v[0:1]
	v_fma_f64 v[2:3], s[10:11], v[4:5], v[2:3]
	s_wait_alu 0xfffe
	s_cbranch_vccnz .LBB349_36
; %bb.35:                               ;   in Loop: Header=BB349_4 Depth=1
	v_lshlrev_b64_e32 v[4:5], 4, v[11:12]
	s_delay_alu instid0(VALU_DEP_1) | instskip(SKIP_1) | instid1(VALU_DEP_2)
	v_add_co_u32 v4, vcc_lo, v28, v4
	s_wait_alu 0xfffd
	v_add_co_ci_u32_e64 v5, null, v29, v5, vcc_lo
	flat_load_b128 v[4:7], v[4:5]
	s_wait_loadcnt_dscnt 0x0
	v_mul_f64_e32 v[19:20], s[14:15], v[6:7]
	v_mul_f64_e32 v[6:7], s[12:13], v[6:7]
	s_delay_alu instid0(VALU_DEP_2) | instskip(NEXT) | instid1(VALU_DEP_2)
	v_fma_f64 v[19:20], s[12:13], v[4:5], -v[19:20]
	v_fma_f64 v[4:5], s[14:15], v[4:5], v[6:7]
	s_delay_alu instid0(VALU_DEP_2) | instskip(NEXT) | instid1(VALU_DEP_2)
	v_add_f64_e32 v[0:1], v[0:1], v[19:20]
	v_add_f64_e32 v[2:3], v[2:3], v[4:5]
.LBB349_36:                             ;   in Loop: Header=BB349_4 Depth=1
	s_or_b32 s46, s44, exec_lo
.LBB349_37:                             ;   in Loop: Header=BB349_4 Depth=1
	s_or_b32 exec_lo, exec_lo, s45
	s_delay_alu instid0(SALU_CYCLE_1) | instskip(SKIP_1) | instid1(SALU_CYCLE_1)
	s_and_not1_b32 s44, s44, exec_lo
	s_and_b32 s45, s46, exec_lo
	s_or_b32 s44, s44, s45
.LBB349_38:                             ;   in Loop: Header=BB349_4 Depth=1
	s_wait_alu 0xfffe
	s_or_b32 exec_lo, exec_lo, s4
	v_dual_mov_b32 v4, v11 :: v_dual_mov_b32 v5, v12
	s_and_saveexec_b32 s4, s44
	s_cbranch_execz .LBB349_2
.LBB349_39:                             ;   in Loop: Header=BB349_4 Depth=1
	s_delay_alu instid0(VALU_DEP_1) | instskip(NEXT) | instid1(VALU_DEP_1)
	v_lshlrev_b64_e32 v[4:5], 4, v[4:5]
	v_add_co_u32 v4, vcc_lo, v28, v4
	s_wait_alu 0xfffd
	s_delay_alu instid0(VALU_DEP_2)
	v_add_co_ci_u32_e64 v5, null, v29, v5, vcc_lo
	flat_store_b128 v[4:5], v[0:3]
	s_branch .LBB349_2
.LBB349_40:
	s_endpgm
	.section	.rodata,"a",@progbits
	.p2align	6, 0x0
	.amdhsa_kernel _ZL20rocblas_gemvn_kernelILi64ELi16ElPK19rocblas_complex_numIdES1_KPS1_EviiT3_lPKT2_lT1_lS9_lSA_lS6_lPT4_lSA_li
		.amdhsa_group_segment_fixed_size 16384
		.amdhsa_private_segment_fixed_size 0
		.amdhsa_kernarg_size 416
		.amdhsa_user_sgpr_count 2
		.amdhsa_user_sgpr_dispatch_ptr 0
		.amdhsa_user_sgpr_queue_ptr 0
		.amdhsa_user_sgpr_kernarg_segment_ptr 1
		.amdhsa_user_sgpr_dispatch_id 0
		.amdhsa_user_sgpr_private_segment_size 0
		.amdhsa_wavefront_size32 1
		.amdhsa_uses_dynamic_stack 0
		.amdhsa_enable_private_segment 0
		.amdhsa_system_sgpr_workgroup_id_x 1
		.amdhsa_system_sgpr_workgroup_id_y 0
		.amdhsa_system_sgpr_workgroup_id_z 1
		.amdhsa_system_sgpr_workgroup_info 0
		.amdhsa_system_vgpr_workitem_id 1
		.amdhsa_next_free_vgpr 41
		.amdhsa_next_free_sgpr 47
		.amdhsa_reserve_vcc 1
		.amdhsa_float_round_mode_32 0
		.amdhsa_float_round_mode_16_64 0
		.amdhsa_float_denorm_mode_32 3
		.amdhsa_float_denorm_mode_16_64 3
		.amdhsa_fp16_overflow 0
		.amdhsa_workgroup_processor_mode 1
		.amdhsa_memory_ordered 1
		.amdhsa_forward_progress 1
		.amdhsa_inst_pref_size 17
		.amdhsa_round_robin_scheduling 0
		.amdhsa_exception_fp_ieee_invalid_op 0
		.amdhsa_exception_fp_denorm_src 0
		.amdhsa_exception_fp_ieee_div_zero 0
		.amdhsa_exception_fp_ieee_overflow 0
		.amdhsa_exception_fp_ieee_underflow 0
		.amdhsa_exception_fp_ieee_inexact 0
		.amdhsa_exception_int_div_zero 0
	.end_amdhsa_kernel
	.section	.text._ZL20rocblas_gemvn_kernelILi64ELi16ElPK19rocblas_complex_numIdES1_KPS1_EviiT3_lPKT2_lT1_lS9_lSA_lS6_lPT4_lSA_li,"axG",@progbits,_ZL20rocblas_gemvn_kernelILi64ELi16ElPK19rocblas_complex_numIdES1_KPS1_EviiT3_lPKT2_lT1_lS9_lSA_lS6_lPT4_lSA_li,comdat
.Lfunc_end349:
	.size	_ZL20rocblas_gemvn_kernelILi64ELi16ElPK19rocblas_complex_numIdES1_KPS1_EviiT3_lPKT2_lT1_lS9_lSA_lS6_lPT4_lSA_li, .Lfunc_end349-_ZL20rocblas_gemvn_kernelILi64ELi16ElPK19rocblas_complex_numIdES1_KPS1_EviiT3_lPKT2_lT1_lS9_lSA_lS6_lPT4_lSA_li
                                        ; -- End function
	.set _ZL20rocblas_gemvn_kernelILi64ELi16ElPK19rocblas_complex_numIdES1_KPS1_EviiT3_lPKT2_lT1_lS9_lSA_lS6_lPT4_lSA_li.num_vgpr, 41
	.set _ZL20rocblas_gemvn_kernelILi64ELi16ElPK19rocblas_complex_numIdES1_KPS1_EviiT3_lPKT2_lT1_lS9_lSA_lS6_lPT4_lSA_li.num_agpr, 0
	.set _ZL20rocblas_gemvn_kernelILi64ELi16ElPK19rocblas_complex_numIdES1_KPS1_EviiT3_lPKT2_lT1_lS9_lSA_lS6_lPT4_lSA_li.numbered_sgpr, 47
	.set _ZL20rocblas_gemvn_kernelILi64ELi16ElPK19rocblas_complex_numIdES1_KPS1_EviiT3_lPKT2_lT1_lS9_lSA_lS6_lPT4_lSA_li.num_named_barrier, 0
	.set _ZL20rocblas_gemvn_kernelILi64ELi16ElPK19rocblas_complex_numIdES1_KPS1_EviiT3_lPKT2_lT1_lS9_lSA_lS6_lPT4_lSA_li.private_seg_size, 0
	.set _ZL20rocblas_gemvn_kernelILi64ELi16ElPK19rocblas_complex_numIdES1_KPS1_EviiT3_lPKT2_lT1_lS9_lSA_lS6_lPT4_lSA_li.uses_vcc, 1
	.set _ZL20rocblas_gemvn_kernelILi64ELi16ElPK19rocblas_complex_numIdES1_KPS1_EviiT3_lPKT2_lT1_lS9_lSA_lS6_lPT4_lSA_li.uses_flat_scratch, 0
	.set _ZL20rocblas_gemvn_kernelILi64ELi16ElPK19rocblas_complex_numIdES1_KPS1_EviiT3_lPKT2_lT1_lS9_lSA_lS6_lPT4_lSA_li.has_dyn_sized_stack, 0
	.set _ZL20rocblas_gemvn_kernelILi64ELi16ElPK19rocblas_complex_numIdES1_KPS1_EviiT3_lPKT2_lT1_lS9_lSA_lS6_lPT4_lSA_li.has_recursion, 0
	.set _ZL20rocblas_gemvn_kernelILi64ELi16ElPK19rocblas_complex_numIdES1_KPS1_EviiT3_lPKT2_lT1_lS9_lSA_lS6_lPT4_lSA_li.has_indirect_call, 0
	.section	.AMDGPU.csdata,"",@progbits
; Kernel info:
; codeLenInByte = 2172
; TotalNumSgprs: 49
; NumVgprs: 41
; ScratchSize: 0
; MemoryBound: 1
; FloatMode: 240
; IeeeMode: 1
; LDSByteSize: 16384 bytes/workgroup (compile time only)
; SGPRBlocks: 0
; VGPRBlocks: 5
; NumSGPRsForWavesPerEU: 49
; NumVGPRsForWavesPerEU: 41
; Occupancy: 16
; WaveLimiterHint : 1
; COMPUTE_PGM_RSRC2:SCRATCH_EN: 0
; COMPUTE_PGM_RSRC2:USER_SGPR: 2
; COMPUTE_PGM_RSRC2:TRAP_HANDLER: 0
; COMPUTE_PGM_RSRC2:TGID_X_EN: 1
; COMPUTE_PGM_RSRC2:TGID_Y_EN: 0
; COMPUTE_PGM_RSRC2:TGID_Z_EN: 1
; COMPUTE_PGM_RSRC2:TIDIG_COMP_CNT: 1
	.section	.text._ZL22rocblas_gemvtsm_kernelILb0ELi256EPK19rocblas_complex_numIdES3_KPS1_EviiT2_lPKT1_lilS9_lilS6_lPT3_lil,"axG",@progbits,_ZL22rocblas_gemvtsm_kernelILb0ELi256EPK19rocblas_complex_numIdES3_KPS1_EviiT2_lPKT1_lilS9_lilS6_lPT3_lil,comdat
	.globl	_ZL22rocblas_gemvtsm_kernelILb0ELi256EPK19rocblas_complex_numIdES3_KPS1_EviiT2_lPKT1_lilS9_lilS6_lPT3_lil ; -- Begin function _ZL22rocblas_gemvtsm_kernelILb0ELi256EPK19rocblas_complex_numIdES3_KPS1_EviiT2_lPKT1_lilS9_lilS6_lPT3_lil
	.p2align	8
	.type	_ZL22rocblas_gemvtsm_kernelILb0ELi256EPK19rocblas_complex_numIdES3_KPS1_EviiT2_lPKT1_lilS9_lilS6_lPT3_lil,@function
_ZL22rocblas_gemvtsm_kernelILb0ELi256EPK19rocblas_complex_numIdES3_KPS1_EviiT2_lPKT1_lilS9_lilS6_lPT3_lil: ; @_ZL22rocblas_gemvtsm_kernelILb0ELi256EPK19rocblas_complex_numIdES3_KPS1_EviiT2_lPKT1_lilS9_lilS6_lPT3_lil
; %bb.0:
	s_load_b256 s[8:15], s[0:1], 0x8
	s_mov_b32 s2, ttmp9
	s_mov_b32 s3, 0
	s_mov_b64 s[20:21], 0
	s_mov_b32 s24, -1
	s_wait_kmcnt 0x0
	s_mul_u64 s[4:5], s[10:11], s[2:3]
	s_delay_alu instid0(SALU_CYCLE_1) | instskip(NEXT) | instid1(SALU_CYCLE_1)
	s_lshl_b64 s[4:5], s[4:5], 4
	s_add_nc_u64 s[4:5], s[8:9], s[4:5]
	s_load_b128 s[16:19], s[4:5], 0x0
	s_load_b256 s[4:11], s[0:1], 0x58
	s_wait_kmcnt 0x0
	v_cmp_neq_f64_e64 s22, s[16:17], 0
	v_cmp_neq_f64_e64 s23, s[18:19], 0
	s_mul_u64 s[6:7], s[6:7], s[2:3]
	s_delay_alu instid0(SALU_CYCLE_1) | instskip(NEXT) | instid1(SALU_CYCLE_1)
	s_lshl_b64 s[6:7], s[6:7], 4
	s_add_nc_u64 s[4:5], s[4:5], s[6:7]
	s_load_b128 s[4:7], s[4:5], 0x0
	s_or_b32 s22, s22, s23
	s_mov_b32 s23, s3
	s_and_b32 vcc_lo, exec_lo, s22
	s_cbranch_vccz .LBB350_3
; %bb.1:
	s_and_not1_b32 vcc_lo, exec_lo, s24
	s_cbranch_vccz .LBB350_4
.LBB350_2:
	s_and_not1_b32 vcc_lo, exec_lo, s23
	s_cbranch_vccz .LBB350_5
	s_branch .LBB350_40
.LBB350_3:
	s_wait_kmcnt 0x0
	v_cmp_neq_f64_e64 s23, s[4:5], 1.0
	v_cmp_neq_f64_e64 s24, s[6:7], 0
	s_or_b32 s23, s23, s24
	s_cbranch_execnz .LBB350_2
.LBB350_4:
	s_lshl_b64 s[20:21], s[2:3], 3
	s_lshl_b64 s[14:15], s[14:15], 4
	s_add_nc_u64 s[12:13], s[12:13], s[20:21]
	s_load_b64 s[12:13], s[12:13], 0x0
	s_wait_kmcnt 0x0
	s_add_nc_u64 s[20:21], s[12:13], s[14:15]
.LBB350_5:
	v_cndmask_b32_e64 v1, 0, 1, s22
	s_xor_b32 s22, s22, -1
	s_mov_b64 s[14:15], 0
	s_delay_alu instid0(VALU_DEP_1)
	v_cmp_ne_u32_e32 vcc_lo, 1, v1
	s_cbranch_vccnz .LBB350_7
; %bb.6:
	s_load_b128 s[12:15], s[0:1], 0x38
	s_lshl_b64 s[24:25], s[2:3], 3
	s_wait_kmcnt 0x0
	s_add_nc_u64 s[12:13], s[12:13], s[24:25]
	s_lshl_b64 s[14:15], s[14:15], 4
	s_load_b64 s[12:13], s[12:13], 0x0
	s_wait_kmcnt 0x0
	s_add_nc_u64 s[14:15], s[12:13], s[14:15]
.LBB350_7:
	s_lshl_b64 s[2:3], s[2:3], 3
	s_wait_alu 0xfffe
	s_and_not1_b32 vcc_lo, exec_lo, s22
	s_add_nc_u64 s[12:13], s[8:9], s[2:3]
	s_clause 0x1
	s_load_b64 s[2:3], s[0:1], 0x0
	s_load_b32 s8, s[0:1], 0x78
	s_load_b64 s[12:13], s[12:13], 0x0
	s_mov_b32 s9, -1
	s_cbranch_vccnz .LBB350_22
; %bb.8:
	s_wait_kmcnt 0x0
	v_cmp_neq_f64_e64 s9, s[4:5], 0
	v_cmp_neq_f64_e64 s22, s[6:7], 0
	s_or_b32 s9, s9, s22
	s_cmp_gt_i32 s3, 0
	s_cselect_b32 s24, -1, 0
	s_and_b32 vcc_lo, exec_lo, s9
	s_mov_b32 s9, -1
	s_cbranch_vccnz .LBB350_15
; %bb.9:
	s_and_not1_b32 vcc_lo, exec_lo, s24
	s_cbranch_vccnz .LBB350_14
; %bb.10:
	v_mad_co_i64_i32 v[1:2], null, s8, v0, 0
	s_lshl_b64 s[22:23], s[10:11], 4
	s_ashr_i32 s9, s8, 31
	s_wait_alu 0xfffe
	s_add_nc_u64 s[22:23], s[12:13], s[22:23]
	v_lshlrev_b64_e32 v[1:2], 4, v[1:2]
	s_wait_alu 0xfffe
	s_delay_alu instid0(VALU_DEP_1) | instskip(NEXT) | instid1(VALU_DEP_1)
	v_add_co_u32 v1, vcc_lo, s22, v1
	v_add_co_ci_u32_e64 v2, null, s23, v2, vcc_lo
	s_lshl_b64 s[22:23], s[8:9], 12
	v_add_co_u32 v5, vcc_lo, v1, 8
	s_wait_alu 0xfffd
	v_add_co_ci_u32_e64 v6, null, 0, v2, vcc_lo
	v_mov_b32_e32 v1, 0
	s_mov_b32 s9, 0
	s_branch .LBB350_12
.LBB350_11:                             ;   in Loop: Header=BB350_12 Depth=1
	s_or_b32 exec_lo, exec_lo, s25
	v_add_co_u32 v5, vcc_lo, v5, s22
	s_wait_alu 0xfffd
	v_add_co_ci_u32_e64 v6, null, s23, v6, vcc_lo
	s_addk_co_i32 s9, 0x100
	s_wait_alu 0xfffe
	s_cmp_ge_i32 s9, s3
	s_cbranch_scc1 .LBB350_14
.LBB350_12:                             ; =>This Inner Loop Header: Depth=1
	s_wait_alu 0xfffe
	v_add_nc_u32_e32 v2, s9, v0
	s_mov_b32 s25, exec_lo
	s_delay_alu instid0(VALU_DEP_1)
	v_cmpx_gt_i32_e64 s3, v2
	s_cbranch_execz .LBB350_11
; %bb.13:                               ;   in Loop: Header=BB350_12 Depth=1
	v_dual_mov_b32 v2, v1 :: v_dual_mov_b32 v3, v1
	v_mov_b32_e32 v4, v1
	flat_store_b128 v[5:6], v[1:4] offset:-8
	s_branch .LBB350_11
.LBB350_14:
	s_mov_b32 s9, 0
.LBB350_15:
	s_wait_alu 0xfffe
	s_and_not1_b32 vcc_lo, exec_lo, s9
	s_wait_alu 0xfffe
	s_cbranch_vccnz .LBB350_21
; %bb.16:
	s_and_not1_b32 vcc_lo, exec_lo, s24
	s_wait_alu 0xfffe
	s_cbranch_vccnz .LBB350_21
; %bb.17:
	v_mad_co_i64_i32 v[1:2], null, s8, v0, 0
	s_lshl_b64 s[22:23], s[10:11], 4
	s_ashr_i32 s9, s8, 31
	s_wait_alu 0xfffe
	s_add_nc_u64 s[22:23], s[12:13], s[22:23]
	v_lshlrev_b64_e32 v[1:2], 4, v[1:2]
	s_wait_alu 0xfffe
	s_delay_alu instid0(VALU_DEP_1) | instskip(SKIP_1) | instid1(VALU_DEP_2)
	v_add_co_u32 v1, vcc_lo, s22, v1
	s_wait_alu 0xfffd
	v_add_co_ci_u32_e64 v2, null, s23, v2, vcc_lo
	s_lshl_b64 s[22:23], s[8:9], 12
	v_add_co_u32 v1, vcc_lo, v1, 8
	s_wait_alu 0xfffd
	v_add_co_ci_u32_e64 v2, null, 0, v2, vcc_lo
	s_mov_b32 s9, 0
	s_branch .LBB350_19
.LBB350_18:                             ;   in Loop: Header=BB350_19 Depth=1
	s_or_b32 exec_lo, exec_lo, s24
	v_add_co_u32 v1, vcc_lo, v1, s22
	s_wait_alu 0xfffd
	v_add_co_ci_u32_e64 v2, null, s23, v2, vcc_lo
	s_addk_co_i32 s9, 0x100
	s_wait_alu 0xfffe
	s_cmp_ge_i32 s9, s3
	s_cbranch_scc1 .LBB350_21
.LBB350_19:                             ; =>This Inner Loop Header: Depth=1
	s_wait_alu 0xfffe
	v_add_nc_u32_e32 v3, s9, v0
	s_mov_b32 s24, exec_lo
	s_delay_alu instid0(VALU_DEP_1)
	v_cmpx_gt_i32_e64 s3, v3
	s_cbranch_execz .LBB350_18
; %bb.20:                               ;   in Loop: Header=BB350_19 Depth=1
	flat_load_b128 v[3:6], v[1:2] offset:-8
	s_wait_loadcnt_dscnt 0x0
	v_mul_f64_e32 v[7:8], s[6:7], v[5:6]
	v_mul_f64_e32 v[9:10], s[4:5], v[5:6]
	s_delay_alu instid0(VALU_DEP_2) | instskip(NEXT) | instid1(VALU_DEP_2)
	v_fma_f64 v[5:6], s[4:5], v[3:4], -v[7:8]
	v_fma_f64 v[7:8], s[6:7], v[3:4], v[9:10]
	flat_store_b128 v[1:2], v[5:8] offset:-8
	s_branch .LBB350_18
.LBB350_21:
	s_mov_b32 s9, 0
.LBB350_22:
	s_wait_alu 0xfffe
	s_and_not1_b32 vcc_lo, exec_lo, s9
	s_wait_alu 0xfffe
	s_cbranch_vccnz .LBB350_40
; %bb.23:
	s_mov_b32 s9, exec_lo
	s_wait_kmcnt 0x0
	v_cmpx_gt_i32_e64 s2, v0
	s_cbranch_execz .LBB350_25
; %bb.24:
	s_load_b32 s22, s[0:1], 0x48
	s_wait_kmcnt 0x0
	v_mad_co_i64_i32 v[1:2], null, s22, v0, 0
	s_delay_alu instid0(VALU_DEP_1) | instskip(NEXT) | instid1(VALU_DEP_1)
	v_lshlrev_b64_e32 v[1:2], 4, v[1:2]
	v_add_co_u32 v1, vcc_lo, s14, v1
	s_wait_alu 0xfffd
	s_delay_alu instid0(VALU_DEP_2) | instskip(SKIP_4) | instid1(VALU_DEP_2)
	v_add_co_ci_u32_e64 v2, null, s15, v2, vcc_lo
	flat_load_b128 v[1:4], v[1:2]
	s_wait_loadcnt_dscnt 0x0
	v_mul_f64_e32 v[5:6], s[18:19], v[3:4]
	v_mul_f64_e32 v[7:8], s[16:17], v[3:4]
	v_fma_f64 v[3:4], s[16:17], v[1:2], -v[5:6]
	s_delay_alu instid0(VALU_DEP_2)
	v_fma_f64 v[5:6], s[18:19], v[1:2], v[7:8]
	v_lshlrev_b32_e32 v1, 4, v0
	ds_store_b128 v1, v[3:6]
.LBB350_25:
	s_wait_alu 0xfffe
	s_or_b32 exec_lo, exec_lo, s9
	s_cmp_lt_i32 s3, 1
	s_wait_storecnt_dscnt 0x0
	s_barrier_signal -1
	s_barrier_wait -1
	global_inv scope:SCOPE_SE
	s_cbranch_scc1 .LBB350_40
; %bb.26:
	v_cmp_neq_f64_e64 s16, s[4:5], 0
	v_cmp_neq_f64_e64 s17, s[6:7], 0
	s_load_b32 s14, s[0:1], 0x28
	s_lshl_b64 s[10:11], s[10:11], 4
	s_ashr_i32 s9, s8, 31
	s_mov_b32 s1, 0
	s_add_nc_u64 s[10:11], s[12:13], s[10:11]
	s_wait_kmcnt 0x0
	v_mad_co_i64_i32 v[1:2], null, s14, v0, 0
	s_ashr_i32 s15, s14, 31
	v_lshlrev_b64_e32 v[1:2], 4, v[1:2]
	s_delay_alu instid0(VALU_DEP_1) | instskip(SKIP_1) | instid1(VALU_DEP_2)
	v_add_co_u32 v11, vcc_lo, s20, v1
	s_wait_alu 0xfffd
	v_add_co_ci_u32_e64 v12, null, s21, v2, vcc_lo
	s_or_b32 s16, s16, s17
	s_cmp_gt_i32 s2, 0
	v_add_co_u32 v5, vcc_lo, 0x78, v11
	s_cselect_b32 s17, -1, 0
	s_and_b32 s0, s2, 7
	s_cmp_gt_u32 s2, 7
	s_wait_alu 0xfffd
	v_add_co_ci_u32_e64 v6, null, 0, v12, vcc_lo
	s_cselect_b32 s18, -1, 0
	s_and_b32 s2, s2, 0x7ffffff8
	s_cmp_lg_u32 s0, 0
	s_mov_b32 s21, 0
	s_cselect_b32 s19, -1, 0
	s_wait_alu 0xfffe
	s_lshl_b64 s[12:13], s[14:15], 12
	s_lshl_b32 s20, s0, 4
	s_branch .LBB350_29
.LBB350_27:                             ;   in Loop: Header=BB350_29 Depth=1
	v_add_co_u32 v7, vcc_lo, s10, v7
	s_wait_alu 0xfffd
	v_add_co_ci_u32_e64 v8, null, s11, v8, vcc_lo
	flat_store_b128 v[7:8], v[1:4]
.LBB350_28:                             ;   in Loop: Header=BB350_29 Depth=1
	s_wait_alu 0xfffe
	s_or_b32 exec_lo, exec_lo, s22
	v_add_co_u32 v5, vcc_lo, v5, s12
	s_wait_alu 0xfffd
	v_add_co_ci_u32_e64 v6, null, s13, v6, vcc_lo
	v_add_co_u32 v11, vcc_lo, v11, s12
	s_wait_alu 0xfffd
	v_add_co_ci_u32_e64 v12, null, s13, v12, vcc_lo
	s_addk_co_i32 s21, 0x100
	s_wait_alu 0xfffe
	s_cmp_ge_i32 s21, s3
	s_cbranch_scc1 .LBB350_40
.LBB350_29:                             ; =>This Loop Header: Depth=1
                                        ;     Child Loop BB350_35 Depth 2
                                        ;     Child Loop BB350_39 Depth 2
	v_add_nc_u32_e32 v1, s21, v0
	s_mov_b32 s22, exec_lo
	s_delay_alu instid0(VALU_DEP_1)
	v_cmpx_gt_i32_e64 s3, v1
	s_cbranch_execz .LBB350_28
; %bb.30:                               ;   in Loop: Header=BB350_29 Depth=1
	v_mad_co_u64_u32 v[3:4], null, v1, s8, 0
	s_and_not1_b32 vcc_lo, exec_lo, s16
	v_mov_b32_e32 v2, v4
	s_delay_alu instid0(VALU_DEP_1) | instskip(NEXT) | instid1(VALU_DEP_1)
	v_mad_co_u64_u32 v[1:2], null, v1, s9, v[2:3]
	v_dual_mov_b32 v4, v1 :: v_dual_mov_b32 v1, 0
	v_mov_b32_e32 v2, 0
	s_delay_alu instid0(VALU_DEP_2)
	v_lshlrev_b64_e32 v[7:8], 4, v[3:4]
	v_mov_b32_e32 v3, 0
	v_mov_b32_e32 v4, 0
	s_wait_alu 0xfffe
	s_cbranch_vccnz .LBB350_32
; %bb.31:                               ;   in Loop: Header=BB350_29 Depth=1
	s_delay_alu instid0(VALU_DEP_3)
	v_add_co_u32 v1, vcc_lo, s10, v7
	s_wait_alu 0xfffd
	v_add_co_ci_u32_e64 v2, null, s11, v8, vcc_lo
	flat_load_b128 v[13:16], v[1:2]
	s_wait_loadcnt_dscnt 0x0
	v_mul_f64_e32 v[1:2], s[6:7], v[15:16]
	v_mul_f64_e32 v[3:4], s[4:5], v[15:16]
	s_delay_alu instid0(VALU_DEP_2) | instskip(NEXT) | instid1(VALU_DEP_2)
	v_fma_f64 v[1:2], s[4:5], v[13:14], -v[1:2]
	v_fma_f64 v[3:4], s[6:7], v[13:14], v[3:4]
.LBB350_32:                             ;   in Loop: Header=BB350_29 Depth=1
	s_and_not1_b32 vcc_lo, exec_lo, s17
	s_wait_alu 0xfffe
	s_cbranch_vccnz .LBB350_27
; %bb.33:                               ;   in Loop: Header=BB350_29 Depth=1
	s_and_not1_b32 vcc_lo, exec_lo, s18
	s_mov_b32 s0, 0
	s_wait_alu 0xfffe
	s_cbranch_vccnz .LBB350_37
; %bb.34:                               ;   in Loop: Header=BB350_29 Depth=1
	v_dual_mov_b32 v10, v6 :: v_dual_mov_b32 v9, v5
	s_mov_b32 s14, 0
.LBB350_35:                             ;   Parent Loop BB350_29 Depth=1
                                        ; =>  This Inner Loop Header: Depth=2
	s_clause 0x7
	flat_load_b128 v[13:16], v[9:10] offset:-120
	flat_load_b128 v[17:20], v[9:10] offset:-104
	;; [unrolled: 1-line block ×8, first 2 shown]
	v_mov_b32_e32 v61, s0
	v_add_co_u32 v9, vcc_lo, 0x80, v9
	s_wait_alu 0xfffd
	v_add_co_ci_u32_e64 v10, null, 0, v10, vcc_lo
	ds_load_b128 v[45:48], v61
	ds_load_b128 v[49:52], v61 offset:16
	s_wait_alu 0xfffe
	s_add_co_i32 s14, s14, 8
	s_addk_co_i32 s0, 0x80
	s_wait_alu 0xfffe
	s_cmp_eq_u32 s2, s14
	s_wait_loadcnt_dscnt 0x701
	v_mul_f64_e32 v[53:54], v[15:16], v[47:48]
	v_mul_f64_e32 v[47:48], v[13:14], v[47:48]
	s_wait_loadcnt_dscnt 0x600
	v_mul_f64_e32 v[55:56], v[19:20], v[51:52]
	v_mul_f64_e32 v[51:52], v[17:18], v[51:52]
	s_delay_alu instid0(VALU_DEP_4) | instskip(NEXT) | instid1(VALU_DEP_4)
	v_fma_f64 v[53:54], v[13:14], v[45:46], -v[53:54]
	v_fma_f64 v[57:58], v[15:16], v[45:46], v[47:48]
	ds_load_b128 v[13:16], v61 offset:32
	ds_load_b128 v[45:48], v61 offset:48
	v_fma_f64 v[17:18], v[17:18], v[49:50], -v[55:56]
	v_fma_f64 v[19:20], v[19:20], v[49:50], v[51:52]
	s_wait_loadcnt_dscnt 0x501
	v_mul_f64_e32 v[59:60], v[23:24], v[15:16]
	v_mul_f64_e32 v[15:16], v[21:22], v[15:16]
	s_wait_loadcnt_dscnt 0x400
	v_mul_f64_e32 v[49:50], v[27:28], v[47:48]
	v_mul_f64_e32 v[47:48], v[25:26], v[47:48]
	v_add_f64_e32 v[1:2], v[1:2], v[53:54]
	v_add_f64_e32 v[3:4], v[3:4], v[57:58]
	v_fma_f64 v[21:22], v[21:22], v[13:14], -v[59:60]
	v_fma_f64 v[23:24], v[23:24], v[13:14], v[15:16]
	v_fma_f64 v[25:26], v[25:26], v[45:46], -v[49:50]
	v_fma_f64 v[27:28], v[27:28], v[45:46], v[47:48]
	v_add_f64_e32 v[17:18], v[1:2], v[17:18]
	v_add_f64_e32 v[19:20], v[3:4], v[19:20]
	ds_load_b128 v[1:4], v61 offset:64
	ds_load_b128 v[13:16], v61 offset:80
	s_wait_loadcnt_dscnt 0x301
	v_mul_f64_e32 v[51:52], v[31:32], v[3:4]
	v_mul_f64_e32 v[3:4], v[29:30], v[3:4]
	v_add_f64_e32 v[17:18], v[17:18], v[21:22]
	v_add_f64_e32 v[19:20], v[19:20], v[23:24]
	s_wait_loadcnt_dscnt 0x200
	v_mul_f64_e32 v[21:22], v[35:36], v[15:16]
	v_mul_f64_e32 v[23:24], v[33:34], v[15:16]
	v_fma_f64 v[29:30], v[29:30], v[1:2], -v[51:52]
	v_fma_f64 v[31:32], v[31:32], v[1:2], v[3:4]
	v_add_f64_e32 v[25:26], v[17:18], v[25:26]
	v_add_f64_e32 v[19:20], v[19:20], v[27:28]
	ds_load_b128 v[1:4], v61 offset:96
	ds_load_b128 v[15:18], v61 offset:112
	v_fma_f64 v[21:22], v[33:34], v[13:14], -v[21:22]
	v_fma_f64 v[13:14], v[35:36], v[13:14], v[23:24]
	s_wait_loadcnt_dscnt 0x101
	v_mul_f64_e32 v[27:28], v[39:40], v[3:4]
	v_mul_f64_e32 v[3:4], v[37:38], v[3:4]
	v_add_f64_e32 v[23:24], v[25:26], v[29:30]
	v_add_f64_e32 v[19:20], v[19:20], v[31:32]
	s_wait_loadcnt_dscnt 0x0
	v_mul_f64_e32 v[25:26], v[43:44], v[17:18]
	v_mul_f64_e32 v[17:18], v[41:42], v[17:18]
	v_fma_f64 v[27:28], v[37:38], v[1:2], -v[27:28]
	v_fma_f64 v[1:2], v[39:40], v[1:2], v[3:4]
	v_add_f64_e32 v[3:4], v[23:24], v[21:22]
	v_add_f64_e32 v[13:14], v[19:20], v[13:14]
	v_fma_f64 v[19:20], v[41:42], v[15:16], -v[25:26]
	v_fma_f64 v[15:16], v[43:44], v[15:16], v[17:18]
	s_delay_alu instid0(VALU_DEP_4) | instskip(NEXT) | instid1(VALU_DEP_4)
	v_add_f64_e32 v[3:4], v[3:4], v[27:28]
	v_add_f64_e32 v[13:14], v[13:14], v[1:2]
	s_delay_alu instid0(VALU_DEP_2) | instskip(NEXT) | instid1(VALU_DEP_2)
	v_add_f64_e32 v[1:2], v[3:4], v[19:20]
	v_add_f64_e32 v[3:4], v[13:14], v[15:16]
	s_cbranch_scc0 .LBB350_35
; %bb.36:                               ;   in Loop: Header=BB350_29 Depth=1
	s_mov_b32 s0, s2
.LBB350_37:                             ;   in Loop: Header=BB350_29 Depth=1
	s_and_not1_b32 vcc_lo, exec_lo, s19
	s_wait_alu 0xfffe
	s_cbranch_vccnz .LBB350_27
; %bb.38:                               ;   in Loop: Header=BB350_29 Depth=1
	s_lshl_b64 s[14:15], s[0:1], 4
	s_lshl_b32 s0, s0, 4
	s_wait_alu 0xfffe
	v_add_co_u32 v9, vcc_lo, v11, s14
	s_wait_alu 0xfffd
	v_add_co_ci_u32_e64 v10, null, s15, v12, vcc_lo
	s_mov_b64 s[14:15], 0
.LBB350_39:                             ;   Parent Loop BB350_29 Depth=1
                                        ; =>  This Inner Loop Header: Depth=2
	s_wait_alu 0xfffe
	v_add_co_u32 v13, vcc_lo, v9, s14
	s_wait_alu 0xfffd
	v_add_co_ci_u32_e64 v14, null, s15, v10, vcc_lo
	v_mov_b32_e32 v17, s0
	s_add_nc_u64 s[14:15], s[14:15], 16
	s_add_co_i32 s0, s0, 16
	flat_load_b128 v[13:16], v[13:14]
	s_wait_alu 0xfffe
	s_cmp_lg_u32 s20, s14
	ds_load_b128 v[17:20], v17
	s_wait_loadcnt_dscnt 0x0
	v_mul_f64_e32 v[21:22], v[15:16], v[19:20]
	v_mul_f64_e32 v[19:20], v[13:14], v[19:20]
	s_delay_alu instid0(VALU_DEP_2) | instskip(NEXT) | instid1(VALU_DEP_2)
	v_fma_f64 v[13:14], v[13:14], v[17:18], -v[21:22]
	v_fma_f64 v[15:16], v[15:16], v[17:18], v[19:20]
	s_delay_alu instid0(VALU_DEP_2) | instskip(NEXT) | instid1(VALU_DEP_2)
	v_add_f64_e32 v[1:2], v[1:2], v[13:14]
	v_add_f64_e32 v[3:4], v[3:4], v[15:16]
	s_cbranch_scc1 .LBB350_39
	s_branch .LBB350_27
.LBB350_40:
	s_endpgm
	.section	.rodata,"a",@progbits
	.p2align	6, 0x0
	.amdhsa_kernel _ZL22rocblas_gemvtsm_kernelILb0ELi256EPK19rocblas_complex_numIdES3_KPS1_EviiT2_lPKT1_lilS9_lilS6_lPT3_lil
		.amdhsa_group_segment_fixed_size 1024
		.amdhsa_private_segment_fixed_size 0
		.amdhsa_kernarg_size 136
		.amdhsa_user_sgpr_count 2
		.amdhsa_user_sgpr_dispatch_ptr 0
		.amdhsa_user_sgpr_queue_ptr 0
		.amdhsa_user_sgpr_kernarg_segment_ptr 1
		.amdhsa_user_sgpr_dispatch_id 0
		.amdhsa_user_sgpr_private_segment_size 0
		.amdhsa_wavefront_size32 1
		.amdhsa_uses_dynamic_stack 0
		.amdhsa_enable_private_segment 0
		.amdhsa_system_sgpr_workgroup_id_x 1
		.amdhsa_system_sgpr_workgroup_id_y 0
		.amdhsa_system_sgpr_workgroup_id_z 0
		.amdhsa_system_sgpr_workgroup_info 0
		.amdhsa_system_vgpr_workitem_id 0
		.amdhsa_next_free_vgpr 62
		.amdhsa_next_free_sgpr 26
		.amdhsa_reserve_vcc 1
		.amdhsa_float_round_mode_32 0
		.amdhsa_float_round_mode_16_64 0
		.amdhsa_float_denorm_mode_32 3
		.amdhsa_float_denorm_mode_16_64 3
		.amdhsa_fp16_overflow 0
		.amdhsa_workgroup_processor_mode 1
		.amdhsa_memory_ordered 1
		.amdhsa_forward_progress 1
		.amdhsa_inst_pref_size 17
		.amdhsa_round_robin_scheduling 0
		.amdhsa_exception_fp_ieee_invalid_op 0
		.amdhsa_exception_fp_denorm_src 0
		.amdhsa_exception_fp_ieee_div_zero 0
		.amdhsa_exception_fp_ieee_overflow 0
		.amdhsa_exception_fp_ieee_underflow 0
		.amdhsa_exception_fp_ieee_inexact 0
		.amdhsa_exception_int_div_zero 0
	.end_amdhsa_kernel
	.section	.text._ZL22rocblas_gemvtsm_kernelILb0ELi256EPK19rocblas_complex_numIdES3_KPS1_EviiT2_lPKT1_lilS9_lilS6_lPT3_lil,"axG",@progbits,_ZL22rocblas_gemvtsm_kernelILb0ELi256EPK19rocblas_complex_numIdES3_KPS1_EviiT2_lPKT1_lilS9_lilS6_lPT3_lil,comdat
.Lfunc_end350:
	.size	_ZL22rocblas_gemvtsm_kernelILb0ELi256EPK19rocblas_complex_numIdES3_KPS1_EviiT2_lPKT1_lilS9_lilS6_lPT3_lil, .Lfunc_end350-_ZL22rocblas_gemvtsm_kernelILb0ELi256EPK19rocblas_complex_numIdES3_KPS1_EviiT2_lPKT1_lilS9_lilS6_lPT3_lil
                                        ; -- End function
	.set _ZL22rocblas_gemvtsm_kernelILb0ELi256EPK19rocblas_complex_numIdES3_KPS1_EviiT2_lPKT1_lilS9_lilS6_lPT3_lil.num_vgpr, 62
	.set _ZL22rocblas_gemvtsm_kernelILb0ELi256EPK19rocblas_complex_numIdES3_KPS1_EviiT2_lPKT1_lilS9_lilS6_lPT3_lil.num_agpr, 0
	.set _ZL22rocblas_gemvtsm_kernelILb0ELi256EPK19rocblas_complex_numIdES3_KPS1_EviiT2_lPKT1_lilS9_lilS6_lPT3_lil.numbered_sgpr, 26
	.set _ZL22rocblas_gemvtsm_kernelILb0ELi256EPK19rocblas_complex_numIdES3_KPS1_EviiT2_lPKT1_lilS9_lilS6_lPT3_lil.num_named_barrier, 0
	.set _ZL22rocblas_gemvtsm_kernelILb0ELi256EPK19rocblas_complex_numIdES3_KPS1_EviiT2_lPKT1_lilS9_lilS6_lPT3_lil.private_seg_size, 0
	.set _ZL22rocblas_gemvtsm_kernelILb0ELi256EPK19rocblas_complex_numIdES3_KPS1_EviiT2_lPKT1_lilS9_lilS6_lPT3_lil.uses_vcc, 1
	.set _ZL22rocblas_gemvtsm_kernelILb0ELi256EPK19rocblas_complex_numIdES3_KPS1_EviiT2_lPKT1_lilS9_lilS6_lPT3_lil.uses_flat_scratch, 1
	.set _ZL22rocblas_gemvtsm_kernelILb0ELi256EPK19rocblas_complex_numIdES3_KPS1_EviiT2_lPKT1_lilS9_lilS6_lPT3_lil.has_dyn_sized_stack, 0
	.set _ZL22rocblas_gemvtsm_kernelILb0ELi256EPK19rocblas_complex_numIdES3_KPS1_EviiT2_lPKT1_lilS9_lilS6_lPT3_lil.has_recursion, 0
	.set _ZL22rocblas_gemvtsm_kernelILb0ELi256EPK19rocblas_complex_numIdES3_KPS1_EviiT2_lPKT1_lilS9_lilS6_lPT3_lil.has_indirect_call, 0
	.section	.AMDGPU.csdata,"",@progbits
; Kernel info:
; codeLenInByte = 2136
; TotalNumSgprs: 28
; NumVgprs: 62
; ScratchSize: 0
; MemoryBound: 0
; FloatMode: 240
; IeeeMode: 1
; LDSByteSize: 1024 bytes/workgroup (compile time only)
; SGPRBlocks: 0
; VGPRBlocks: 7
; NumSGPRsForWavesPerEU: 28
; NumVGPRsForWavesPerEU: 62
; Occupancy: 16
; WaveLimiterHint : 1
; COMPUTE_PGM_RSRC2:SCRATCH_EN: 0
; COMPUTE_PGM_RSRC2:USER_SGPR: 2
; COMPUTE_PGM_RSRC2:TRAP_HANDLER: 0
; COMPUTE_PGM_RSRC2:TGID_X_EN: 1
; COMPUTE_PGM_RSRC2:TGID_Y_EN: 0
; COMPUTE_PGM_RSRC2:TGID_Z_EN: 0
; COMPUTE_PGM_RSRC2:TIDIG_COMP_CNT: 0
	.section	.text._ZL22rocblas_gemvtsm_kernelILb0ELi256EPK19rocblas_complex_numIdES1_KPS1_EviiT2_lPKT1_lilS9_lilS6_lPT3_lil,"axG",@progbits,_ZL22rocblas_gemvtsm_kernelILb0ELi256EPK19rocblas_complex_numIdES1_KPS1_EviiT2_lPKT1_lilS9_lilS6_lPT3_lil,comdat
	.globl	_ZL22rocblas_gemvtsm_kernelILb0ELi256EPK19rocblas_complex_numIdES1_KPS1_EviiT2_lPKT1_lilS9_lilS6_lPT3_lil ; -- Begin function _ZL22rocblas_gemvtsm_kernelILb0ELi256EPK19rocblas_complex_numIdES1_KPS1_EviiT2_lPKT1_lilS9_lilS6_lPT3_lil
	.p2align	8
	.type	_ZL22rocblas_gemvtsm_kernelILb0ELi256EPK19rocblas_complex_numIdES1_KPS1_EviiT2_lPKT1_lilS9_lilS6_lPT3_lil,@function
_ZL22rocblas_gemvtsm_kernelILb0ELi256EPK19rocblas_complex_numIdES1_KPS1_EviiT2_lPKT1_lilS9_lilS6_lPT3_lil: ; @_ZL22rocblas_gemvtsm_kernelILb0ELi256EPK19rocblas_complex_numIdES1_KPS1_EviiT2_lPKT1_lilS9_lilS6_lPT3_lil
; %bb.0:
	s_clause 0x1
	s_load_b128 s[8:11], s[0:1], 0x8
	s_load_b128 s[4:7], s[0:1], 0x60
	s_wait_kmcnt 0x0
	v_cmp_neq_f64_e64 s2, s[8:9], 0
	v_cmp_neq_f64_e64 s3, s[10:11], 0
	s_or_b32 s12, s2, s3
	s_mov_b32 s2, -1
	s_and_b32 vcc_lo, exec_lo, s12
	s_cbranch_vccnz .LBB351_2
; %bb.1:
	v_cmp_neq_f64_e64 s2, s[4:5], 1.0
	v_cmp_neq_f64_e64 s3, s[6:7], 0
	s_or_b32 s2, s2, s3
.LBB351_2:
	s_delay_alu instid0(SALU_CYCLE_1)
	s_and_not1_b32 vcc_lo, exec_lo, s2
	s_cbranch_vccnz .LBB351_42
; %bb.3:
	s_xor_b32 s3, s12, -1
	s_mov_b32 s2, ttmp9
	v_cndmask_b32_e64 v1, 0, 1, s3
	s_and_not1_b32 vcc_lo, exec_lo, s3
	s_mov_b32 s3, 0
	s_cbranch_vccnz .LBB351_5
; %bb.4:
	s_wait_alu 0xfffe
	s_mov_b32 s13, s3
	s_mov_b64 s[20:21], 0
	s_and_not1_b32 vcc_lo, exec_lo, s13
	s_mov_b64 s[16:17], 0
	s_cbranch_vccz .LBB351_6
	s_branch .LBB351_7
.LBB351_5:
	s_mov_b64 s[20:21], 0
	s_mov_b64 s[16:17], 0
.LBB351_6:
	s_load_b128 s[16:19], s[0:1], 0x20
	s_lshl_b64 s[14:15], s[2:3], 3
	s_wait_kmcnt 0x0
	s_add_nc_u64 s[14:15], s[16:17], s[14:15]
	s_lshl_b64 s[16:17], s[18:19], 4
	s_load_b64 s[14:15], s[14:15], 0x0
	s_wait_kmcnt 0x0
	s_add_nc_u64 s[16:17], s[14:15], s[16:17]
.LBB351_7:
	s_and_not1_b32 vcc_lo, exec_lo, s12
	s_cbranch_vccnz .LBB351_9
; %bb.8:
	s_load_b128 s[12:15], s[0:1], 0x40
	s_lshl_b64 s[18:19], s[2:3], 3
	s_wait_kmcnt 0x0
	s_add_nc_u64 s[12:13], s[12:13], s[18:19]
	s_lshl_b64 s[14:15], s[14:15], 4
	s_load_b64 s[12:13], s[12:13], 0x0
	s_wait_kmcnt 0x0
	s_add_nc_u64 s[20:21], s[12:13], s[14:15]
.LBB351_9:
	s_load_b128 s[12:15], s[0:1], 0x78
	s_lshl_b64 s[18:19], s[2:3], 3
	s_load_b64 s[2:3], s[0:1], 0x0
	v_cmp_ne_u32_e32 vcc_lo, 1, v1
	s_and_b32 vcc_lo, exec_lo, vcc_lo
	s_wait_kmcnt 0x0
	s_add_nc_u64 s[18:19], s[12:13], s[18:19]
	s_load_b32 s12, s[0:1], 0x88
	s_load_b64 s[18:19], s[18:19], 0x0
	s_mov_b32 s13, -1
	s_cbranch_vccnz .LBB351_24
; %bb.10:
	v_cmp_neq_f64_e64 s13, s[4:5], 0
	v_cmp_neq_f64_e64 s22, s[6:7], 0
	s_or_b32 s13, s13, s22
	s_cmp_gt_i32 s3, 0
	s_cselect_b32 s24, -1, 0
	s_and_b32 vcc_lo, exec_lo, s13
	s_mov_b32 s13, -1
	s_cbranch_vccnz .LBB351_17
; %bb.11:
	s_and_not1_b32 vcc_lo, exec_lo, s24
	s_cbranch_vccnz .LBB351_16
; %bb.12:
	s_wait_kmcnt 0x0
	v_mad_co_i64_i32 v[1:2], null, s12, v0, 0
	s_lshl_b64 s[22:23], s[14:15], 4
	s_ashr_i32 s13, s12, 31
	s_add_nc_u64 s[22:23], s[18:19], s[22:23]
	v_lshlrev_b64_e32 v[1:2], 4, v[1:2]
	s_delay_alu instid0(VALU_DEP_1) | instskip(NEXT) | instid1(VALU_DEP_1)
	v_add_co_u32 v1, vcc_lo, s22, v1
	v_add_co_ci_u32_e64 v2, null, s23, v2, vcc_lo
	s_wait_alu 0xfffe
	s_lshl_b64 s[22:23], s[12:13], 12
	s_delay_alu instid0(VALU_DEP_2)
	v_add_co_u32 v5, vcc_lo, v1, 8
	s_wait_alu 0xfffd
	v_add_co_ci_u32_e64 v6, null, 0, v2, vcc_lo
	v_mov_b32_e32 v1, 0
	s_mov_b32 s13, 0
	s_branch .LBB351_14
.LBB351_13:                             ;   in Loop: Header=BB351_14 Depth=1
	s_or_b32 exec_lo, exec_lo, s25
	v_add_co_u32 v5, vcc_lo, v5, s22
	s_wait_alu 0xfffd
	v_add_co_ci_u32_e64 v6, null, s23, v6, vcc_lo
	s_addk_co_i32 s13, 0x100
	s_wait_alu 0xfffe
	s_cmp_ge_i32 s13, s3
	s_cbranch_scc1 .LBB351_16
.LBB351_14:                             ; =>This Inner Loop Header: Depth=1
	s_wait_alu 0xfffe
	v_add_nc_u32_e32 v2, s13, v0
	s_mov_b32 s25, exec_lo
	s_delay_alu instid0(VALU_DEP_1)
	v_cmpx_gt_i32_e64 s3, v2
	s_cbranch_execz .LBB351_13
; %bb.15:                               ;   in Loop: Header=BB351_14 Depth=1
	v_dual_mov_b32 v2, v1 :: v_dual_mov_b32 v3, v1
	v_mov_b32_e32 v4, v1
	flat_store_b128 v[5:6], v[1:4] offset:-8
	s_branch .LBB351_13
.LBB351_16:
	s_mov_b32 s13, 0
.LBB351_17:
	s_wait_alu 0xfffe
	s_and_not1_b32 vcc_lo, exec_lo, s13
	s_wait_alu 0xfffe
	s_cbranch_vccnz .LBB351_23
; %bb.18:
	s_and_not1_b32 vcc_lo, exec_lo, s24
	s_wait_alu 0xfffe
	s_cbranch_vccnz .LBB351_23
; %bb.19:
	s_wait_kmcnt 0x0
	v_mad_co_i64_i32 v[1:2], null, s12, v0, 0
	s_lshl_b64 s[22:23], s[14:15], 4
	s_ashr_i32 s13, s12, 31
	s_wait_alu 0xfffe
	s_add_nc_u64 s[22:23], s[18:19], s[22:23]
	v_lshlrev_b64_e32 v[1:2], 4, v[1:2]
	s_wait_alu 0xfffe
	s_delay_alu instid0(VALU_DEP_1) | instskip(SKIP_1) | instid1(VALU_DEP_2)
	v_add_co_u32 v1, vcc_lo, s22, v1
	s_wait_alu 0xfffd
	v_add_co_ci_u32_e64 v2, null, s23, v2, vcc_lo
	s_lshl_b64 s[22:23], s[12:13], 12
	v_add_co_u32 v1, vcc_lo, v1, 8
	s_wait_alu 0xfffd
	v_add_co_ci_u32_e64 v2, null, 0, v2, vcc_lo
	s_mov_b32 s13, 0
	s_branch .LBB351_21
.LBB351_20:                             ;   in Loop: Header=BB351_21 Depth=1
	s_or_b32 exec_lo, exec_lo, s24
	v_add_co_u32 v1, vcc_lo, v1, s22
	s_wait_alu 0xfffd
	v_add_co_ci_u32_e64 v2, null, s23, v2, vcc_lo
	s_addk_co_i32 s13, 0x100
	s_wait_alu 0xfffe
	s_cmp_ge_i32 s13, s3
	s_cbranch_scc1 .LBB351_23
.LBB351_21:                             ; =>This Inner Loop Header: Depth=1
	s_wait_alu 0xfffe
	v_add_nc_u32_e32 v3, s13, v0
	s_mov_b32 s24, exec_lo
	s_delay_alu instid0(VALU_DEP_1)
	v_cmpx_gt_i32_e64 s3, v3
	s_cbranch_execz .LBB351_20
; %bb.22:                               ;   in Loop: Header=BB351_21 Depth=1
	flat_load_b128 v[3:6], v[1:2] offset:-8
	s_wait_loadcnt_dscnt 0x0
	v_mul_f64_e32 v[7:8], s[6:7], v[5:6]
	v_mul_f64_e32 v[9:10], s[4:5], v[5:6]
	s_delay_alu instid0(VALU_DEP_2) | instskip(NEXT) | instid1(VALU_DEP_2)
	v_fma_f64 v[5:6], s[4:5], v[3:4], -v[7:8]
	v_fma_f64 v[7:8], s[6:7], v[3:4], v[9:10]
	flat_store_b128 v[1:2], v[5:8] offset:-8
	s_branch .LBB351_20
.LBB351_23:
	s_mov_b32 s13, 0
.LBB351_24:
	s_wait_alu 0xfffe
	s_and_not1_b32 vcc_lo, exec_lo, s13
	s_wait_alu 0xfffe
	s_cbranch_vccnz .LBB351_42
; %bb.25:
	s_mov_b32 s13, exec_lo
	v_cmpx_gt_i32_e64 s2, v0
	s_cbranch_execz .LBB351_27
; %bb.26:
	s_load_b32 s22, s[0:1], 0x50
	s_wait_kmcnt 0x0
	v_mad_co_i64_i32 v[1:2], null, s22, v0, 0
	s_delay_alu instid0(VALU_DEP_1) | instskip(NEXT) | instid1(VALU_DEP_1)
	v_lshlrev_b64_e32 v[1:2], 4, v[1:2]
	v_add_co_u32 v1, vcc_lo, s20, v1
	s_wait_alu 0xfffd
	s_delay_alu instid0(VALU_DEP_2) | instskip(SKIP_4) | instid1(VALU_DEP_2)
	v_add_co_ci_u32_e64 v2, null, s21, v2, vcc_lo
	flat_load_b128 v[1:4], v[1:2]
	s_wait_loadcnt_dscnt 0x0
	v_mul_f64_e32 v[5:6], s[10:11], v[3:4]
	v_mul_f64_e32 v[7:8], s[8:9], v[3:4]
	v_fma_f64 v[3:4], s[8:9], v[1:2], -v[5:6]
	s_delay_alu instid0(VALU_DEP_2)
	v_fma_f64 v[5:6], s[10:11], v[1:2], v[7:8]
	v_lshlrev_b32_e32 v1, 4, v0
	ds_store_b128 v1, v[3:6]
.LBB351_27:
	s_wait_alu 0xfffe
	s_or_b32 exec_lo, exec_lo, s13
	s_cmp_lt_i32 s3, 1
	s_wait_storecnt_dscnt 0x0
	s_barrier_signal -1
	s_barrier_wait -1
	global_inv scope:SCOPE_SE
	s_cbranch_scc1 .LBB351_42
; %bb.28:
	v_cmp_neq_f64_e64 s20, s[4:5], 0
	v_cmp_neq_f64_e64 s21, s[6:7], 0
	s_load_b32 s10, s[0:1], 0x30
	s_lshl_b64 s[8:9], s[14:15], 4
	s_wait_kmcnt 0x0
	s_ashr_i32 s13, s12, 31
	s_wait_alu 0xfffe
	s_add_nc_u64 s[8:9], s[18:19], s[8:9]
	s_mov_b32 s1, 0
	v_mad_co_i64_i32 v[1:2], null, s10, v0, 0
	s_ashr_i32 s11, s10, 31
	v_lshlrev_b64_e32 v[1:2], 4, v[1:2]
	s_delay_alu instid0(VALU_DEP_1) | instskip(SKIP_1) | instid1(VALU_DEP_2)
	v_add_co_u32 v11, vcc_lo, s16, v1
	s_wait_alu 0xfffd
	v_add_co_ci_u32_e64 v12, null, s17, v2, vcc_lo
	s_or_b32 s16, s20, s21
	s_cmp_gt_i32 s2, 0
	v_add_co_u32 v5, vcc_lo, 0x78, v11
	s_cselect_b32 s17, -1, 0
	s_and_b32 s0, s2, 7
	s_cmp_gt_u32 s2, 7
	s_wait_alu 0xfffd
	v_add_co_ci_u32_e64 v6, null, 0, v12, vcc_lo
	s_cselect_b32 s18, -1, 0
	s_and_b32 s2, s2, 0x7ffffff8
	s_cmp_lg_u32 s0, 0
	s_mov_b32 s21, 0
	s_cselect_b32 s19, -1, 0
	s_wait_alu 0xfffe
	s_lshl_b64 s[10:11], s[10:11], 12
	s_lshl_b32 s20, s0, 4
	s_branch .LBB351_31
.LBB351_29:                             ;   in Loop: Header=BB351_31 Depth=1
	v_add_co_u32 v7, vcc_lo, s8, v7
	s_wait_alu 0xfffd
	v_add_co_ci_u32_e64 v8, null, s9, v8, vcc_lo
	flat_store_b128 v[7:8], v[1:4]
.LBB351_30:                             ;   in Loop: Header=BB351_31 Depth=1
	s_wait_alu 0xfffe
	s_or_b32 exec_lo, exec_lo, s22
	v_add_co_u32 v5, vcc_lo, v5, s10
	s_wait_alu 0xfffd
	v_add_co_ci_u32_e64 v6, null, s11, v6, vcc_lo
	v_add_co_u32 v11, vcc_lo, v11, s10
	s_wait_alu 0xfffd
	v_add_co_ci_u32_e64 v12, null, s11, v12, vcc_lo
	s_addk_co_i32 s21, 0x100
	s_wait_alu 0xfffe
	s_cmp_ge_i32 s21, s3
	s_cbranch_scc1 .LBB351_42
.LBB351_31:                             ; =>This Loop Header: Depth=1
                                        ;     Child Loop BB351_37 Depth 2
                                        ;     Child Loop BB351_41 Depth 2
	v_add_nc_u32_e32 v1, s21, v0
	s_mov_b32 s22, exec_lo
	s_delay_alu instid0(VALU_DEP_1)
	v_cmpx_gt_i32_e64 s3, v1
	s_cbranch_execz .LBB351_30
; %bb.32:                               ;   in Loop: Header=BB351_31 Depth=1
	v_mad_co_u64_u32 v[3:4], null, v1, s12, 0
	s_and_not1_b32 vcc_lo, exec_lo, s16
	v_mov_b32_e32 v2, v4
	s_delay_alu instid0(VALU_DEP_1) | instskip(NEXT) | instid1(VALU_DEP_1)
	v_mad_co_u64_u32 v[1:2], null, v1, s13, v[2:3]
	v_dual_mov_b32 v4, v1 :: v_dual_mov_b32 v1, 0
	v_mov_b32_e32 v2, 0
	s_delay_alu instid0(VALU_DEP_2)
	v_lshlrev_b64_e32 v[7:8], 4, v[3:4]
	v_mov_b32_e32 v3, 0
	v_mov_b32_e32 v4, 0
	s_wait_alu 0xfffe
	s_cbranch_vccnz .LBB351_34
; %bb.33:                               ;   in Loop: Header=BB351_31 Depth=1
	s_delay_alu instid0(VALU_DEP_3)
	v_add_co_u32 v1, vcc_lo, s8, v7
	s_wait_alu 0xfffd
	v_add_co_ci_u32_e64 v2, null, s9, v8, vcc_lo
	flat_load_b128 v[13:16], v[1:2]
	s_wait_loadcnt_dscnt 0x0
	v_mul_f64_e32 v[1:2], s[6:7], v[15:16]
	v_mul_f64_e32 v[3:4], s[4:5], v[15:16]
	s_delay_alu instid0(VALU_DEP_2) | instskip(NEXT) | instid1(VALU_DEP_2)
	v_fma_f64 v[1:2], s[4:5], v[13:14], -v[1:2]
	v_fma_f64 v[3:4], s[6:7], v[13:14], v[3:4]
.LBB351_34:                             ;   in Loop: Header=BB351_31 Depth=1
	s_and_not1_b32 vcc_lo, exec_lo, s17
	s_wait_alu 0xfffe
	s_cbranch_vccnz .LBB351_29
; %bb.35:                               ;   in Loop: Header=BB351_31 Depth=1
	s_and_not1_b32 vcc_lo, exec_lo, s18
	s_mov_b32 s0, 0
	s_wait_alu 0xfffe
	s_cbranch_vccnz .LBB351_39
; %bb.36:                               ;   in Loop: Header=BB351_31 Depth=1
	v_dual_mov_b32 v10, v6 :: v_dual_mov_b32 v9, v5
	s_mov_b32 s14, 0
.LBB351_37:                             ;   Parent Loop BB351_31 Depth=1
                                        ; =>  This Inner Loop Header: Depth=2
	s_clause 0x7
	flat_load_b128 v[13:16], v[9:10] offset:-120
	flat_load_b128 v[17:20], v[9:10] offset:-104
	;; [unrolled: 1-line block ×8, first 2 shown]
	s_wait_alu 0xfffe
	v_mov_b32_e32 v61, s0
	v_add_co_u32 v9, vcc_lo, 0x80, v9
	s_wait_alu 0xfffd
	v_add_co_ci_u32_e64 v10, null, 0, v10, vcc_lo
	ds_load_b128 v[45:48], v61
	ds_load_b128 v[49:52], v61 offset:16
	s_add_co_i32 s14, s14, 8
	s_addk_co_i32 s0, 0x80
	s_wait_alu 0xfffe
	s_cmp_eq_u32 s2, s14
	s_wait_loadcnt_dscnt 0x701
	v_mul_f64_e32 v[53:54], v[15:16], v[47:48]
	v_mul_f64_e32 v[47:48], v[13:14], v[47:48]
	s_wait_loadcnt_dscnt 0x600
	v_mul_f64_e32 v[55:56], v[19:20], v[51:52]
	v_mul_f64_e32 v[51:52], v[17:18], v[51:52]
	s_delay_alu instid0(VALU_DEP_4) | instskip(NEXT) | instid1(VALU_DEP_4)
	v_fma_f64 v[53:54], v[13:14], v[45:46], -v[53:54]
	v_fma_f64 v[57:58], v[15:16], v[45:46], v[47:48]
	ds_load_b128 v[13:16], v61 offset:32
	ds_load_b128 v[45:48], v61 offset:48
	v_fma_f64 v[17:18], v[17:18], v[49:50], -v[55:56]
	v_fma_f64 v[19:20], v[19:20], v[49:50], v[51:52]
	s_wait_loadcnt_dscnt 0x501
	v_mul_f64_e32 v[59:60], v[23:24], v[15:16]
	v_mul_f64_e32 v[15:16], v[21:22], v[15:16]
	s_wait_loadcnt_dscnt 0x400
	v_mul_f64_e32 v[49:50], v[27:28], v[47:48]
	v_mul_f64_e32 v[47:48], v[25:26], v[47:48]
	v_add_f64_e32 v[1:2], v[1:2], v[53:54]
	v_add_f64_e32 v[3:4], v[3:4], v[57:58]
	v_fma_f64 v[21:22], v[21:22], v[13:14], -v[59:60]
	v_fma_f64 v[23:24], v[23:24], v[13:14], v[15:16]
	v_fma_f64 v[25:26], v[25:26], v[45:46], -v[49:50]
	v_fma_f64 v[27:28], v[27:28], v[45:46], v[47:48]
	v_add_f64_e32 v[17:18], v[1:2], v[17:18]
	v_add_f64_e32 v[19:20], v[3:4], v[19:20]
	ds_load_b128 v[1:4], v61 offset:64
	ds_load_b128 v[13:16], v61 offset:80
	s_wait_loadcnt_dscnt 0x301
	v_mul_f64_e32 v[51:52], v[31:32], v[3:4]
	v_mul_f64_e32 v[3:4], v[29:30], v[3:4]
	v_add_f64_e32 v[17:18], v[17:18], v[21:22]
	v_add_f64_e32 v[19:20], v[19:20], v[23:24]
	s_wait_loadcnt_dscnt 0x200
	v_mul_f64_e32 v[21:22], v[35:36], v[15:16]
	v_mul_f64_e32 v[23:24], v[33:34], v[15:16]
	v_fma_f64 v[29:30], v[29:30], v[1:2], -v[51:52]
	v_fma_f64 v[31:32], v[31:32], v[1:2], v[3:4]
	v_add_f64_e32 v[25:26], v[17:18], v[25:26]
	v_add_f64_e32 v[19:20], v[19:20], v[27:28]
	ds_load_b128 v[1:4], v61 offset:96
	ds_load_b128 v[15:18], v61 offset:112
	v_fma_f64 v[21:22], v[33:34], v[13:14], -v[21:22]
	v_fma_f64 v[13:14], v[35:36], v[13:14], v[23:24]
	s_wait_loadcnt_dscnt 0x101
	v_mul_f64_e32 v[27:28], v[39:40], v[3:4]
	v_mul_f64_e32 v[3:4], v[37:38], v[3:4]
	v_add_f64_e32 v[23:24], v[25:26], v[29:30]
	v_add_f64_e32 v[19:20], v[19:20], v[31:32]
	s_wait_loadcnt_dscnt 0x0
	v_mul_f64_e32 v[25:26], v[43:44], v[17:18]
	v_mul_f64_e32 v[17:18], v[41:42], v[17:18]
	v_fma_f64 v[27:28], v[37:38], v[1:2], -v[27:28]
	v_fma_f64 v[1:2], v[39:40], v[1:2], v[3:4]
	v_add_f64_e32 v[3:4], v[23:24], v[21:22]
	v_add_f64_e32 v[13:14], v[19:20], v[13:14]
	v_fma_f64 v[19:20], v[41:42], v[15:16], -v[25:26]
	v_fma_f64 v[15:16], v[43:44], v[15:16], v[17:18]
	s_delay_alu instid0(VALU_DEP_4) | instskip(NEXT) | instid1(VALU_DEP_4)
	v_add_f64_e32 v[3:4], v[3:4], v[27:28]
	v_add_f64_e32 v[13:14], v[13:14], v[1:2]
	s_delay_alu instid0(VALU_DEP_2) | instskip(NEXT) | instid1(VALU_DEP_2)
	v_add_f64_e32 v[1:2], v[3:4], v[19:20]
	v_add_f64_e32 v[3:4], v[13:14], v[15:16]
	s_cbranch_scc0 .LBB351_37
; %bb.38:                               ;   in Loop: Header=BB351_31 Depth=1
	s_mov_b32 s0, s2
.LBB351_39:                             ;   in Loop: Header=BB351_31 Depth=1
	s_and_not1_b32 vcc_lo, exec_lo, s19
	s_wait_alu 0xfffe
	s_cbranch_vccnz .LBB351_29
; %bb.40:                               ;   in Loop: Header=BB351_31 Depth=1
	s_lshl_b64 s[14:15], s[0:1], 4
	s_lshl_b32 s0, s0, 4
	s_wait_alu 0xfffe
	v_add_co_u32 v9, vcc_lo, v11, s14
	s_wait_alu 0xfffd
	v_add_co_ci_u32_e64 v10, null, s15, v12, vcc_lo
	s_mov_b64 s[14:15], 0
.LBB351_41:                             ;   Parent Loop BB351_31 Depth=1
                                        ; =>  This Inner Loop Header: Depth=2
	s_wait_alu 0xfffe
	v_add_co_u32 v13, vcc_lo, v9, s14
	s_wait_alu 0xfffd
	v_add_co_ci_u32_e64 v14, null, s15, v10, vcc_lo
	v_mov_b32_e32 v17, s0
	s_add_nc_u64 s[14:15], s[14:15], 16
	s_add_co_i32 s0, s0, 16
	flat_load_b128 v[13:16], v[13:14]
	s_wait_alu 0xfffe
	s_cmp_lg_u32 s20, s14
	ds_load_b128 v[17:20], v17
	s_wait_loadcnt_dscnt 0x0
	v_mul_f64_e32 v[21:22], v[15:16], v[19:20]
	v_mul_f64_e32 v[19:20], v[13:14], v[19:20]
	s_delay_alu instid0(VALU_DEP_2) | instskip(NEXT) | instid1(VALU_DEP_2)
	v_fma_f64 v[13:14], v[13:14], v[17:18], -v[21:22]
	v_fma_f64 v[15:16], v[15:16], v[17:18], v[19:20]
	s_delay_alu instid0(VALU_DEP_2) | instskip(NEXT) | instid1(VALU_DEP_2)
	v_add_f64_e32 v[1:2], v[1:2], v[13:14]
	v_add_f64_e32 v[3:4], v[3:4], v[15:16]
	s_cbranch_scc1 .LBB351_41
	s_branch .LBB351_29
.LBB351_42:
	s_endpgm
	.section	.rodata,"a",@progbits
	.p2align	6, 0x0
	.amdhsa_kernel _ZL22rocblas_gemvtsm_kernelILb0ELi256EPK19rocblas_complex_numIdES1_KPS1_EviiT2_lPKT1_lilS9_lilS6_lPT3_lil
		.amdhsa_group_segment_fixed_size 1024
		.amdhsa_private_segment_fixed_size 0
		.amdhsa_kernarg_size 152
		.amdhsa_user_sgpr_count 2
		.amdhsa_user_sgpr_dispatch_ptr 0
		.amdhsa_user_sgpr_queue_ptr 0
		.amdhsa_user_sgpr_kernarg_segment_ptr 1
		.amdhsa_user_sgpr_dispatch_id 0
		.amdhsa_user_sgpr_private_segment_size 0
		.amdhsa_wavefront_size32 1
		.amdhsa_uses_dynamic_stack 0
		.amdhsa_enable_private_segment 0
		.amdhsa_system_sgpr_workgroup_id_x 1
		.amdhsa_system_sgpr_workgroup_id_y 0
		.amdhsa_system_sgpr_workgroup_id_z 0
		.amdhsa_system_sgpr_workgroup_info 0
		.amdhsa_system_vgpr_workitem_id 0
		.amdhsa_next_free_vgpr 62
		.amdhsa_next_free_sgpr 26
		.amdhsa_reserve_vcc 1
		.amdhsa_float_round_mode_32 0
		.amdhsa_float_round_mode_16_64 0
		.amdhsa_float_denorm_mode_32 3
		.amdhsa_float_denorm_mode_16_64 3
		.amdhsa_fp16_overflow 0
		.amdhsa_workgroup_processor_mode 1
		.amdhsa_memory_ordered 1
		.amdhsa_forward_progress 1
		.amdhsa_inst_pref_size 17
		.amdhsa_round_robin_scheduling 0
		.amdhsa_exception_fp_ieee_invalid_op 0
		.amdhsa_exception_fp_denorm_src 0
		.amdhsa_exception_fp_ieee_div_zero 0
		.amdhsa_exception_fp_ieee_overflow 0
		.amdhsa_exception_fp_ieee_underflow 0
		.amdhsa_exception_fp_ieee_inexact 0
		.amdhsa_exception_int_div_zero 0
	.end_amdhsa_kernel
	.section	.text._ZL22rocblas_gemvtsm_kernelILb0ELi256EPK19rocblas_complex_numIdES1_KPS1_EviiT2_lPKT1_lilS9_lilS6_lPT3_lil,"axG",@progbits,_ZL22rocblas_gemvtsm_kernelILb0ELi256EPK19rocblas_complex_numIdES1_KPS1_EviiT2_lPKT1_lilS9_lilS6_lPT3_lil,comdat
.Lfunc_end351:
	.size	_ZL22rocblas_gemvtsm_kernelILb0ELi256EPK19rocblas_complex_numIdES1_KPS1_EviiT2_lPKT1_lilS9_lilS6_lPT3_lil, .Lfunc_end351-_ZL22rocblas_gemvtsm_kernelILb0ELi256EPK19rocblas_complex_numIdES1_KPS1_EviiT2_lPKT1_lilS9_lilS6_lPT3_lil
                                        ; -- End function
	.set _ZL22rocblas_gemvtsm_kernelILb0ELi256EPK19rocblas_complex_numIdES1_KPS1_EviiT2_lPKT1_lilS9_lilS6_lPT3_lil.num_vgpr, 62
	.set _ZL22rocblas_gemvtsm_kernelILb0ELi256EPK19rocblas_complex_numIdES1_KPS1_EviiT2_lPKT1_lilS9_lilS6_lPT3_lil.num_agpr, 0
	.set _ZL22rocblas_gemvtsm_kernelILb0ELi256EPK19rocblas_complex_numIdES1_KPS1_EviiT2_lPKT1_lilS9_lilS6_lPT3_lil.numbered_sgpr, 26
	.set _ZL22rocblas_gemvtsm_kernelILb0ELi256EPK19rocblas_complex_numIdES1_KPS1_EviiT2_lPKT1_lilS9_lilS6_lPT3_lil.num_named_barrier, 0
	.set _ZL22rocblas_gemvtsm_kernelILb0ELi256EPK19rocblas_complex_numIdES1_KPS1_EviiT2_lPKT1_lilS9_lilS6_lPT3_lil.private_seg_size, 0
	.set _ZL22rocblas_gemvtsm_kernelILb0ELi256EPK19rocblas_complex_numIdES1_KPS1_EviiT2_lPKT1_lilS9_lilS6_lPT3_lil.uses_vcc, 1
	.set _ZL22rocblas_gemvtsm_kernelILb0ELi256EPK19rocblas_complex_numIdES1_KPS1_EviiT2_lPKT1_lilS9_lilS6_lPT3_lil.uses_flat_scratch, 1
	.set _ZL22rocblas_gemvtsm_kernelILb0ELi256EPK19rocblas_complex_numIdES1_KPS1_EviiT2_lPKT1_lilS9_lilS6_lPT3_lil.has_dyn_sized_stack, 0
	.set _ZL22rocblas_gemvtsm_kernelILb0ELi256EPK19rocblas_complex_numIdES1_KPS1_EviiT2_lPKT1_lilS9_lilS6_lPT3_lil.has_recursion, 0
	.set _ZL22rocblas_gemvtsm_kernelILb0ELi256EPK19rocblas_complex_numIdES1_KPS1_EviiT2_lPKT1_lilS9_lilS6_lPT3_lil.has_indirect_call, 0
	.section	.AMDGPU.csdata,"",@progbits
; Kernel info:
; codeLenInByte = 2124
; TotalNumSgprs: 28
; NumVgprs: 62
; ScratchSize: 0
; MemoryBound: 0
; FloatMode: 240
; IeeeMode: 1
; LDSByteSize: 1024 bytes/workgroup (compile time only)
; SGPRBlocks: 0
; VGPRBlocks: 7
; NumSGPRsForWavesPerEU: 28
; NumVGPRsForWavesPerEU: 62
; Occupancy: 16
; WaveLimiterHint : 1
; COMPUTE_PGM_RSRC2:SCRATCH_EN: 0
; COMPUTE_PGM_RSRC2:USER_SGPR: 2
; COMPUTE_PGM_RSRC2:TRAP_HANDLER: 0
; COMPUTE_PGM_RSRC2:TGID_X_EN: 1
; COMPUTE_PGM_RSRC2:TGID_Y_EN: 0
; COMPUTE_PGM_RSRC2:TGID_Z_EN: 0
; COMPUTE_PGM_RSRC2:TIDIG_COMP_CNT: 0
	.section	.text._ZL23rocblas_gemvt_sn_kernelILb0ELi256ELi4EiPK19rocblas_complex_numIdES3_S1_EviiT4_lPKT3_lilS7_lilPT5_i,"axG",@progbits,_ZL23rocblas_gemvt_sn_kernelILb0ELi256ELi4EiPK19rocblas_complex_numIdES3_S1_EviiT4_lPKT3_lilS7_lilPT5_i,comdat
	.globl	_ZL23rocblas_gemvt_sn_kernelILb0ELi256ELi4EiPK19rocblas_complex_numIdES3_S1_EviiT4_lPKT3_lilS7_lilPT5_i ; -- Begin function _ZL23rocblas_gemvt_sn_kernelILb0ELi256ELi4EiPK19rocblas_complex_numIdES3_S1_EviiT4_lPKT3_lilS7_lilPT5_i
	.p2align	8
	.type	_ZL23rocblas_gemvt_sn_kernelILb0ELi256ELi4EiPK19rocblas_complex_numIdES3_S1_EviiT4_lPKT3_lilS7_lilPT5_i,@function
_ZL23rocblas_gemvt_sn_kernelILb0ELi256ELi4EiPK19rocblas_complex_numIdES3_S1_EviiT4_lPKT3_lilS7_lilPT5_i: ; @_ZL23rocblas_gemvt_sn_kernelILb0ELi256ELi4EiPK19rocblas_complex_numIdES3_S1_EviiT4_lPKT3_lilS7_lilPT5_i
; %bb.0:
	s_load_b32 s33, s[0:1], 0x60
	s_lshr_b32 s10, ttmp7, 16
	s_wait_kmcnt 0x0
	s_cmp_ge_u32 s10, s33
	s_cbranch_scc1 .LBB352_84
; %bb.1:
	s_clause 0x6
	s_load_b64 s[26:27], s[0:1], 0x0
	s_load_b256 s[12:19], s[0:1], 0x8
	s_load_b32 s28, s[0:1], 0x68
	s_load_b32 s52, s[0:1], 0x28
	s_load_b128 s[20:23], s[0:1], 0x38
	s_load_b32 s53, s[0:1], 0x48
	s_load_b64 s[30:31], s[0:1], 0x58
	v_cmp_eq_u32_e64 s0, 0, v0
	v_and_b32_e32 v1, 31, v0
	v_cmp_gt_u32_e64 s1, 32, v0
	v_cmp_gt_u32_e64 s2, 8, v0
	v_lshrrev_b32_e32 v2, 1, v0
	s_mov_b32 s35, 0
	v_cmp_eq_u32_e64 s3, 0, v1
	s_mov_b32 s29, s35
	v_lshlrev_b32_e32 v50, 4, v1
	v_and_b32_e32 v51, 0x70, v2
	v_mbcnt_lo_u32_b32 v54, -1, 0
	s_mov_b32 s24, ttmp9
	s_mov_b32 s25, s35
	s_wait_kmcnt 0x0
	s_ashr_i32 s5, s27, 31
	s_cmp_gt_i32 s27, 0
	s_mov_b32 s4, s27
	s_cselect_b32 s6, -1, 0
	s_lshl_b32 s7, ttmp9, 10
	s_mul_u64 s[36:37], s[4:5], s[28:29]
	v_lshl_or_b32 v0, v0, 2, s7
	s_lshr_b32 s4, s5, 30
	s_ashr_i32 s5, s26, 31
	s_add_co_i32 s4, s27, s4
	s_lshr_b32 s5, s5, 30
	v_mul_lo_u32 v24, s53, v0
	s_add_co_i32 s5, s26, s5
	s_and_b32 s55, s4, -4
	s_and_b32 s4, s5, -4
	v_ashrrev_i32_e32 v1, 31, v0
	s_sub_co_i32 s56, s26, s4
	v_add_nc_u32_e32 v3, 4, v0
	v_add_nc_u32_e32 v5, s56, v0
	;; [unrolled: 1-line block ×3, first 2 shown]
	s_and_b32 s54, s0, s6
	v_ashrrev_i32_e32 v25, 31, v24
	v_cmp_ge_i32_e64 s4, s26, v3
	v_cmp_ge_i32_e64 s5, s26, v5
	v_add_nc_u32_e32 v4, s53, v2
	v_ashrrev_i32_e32 v3, 31, v2
	v_lshlrev_b64_e32 v[26:27], 4, v[0:1]
	s_cmp_gt_i32 s55, 0
	v_lshlrev_b64_e32 v[28:29], 4, v[24:25]
	v_add_nc_u32_e32 v6, s53, v4
	v_ashrrev_i32_e32 v5, 31, v4
	s_cselect_b32 s57, -1, 0
	s_cmp_gt_i32 s56, 0
	v_lshlrev_b64_e32 v[30:31], 4, v[2:3]
	v_ashrrev_i32_e32 v7, 31, v6
	s_cselect_b32 s58, -1, 0
	s_lshl_b64 s[38:39], s[24:25], 4
	v_lshlrev_b64_e32 v[32:33], 4, v[4:5]
	v_or_b32_e32 v52, 8, v26
	v_lshlrev_b64_e32 v[34:35], 4, v[6:7]
	v_dual_mov_b32 v53, v27 :: v_dual_mov_b32 v0, 0
	v_lshl_or_b32 v25, v54, 2, 64
	s_add_nc_u64 s[6:7], s[30:31], s[38:39]
	s_mov_b32 s59, 16
	s_mov_b32 s60, 32
	s_mov_b32 s26, 48
	s_or_b32 s61, 0, 8
	s_and_b32 s25, s58, s5
	s_wait_alu 0xfffe
	s_add_nc_u64 s[40:41], s[6:7], 8
	s_lshl_b64 s[42:43], s[36:37], 4
	s_lshl_b64 s[44:45], s[28:29], 4
	s_lshl_b32 s62, s52, 2
	s_lshl_b32 s63, s52, 1
	s_mul_i32 s64, s52, 3
	s_lshl_b64 s[18:19], s[18:19], 4
	s_lshl_b64 s[22:23], s[22:23], 4
	s_branch .LBB352_3
.LBB352_2:                              ;   in Loop: Header=BB352_3 Depth=1
	s_add_co_i32 s10, s10, 0x10000
	s_delay_alu instid0(SALU_CYCLE_1)
	s_cmp_lt_u32 s10, s33
	s_cbranch_scc0 .LBB352_84
.LBB352_3:                              ; =>This Loop Header: Depth=1
                                        ;     Child Loop BB352_11 Depth 2
                                        ;     Child Loop BB352_16 Depth 2
                                        ;       Child Loop BB352_47 Depth 3
                                        ;       Child Loop BB352_49 Depth 3
                                        ;     Child Loop BB352_65 Depth 2
                                        ;       Child Loop BB352_77 Depth 3
                                        ;       Child Loop BB352_79 Depth 3
	s_mov_b32 s11, s35
	v_mov_b32_e32 v36, 0
	s_mul_u64 s[6:7], s[14:15], s[10:11]
	v_dual_mov_b32 v37, 0 :: v_dual_mov_b32 v38, 0
	s_wait_alu 0xfffe
	s_lshl_b64 s[6:7], s[6:7], 4
	v_mov_b32_e32 v39, 0
	s_wait_alu 0xfffe
	s_add_nc_u64 s[6:7], s[12:13], s[6:7]
	global_load_b128 v[4:7], v0, s[6:7]
	s_wait_loadcnt 0x0
	v_cmp_neq_f64_e32 vcc_lo, 0, v[4:5]
	v_cmp_neq_f64_e64 s6, 0, v[6:7]
	s_wait_alu 0xfffe
	s_or_b32 s7, vcc_lo, s6
	s_wait_alu 0xfffe
	s_xor_b32 s6, s7, -1
	s_wait_alu 0xfffe
	s_and_b32 vcc_lo, exec_lo, s6
	s_wait_alu 0xfffe
	s_cbranch_vccz .LBB352_7
; %bb.4:                                ;   in Loop: Header=BB352_3 Depth=1
	s_and_not1_b32 vcc_lo, exec_lo, s7
	s_wait_alu 0xfffe
	s_cbranch_vccz .LBB352_8
.LBB352_5:                              ;   in Loop: Header=BB352_3 Depth=1
	s_and_not1_b32 vcc_lo, exec_lo, s6
	s_mov_b32 s6, -1
	s_wait_alu 0xfffe
	s_cbranch_vccz .LBB352_9
.LBB352_6:                              ;   in Loop: Header=BB352_3 Depth=1
	s_wait_alu 0xfffe
	s_and_not1_b32 vcc_lo, exec_lo, s6
	s_wait_alu 0xfffe
	s_cbranch_vccnz .LBB352_2
	s_branch .LBB352_13
.LBB352_7:                              ;   in Loop: Header=BB352_3 Depth=1
	s_lshl_b64 s[8:9], s[10:11], 3
	s_wait_alu 0xfffe
	s_add_nc_u64 s[8:9], s[16:17], s[8:9]
	global_load_b64 v[1:2], v0, s[8:9]
	s_wait_loadcnt 0x0
	v_add_co_u32 v38, vcc_lo, v1, s18
	s_wait_alu 0xfffd
	v_add_co_ci_u32_e64 v39, null, s19, v2, vcc_lo
	s_and_not1_b32 vcc_lo, exec_lo, s7
	s_wait_alu 0xfffe
	s_cbranch_vccnz .LBB352_5
.LBB352_8:                              ;   in Loop: Header=BB352_3 Depth=1
	s_lshl_b64 s[8:9], s[10:11], 3
	s_wait_alu 0xfffe
	s_add_nc_u64 s[8:9], s[20:21], s[8:9]
	global_load_b64 v[1:2], v0, s[8:9]
	s_wait_loadcnt 0x0
	v_add_co_u32 v36, vcc_lo, v1, s22
	s_wait_alu 0xfffd
	v_add_co_ci_u32_e64 v37, null, s23, v2, vcc_lo
	s_and_not1_b32 vcc_lo, exec_lo, s6
	s_mov_b32 s6, -1
	s_wait_alu 0xfffe
	s_cbranch_vccnz .LBB352_6
.LBB352_9:                              ;   in Loop: Header=BB352_3 Depth=1
	s_and_saveexec_b32 s8, s54
	s_cbranch_execz .LBB352_12
; %bb.10:                               ;   in Loop: Header=BB352_3 Depth=1
	s_mul_u64 s[6:7], s[42:43], s[10:11]
	s_mov_b32 s9, s27
	s_wait_alu 0xfffe
	s_add_nc_u64 s[6:7], s[40:41], s[6:7]
.LBB352_11:                             ;   Parent Loop BB352_3 Depth=1
                                        ; =>  This Inner Loop Header: Depth=2
	v_dual_mov_b32 v1, v0 :: v_dual_mov_b32 v2, v0
	v_mov_b32_e32 v3, v0
	s_add_co_i32 s9, s9, -1
	s_wait_alu 0xfffe
	s_cmp_eq_u32 s9, 0
	global_store_b128 v0, v[0:3], s[6:7] offset:-8
	s_add_nc_u64 s[6:7], s[6:7], s[44:45]
	s_cbranch_scc0 .LBB352_11
.LBB352_12:                             ;   in Loop: Header=BB352_3 Depth=1
	s_wait_alu 0xfffe
	s_or_b32 exec_lo, exec_lo, s8
	s_cbranch_execnz .LBB352_2
.LBB352_13:                             ;   in Loop: Header=BB352_3 Depth=1
	v_add_co_u32 v55, vcc_lo, v38, v26
	s_mul_u64 s[46:47], s[36:37], s[10:11]
	s_wait_alu 0xfffd
	v_add_co_ci_u32_e64 v56, null, v39, v27, vcc_lo
	v_cmp_gt_u32_e64 s9, 24, v54
	v_cmp_gt_u32_e64 s8, 28, v54
	;; [unrolled: 1-line block ×3, first 2 shown]
	v_cmp_ne_u32_e64 s6, 31, v54
	s_wait_alu 0xfffe
	s_lshl_b64 s[46:47], s[46:47], 4
	s_and_not1_b32 vcc_lo, exec_lo, s57
	s_wait_alu 0xfffe
	s_add_nc_u64 s[46:47], s[30:31], s[46:47]
	s_cbranch_vccnz .LBB352_61
; %bb.14:                               ;   in Loop: Header=BB352_3 Depth=1
	v_add_co_u32 v40, vcc_lo, v36, v28
	s_wait_alu 0xfffd
	v_add_co_ci_u32_e64 v41, null, v37, v29, vcc_lo
	v_add_co_u32 v42, vcc_lo, v36, v30
	s_wait_alu 0xfffd
	v_add_co_ci_u32_e64 v43, null, v37, v31, vcc_lo
	v_add_co_u32 v44, vcc_lo, v36, v32
	v_cndmask_b32_e64 v1, 0, 8, s9
	v_cndmask_b32_e64 v2, 0, 4, s8
	;; [unrolled: 1-line block ×3, first 2 shown]
	s_wait_dscnt 0x0
	v_add_co_ci_u32_e64 v8, null, 0, v54, s6
	s_wait_alu 0xfffd
	v_add_co_ci_u32_e64 v45, null, v37, v33, vcc_lo
	v_add_co_u32 v46, vcc_lo, v36, v34
	s_wait_alu 0xfffd
	v_add_co_ci_u32_e64 v47, null, v37, v35, vcc_lo
	v_add_co_u32 v61, vcc_lo, v38, v52
	v_add_lshl_u32 v57, v1, v54, 2
	v_add_lshl_u32 v58, v2, v54, 2
	;; [unrolled: 1-line block ×3, first 2 shown]
	v_lshlrev_b32_e32 v60, 2, v8
	s_wait_alu 0xfffd
	v_add_co_ci_u32_e64 v62, null, v39, v53, vcc_lo
	s_mov_b32 s6, 0
	s_mov_b32 s65, s64
	;; [unrolled: 1-line block ×5, first 2 shown]
	s_branch .LBB352_16
.LBB352_15:                             ;   in Loop: Header=BB352_16 Depth=2
	s_wait_alu 0xfffe
	s_or_b32 exec_lo, exec_lo, s7
	s_add_co_i32 s11, s11, 4
	s_add_co_i32 s67, s67, s62
	;; [unrolled: 1-line block ×5, first 2 shown]
	s_cmp_ge_i32 s11, s55
	s_cbranch_scc1 .LBB352_62
.LBB352_16:                             ;   Parent Loop BB352_3 Depth=1
                                        ; =>  This Loop Header: Depth=2
                                        ;       Child Loop BB352_47 Depth 3
                                        ;       Child Loop BB352_49 Depth 3
                                        ; implicit-def: $vgpr20_vgpr21
                                        ; implicit-def: $vgpr22_vgpr23
                                        ; implicit-def: $vgpr16_vgpr17
                                        ; implicit-def: $vgpr18_vgpr19
                                        ; implicit-def: $vgpr12_vgpr13
                                        ; implicit-def: $vgpr14_vgpr15
                                        ; implicit-def: $vgpr10_vgpr11
                                        ; implicit-def: $vgpr8_vgpr9
	s_and_saveexec_b32 s7, s4
	s_wait_alu 0xfffe
	s_xor_b32 s7, exec_lo, s7
	s_cbranch_execnz .LBB352_43
; %bb.17:                               ;   in Loop: Header=BB352_16 Depth=2
	s_wait_alu 0xfffe
	s_and_not1_saveexec_b32 s34, s7
	s_cbranch_execnz .LBB352_44
.LBB352_18:                             ;   in Loop: Header=BB352_16 Depth=2
	s_or_b32 exec_lo, exec_lo, s34
	s_and_saveexec_b32 s7, s1
.LBB352_19:                             ;   in Loop: Header=BB352_16 Depth=2
	v_dual_mov_b32 v1, v0 :: v_dual_mov_b32 v2, v0
	v_mov_b32_e32 v3, v0
	ds_store_b128 v50, v[0:3]
.LBB352_20:                             ;   in Loop: Header=BB352_16 Depth=2
	s_wait_alu 0xfffe
	s_or_b32 exec_lo, exec_lo, s7
	ds_bpermute_b32 v1, v25, v10
	ds_bpermute_b32 v2, v25, v11
	ds_bpermute_b32 v48, v25, v8
	ds_bpermute_b32 v49, v25, v9
	s_wait_storecnt_dscnt 0x0
	s_barrier_signal -1
	s_barrier_wait -1
	global_inv scope:SCOPE_SE
	v_add_f64_e32 v[1:2], v[10:11], v[1:2]
	v_add_f64_e32 v[8:9], v[8:9], v[48:49]
	ds_bpermute_b32 v10, v57, v1
	ds_bpermute_b32 v11, v57, v2
	ds_bpermute_b32 v48, v57, v8
	ds_bpermute_b32 v49, v57, v9
	s_wait_dscnt 0x2
	v_add_f64_e32 v[1:2], v[1:2], v[10:11]
	s_wait_dscnt 0x0
	v_add_f64_e32 v[8:9], v[8:9], v[48:49]
	ds_bpermute_b32 v10, v58, v1
	ds_bpermute_b32 v11, v58, v2
	ds_bpermute_b32 v48, v58, v8
	ds_bpermute_b32 v49, v58, v9
	s_wait_dscnt 0x2
	v_add_f64_e32 v[1:2], v[1:2], v[10:11]
	s_wait_dscnt 0x0
	;; [unrolled: 8-line block ×3, first 2 shown]
	v_add_f64_e32 v[10:11], v[8:9], v[48:49]
	ds_bpermute_b32 v8, v60, v1
	ds_bpermute_b32 v9, v60, v2
	;; [unrolled: 1-line block ×4, first 2 shown]
	s_and_saveexec_b32 s7, s3
	s_cbranch_execz .LBB352_22
; %bb.21:                               ;   in Loop: Header=BB352_16 Depth=2
	s_wait_dscnt 0x0
	v_add_f64_e32 v[10:11], v[10:11], v[48:49]
	v_add_f64_e32 v[8:9], v[1:2], v[8:9]
	ds_store_b128 v51, v[8:11]
.LBB352_22:                             ;   in Loop: Header=BB352_16 Depth=2
	s_wait_alu 0xfffe
	s_or_b32 exec_lo, exec_lo, s7
	v_mov_b32_e32 v10, 0
	s_wait_dscnt 0x2
	v_dual_mov_b32 v11, 0 :: v_dual_mov_b32 v8, 0
	v_mov_b32_e32 v9, 0
	s_wait_loadcnt_dscnt 0x0
	s_barrier_signal -1
	s_barrier_wait -1
	global_inv scope:SCOPE_SE
	s_and_saveexec_b32 s7, s2
	s_cbranch_execnz .LBB352_50
; %bb.23:                               ;   in Loop: Header=BB352_16 Depth=2
	s_wait_alu 0xfffe
	s_or_b32 exec_lo, exec_lo, s7
	s_and_saveexec_b32 s7, s1
	s_cbranch_execnz .LBB352_51
.LBB352_24:                             ;   in Loop: Header=BB352_16 Depth=2
	s_wait_alu 0xfffe
	s_or_b32 exec_lo, exec_lo, s7
	s_and_saveexec_b32 s7, s1
.LBB352_25:                             ;   in Loop: Header=BB352_16 Depth=2
	v_dual_mov_b32 v1, v0 :: v_dual_mov_b32 v2, v0
	v_mov_b32_e32 v3, v0
	ds_store_b128 v50, v[0:3]
.LBB352_26:                             ;   in Loop: Header=BB352_16 Depth=2
	s_wait_alu 0xfffe
	s_or_b32 exec_lo, exec_lo, s7
	ds_bpermute_b32 v1, v25, v12
	ds_bpermute_b32 v2, v25, v13
	;; [unrolled: 1-line block ×4, first 2 shown]
	s_wait_loadcnt_dscnt 0x0
	s_barrier_signal -1
	s_barrier_wait -1
	global_inv scope:SCOPE_SE
	v_add_f64_e32 v[1:2], v[12:13], v[1:2]
	v_add_f64_e32 v[12:13], v[14:15], v[48:49]
	ds_bpermute_b32 v14, v57, v1
	ds_bpermute_b32 v15, v57, v2
	ds_bpermute_b32 v48, v57, v12
	ds_bpermute_b32 v49, v57, v13
	s_wait_dscnt 0x2
	v_add_f64_e32 v[1:2], v[1:2], v[14:15]
	s_wait_dscnt 0x0
	v_add_f64_e32 v[12:13], v[12:13], v[48:49]
	ds_bpermute_b32 v14, v58, v1
	ds_bpermute_b32 v15, v58, v2
	ds_bpermute_b32 v48, v58, v12
	ds_bpermute_b32 v49, v58, v13
	s_wait_dscnt 0x2
	v_add_f64_e32 v[1:2], v[1:2], v[14:15]
	s_wait_dscnt 0x0
	;; [unrolled: 8-line block ×3, first 2 shown]
	v_add_f64_e32 v[14:15], v[12:13], v[48:49]
	ds_bpermute_b32 v12, v60, v1
	ds_bpermute_b32 v13, v60, v2
	;; [unrolled: 1-line block ×4, first 2 shown]
	s_and_saveexec_b32 s7, s3
	s_cbranch_execz .LBB352_28
; %bb.27:                               ;   in Loop: Header=BB352_16 Depth=2
	s_wait_dscnt 0x0
	v_add_f64_e32 v[14:15], v[14:15], v[48:49]
	v_add_f64_e32 v[12:13], v[1:2], v[12:13]
	ds_store_b128 v51, v[12:15]
.LBB352_28:                             ;   in Loop: Header=BB352_16 Depth=2
	s_wait_alu 0xfffe
	s_or_b32 exec_lo, exec_lo, s7
	v_mov_b32_e32 v14, 0
	s_wait_dscnt 0x2
	v_dual_mov_b32 v15, 0 :: v_dual_mov_b32 v12, 0
	v_mov_b32_e32 v13, 0
	s_wait_loadcnt_dscnt 0x0
	s_barrier_signal -1
	s_barrier_wait -1
	global_inv scope:SCOPE_SE
	s_and_saveexec_b32 s7, s2
	s_cbranch_execnz .LBB352_52
; %bb.29:                               ;   in Loop: Header=BB352_16 Depth=2
	s_wait_alu 0xfffe
	s_or_b32 exec_lo, exec_lo, s7
	s_and_saveexec_b32 s7, s1
	s_cbranch_execnz .LBB352_53
.LBB352_30:                             ;   in Loop: Header=BB352_16 Depth=2
	s_wait_alu 0xfffe
	s_or_b32 exec_lo, exec_lo, s7
	s_and_saveexec_b32 s7, s1
.LBB352_31:                             ;   in Loop: Header=BB352_16 Depth=2
	v_dual_mov_b32 v1, v0 :: v_dual_mov_b32 v2, v0
	v_mov_b32_e32 v3, v0
	ds_store_b128 v50, v[0:3]
.LBB352_32:                             ;   in Loop: Header=BB352_16 Depth=2
	s_wait_alu 0xfffe
	s_or_b32 exec_lo, exec_lo, s7
	ds_bpermute_b32 v1, v25, v16
	ds_bpermute_b32 v2, v25, v17
	;; [unrolled: 1-line block ×4, first 2 shown]
	s_wait_loadcnt_dscnt 0x0
	s_barrier_signal -1
	s_barrier_wait -1
	global_inv scope:SCOPE_SE
	v_add_f64_e32 v[1:2], v[16:17], v[1:2]
	v_add_f64_e32 v[16:17], v[18:19], v[48:49]
	ds_bpermute_b32 v18, v57, v1
	ds_bpermute_b32 v19, v57, v2
	ds_bpermute_b32 v48, v57, v16
	ds_bpermute_b32 v49, v57, v17
	s_wait_dscnt 0x2
	v_add_f64_e32 v[1:2], v[1:2], v[18:19]
	s_wait_dscnt 0x0
	v_add_f64_e32 v[16:17], v[16:17], v[48:49]
	ds_bpermute_b32 v18, v58, v1
	ds_bpermute_b32 v19, v58, v2
	ds_bpermute_b32 v48, v58, v16
	ds_bpermute_b32 v49, v58, v17
	s_wait_dscnt 0x2
	v_add_f64_e32 v[1:2], v[1:2], v[18:19]
	s_wait_dscnt 0x0
	;; [unrolled: 8-line block ×3, first 2 shown]
	v_add_f64_e32 v[18:19], v[16:17], v[48:49]
	ds_bpermute_b32 v16, v60, v1
	ds_bpermute_b32 v17, v60, v2
	;; [unrolled: 1-line block ×4, first 2 shown]
	s_and_saveexec_b32 s7, s3
	s_cbranch_execz .LBB352_34
; %bb.33:                               ;   in Loop: Header=BB352_16 Depth=2
	s_wait_dscnt 0x0
	v_add_f64_e32 v[18:19], v[18:19], v[48:49]
	v_add_f64_e32 v[16:17], v[1:2], v[16:17]
	ds_store_b128 v51, v[16:19]
.LBB352_34:                             ;   in Loop: Header=BB352_16 Depth=2
	s_wait_alu 0xfffe
	s_or_b32 exec_lo, exec_lo, s7
	v_mov_b32_e32 v18, 0
	s_wait_dscnt 0x2
	v_dual_mov_b32 v19, 0 :: v_dual_mov_b32 v16, 0
	v_mov_b32_e32 v17, 0
	s_wait_loadcnt_dscnt 0x0
	s_barrier_signal -1
	s_barrier_wait -1
	global_inv scope:SCOPE_SE
	s_and_saveexec_b32 s7, s2
	s_cbranch_execnz .LBB352_54
; %bb.35:                               ;   in Loop: Header=BB352_16 Depth=2
	s_wait_alu 0xfffe
	s_or_b32 exec_lo, exec_lo, s7
	s_and_saveexec_b32 s7, s1
	s_cbranch_execnz .LBB352_55
.LBB352_36:                             ;   in Loop: Header=BB352_16 Depth=2
	s_wait_alu 0xfffe
	s_or_b32 exec_lo, exec_lo, s7
	s_and_saveexec_b32 s7, s1
.LBB352_37:                             ;   in Loop: Header=BB352_16 Depth=2
	v_dual_mov_b32 v1, v0 :: v_dual_mov_b32 v2, v0
	v_mov_b32_e32 v3, v0
	ds_store_b128 v50, v[0:3]
.LBB352_38:                             ;   in Loop: Header=BB352_16 Depth=2
	s_wait_alu 0xfffe
	s_or_b32 exec_lo, exec_lo, s7
	ds_bpermute_b32 v1, v25, v20
	ds_bpermute_b32 v2, v25, v21
	;; [unrolled: 1-line block ×4, first 2 shown]
	s_wait_loadcnt_dscnt 0x0
	s_barrier_signal -1
	s_barrier_wait -1
	global_inv scope:SCOPE_SE
	v_add_f64_e32 v[1:2], v[20:21], v[1:2]
	v_add_f64_e32 v[20:21], v[22:23], v[48:49]
	ds_bpermute_b32 v22, v57, v1
	ds_bpermute_b32 v23, v57, v2
	ds_bpermute_b32 v48, v57, v20
	ds_bpermute_b32 v49, v57, v21
	s_wait_dscnt 0x2
	v_add_f64_e32 v[1:2], v[1:2], v[22:23]
	s_wait_dscnt 0x0
	v_add_f64_e32 v[20:21], v[20:21], v[48:49]
	ds_bpermute_b32 v22, v58, v1
	ds_bpermute_b32 v23, v58, v2
	ds_bpermute_b32 v48, v58, v20
	ds_bpermute_b32 v49, v58, v21
	s_wait_dscnt 0x2
	v_add_f64_e32 v[1:2], v[1:2], v[22:23]
	s_wait_dscnt 0x0
	;; [unrolled: 8-line block ×3, first 2 shown]
	v_add_f64_e32 v[22:23], v[20:21], v[48:49]
	ds_bpermute_b32 v20, v60, v1
	ds_bpermute_b32 v21, v60, v2
	;; [unrolled: 1-line block ×4, first 2 shown]
	s_and_saveexec_b32 s7, s3
	s_cbranch_execz .LBB352_40
; %bb.39:                               ;   in Loop: Header=BB352_16 Depth=2
	s_wait_dscnt 0x0
	v_add_f64_e32 v[22:23], v[22:23], v[48:49]
	v_add_f64_e32 v[20:21], v[1:2], v[20:21]
	ds_store_b128 v51, v[20:23]
.LBB352_40:                             ;   in Loop: Header=BB352_16 Depth=2
	s_wait_alu 0xfffe
	s_or_b32 exec_lo, exec_lo, s7
	v_mov_b32_e32 v22, 0
	s_wait_dscnt 0x2
	v_dual_mov_b32 v23, 0 :: v_dual_mov_b32 v20, 0
	v_mov_b32_e32 v21, 0
	s_wait_loadcnt_dscnt 0x0
	s_barrier_signal -1
	s_barrier_wait -1
	global_inv scope:SCOPE_SE
	s_and_saveexec_b32 s7, s2
	s_cbranch_execnz .LBB352_56
; %bb.41:                               ;   in Loop: Header=BB352_16 Depth=2
	s_wait_alu 0xfffe
	s_or_b32 exec_lo, exec_lo, s7
	s_and_saveexec_b32 s7, s1
	s_cbranch_execnz .LBB352_57
.LBB352_42:                             ;   in Loop: Header=BB352_16 Depth=2
	s_wait_alu 0xfffe
	s_or_b32 exec_lo, exec_lo, s7
	s_and_saveexec_b32 s7, s0
	s_cbranch_execz .LBB352_15
	s_branch .LBB352_58
.LBB352_43:                             ;   in Loop: Header=BB352_16 Depth=2
	s_clause 0x1
	flat_load_b128 v[8:11], v[40:41]
	flat_load_b128 v[12:15], v[42:43]
	s_mul_i32 s8, s11, s52
	s_wait_alu 0xfffe
	s_ashr_i32 s9, s8, 31
	s_wait_alu 0xfffe
	s_lshl_b64 s[48:49], s[8:9], 4
	s_add_co_i32 s8, s8, s52
	s_wait_alu 0xfffe
	v_add_co_u32 v1, vcc_lo, v55, s48
	s_wait_alu 0xfffd
	v_add_co_ci_u32_e64 v2, null, s49, v56, vcc_lo
	s_ashr_i32 s9, s8, 31
	s_wait_alu 0xfffe
	s_lshl_b64 s[48:49], s[8:9], 4
	s_add_co_i32 s8, s8, s52
	s_wait_alu 0xfffe
	v_add_co_u32 v48, vcc_lo, v55, s48
	s_wait_alu 0xfffd
	v_add_co_ci_u32_e64 v49, null, s49, v56, vcc_lo
	;; [unrolled: 8-line block ×3, first 2 shown]
	s_ashr_i32 s9, s8, 31
	s_wait_alu 0xfffe
	s_lshl_b64 s[8:9], s[8:9], 4
	s_wait_alu 0xfffe
	v_add_co_u32 v69, vcc_lo, v55, s8
	s_wait_alu 0xfffd
	v_add_co_ci_u32_e64 v70, null, s9, v56, vcc_lo
	s_wait_loadcnt_dscnt 0x101
	scratch_store_b128 off, v[8:11], off
	s_wait_loadcnt_dscnt 0x0
	scratch_store_b128 off, v[12:15], s59
	flat_load_b128 v[12:15], v[44:45]
	s_wait_loadcnt_dscnt 0x0
	scratch_store_b128 off, v[12:15], s60
	flat_load_b128 v[12:15], v[46:47]
	;; [unrolled: 3-line block ×3, first 2 shown]
	s_wait_loadcnt_dscnt 0x0
	v_mul_f64_e32 v[16:17], v[10:11], v[14:15]
	v_mul_f64_e32 v[14:15], v[8:9], v[14:15]
	s_delay_alu instid0(VALU_DEP_2) | instskip(NEXT) | instid1(VALU_DEP_2)
	v_fma_f64 v[16:17], v[8:9], v[12:13], -v[16:17]
	v_fma_f64 v[12:13], v[10:11], v[12:13], v[14:15]
	s_delay_alu instid0(VALU_DEP_2) | instskip(NEXT) | instid1(VALU_DEP_2)
	v_add_f64_e32 v[16:17], 0, v[16:17]
	v_add_f64_e32 v[18:19], 0, v[12:13]
	flat_load_b128 v[12:15], v[48:49]
	s_wait_loadcnt_dscnt 0x0
	v_mul_f64_e32 v[20:21], v[10:11], v[14:15]
	v_mul_f64_e32 v[14:15], v[8:9], v[14:15]
	s_delay_alu instid0(VALU_DEP_2) | instskip(NEXT) | instid1(VALU_DEP_2)
	v_fma_f64 v[20:21], v[8:9], v[12:13], -v[20:21]
	v_fma_f64 v[12:13], v[10:11], v[12:13], v[14:15]
	s_delay_alu instid0(VALU_DEP_2) | instskip(NEXT) | instid1(VALU_DEP_2)
	v_add_f64_e32 v[20:21], 0, v[20:21]
	v_add_f64_e32 v[22:23], 0, v[12:13]
	flat_load_b128 v[12:15], v[63:64]
	;; [unrolled: 10-line block ×3, first 2 shown]
	s_wait_loadcnt_dscnt 0x0
	v_mul_f64_e32 v[71:72], v[10:11], v[14:15]
	s_delay_alu instid0(VALU_DEP_1) | instskip(SKIP_1) | instid1(VALU_DEP_2)
	v_fma_f64 v[71:72], v[8:9], v[12:13], -v[71:72]
	v_mul_f64_e32 v[8:9], v[8:9], v[14:15]
	v_add_f64_e32 v[71:72], 0, v[71:72]
	s_delay_alu instid0(VALU_DEP_2) | instskip(NEXT) | instid1(VALU_DEP_1)
	v_fma_f64 v[8:9], v[10:11], v[12:13], v[8:9]
	v_add_f64_e32 v[73:74], 0, v[8:9]
	scratch_load_b128 v[8:11], off, off offset:16
	flat_load_b128 v[12:15], v[1:2] offset:16
	s_wait_loadcnt_dscnt 0x0
	v_mul_f64_e32 v[75:76], v[10:11], v[14:15]
	v_mul_f64_e32 v[14:15], v[8:9], v[14:15]
	s_delay_alu instid0(VALU_DEP_2) | instskip(NEXT) | instid1(VALU_DEP_2)
	v_fma_f64 v[75:76], v[8:9], v[12:13], -v[75:76]
	v_fma_f64 v[12:13], v[10:11], v[12:13], v[14:15]
	s_delay_alu instid0(VALU_DEP_2) | instskip(NEXT) | instid1(VALU_DEP_2)
	v_add_f64_e32 v[16:17], v[16:17], v[75:76]
	v_add_f64_e32 v[18:19], v[18:19], v[12:13]
	flat_load_b128 v[12:15], v[48:49] offset:16
	s_wait_loadcnt_dscnt 0x0
	v_mul_f64_e32 v[75:76], v[10:11], v[14:15]
	v_mul_f64_e32 v[14:15], v[8:9], v[14:15]
	s_delay_alu instid0(VALU_DEP_2) | instskip(NEXT) | instid1(VALU_DEP_2)
	v_fma_f64 v[75:76], v[8:9], v[12:13], -v[75:76]
	v_fma_f64 v[12:13], v[10:11], v[12:13], v[14:15]
	s_delay_alu instid0(VALU_DEP_2) | instskip(NEXT) | instid1(VALU_DEP_2)
	v_add_f64_e32 v[20:21], v[20:21], v[75:76]
	v_add_f64_e32 v[22:23], v[22:23], v[12:13]
	;; [unrolled: 10-line block ×3, first 2 shown]
	flat_load_b128 v[12:15], v[69:70] offset:16
	s_wait_loadcnt_dscnt 0x0
	v_mul_f64_e32 v[75:76], v[10:11], v[14:15]
	s_delay_alu instid0(VALU_DEP_1) | instskip(SKIP_1) | instid1(VALU_DEP_2)
	v_fma_f64 v[75:76], v[8:9], v[12:13], -v[75:76]
	v_mul_f64_e32 v[8:9], v[8:9], v[14:15]
	v_add_f64_e32 v[71:72], v[71:72], v[75:76]
	s_delay_alu instid0(VALU_DEP_2) | instskip(NEXT) | instid1(VALU_DEP_1)
	v_fma_f64 v[8:9], v[10:11], v[12:13], v[8:9]
	v_add_f64_e32 v[73:74], v[73:74], v[8:9]
	scratch_load_b128 v[8:11], off, off offset:32
	flat_load_b128 v[12:15], v[1:2] offset:32
	s_wait_loadcnt_dscnt 0x0
	v_mul_f64_e32 v[75:76], v[10:11], v[14:15]
	v_mul_f64_e32 v[14:15], v[8:9], v[14:15]
	s_delay_alu instid0(VALU_DEP_2) | instskip(NEXT) | instid1(VALU_DEP_2)
	v_fma_f64 v[75:76], v[8:9], v[12:13], -v[75:76]
	v_fma_f64 v[12:13], v[10:11], v[12:13], v[14:15]
	s_delay_alu instid0(VALU_DEP_2) | instskip(NEXT) | instid1(VALU_DEP_2)
	v_add_f64_e32 v[16:17], v[16:17], v[75:76]
	v_add_f64_e32 v[18:19], v[18:19], v[12:13]
	flat_load_b128 v[12:15], v[48:49] offset:32
	s_wait_loadcnt_dscnt 0x0
	v_mul_f64_e32 v[75:76], v[10:11], v[14:15]
	v_mul_f64_e32 v[14:15], v[8:9], v[14:15]
	s_delay_alu instid0(VALU_DEP_2) | instskip(NEXT) | instid1(VALU_DEP_2)
	v_fma_f64 v[75:76], v[8:9], v[12:13], -v[75:76]
	v_fma_f64 v[12:13], v[10:11], v[12:13], v[14:15]
	s_delay_alu instid0(VALU_DEP_2) | instskip(NEXT) | instid1(VALU_DEP_2)
	v_add_f64_e32 v[75:76], v[20:21], v[75:76]
	v_add_f64_e32 v[77:78], v[22:23], v[12:13]
	;; [unrolled: 10-line block ×3, first 2 shown]
	flat_load_b128 v[12:15], v[69:70] offset:32
	s_wait_loadcnt_dscnt 0x0
	v_mul_f64_e32 v[20:21], v[10:11], v[14:15]
	s_delay_alu instid0(VALU_DEP_1) | instskip(SKIP_1) | instid1(VALU_DEP_2)
	v_fma_f64 v[20:21], v[8:9], v[12:13], -v[20:21]
	v_mul_f64_e32 v[8:9], v[8:9], v[14:15]
	v_add_f64_e32 v[71:72], v[71:72], v[20:21]
	s_delay_alu instid0(VALU_DEP_2) | instskip(NEXT) | instid1(VALU_DEP_1)
	v_fma_f64 v[8:9], v[10:11], v[12:13], v[8:9]
	v_add_f64_e32 v[73:74], v[73:74], v[8:9]
	scratch_load_b128 v[20:23], off, off offset:48
	s_clause 0x1
	flat_load_b128 v[8:11], v[1:2] offset:48
	flat_load_b128 v[12:15], v[48:49] offset:48
	s_wait_loadcnt_dscnt 0x101
	v_mul_f64_e32 v[1:2], v[22:23], v[10:11]
	v_mul_f64_e32 v[10:11], v[20:21], v[10:11]
	s_delay_alu instid0(VALU_DEP_2) | instskip(NEXT) | instid1(VALU_DEP_2)
	v_fma_f64 v[1:2], v[20:21], v[8:9], -v[1:2]
	v_fma_f64 v[8:9], v[22:23], v[8:9], v[10:11]
	s_delay_alu instid0(VALU_DEP_2) | instskip(NEXT) | instid1(VALU_DEP_2)
	v_add_f64_e32 v[10:11], v[16:17], v[1:2]
	v_add_f64_e32 v[8:9], v[18:19], v[8:9]
	flat_load_b128 v[16:19], v[63:64] offset:48
	s_wait_loadcnt_dscnt 0x101
	v_mul_f64_e32 v[1:2], v[22:23], v[14:15]
	v_mul_f64_e32 v[14:15], v[20:21], v[14:15]
	s_delay_alu instid0(VALU_DEP_2) | instskip(NEXT) | instid1(VALU_DEP_2)
	v_fma_f64 v[1:2], v[20:21], v[12:13], -v[1:2]
	v_fma_f64 v[14:15], v[22:23], v[12:13], v[14:15]
	s_delay_alu instid0(VALU_DEP_2) | instskip(NEXT) | instid1(VALU_DEP_2)
	v_add_f64_e32 v[12:13], v[75:76], v[1:2]
	v_add_f64_e32 v[14:15], v[77:78], v[14:15]
	s_wait_loadcnt_dscnt 0x0
	v_mul_f64_e32 v[1:2], v[22:23], v[18:19]
	v_mul_f64_e32 v[18:19], v[20:21], v[18:19]
	s_delay_alu instid0(VALU_DEP_2) | instskip(NEXT) | instid1(VALU_DEP_2)
	v_fma_f64 v[1:2], v[20:21], v[16:17], -v[1:2]
	v_fma_f64 v[18:19], v[22:23], v[16:17], v[18:19]
	s_delay_alu instid0(VALU_DEP_2) | instskip(SKIP_4) | instid1(VALU_DEP_1)
	v_add_f64_e32 v[16:17], v[65:66], v[1:2]
	flat_load_b128 v[63:66], v[69:70] offset:48
	v_add_f64_e32 v[18:19], v[67:68], v[18:19]
	s_wait_loadcnt_dscnt 0x0
	v_mul_f64_e32 v[1:2], v[22:23], v[65:66]
	v_fma_f64 v[1:2], v[20:21], v[63:64], -v[1:2]
	v_mul_f64_e32 v[20:21], v[20:21], v[65:66]
	s_delay_alu instid0(VALU_DEP_1) | instskip(NEXT) | instid1(VALU_DEP_3)
	v_fma_f64 v[22:23], v[22:23], v[63:64], v[20:21]
	v_add_f64_e32 v[20:21], v[71:72], v[1:2]
	s_delay_alu instid0(VALU_DEP_2)
	v_add_f64_e32 v[22:23], v[73:74], v[22:23]
	s_and_not1_saveexec_b32 s34, s7
	s_cbranch_execz .LBB352_18
.LBB352_44:                             ;   in Loop: Header=BB352_16 Depth=2
	s_wait_dscnt 0x0
	v_mov_b32_e32 v20, 0
	v_mov_b32_e32 v16, 0
	;; [unrolled: 1-line block ×3, first 2 shown]
	v_dual_mov_b32 v10, 0 :: v_dual_mov_b32 v21, 0
	v_dual_mov_b32 v22, 0 :: v_dual_mov_b32 v17, 0
	;; [unrolled: 1-line block ×5, first 2 shown]
	v_mov_b32_e32 v19, 0
	v_mov_b32_e32 v15, 0
	v_mov_b32_e32 v9, 0
	s_and_saveexec_b32 s68, s5
	s_cbranch_execz .LBB352_60
; %bb.45:                               ;   in Loop: Header=BB352_16 Depth=2
	s_and_not1_b32 vcc_lo, exec_lo, s58
	s_wait_alu 0xfffe
	s_cbranch_vccnz .LBB352_59
; %bb.46:                               ;   in Loop: Header=BB352_16 Depth=2
	v_mov_b32_e32 v1, v24
	s_mov_b32 s7, 0
	s_mov_b32 s8, s56
.LBB352_47:                             ;   Parent Loop BB352_3 Depth=1
                                        ;     Parent Loop BB352_16 Depth=2
                                        ; =>    This Inner Loop Header: Depth=3
	s_delay_alu instid0(VALU_DEP_1) | instskip(SKIP_2) | instid1(VALU_DEP_1)
	v_ashrrev_i32_e32 v2, 31, v1
	s_wait_alu 0xfffe
	s_add_co_i32 s8, s8, -1
	v_lshlrev_b64_e32 v[2:3], 4, v[1:2]
	v_add_nc_u32_e32 v1, s53, v1
	s_delay_alu instid0(VALU_DEP_2) | instskip(SKIP_1) | instid1(VALU_DEP_3)
	v_add_co_u32 v2, vcc_lo, v36, v2
	s_wait_alu 0xfffd
	v_add_co_ci_u32_e64 v3, null, v37, v3, vcc_lo
	flat_load_b128 v[8:11], v[2:3]
	s_wait_loadcnt_dscnt 0x0
	scratch_store_b128 off, v[8:11], s7
	s_add_co_i32 s7, s7, 16
	s_wait_alu 0xfffe
	s_cmp_eq_u32 s8, 0
	s_cbranch_scc0 .LBB352_47
; %bb.48:                               ;   in Loop: Header=BB352_16 Depth=2
	s_ashr_i32 s7, s6, 31
	v_mov_b32_e32 v8, 0
	s_wait_alu 0xfffe
	s_lshl_b64 s[8:9], s[6:7], 4
	v_mov_b32_e32 v14, 0
	s_wait_alu 0xfffe
	v_add_co_u32 v1, vcc_lo, v61, s8
	v_mov_b32_e32 v18, 0
	v_dual_mov_b32 v22, 0 :: v_dual_mov_b32 v9, 0
	v_dual_mov_b32 v10, 0 :: v_dual_mov_b32 v15, 0
	v_dual_mov_b32 v12, 0 :: v_dual_mov_b32 v19, 0
	v_dual_mov_b32 v16, 0 :: v_dual_mov_b32 v23, 0
	v_mov_b32_e32 v20, 0
	s_wait_alu 0xfffd
	v_add_co_ci_u32_e64 v2, null, s9, v62, vcc_lo
	v_mov_b32_e32 v11, 0
	v_mov_b32_e32 v13, 0
	;; [unrolled: 1-line block ×4, first 2 shown]
	s_mov_b32 s7, s61
	s_mov_b32 s8, s65
	;; [unrolled: 1-line block ×5, first 2 shown]
.LBB352_49:                             ;   Parent Loop BB352_3 Depth=1
                                        ;     Parent Loop BB352_16 Depth=2
                                        ; =>    This Inner Loop Header: Depth=3
	s_ashr_i32 s51, s50, 31
	s_wait_alu 0xfffe
	s_ashr_i32 s49, s48, 31
	s_lshl_b64 s[70:71], s[50:51], 4
	s_ashr_i32 s9, s8, 31
	s_wait_alu 0xfffe
	s_lshl_b64 s[72:73], s[48:49], 4
	v_add_co_u32 v48, vcc_lo, v55, s70
	s_lshl_b64 s[74:75], s[8:9], 4
	s_wait_alu 0xfffd
	v_add_co_ci_u32_e64 v49, null, s71, v56, vcc_lo
	s_wait_alu 0xfffe
	v_add_co_u32 v75, vcc_lo, v55, s72
	s_wait_alu 0xfffd
	v_add_co_ci_u32_e64 v76, null, s73, v56, vcc_lo
	v_add_co_u32 v79, vcc_lo, v55, s74
	s_wait_alu 0xfffd
	v_add_co_ci_u32_e64 v80, null, s75, v56, vcc_lo
	scratch_load_b128 v[63:66], off, s7 offset:-8
	flat_load_b128 v[67:70], v[1:2] offset:-8
	s_clause 0x2
	flat_load_b128 v[71:74], v[48:49]
	flat_load_b128 v[75:78], v[75:76]
	;; [unrolled: 1-line block ×3, first 2 shown]
	v_add_co_u32 v1, vcc_lo, v1, 16
	s_wait_alu 0xfffd
	v_add_co_ci_u32_e64 v2, null, 0, v2, vcc_lo
	s_add_co_i32 s69, s69, -1
	s_add_co_i32 s7, s7, 16
	s_add_co_i32 s50, s50, 1
	;; [unrolled: 1-line block ×4, first 2 shown]
	s_cmp_lg_u32 s69, 0
	s_wait_loadcnt_dscnt 0x202
	v_mul_f64_e32 v[83:84], v[65:66], v[73:74]
	v_mul_f64_e32 v[48:49], v[65:66], v[69:70]
	;; [unrolled: 1-line block ×4, first 2 shown]
	s_wait_loadcnt_dscnt 0x101
	v_mul_f64_e32 v[85:86], v[65:66], v[77:78]
	v_mul_f64_e32 v[77:78], v[63:64], v[77:78]
	s_wait_loadcnt_dscnt 0x0
	v_mul_f64_e32 v[87:88], v[65:66], v[81:82]
	v_mul_f64_e32 v[81:82], v[63:64], v[81:82]
	v_fma_f64 v[48:49], v[63:64], v[67:68], -v[48:49]
	v_fma_f64 v[67:68], v[65:66], v[67:68], v[69:70]
	v_fma_f64 v[69:70], v[63:64], v[71:72], -v[83:84]
	v_fma_f64 v[71:72], v[65:66], v[71:72], v[73:74]
	;; [unrolled: 2-line block ×4, first 2 shown]
	v_add_f64_e32 v[10:11], v[10:11], v[48:49]
	v_add_f64_e32 v[8:9], v[8:9], v[67:68]
	;; [unrolled: 1-line block ×8, first 2 shown]
	s_cbranch_scc1 .LBB352_49
	s_branch .LBB352_60
.LBB352_50:                             ;   in Loop: Header=BB352_16 Depth=2
	ds_load_b128 v[8:11], v50
	s_wait_alu 0xfffe
	s_or_b32 exec_lo, exec_lo, s7
	s_and_saveexec_b32 s7, s1
	s_cbranch_execz .LBB352_24
.LBB352_51:                             ;   in Loop: Header=BB352_16 Depth=2
	s_wait_dscnt 0x0
	ds_bpermute_b32 v1, v58, v8
	ds_bpermute_b32 v2, v58, v9
	ds_bpermute_b32 v48, v58, v10
	ds_bpermute_b32 v49, v58, v11
	s_wait_dscnt 0x2
	v_add_f64_e32 v[1:2], v[8:9], v[1:2]
	s_wait_dscnt 0x0
	v_add_f64_e32 v[8:9], v[10:11], v[48:49]
	ds_bpermute_b32 v10, v59, v1
	ds_bpermute_b32 v11, v59, v2
	ds_bpermute_b32 v48, v59, v8
	ds_bpermute_b32 v49, v59, v9
	s_wait_dscnt 0x2
	v_add_f64_e32 v[1:2], v[1:2], v[10:11]
	s_wait_dscnt 0x0
	v_add_f64_e32 v[10:11], v[8:9], v[48:49]
	;; [unrolled: 8-line block ×3, first 2 shown]
	s_wait_alu 0xfffe
	s_or_b32 exec_lo, exec_lo, s7
	s_and_saveexec_b32 s7, s1
	s_cbranch_execnz .LBB352_25
	s_branch .LBB352_26
.LBB352_52:                             ;   in Loop: Header=BB352_16 Depth=2
	ds_load_b128 v[12:15], v50
	s_wait_alu 0xfffe
	s_or_b32 exec_lo, exec_lo, s7
	s_and_saveexec_b32 s7, s1
	s_cbranch_execz .LBB352_30
.LBB352_53:                             ;   in Loop: Header=BB352_16 Depth=2
	s_wait_dscnt 0x0
	ds_bpermute_b32 v1, v58, v12
	ds_bpermute_b32 v2, v58, v13
	ds_bpermute_b32 v48, v58, v14
	ds_bpermute_b32 v49, v58, v15
	s_wait_dscnt 0x2
	v_add_f64_e32 v[1:2], v[12:13], v[1:2]
	s_wait_dscnt 0x0
	v_add_f64_e32 v[12:13], v[14:15], v[48:49]
	ds_bpermute_b32 v14, v59, v1
	ds_bpermute_b32 v15, v59, v2
	ds_bpermute_b32 v48, v59, v12
	ds_bpermute_b32 v49, v59, v13
	s_wait_dscnt 0x2
	v_add_f64_e32 v[1:2], v[1:2], v[14:15]
	s_wait_dscnt 0x0
	v_add_f64_e32 v[14:15], v[12:13], v[48:49]
	;; [unrolled: 8-line block ×3, first 2 shown]
	s_wait_alu 0xfffe
	s_or_b32 exec_lo, exec_lo, s7
	s_and_saveexec_b32 s7, s1
	s_cbranch_execnz .LBB352_31
	s_branch .LBB352_32
.LBB352_54:                             ;   in Loop: Header=BB352_16 Depth=2
	ds_load_b128 v[16:19], v50
	s_wait_alu 0xfffe
	s_or_b32 exec_lo, exec_lo, s7
	s_and_saveexec_b32 s7, s1
	s_cbranch_execz .LBB352_36
.LBB352_55:                             ;   in Loop: Header=BB352_16 Depth=2
	s_wait_dscnt 0x0
	ds_bpermute_b32 v1, v58, v16
	ds_bpermute_b32 v2, v58, v17
	ds_bpermute_b32 v48, v58, v18
	ds_bpermute_b32 v49, v58, v19
	s_wait_dscnt 0x2
	v_add_f64_e32 v[1:2], v[16:17], v[1:2]
	s_wait_dscnt 0x0
	v_add_f64_e32 v[16:17], v[18:19], v[48:49]
	ds_bpermute_b32 v18, v59, v1
	ds_bpermute_b32 v19, v59, v2
	ds_bpermute_b32 v48, v59, v16
	ds_bpermute_b32 v49, v59, v17
	s_wait_dscnt 0x2
	v_add_f64_e32 v[1:2], v[1:2], v[18:19]
	s_wait_dscnt 0x0
	v_add_f64_e32 v[18:19], v[16:17], v[48:49]
	;; [unrolled: 8-line block ×3, first 2 shown]
	s_wait_alu 0xfffe
	s_or_b32 exec_lo, exec_lo, s7
	s_and_saveexec_b32 s7, s1
	s_cbranch_execnz .LBB352_37
	s_branch .LBB352_38
.LBB352_56:                             ;   in Loop: Header=BB352_16 Depth=2
	ds_load_b128 v[20:23], v50
	s_wait_alu 0xfffe
	s_or_b32 exec_lo, exec_lo, s7
	s_and_saveexec_b32 s7, s1
	s_cbranch_execz .LBB352_42
.LBB352_57:                             ;   in Loop: Header=BB352_16 Depth=2
	s_wait_dscnt 0x0
	ds_bpermute_b32 v1, v58, v20
	ds_bpermute_b32 v2, v58, v21
	ds_bpermute_b32 v48, v58, v22
	ds_bpermute_b32 v49, v58, v23
	s_wait_dscnt 0x2
	v_add_f64_e32 v[1:2], v[20:21], v[1:2]
	s_wait_dscnt 0x0
	v_add_f64_e32 v[20:21], v[22:23], v[48:49]
	ds_bpermute_b32 v22, v59, v1
	ds_bpermute_b32 v23, v59, v2
	ds_bpermute_b32 v48, v59, v20
	ds_bpermute_b32 v49, v59, v21
	s_wait_dscnt 0x2
	v_add_f64_e32 v[1:2], v[1:2], v[22:23]
	s_wait_dscnt 0x0
	v_add_f64_e32 v[22:23], v[20:21], v[48:49]
	ds_bpermute_b32 v20, v60, v1
	ds_bpermute_b32 v21, v60, v2
	ds_bpermute_b32 v48, v60, v22
	ds_bpermute_b32 v49, v60, v23
	s_wait_dscnt 0x2
	v_add_f64_e32 v[20:21], v[1:2], v[20:21]
	s_wait_dscnt 0x0
	v_add_f64_e32 v[22:23], v[22:23], v[48:49]
	s_wait_alu 0xfffe
	s_or_b32 exec_lo, exec_lo, s7
	s_and_saveexec_b32 s7, s0
	s_cbranch_execz .LBB352_15
.LBB352_58:                             ;   in Loop: Header=BB352_16 Depth=2
	v_mul_f64_e32 v[1:2], v[6:7], v[10:11]
	v_mul_f64_e32 v[10:11], v[4:5], v[10:11]
	;; [unrolled: 1-line block ×6, first 2 shown]
	s_wait_dscnt 0x0
	v_mul_f64_e32 v[69:70], v[6:7], v[22:23]
	v_mul_f64_e32 v[22:23], v[4:5], v[22:23]
	s_mul_i32 s8, s11, s28
	s_wait_alu 0xfffe
	s_add_co_i32 s34, s8, s24
	s_delay_alu instid0(SALU_CYCLE_1)
	s_lshl_b64 s[8:9], s[34:35], 4
	s_add_co_i32 s34, s34, s28
	s_wait_alu 0xfffe
	s_add_nc_u64 s[8:9], s[46:47], s[8:9]
	s_lshl_b64 s[48:49], s[34:35], 4
	s_add_co_i32 s34, s34, s28
	s_wait_alu 0xfffe
	s_add_nc_u64 s[48:49], s[46:47], s[48:49]
	s_lshl_b64 s[50:51], s[34:35], 4
	s_add_co_i32 s34, s34, s28
	s_add_nc_u64 s[50:51], s[46:47], s[50:51]
	s_lshl_b64 s[68:69], s[34:35], 4
	s_delay_alu instid0(SALU_CYCLE_1)
	s_add_nc_u64 s[68:69], s[46:47], s[68:69]
	v_fma_f64 v[63:64], v[4:5], v[8:9], -v[1:2]
	v_fma_f64 v[65:66], v[6:7], v[8:9], v[10:11]
	v_fma_f64 v[8:9], v[4:5], v[12:13], -v[48:49]
	v_fma_f64 v[10:11], v[6:7], v[12:13], v[14:15]
	v_fma_f64 v[12:13], v[4:5], v[16:17], -v[67:68]
	v_fma_f64 v[14:15], v[6:7], v[16:17], v[18:19]
	v_fma_f64 v[16:17], v[4:5], v[20:21], -v[69:70]
	v_fma_f64 v[18:19], v[6:7], v[20:21], v[22:23]
	s_clause 0x3
	global_store_b128 v0, v[63:66], s[8:9]
	global_store_b128 v0, v[8:11], s[48:49]
	;; [unrolled: 1-line block ×4, first 2 shown]
	s_branch .LBB352_15
.LBB352_59:                             ;   in Loop: Header=BB352_16 Depth=2
	v_mov_b32_e32 v20, 0
	v_mov_b32_e32 v16, 0
	;; [unrolled: 1-line block ×3, first 2 shown]
	v_dual_mov_b32 v10, 0 :: v_dual_mov_b32 v21, 0
	v_dual_mov_b32 v22, 0 :: v_dual_mov_b32 v17, 0
	;; [unrolled: 1-line block ×5, first 2 shown]
	v_mov_b32_e32 v19, 0
	v_mov_b32_e32 v15, 0
	;; [unrolled: 1-line block ×3, first 2 shown]
.LBB352_60:                             ;   in Loop: Header=BB352_16 Depth=2
	s_or_b32 exec_lo, exec_lo, s68
	s_delay_alu instid0(SALU_CYCLE_1)
	s_or_b32 exec_lo, exec_lo, s34
	s_and_saveexec_b32 s7, s1
	s_cbranch_execnz .LBB352_19
	s_branch .LBB352_20
.LBB352_61:                             ;   in Loop: Header=BB352_3 Depth=1
	s_mov_b32 s11, 0
.LBB352_62:                             ;   in Loop: Header=BB352_3 Depth=1
	s_delay_alu instid0(SALU_CYCLE_1)
	s_cmp_ge_i32 s11, s27
	s_cbranch_scc1 .LBB352_2
; %bb.63:                               ;   in Loop: Header=BB352_3 Depth=1
	v_cmp_gt_u32_e32 vcc_lo, 24, v54
	s_wait_alu 0xfffe
	s_add_nc_u64 s[6:7], s[46:47], s[38:39]
	s_mul_i32 s8, s52, s11
	s_mov_b32 s34, s11
	s_wait_alu 0xfffd
	v_cndmask_b32_e64 v1, 0, 8, vcc_lo
	v_cmp_gt_u32_e32 vcc_lo, 28, v54
	s_wait_dscnt 0x0
	s_delay_alu instid0(VALU_DEP_2) | instskip(SKIP_3) | instid1(VALU_DEP_2)
	v_add_lshl_u32 v22, v1, v54, 2
	s_wait_alu 0xfffd
	v_cndmask_b32_e64 v2, 0, 4, vcc_lo
	v_cmp_gt_u32_e32 vcc_lo, 30, v54
	v_add_lshl_u32 v23, v2, v54, 2
	s_wait_alu 0xfffd
	v_cndmask_b32_e64 v3, 0, 2, vcc_lo
	v_cmp_ne_u32_e32 vcc_lo, 31, v54
	s_delay_alu instid0(VALU_DEP_2)
	v_add_lshl_u32 v40, v3, v54, 2
	s_wait_alu 0xfffd
	v_add_co_ci_u32_e64 v8, null, 0, v54, vcc_lo
	v_add_co_u32 v12, vcc_lo, v36, v28
	s_wait_alu 0xfffd
	v_add_co_ci_u32_e64 v13, null, v37, v29, vcc_lo
	v_add_co_u32 v14, vcc_lo, v36, v30
	;; [unrolled: 3-line block ×5, first 2 shown]
	v_lshlrev_b32_e32 v41, 2, v8
	s_wait_alu 0xfffd
	v_add_co_ci_u32_e64 v39, null, v39, v53, vcc_lo
	s_branch .LBB352_65
.LBB352_64:                             ;   in Loop: Header=BB352_65 Depth=2
	s_wait_alu 0xfffe
	s_or_b32 exec_lo, exec_lo, s9
	s_add_co_i32 s34, s34, 1
	s_add_co_i32 s8, s8, s52
	s_cmp_lt_i32 s34, s27
	s_cbranch_scc0 .LBB352_2
.LBB352_65:                             ;   Parent Loop BB352_3 Depth=1
                                        ; =>  This Loop Header: Depth=2
                                        ;       Child Loop BB352_77 Depth 3
                                        ;       Child Loop BB352_79 Depth 3
                                        ; implicit-def: $vgpr8_vgpr9
                                        ; implicit-def: $vgpr10_vgpr11
	s_and_saveexec_b32 s9, s4
	s_wait_alu 0xfffe
	s_xor_b32 s9, exec_lo, s9
	s_cbranch_execnz .LBB352_74
; %bb.66:                               ;   in Loop: Header=BB352_65 Depth=2
	s_wait_alu 0xfffe
	s_and_not1_saveexec_b32 s11, s9
	s_cbranch_execnz .LBB352_75
.LBB352_67:                             ;   in Loop: Header=BB352_65 Depth=2
	s_or_b32 exec_lo, exec_lo, s11
	s_and_saveexec_b32 s9, s1
.LBB352_68:                             ;   in Loop: Header=BB352_65 Depth=2
	v_dual_mov_b32 v1, v0 :: v_dual_mov_b32 v2, v0
	v_mov_b32_e32 v3, v0
	ds_store_b128 v50, v[0:3]
.LBB352_69:                             ;   in Loop: Header=BB352_65 Depth=2
	s_wait_alu 0xfffe
	s_or_b32 exec_lo, exec_lo, s9
	s_wait_dscnt 0x0
	ds_bpermute_b32 v1, v25, v8
	ds_bpermute_b32 v2, v25, v9
	;; [unrolled: 1-line block ×4, first 2 shown]
	s_wait_storecnt 0x0
	s_wait_loadcnt_dscnt 0x0
	s_barrier_signal -1
	s_barrier_wait -1
	global_inv scope:SCOPE_SE
	v_add_f64_e32 v[1:2], v[8:9], v[1:2]
	v_add_f64_e32 v[8:9], v[10:11], v[20:21]
	ds_bpermute_b32 v10, v22, v1
	ds_bpermute_b32 v11, v22, v2
	ds_bpermute_b32 v20, v22, v8
	ds_bpermute_b32 v21, v22, v9
	s_wait_dscnt 0x2
	v_add_f64_e32 v[1:2], v[1:2], v[10:11]
	s_wait_dscnt 0x0
	v_add_f64_e32 v[8:9], v[8:9], v[20:21]
	ds_bpermute_b32 v10, v23, v1
	ds_bpermute_b32 v11, v23, v2
	ds_bpermute_b32 v20, v23, v8
	ds_bpermute_b32 v21, v23, v9
	s_wait_dscnt 0x2
	v_add_f64_e32 v[1:2], v[1:2], v[10:11]
	s_wait_dscnt 0x0
	;; [unrolled: 8-line block ×3, first 2 shown]
	v_add_f64_e32 v[10:11], v[8:9], v[20:21]
	ds_bpermute_b32 v8, v41, v1
	ds_bpermute_b32 v9, v41, v2
	;; [unrolled: 1-line block ×4, first 2 shown]
	s_and_saveexec_b32 s9, s3
	s_cbranch_execz .LBB352_71
; %bb.70:                               ;   in Loop: Header=BB352_65 Depth=2
	s_wait_dscnt 0x0
	v_add_f64_e32 v[10:11], v[10:11], v[20:21]
	v_add_f64_e32 v[8:9], v[1:2], v[8:9]
	ds_store_b128 v51, v[8:11]
.LBB352_71:                             ;   in Loop: Header=BB352_65 Depth=2
	s_wait_alu 0xfffe
	s_or_b32 exec_lo, exec_lo, s9
	v_mov_b32_e32 v10, 0
	s_wait_dscnt 0x2
	v_dual_mov_b32 v11, 0 :: v_dual_mov_b32 v8, 0
	v_mov_b32_e32 v9, 0
	s_wait_loadcnt_dscnt 0x0
	s_barrier_signal -1
	s_barrier_wait -1
	global_inv scope:SCOPE_SE
	s_and_saveexec_b32 s9, s2
	s_cbranch_execnz .LBB352_81
; %bb.72:                               ;   in Loop: Header=BB352_65 Depth=2
	s_wait_alu 0xfffe
	s_or_b32 exec_lo, exec_lo, s9
	s_and_saveexec_b32 s9, s1
	s_cbranch_execnz .LBB352_82
.LBB352_73:                             ;   in Loop: Header=BB352_65 Depth=2
	s_wait_alu 0xfffe
	s_or_b32 exec_lo, exec_lo, s9
	s_and_saveexec_b32 s9, s0
	s_cbranch_execz .LBB352_64
	s_branch .LBB352_83
.LBB352_74:                             ;   in Loop: Header=BB352_65 Depth=2
	s_wait_dscnt 0x0
	s_clause 0x2
	flat_load_b128 v[8:11], v[14:15]
	flat_load_b128 v[42:45], v[16:17]
	;; [unrolled: 1-line block ×3, first 2 shown]
	s_mul_i32 s46, s34, s52
	s_wait_alu 0xfffe
	s_ashr_i32 s47, s46, 31
	s_wait_alu 0xfffe
	s_lshl_b64 s[46:47], s[46:47], 4
	s_wait_alu 0xfffe
	v_add_co_u32 v1, vcc_lo, v55, s46
	s_wait_alu 0xfffd
	v_add_co_ci_u32_e64 v2, null, s47, v56, vcc_lo
	flat_load_b128 v[57:60], v[12:13]
	s_clause 0x1
	flat_load_b128 v[61:64], v[1:2]
	flat_load_b128 v[65:68], v[1:2] offset:16
	s_wait_loadcnt_dscnt 0x505
	scratch_store_b128 off, v[8:11], s59
	s_wait_loadcnt_dscnt 0x404
	scratch_store_b128 off, v[42:45], s60
	s_clause 0x1
	scratch_load_b128 v[8:11], off, off offset:16
	scratch_load_b128 v[42:45], off, off offset:32
	s_clause 0x1
	flat_load_b128 v[69:72], v[1:2] offset:32
	flat_load_b128 v[73:76], v[1:2] offset:48
	s_wait_loadcnt_dscnt 0x705
	scratch_store_b128 off, v[46:49], s26
	scratch_load_b128 v[46:49], off, off offset:48
	s_wait_loadcnt_dscnt 0x704
	scratch_store_b128 off, v[57:60], off
	s_wait_loadcnt_dscnt 0x603
	v_mul_f64_e32 v[1:2], v[63:64], v[59:60]
	v_mul_f64_e32 v[20:21], v[61:62], v[59:60]
	s_delay_alu instid0(VALU_DEP_2) | instskip(NEXT) | instid1(VALU_DEP_2)
	v_fma_f64 v[1:2], v[61:62], v[57:58], -v[1:2]
	v_fma_f64 v[20:21], v[63:64], v[57:58], v[20:21]
	s_delay_alu instid0(VALU_DEP_2) | instskip(NEXT) | instid1(VALU_DEP_2)
	v_add_f64_e32 v[1:2], 0, v[1:2]
	v_add_f64_e32 v[20:21], 0, v[20:21]
	s_wait_loadcnt_dscnt 0x402
	v_mul_f64_e32 v[61:62], v[67:68], v[10:11]
	v_mul_f64_e32 v[10:11], v[65:66], v[10:11]
	s_wait_loadcnt_dscnt 0x201
	v_mul_f64_e32 v[63:64], v[71:72], v[44:45]
	v_mul_f64_e32 v[44:45], v[69:70], v[44:45]
	s_delay_alu instid0(VALU_DEP_4) | instskip(NEXT) | instid1(VALU_DEP_4)
	v_fma_f64 v[61:62], v[65:66], v[8:9], -v[61:62]
	v_fma_f64 v[8:9], v[67:68], v[8:9], v[10:11]
	s_wait_loadcnt_dscnt 0x0
	v_mul_f64_e32 v[10:11], v[75:76], v[48:49]
	v_mul_f64_e32 v[48:49], v[73:74], v[48:49]
	v_fma_f64 v[63:64], v[69:70], v[42:43], -v[63:64]
	v_fma_f64 v[42:43], v[71:72], v[42:43], v[44:45]
	v_add_f64_e32 v[1:2], v[1:2], v[61:62]
	v_add_f64_e32 v[8:9], v[20:21], v[8:9]
	v_fma_f64 v[10:11], v[73:74], v[46:47], -v[10:11]
	v_fma_f64 v[20:21], v[75:76], v[46:47], v[48:49]
	s_delay_alu instid0(VALU_DEP_4) | instskip(NEXT) | instid1(VALU_DEP_4)
	v_add_f64_e32 v[1:2], v[1:2], v[63:64]
	v_add_f64_e32 v[42:43], v[8:9], v[42:43]
	s_delay_alu instid0(VALU_DEP_2) | instskip(NEXT) | instid1(VALU_DEP_2)
	v_add_f64_e32 v[8:9], v[1:2], v[10:11]
	v_add_f64_e32 v[10:11], v[42:43], v[20:21]
	s_and_not1_saveexec_b32 s11, s9
	s_cbranch_execz .LBB352_67
.LBB352_75:                             ;   in Loop: Header=BB352_65 Depth=2
	s_wait_dscnt 0x0
	v_mov_b32_e32 v8, 0
	v_dual_mov_b32 v9, 0 :: v_dual_mov_b32 v10, 0
	v_mov_b32_e32 v11, 0
	s_and_saveexec_b32 s46, s25
	s_cbranch_execz .LBB352_80
; %bb.76:                               ;   in Loop: Header=BB352_65 Depth=2
	v_mov_b32_e32 v1, v24
	s_mov_b32 s9, 0
	s_mov_b32 s47, s56
.LBB352_77:                             ;   Parent Loop BB352_3 Depth=1
                                        ;     Parent Loop BB352_65 Depth=2
                                        ; =>    This Inner Loop Header: Depth=3
	s_delay_alu instid0(VALU_DEP_1) | instskip(SKIP_2) | instid1(VALU_DEP_1)
	v_ashrrev_i32_e32 v2, 31, v1
	s_wait_alu 0xfffe
	s_add_co_i32 s47, s47, -1
	v_lshlrev_b64_e32 v[2:3], 4, v[1:2]
	v_add_nc_u32_e32 v1, s53, v1
	s_delay_alu instid0(VALU_DEP_2) | instskip(SKIP_1) | instid1(VALU_DEP_3)
	v_add_co_u32 v2, vcc_lo, v36, v2
	s_wait_alu 0xfffd
	v_add_co_ci_u32_e64 v3, null, v37, v3, vcc_lo
	flat_load_b128 v[8:11], v[2:3]
	s_wait_loadcnt_dscnt 0x0
	scratch_store_b128 off, v[8:11], s9
	s_add_co_i32 s9, s9, 16
	s_wait_alu 0xfffe
	s_cmp_eq_u32 s47, 0
	s_cbranch_scc0 .LBB352_77
; %bb.78:                               ;   in Loop: Header=BB352_65 Depth=2
	s_ashr_i32 s9, s8, 31
	v_mov_b32_e32 v8, 0
	s_wait_alu 0xfffe
	s_lshl_b64 s[48:49], s[8:9], 4
	v_dual_mov_b32 v9, 0 :: v_dual_mov_b32 v10, 0
	s_wait_alu 0xfffe
	v_add_co_u32 v1, vcc_lo, v38, s48
	v_mov_b32_e32 v11, 0
	s_wait_alu 0xfffd
	v_add_co_ci_u32_e64 v2, null, s49, v39, vcc_lo
	s_mov_b32 s9, s61
	s_mov_b32 s47, s56
.LBB352_79:                             ;   Parent Loop BB352_3 Depth=1
                                        ;     Parent Loop BB352_65 Depth=2
                                        ; =>    This Inner Loop Header: Depth=3
	flat_load_b128 v[42:45], v[1:2] offset:-8
	scratch_load_b128 v[46:49], off, s9 offset:-8
	v_add_co_u32 v1, vcc_lo, v1, 16
	s_wait_alu 0xfffd
	v_add_co_ci_u32_e64 v2, null, 0, v2, vcc_lo
	s_wait_alu 0xfffe
	s_add_co_i32 s47, s47, -1
	s_add_co_i32 s9, s9, 16
	s_wait_alu 0xfffe
	s_cmp_lg_u32 s47, 0
	s_wait_loadcnt_dscnt 0x0
	v_mul_f64_e32 v[20:21], v[44:45], v[48:49]
	v_mul_f64_e32 v[48:49], v[42:43], v[48:49]
	s_delay_alu instid0(VALU_DEP_2) | instskip(NEXT) | instid1(VALU_DEP_2)
	v_fma_f64 v[20:21], v[42:43], v[46:47], -v[20:21]
	v_fma_f64 v[42:43], v[44:45], v[46:47], v[48:49]
	s_delay_alu instid0(VALU_DEP_2) | instskip(NEXT) | instid1(VALU_DEP_2)
	v_add_f64_e32 v[8:9], v[8:9], v[20:21]
	v_add_f64_e32 v[10:11], v[10:11], v[42:43]
	s_cbranch_scc1 .LBB352_79
.LBB352_80:                             ;   in Loop: Header=BB352_65 Depth=2
	s_wait_alu 0xfffe
	s_or_b32 exec_lo, exec_lo, s46
	s_delay_alu instid0(SALU_CYCLE_1)
	s_or_b32 exec_lo, exec_lo, s11
	s_and_saveexec_b32 s9, s1
	s_cbranch_execnz .LBB352_68
	s_branch .LBB352_69
.LBB352_81:                             ;   in Loop: Header=BB352_65 Depth=2
	ds_load_b128 v[8:11], v50
	s_wait_alu 0xfffe
	s_or_b32 exec_lo, exec_lo, s9
	s_and_saveexec_b32 s9, s1
	s_cbranch_execz .LBB352_73
.LBB352_82:                             ;   in Loop: Header=BB352_65 Depth=2
	s_wait_dscnt 0x0
	ds_bpermute_b32 v1, v23, v8
	ds_bpermute_b32 v2, v23, v9
	ds_bpermute_b32 v20, v23, v10
	ds_bpermute_b32 v21, v23, v11
	s_wait_dscnt 0x2
	v_add_f64_e32 v[1:2], v[8:9], v[1:2]
	s_wait_dscnt 0x0
	v_add_f64_e32 v[8:9], v[10:11], v[20:21]
	ds_bpermute_b32 v10, v40, v1
	ds_bpermute_b32 v11, v40, v2
	ds_bpermute_b32 v20, v40, v8
	ds_bpermute_b32 v21, v40, v9
	s_wait_dscnt 0x2
	v_add_f64_e32 v[1:2], v[1:2], v[10:11]
	s_wait_dscnt 0x0
	v_add_f64_e32 v[10:11], v[8:9], v[20:21]
	ds_bpermute_b32 v8, v41, v1
	ds_bpermute_b32 v9, v41, v2
	ds_bpermute_b32 v20, v41, v10
	ds_bpermute_b32 v21, v41, v11
	s_wait_dscnt 0x2
	v_add_f64_e32 v[8:9], v[1:2], v[8:9]
	s_wait_dscnt 0x0
	v_add_f64_e32 v[10:11], v[10:11], v[20:21]
	s_wait_alu 0xfffe
	s_or_b32 exec_lo, exec_lo, s9
	s_and_saveexec_b32 s9, s0
	s_cbranch_execz .LBB352_64
.LBB352_83:                             ;   in Loop: Header=BB352_65 Depth=2
	s_wait_dscnt 0x0
	s_delay_alu instid0(VALU_DEP_1)
	v_mul_f64_e32 v[1:2], v[6:7], v[10:11]
	v_mul_f64_e32 v[10:11], v[4:5], v[10:11]
	s_mul_u64 s[46:47], s[34:35], s[28:29]
	s_wait_alu 0xfffe
	s_lshl_b64 s[46:47], s[46:47], 4
	s_wait_alu 0xfffe
	s_add_nc_u64 s[46:47], s[6:7], s[46:47]
	s_delay_alu instid0(VALU_DEP_2) | instskip(NEXT) | instid1(VALU_DEP_2)
	v_fma_f64 v[42:43], v[4:5], v[8:9], -v[1:2]
	v_fma_f64 v[44:45], v[6:7], v[8:9], v[10:11]
	global_store_b128 v0, v[42:45], s[46:47]
	s_branch .LBB352_64
.LBB352_84:
	s_endpgm
	.section	.rodata,"a",@progbits
	.p2align	6, 0x0
	.amdhsa_kernel _ZL23rocblas_gemvt_sn_kernelILb0ELi256ELi4EiPK19rocblas_complex_numIdES3_S1_EviiT4_lPKT3_lilS7_lilPT5_i
		.amdhsa_group_segment_fixed_size 512
		.amdhsa_private_segment_fixed_size 80
		.amdhsa_kernarg_size 360
		.amdhsa_user_sgpr_count 2
		.amdhsa_user_sgpr_dispatch_ptr 0
		.amdhsa_user_sgpr_queue_ptr 0
		.amdhsa_user_sgpr_kernarg_segment_ptr 1
		.amdhsa_user_sgpr_dispatch_id 0
		.amdhsa_user_sgpr_private_segment_size 0
		.amdhsa_wavefront_size32 1
		.amdhsa_uses_dynamic_stack 0
		.amdhsa_enable_private_segment 1
		.amdhsa_system_sgpr_workgroup_id_x 1
		.amdhsa_system_sgpr_workgroup_id_y 0
		.amdhsa_system_sgpr_workgroup_id_z 1
		.amdhsa_system_sgpr_workgroup_info 0
		.amdhsa_system_vgpr_workitem_id 0
		.amdhsa_next_free_vgpr 89
		.amdhsa_next_free_sgpr 76
		.amdhsa_reserve_vcc 1
		.amdhsa_float_round_mode_32 0
		.amdhsa_float_round_mode_16_64 0
		.amdhsa_float_denorm_mode_32 3
		.amdhsa_float_denorm_mode_16_64 3
		.amdhsa_fp16_overflow 0
		.amdhsa_workgroup_processor_mode 1
		.amdhsa_memory_ordered 1
		.amdhsa_forward_progress 1
		.amdhsa_inst_pref_size 58
		.amdhsa_round_robin_scheduling 0
		.amdhsa_exception_fp_ieee_invalid_op 0
		.amdhsa_exception_fp_denorm_src 0
		.amdhsa_exception_fp_ieee_div_zero 0
		.amdhsa_exception_fp_ieee_overflow 0
		.amdhsa_exception_fp_ieee_underflow 0
		.amdhsa_exception_fp_ieee_inexact 0
		.amdhsa_exception_int_div_zero 0
	.end_amdhsa_kernel
	.section	.text._ZL23rocblas_gemvt_sn_kernelILb0ELi256ELi4EiPK19rocblas_complex_numIdES3_S1_EviiT4_lPKT3_lilS7_lilPT5_i,"axG",@progbits,_ZL23rocblas_gemvt_sn_kernelILb0ELi256ELi4EiPK19rocblas_complex_numIdES3_S1_EviiT4_lPKT3_lilS7_lilPT5_i,comdat
.Lfunc_end352:
	.size	_ZL23rocblas_gemvt_sn_kernelILb0ELi256ELi4EiPK19rocblas_complex_numIdES3_S1_EviiT4_lPKT3_lilS7_lilPT5_i, .Lfunc_end352-_ZL23rocblas_gemvt_sn_kernelILb0ELi256ELi4EiPK19rocblas_complex_numIdES3_S1_EviiT4_lPKT3_lilS7_lilPT5_i
                                        ; -- End function
	.set _ZL23rocblas_gemvt_sn_kernelILb0ELi256ELi4EiPK19rocblas_complex_numIdES3_S1_EviiT4_lPKT3_lilS7_lilPT5_i.num_vgpr, 89
	.set _ZL23rocblas_gemvt_sn_kernelILb0ELi256ELi4EiPK19rocblas_complex_numIdES3_S1_EviiT4_lPKT3_lilS7_lilPT5_i.num_agpr, 0
	.set _ZL23rocblas_gemvt_sn_kernelILb0ELi256ELi4EiPK19rocblas_complex_numIdES3_S1_EviiT4_lPKT3_lilS7_lilPT5_i.numbered_sgpr, 76
	.set _ZL23rocblas_gemvt_sn_kernelILb0ELi256ELi4EiPK19rocblas_complex_numIdES3_S1_EviiT4_lPKT3_lilS7_lilPT5_i.num_named_barrier, 0
	.set _ZL23rocblas_gemvt_sn_kernelILb0ELi256ELi4EiPK19rocblas_complex_numIdES3_S1_EviiT4_lPKT3_lilS7_lilPT5_i.private_seg_size, 80
	.set _ZL23rocblas_gemvt_sn_kernelILb0ELi256ELi4EiPK19rocblas_complex_numIdES3_S1_EviiT4_lPKT3_lilS7_lilPT5_i.uses_vcc, 1
	.set _ZL23rocblas_gemvt_sn_kernelILb0ELi256ELi4EiPK19rocblas_complex_numIdES3_S1_EviiT4_lPKT3_lilS7_lilPT5_i.uses_flat_scratch, 1
	.set _ZL23rocblas_gemvt_sn_kernelILb0ELi256ELi4EiPK19rocblas_complex_numIdES3_S1_EviiT4_lPKT3_lilS7_lilPT5_i.has_dyn_sized_stack, 0
	.set _ZL23rocblas_gemvt_sn_kernelILb0ELi256ELi4EiPK19rocblas_complex_numIdES3_S1_EviiT4_lPKT3_lilS7_lilPT5_i.has_recursion, 0
	.set _ZL23rocblas_gemvt_sn_kernelILb0ELi256ELi4EiPK19rocblas_complex_numIdES3_S1_EviiT4_lPKT3_lilS7_lilPT5_i.has_indirect_call, 0
	.section	.AMDGPU.csdata,"",@progbits
; Kernel info:
; codeLenInByte = 7372
; TotalNumSgprs: 78
; NumVgprs: 89
; ScratchSize: 80
; MemoryBound: 0
; FloatMode: 240
; IeeeMode: 1
; LDSByteSize: 512 bytes/workgroup (compile time only)
; SGPRBlocks: 0
; VGPRBlocks: 11
; NumSGPRsForWavesPerEU: 78
; NumVGPRsForWavesPerEU: 89
; Occupancy: 16
; WaveLimiterHint : 0
; COMPUTE_PGM_RSRC2:SCRATCH_EN: 1
; COMPUTE_PGM_RSRC2:USER_SGPR: 2
; COMPUTE_PGM_RSRC2:TRAP_HANDLER: 0
; COMPUTE_PGM_RSRC2:TGID_X_EN: 1
; COMPUTE_PGM_RSRC2:TGID_Y_EN: 0
; COMPUTE_PGM_RSRC2:TGID_Z_EN: 1
; COMPUTE_PGM_RSRC2:TIDIG_COMP_CNT: 0
	.section	.text._ZL23rocblas_gemvt_sn_kernelILb0ELi256ELi4ElPK19rocblas_complex_numIdES3_S1_EviiT4_lPKT3_lilS7_lilPT5_i,"axG",@progbits,_ZL23rocblas_gemvt_sn_kernelILb0ELi256ELi4ElPK19rocblas_complex_numIdES3_S1_EviiT4_lPKT3_lilS7_lilPT5_i,comdat
	.globl	_ZL23rocblas_gemvt_sn_kernelILb0ELi256ELi4ElPK19rocblas_complex_numIdES3_S1_EviiT4_lPKT3_lilS7_lilPT5_i ; -- Begin function _ZL23rocblas_gemvt_sn_kernelILb0ELi256ELi4ElPK19rocblas_complex_numIdES3_S1_EviiT4_lPKT3_lilS7_lilPT5_i
	.p2align	8
	.type	_ZL23rocblas_gemvt_sn_kernelILb0ELi256ELi4ElPK19rocblas_complex_numIdES3_S1_EviiT4_lPKT3_lilS7_lilPT5_i,@function
_ZL23rocblas_gemvt_sn_kernelILb0ELi256ELi4ElPK19rocblas_complex_numIdES3_S1_EviiT4_lPKT3_lilS7_lilPT5_i: ; @_ZL23rocblas_gemvt_sn_kernelILb0ELi256ELi4ElPK19rocblas_complex_numIdES3_S1_EviiT4_lPKT3_lilS7_lilPT5_i
; %bb.0:
	s_load_b32 s33, s[0:1], 0x60
	s_lshr_b32 s10, ttmp7, 16
	s_wait_kmcnt 0x0
	s_cmp_ge_u32 s10, s33
	s_cbranch_scc1 .LBB353_84
; %bb.1:
	s_clause 0x6
	s_load_b32 s26, s[0:1], 0x28
	s_load_b32 s6, s[0:1], 0x48
	s_load_b64 s[28:29], s[0:1], 0x0
	s_load_b32 s30, s[0:1], 0x68
	s_load_b256 s[12:19], s[0:1], 0x8
	s_load_b128 s[20:23], s[0:1], 0x38
	s_load_b64 s[34:35], s[0:1], 0x58
	s_mov_b32 s25, 0
	v_cmp_eq_u32_e64 s0, 0, v0
	s_mov_b32 s31, s25
	v_and_b32_e32 v3, 31, v0
	v_cmp_gt_u32_e64 s5, 8, v0
	v_mbcnt_lo_u32_b32 v56, -1, 0
	s_mov_b32 s24, ttmp9
	s_mov_b32 s59, 32
	s_mov_b32 s60, 48
	s_delay_alu instid0(VALU_DEP_1)
	v_lshl_or_b32 v57, v56, 2, 64
	s_wait_kmcnt 0x0
	s_ashr_i32 s27, s26, 31
	s_ashr_i32 s7, s6, 31
	;; [unrolled: 1-line block ×3, first 2 shown]
	s_mov_b32 s2, s29
	s_cmp_gt_i32 s29, 0
	s_mul_u64 s[36:37], s[2:3], s[30:31]
	s_cselect_b32 s1, -1, 0
	s_lshl_b32 s2, ttmp9, 10
	s_ashr_i32 s4, s28, 31
	v_lshl_or_b32 v1, v0, 2, s2
	s_and_b32 s54, s0, s1
	s_lshr_b32 s1, s4, 30
	s_lshr_b32 s3, s3, 30
	s_add_co_i32 s1, s28, s1
	v_ashrrev_i32_e32 v2, 31, v1
	s_and_b32 s1, s1, -4
	s_wait_alu 0xfffe
	s_add_co_i32 s2, s29, s3
	s_sub_co_i32 s56, s28, s1
	v_cmp_gt_u32_e64 s3, 32, v0
	v_lshlrev_b64_e32 v[24:25], 4, v[1:2]
	v_add_nc_u32_e32 v4, 4, v1
	v_add_nc_u32_e32 v5, s56, v1
	s_wait_alu 0xfffe
	s_and_b32 s55, s2, -4
	v_or_b32_e32 v7, 2, v1
	s_cmp_gt_i32 s55, 0
	v_mov_b32_e32 v55, v25
	v_cmp_ge_i32_e64 s1, s28, v4
	v_lshrrev_b32_e32 v4, 1, v0
	v_or_b32_e32 v0, 1, v1
	v_cmp_ge_i32_e64 s2, s28, v5
	v_mad_co_i64_i32 v[7:8], null, s6, v7, 0
	s_delay_alu instid0(VALU_DEP_4) | instskip(NEXT) | instid1(VALU_DEP_4)
	v_and_b32_e32 v53, 0x70, v4
	v_mad_co_i64_i32 v[5:6], null, s6, v0, 0
	v_or_b32_e32 v0, 3, v1
	s_cselect_b32 s57, -1, 0
	s_cmp_gt_i32 s56, 0
	s_delay_alu instid0(VALU_DEP_4)
	v_lshlrev_b64_e32 v[30:31], 4, v[7:8]
	s_cselect_b32 s58, -1, 0
	v_mad_co_i64_i32 v[9:10], null, s6, v0, 0
	v_mov_b32_e32 v0, 0
	v_cmp_eq_u32_e64 s4, 0, v3
	v_lshlrev_b32_e32 v52, 4, v3
	v_mad_co_i64_i32 v[3:4], null, s6, v1, 0
	s_lshl_b64 s[38:39], s[24:25], 4
	v_lshlrev_b64_e32 v[28:29], 4, v[5:6]
	v_lshlrev_b64_e32 v[32:33], 4, v[9:10]
	v_or_b32_e32 v54, 8, v24
	s_add_nc_u64 s[8:9], s[34:35], s[38:39]
	s_mov_b32 s28, 16
	v_lshlrev_b64_e32 v[26:27], 4, v[3:4]
	s_or_b32 s61, 0, 8
	s_and_b32 s62, s58, s2
	s_add_nc_u64 s[40:41], s[8:9], 8
	s_lshl_b64 s[42:43], s[36:37], 4
	s_lshl_b64 s[44:45], s[30:31], 4
	;; [unrolled: 1-line block ×7, first 2 shown]
	s_branch .LBB353_3
.LBB353_2:                              ;   in Loop: Header=BB353_3 Depth=1
	s_add_co_i32 s10, s10, 0x10000
	s_delay_alu instid0(SALU_CYCLE_1)
	s_cmp_lt_u32 s10, s33
	s_cbranch_scc0 .LBB353_84
.LBB353_3:                              ; =>This Loop Header: Depth=1
                                        ;     Child Loop BB353_11 Depth 2
                                        ;     Child Loop BB353_16 Depth 2
                                        ;       Child Loop BB353_47 Depth 3
                                        ;       Child Loop BB353_49 Depth 3
                                        ;     Child Loop BB353_65 Depth 2
                                        ;       Child Loop BB353_77 Depth 3
                                        ;       Child Loop BB353_79 Depth 3
	s_mov_b32 s11, s25
	v_mov_b32_e32 v36, 0
	s_mul_u64 s[6:7], s[14:15], s[10:11]
	v_dual_mov_b32 v37, 0 :: v_dual_mov_b32 v38, 0
	s_wait_alu 0xfffe
	s_lshl_b64 s[6:7], s[6:7], 4
	v_mov_b32_e32 v39, 0
	s_wait_alu 0xfffe
	s_add_nc_u64 s[6:7], s[12:13], s[6:7]
	global_load_b128 v[4:7], v0, s[6:7]
	s_wait_loadcnt 0x0
	v_cmp_neq_f64_e32 vcc_lo, 0, v[4:5]
	v_cmp_neq_f64_e64 s6, 0, v[6:7]
	s_wait_alu 0xfffe
	s_or_b32 s7, vcc_lo, s6
	s_wait_alu 0xfffe
	s_xor_b32 s6, s7, -1
	s_wait_alu 0xfffe
	s_and_b32 vcc_lo, exec_lo, s6
	s_wait_alu 0xfffe
	s_cbranch_vccz .LBB353_7
; %bb.4:                                ;   in Loop: Header=BB353_3 Depth=1
	s_and_not1_b32 vcc_lo, exec_lo, s7
	s_wait_alu 0xfffe
	s_cbranch_vccz .LBB353_8
.LBB353_5:                              ;   in Loop: Header=BB353_3 Depth=1
	s_and_not1_b32 vcc_lo, exec_lo, s6
	s_mov_b32 s6, -1
	s_wait_alu 0xfffe
	s_cbranch_vccz .LBB353_9
.LBB353_6:                              ;   in Loop: Header=BB353_3 Depth=1
	s_wait_alu 0xfffe
	s_and_not1_b32 vcc_lo, exec_lo, s6
	s_wait_alu 0xfffe
	s_cbranch_vccnz .LBB353_2
	s_branch .LBB353_13
.LBB353_7:                              ;   in Loop: Header=BB353_3 Depth=1
	s_lshl_b64 s[8:9], s[10:11], 3
	s_wait_alu 0xfffe
	s_add_nc_u64 s[8:9], s[16:17], s[8:9]
	global_load_b64 v[1:2], v0, s[8:9]
	s_wait_loadcnt 0x0
	v_add_co_u32 v38, vcc_lo, v1, s18
	s_wait_alu 0xfffd
	v_add_co_ci_u32_e64 v39, null, s19, v2, vcc_lo
	s_and_not1_b32 vcc_lo, exec_lo, s7
	s_wait_alu 0xfffe
	s_cbranch_vccnz .LBB353_5
.LBB353_8:                              ;   in Loop: Header=BB353_3 Depth=1
	s_lshl_b64 s[8:9], s[10:11], 3
	s_wait_alu 0xfffe
	s_add_nc_u64 s[8:9], s[20:21], s[8:9]
	global_load_b64 v[1:2], v0, s[8:9]
	s_wait_loadcnt 0x0
	v_add_co_u32 v36, vcc_lo, v1, s22
	s_wait_alu 0xfffd
	v_add_co_ci_u32_e64 v37, null, s23, v2, vcc_lo
	s_and_not1_b32 vcc_lo, exec_lo, s6
	s_mov_b32 s6, -1
	s_wait_alu 0xfffe
	s_cbranch_vccnz .LBB353_6
.LBB353_9:                              ;   in Loop: Header=BB353_3 Depth=1
	s_and_saveexec_b32 s8, s54
	s_cbranch_execz .LBB353_12
; %bb.10:                               ;   in Loop: Header=BB353_3 Depth=1
	s_mul_u64 s[6:7], s[42:43], s[10:11]
	s_mov_b32 s9, s29
	s_wait_alu 0xfffe
	s_add_nc_u64 s[6:7], s[40:41], s[6:7]
.LBB353_11:                             ;   Parent Loop BB353_3 Depth=1
                                        ; =>  This Inner Loop Header: Depth=2
	v_dual_mov_b32 v1, v0 :: v_dual_mov_b32 v2, v0
	v_mov_b32_e32 v3, v0
	s_add_co_i32 s9, s9, -1
	s_wait_alu 0xfffe
	s_cmp_eq_u32 s9, 0
	global_store_b128 v0, v[0:3], s[6:7] offset:-8
	s_add_nc_u64 s[6:7], s[6:7], s[44:45]
	s_cbranch_scc0 .LBB353_11
.LBB353_12:                             ;   in Loop: Header=BB353_3 Depth=1
	s_wait_alu 0xfffe
	s_or_b32 exec_lo, exec_lo, s8
	s_cbranch_execnz .LBB353_2
.LBB353_13:                             ;   in Loop: Header=BB353_3 Depth=1
	s_mul_u64 s[6:7], s[36:37], s[10:11]
	v_add_co_u32 v34, vcc_lo, v38, v24
	s_wait_alu 0xfffe
	s_lshl_b64 s[52:53], s[6:7], 4
	s_wait_alu 0xfffd
	v_add_co_ci_u32_e64 v35, null, v39, v25, vcc_lo
	v_cmp_gt_u32_e64 s9, 24, v56
	v_cmp_gt_u32_e64 s8, 28, v56
	;; [unrolled: 1-line block ×3, first 2 shown]
	v_cmp_ne_u32_e64 s6, 31, v56
	s_add_nc_u64 s[52:53], s[34:35], s[52:53]
	s_and_not1_b32 vcc_lo, exec_lo, s57
	s_add_nc_u64 s[52:53], s[52:53], s[38:39]
	s_wait_alu 0xfffe
	s_cbranch_vccnz .LBB353_61
; %bb.14:                               ;   in Loop: Header=BB353_3 Depth=1
	v_add_co_u32 v40, vcc_lo, v36, v26
	s_wait_alu 0xfffd
	v_add_co_ci_u32_e64 v41, null, v37, v27, vcc_lo
	v_add_co_u32 v42, vcc_lo, v36, v28
	v_cndmask_b32_e64 v1, 0, 8, s9
	v_cndmask_b32_e64 v2, 0, 4, s8
	;; [unrolled: 1-line block ×3, first 2 shown]
	s_wait_dscnt 0x0
	v_add_co_ci_u32_e64 v8, null, 0, v56, s6
	s_wait_alu 0xfffd
	v_add_co_ci_u32_e64 v43, null, v37, v29, vcc_lo
	v_add_co_u32 v44, vcc_lo, v36, v30
	s_wait_alu 0xfffd
	v_add_co_ci_u32_e64 v45, null, v37, v31, vcc_lo
	v_add_co_u32 v46, vcc_lo, v36, v32
	v_mov_b32_e32 v49, v35
	v_add_lshl_u32 v58, v1, v56, 2
	v_add_lshl_u32 v59, v2, v56, 2
	;; [unrolled: 1-line block ×3, first 2 shown]
	v_dual_mov_b32 v48, v34 :: v_dual_lshlrev_b32 v61, 2, v8
	s_wait_alu 0xfffd
	v_add_co_ci_u32_e64 v47, null, v37, v33, vcc_lo
	s_mov_b32 s24, 0
	s_branch .LBB353_16
.LBB353_15:                             ;   in Loop: Header=BB353_16 Depth=2
	s_wait_alu 0xfffe
	s_or_b32 exec_lo, exec_lo, s6
	v_add_co_u32 v48, vcc_lo, v48, s48
	s_wait_alu 0xfffd
	v_add_co_ci_u32_e64 v49, null, s49, v49, vcc_lo
	s_add_co_i32 s24, s24, 4
	s_wait_alu 0xfffe
	s_cmp_ge_i32 s24, s55
	s_cbranch_scc1 .LBB353_62
.LBB353_16:                             ;   Parent Loop BB353_3 Depth=1
                                        ; =>  This Loop Header: Depth=2
                                        ;       Child Loop BB353_47 Depth 3
                                        ;       Child Loop BB353_49 Depth 3
                                        ; implicit-def: $vgpr20_vgpr21
                                        ; implicit-def: $vgpr22_vgpr23
                                        ; implicit-def: $vgpr16_vgpr17
                                        ; implicit-def: $vgpr18_vgpr19
                                        ; implicit-def: $vgpr12_vgpr13
                                        ; implicit-def: $vgpr14_vgpr15
                                        ; implicit-def: $vgpr10_vgpr11
                                        ; implicit-def: $vgpr8_vgpr9
	s_and_saveexec_b32 s6, s1
	s_wait_alu 0xfffe
	s_xor_b32 s6, exec_lo, s6
	s_cbranch_execnz .LBB353_43
; %bb.17:                               ;   in Loop: Header=BB353_16 Depth=2
	s_wait_alu 0xfffe
	s_and_not1_saveexec_b32 s6, s6
	s_cbranch_execnz .LBB353_44
.LBB353_18:                             ;   in Loop: Header=BB353_16 Depth=2
	s_wait_alu 0xfffe
	s_or_b32 exec_lo, exec_lo, s6
	s_and_saveexec_b32 s6, s3
.LBB353_19:                             ;   in Loop: Header=BB353_16 Depth=2
	v_dual_mov_b32 v1, v0 :: v_dual_mov_b32 v2, v0
	v_mov_b32_e32 v3, v0
	ds_store_b128 v52, v[0:3]
.LBB353_20:                             ;   in Loop: Header=BB353_16 Depth=2
	s_wait_alu 0xfffe
	s_or_b32 exec_lo, exec_lo, s6
	ds_bpermute_b32 v1, v57, v10
	ds_bpermute_b32 v2, v57, v11
	;; [unrolled: 1-line block ×4, first 2 shown]
	s_wait_storecnt_dscnt 0x0
	s_barrier_signal -1
	s_barrier_wait -1
	global_inv scope:SCOPE_SE
	v_add_f64_e32 v[1:2], v[10:11], v[1:2]
	v_add_f64_e32 v[8:9], v[8:9], v[50:51]
	ds_bpermute_b32 v10, v58, v1
	ds_bpermute_b32 v11, v58, v2
	ds_bpermute_b32 v50, v58, v8
	ds_bpermute_b32 v51, v58, v9
	s_wait_dscnt 0x2
	v_add_f64_e32 v[1:2], v[1:2], v[10:11]
	s_wait_dscnt 0x0
	v_add_f64_e32 v[8:9], v[8:9], v[50:51]
	ds_bpermute_b32 v10, v59, v1
	ds_bpermute_b32 v11, v59, v2
	ds_bpermute_b32 v50, v59, v8
	ds_bpermute_b32 v51, v59, v9
	s_wait_dscnt 0x2
	v_add_f64_e32 v[1:2], v[1:2], v[10:11]
	s_wait_dscnt 0x0
	;; [unrolled: 8-line block ×3, first 2 shown]
	v_add_f64_e32 v[10:11], v[8:9], v[50:51]
	ds_bpermute_b32 v8, v61, v1
	ds_bpermute_b32 v9, v61, v2
	ds_bpermute_b32 v50, v61, v10
	ds_bpermute_b32 v51, v61, v11
	s_and_saveexec_b32 s6, s4
	s_cbranch_execz .LBB353_22
; %bb.21:                               ;   in Loop: Header=BB353_16 Depth=2
	s_wait_dscnt 0x0
	v_add_f64_e32 v[10:11], v[10:11], v[50:51]
	v_add_f64_e32 v[8:9], v[1:2], v[8:9]
	ds_store_b128 v53, v[8:11]
.LBB353_22:                             ;   in Loop: Header=BB353_16 Depth=2
	s_wait_alu 0xfffe
	s_or_b32 exec_lo, exec_lo, s6
	v_mov_b32_e32 v10, 0
	s_wait_dscnt 0x2
	v_dual_mov_b32 v11, 0 :: v_dual_mov_b32 v8, 0
	v_mov_b32_e32 v9, 0
	s_wait_loadcnt_dscnt 0x0
	s_barrier_signal -1
	s_barrier_wait -1
	global_inv scope:SCOPE_SE
	s_and_saveexec_b32 s6, s5
	s_cbranch_execnz .LBB353_50
; %bb.23:                               ;   in Loop: Header=BB353_16 Depth=2
	s_wait_alu 0xfffe
	s_or_b32 exec_lo, exec_lo, s6
	s_and_saveexec_b32 s6, s3
	s_cbranch_execnz .LBB353_51
.LBB353_24:                             ;   in Loop: Header=BB353_16 Depth=2
	s_wait_alu 0xfffe
	s_or_b32 exec_lo, exec_lo, s6
	s_and_saveexec_b32 s6, s3
.LBB353_25:                             ;   in Loop: Header=BB353_16 Depth=2
	v_dual_mov_b32 v1, v0 :: v_dual_mov_b32 v2, v0
	v_mov_b32_e32 v3, v0
	ds_store_b128 v52, v[0:3]
.LBB353_26:                             ;   in Loop: Header=BB353_16 Depth=2
	s_wait_alu 0xfffe
	s_or_b32 exec_lo, exec_lo, s6
	ds_bpermute_b32 v1, v57, v12
	ds_bpermute_b32 v2, v57, v13
	;; [unrolled: 1-line block ×4, first 2 shown]
	s_wait_loadcnt_dscnt 0x0
	s_barrier_signal -1
	s_barrier_wait -1
	global_inv scope:SCOPE_SE
	v_add_f64_e32 v[1:2], v[12:13], v[1:2]
	v_add_f64_e32 v[12:13], v[14:15], v[50:51]
	ds_bpermute_b32 v14, v58, v1
	ds_bpermute_b32 v15, v58, v2
	ds_bpermute_b32 v50, v58, v12
	ds_bpermute_b32 v51, v58, v13
	s_wait_dscnt 0x2
	v_add_f64_e32 v[1:2], v[1:2], v[14:15]
	s_wait_dscnt 0x0
	v_add_f64_e32 v[12:13], v[12:13], v[50:51]
	ds_bpermute_b32 v14, v59, v1
	ds_bpermute_b32 v15, v59, v2
	ds_bpermute_b32 v50, v59, v12
	ds_bpermute_b32 v51, v59, v13
	s_wait_dscnt 0x2
	v_add_f64_e32 v[1:2], v[1:2], v[14:15]
	s_wait_dscnt 0x0
	;; [unrolled: 8-line block ×3, first 2 shown]
	v_add_f64_e32 v[14:15], v[12:13], v[50:51]
	ds_bpermute_b32 v12, v61, v1
	ds_bpermute_b32 v13, v61, v2
	;; [unrolled: 1-line block ×4, first 2 shown]
	s_and_saveexec_b32 s6, s4
	s_cbranch_execz .LBB353_28
; %bb.27:                               ;   in Loop: Header=BB353_16 Depth=2
	s_wait_dscnt 0x0
	v_add_f64_e32 v[14:15], v[14:15], v[50:51]
	v_add_f64_e32 v[12:13], v[1:2], v[12:13]
	ds_store_b128 v53, v[12:15]
.LBB353_28:                             ;   in Loop: Header=BB353_16 Depth=2
	s_wait_alu 0xfffe
	s_or_b32 exec_lo, exec_lo, s6
	v_mov_b32_e32 v14, 0
	s_wait_dscnt 0x2
	v_dual_mov_b32 v15, 0 :: v_dual_mov_b32 v12, 0
	v_mov_b32_e32 v13, 0
	s_wait_loadcnt_dscnt 0x0
	s_barrier_signal -1
	s_barrier_wait -1
	global_inv scope:SCOPE_SE
	s_and_saveexec_b32 s6, s5
	s_cbranch_execnz .LBB353_52
; %bb.29:                               ;   in Loop: Header=BB353_16 Depth=2
	s_wait_alu 0xfffe
	s_or_b32 exec_lo, exec_lo, s6
	s_and_saveexec_b32 s6, s3
	s_cbranch_execnz .LBB353_53
.LBB353_30:                             ;   in Loop: Header=BB353_16 Depth=2
	s_wait_alu 0xfffe
	s_or_b32 exec_lo, exec_lo, s6
	s_and_saveexec_b32 s6, s3
.LBB353_31:                             ;   in Loop: Header=BB353_16 Depth=2
	v_dual_mov_b32 v1, v0 :: v_dual_mov_b32 v2, v0
	v_mov_b32_e32 v3, v0
	ds_store_b128 v52, v[0:3]
.LBB353_32:                             ;   in Loop: Header=BB353_16 Depth=2
	s_wait_alu 0xfffe
	s_or_b32 exec_lo, exec_lo, s6
	ds_bpermute_b32 v1, v57, v16
	ds_bpermute_b32 v2, v57, v17
	;; [unrolled: 1-line block ×4, first 2 shown]
	s_wait_loadcnt_dscnt 0x0
	s_barrier_signal -1
	s_barrier_wait -1
	global_inv scope:SCOPE_SE
	v_add_f64_e32 v[1:2], v[16:17], v[1:2]
	v_add_f64_e32 v[16:17], v[18:19], v[50:51]
	ds_bpermute_b32 v18, v58, v1
	ds_bpermute_b32 v19, v58, v2
	ds_bpermute_b32 v50, v58, v16
	ds_bpermute_b32 v51, v58, v17
	s_wait_dscnt 0x2
	v_add_f64_e32 v[1:2], v[1:2], v[18:19]
	s_wait_dscnt 0x0
	v_add_f64_e32 v[16:17], v[16:17], v[50:51]
	ds_bpermute_b32 v18, v59, v1
	ds_bpermute_b32 v19, v59, v2
	ds_bpermute_b32 v50, v59, v16
	ds_bpermute_b32 v51, v59, v17
	s_wait_dscnt 0x2
	v_add_f64_e32 v[1:2], v[1:2], v[18:19]
	s_wait_dscnt 0x0
	;; [unrolled: 8-line block ×3, first 2 shown]
	v_add_f64_e32 v[18:19], v[16:17], v[50:51]
	ds_bpermute_b32 v16, v61, v1
	ds_bpermute_b32 v17, v61, v2
	;; [unrolled: 1-line block ×4, first 2 shown]
	s_and_saveexec_b32 s6, s4
	s_cbranch_execz .LBB353_34
; %bb.33:                               ;   in Loop: Header=BB353_16 Depth=2
	s_wait_dscnt 0x0
	v_add_f64_e32 v[18:19], v[18:19], v[50:51]
	v_add_f64_e32 v[16:17], v[1:2], v[16:17]
	ds_store_b128 v53, v[16:19]
.LBB353_34:                             ;   in Loop: Header=BB353_16 Depth=2
	s_wait_alu 0xfffe
	s_or_b32 exec_lo, exec_lo, s6
	v_mov_b32_e32 v18, 0
	s_wait_dscnt 0x2
	v_dual_mov_b32 v19, 0 :: v_dual_mov_b32 v16, 0
	v_mov_b32_e32 v17, 0
	s_wait_loadcnt_dscnt 0x0
	s_barrier_signal -1
	s_barrier_wait -1
	global_inv scope:SCOPE_SE
	s_and_saveexec_b32 s6, s5
	s_cbranch_execnz .LBB353_54
; %bb.35:                               ;   in Loop: Header=BB353_16 Depth=2
	s_wait_alu 0xfffe
	s_or_b32 exec_lo, exec_lo, s6
	s_and_saveexec_b32 s6, s3
	s_cbranch_execnz .LBB353_55
.LBB353_36:                             ;   in Loop: Header=BB353_16 Depth=2
	s_wait_alu 0xfffe
	s_or_b32 exec_lo, exec_lo, s6
	s_and_saveexec_b32 s6, s3
.LBB353_37:                             ;   in Loop: Header=BB353_16 Depth=2
	v_dual_mov_b32 v1, v0 :: v_dual_mov_b32 v2, v0
	v_mov_b32_e32 v3, v0
	ds_store_b128 v52, v[0:3]
.LBB353_38:                             ;   in Loop: Header=BB353_16 Depth=2
	s_wait_alu 0xfffe
	s_or_b32 exec_lo, exec_lo, s6
	ds_bpermute_b32 v1, v57, v20
	ds_bpermute_b32 v2, v57, v21
	;; [unrolled: 1-line block ×4, first 2 shown]
	s_wait_loadcnt_dscnt 0x0
	s_barrier_signal -1
	s_barrier_wait -1
	global_inv scope:SCOPE_SE
	v_add_f64_e32 v[1:2], v[20:21], v[1:2]
	v_add_f64_e32 v[20:21], v[22:23], v[50:51]
	ds_bpermute_b32 v22, v58, v1
	ds_bpermute_b32 v23, v58, v2
	ds_bpermute_b32 v50, v58, v20
	ds_bpermute_b32 v51, v58, v21
	s_wait_dscnt 0x2
	v_add_f64_e32 v[1:2], v[1:2], v[22:23]
	s_wait_dscnt 0x0
	v_add_f64_e32 v[20:21], v[20:21], v[50:51]
	ds_bpermute_b32 v22, v59, v1
	ds_bpermute_b32 v23, v59, v2
	ds_bpermute_b32 v50, v59, v20
	ds_bpermute_b32 v51, v59, v21
	s_wait_dscnt 0x2
	v_add_f64_e32 v[1:2], v[1:2], v[22:23]
	s_wait_dscnt 0x0
	;; [unrolled: 8-line block ×3, first 2 shown]
	v_add_f64_e32 v[22:23], v[20:21], v[50:51]
	ds_bpermute_b32 v20, v61, v1
	ds_bpermute_b32 v21, v61, v2
	ds_bpermute_b32 v50, v61, v22
	ds_bpermute_b32 v51, v61, v23
	s_and_saveexec_b32 s6, s4
	s_cbranch_execz .LBB353_40
; %bb.39:                               ;   in Loop: Header=BB353_16 Depth=2
	s_wait_dscnt 0x0
	v_add_f64_e32 v[22:23], v[22:23], v[50:51]
	v_add_f64_e32 v[20:21], v[1:2], v[20:21]
	ds_store_b128 v53, v[20:23]
.LBB353_40:                             ;   in Loop: Header=BB353_16 Depth=2
	s_wait_alu 0xfffe
	s_or_b32 exec_lo, exec_lo, s6
	v_mov_b32_e32 v22, 0
	s_wait_dscnt 0x2
	v_dual_mov_b32 v23, 0 :: v_dual_mov_b32 v20, 0
	v_mov_b32_e32 v21, 0
	s_wait_loadcnt_dscnt 0x0
	s_barrier_signal -1
	s_barrier_wait -1
	global_inv scope:SCOPE_SE
	s_and_saveexec_b32 s6, s5
	s_cbranch_execnz .LBB353_56
; %bb.41:                               ;   in Loop: Header=BB353_16 Depth=2
	s_wait_alu 0xfffe
	s_or_b32 exec_lo, exec_lo, s6
	s_and_saveexec_b32 s6, s3
	s_cbranch_execnz .LBB353_57
.LBB353_42:                             ;   in Loop: Header=BB353_16 Depth=2
	s_wait_alu 0xfffe
	s_or_b32 exec_lo, exec_lo, s6
	s_and_saveexec_b32 s6, s0
	s_cbranch_execz .LBB353_15
	s_branch .LBB353_58
.LBB353_43:                             ;   in Loop: Header=BB353_16 Depth=2
	s_clause 0x1
	flat_load_b128 v[8:11], v[40:41]
	flat_load_b128 v[12:15], v[42:43]
	s_mul_u64 s[8:9], s[24:25], s[26:27]
	s_wait_alu 0xfffe
	s_lshl_b64 s[8:9], s[8:9], 4
	s_wait_alu 0xfffe
	v_add_co_u32 v1, vcc_lo, v34, s8
	s_wait_alu 0xfffd
	v_add_co_ci_u32_e64 v2, null, s9, v35, vcc_lo
	s_or_b32 s8, s24, 1
	s_mov_b32 s9, s25
	s_wait_alu 0xfffe
	s_mul_u64 s[8:9], s[8:9], s[26:27]
	s_wait_alu 0xfffe
	s_lshl_b64 s[8:9], s[8:9], 4
	s_wait_alu 0xfffe
	v_add_co_u32 v50, vcc_lo, v34, s8
	s_wait_alu 0xfffd
	v_add_co_ci_u32_e64 v51, null, s9, v35, vcc_lo
	s_or_b32 s8, s24, 2
	s_mov_b32 s9, s25
	s_wait_alu 0xfffe
	;; [unrolled: 10-line block ×3, first 2 shown]
	s_mul_u64 s[8:9], s[8:9], s[26:27]
	s_wait_alu 0xfffe
	s_lshl_b64 s[8:9], s[8:9], 4
	s_wait_alu 0xfffe
	v_add_co_u32 v68, vcc_lo, v34, s8
	s_wait_alu 0xfffd
	v_add_co_ci_u32_e64 v69, null, s9, v35, vcc_lo
	s_wait_loadcnt_dscnt 0x101
	scratch_store_b128 off, v[8:11], off
	s_wait_loadcnt_dscnt 0x0
	scratch_store_b128 off, v[12:15], s28
	flat_load_b128 v[12:15], v[44:45]
	s_wait_loadcnt_dscnt 0x0
	scratch_store_b128 off, v[12:15], s59
	flat_load_b128 v[12:15], v[46:47]
	;; [unrolled: 3-line block ×3, first 2 shown]
	s_wait_loadcnt_dscnt 0x0
	v_mul_f64_e32 v[16:17], v[10:11], v[14:15]
	v_mul_f64_e32 v[14:15], v[8:9], v[14:15]
	s_delay_alu instid0(VALU_DEP_2) | instskip(NEXT) | instid1(VALU_DEP_2)
	v_fma_f64 v[16:17], v[8:9], v[12:13], -v[16:17]
	v_fma_f64 v[12:13], v[10:11], v[12:13], v[14:15]
	s_delay_alu instid0(VALU_DEP_2) | instskip(NEXT) | instid1(VALU_DEP_2)
	v_add_f64_e32 v[16:17], 0, v[16:17]
	v_add_f64_e32 v[18:19], 0, v[12:13]
	flat_load_b128 v[12:15], v[50:51]
	s_wait_loadcnt_dscnt 0x0
	v_mul_f64_e32 v[20:21], v[10:11], v[14:15]
	v_mul_f64_e32 v[14:15], v[8:9], v[14:15]
	s_delay_alu instid0(VALU_DEP_2) | instskip(NEXT) | instid1(VALU_DEP_2)
	v_fma_f64 v[20:21], v[8:9], v[12:13], -v[20:21]
	v_fma_f64 v[12:13], v[10:11], v[12:13], v[14:15]
	s_delay_alu instid0(VALU_DEP_2) | instskip(NEXT) | instid1(VALU_DEP_2)
	v_add_f64_e32 v[20:21], 0, v[20:21]
	v_add_f64_e32 v[22:23], 0, v[12:13]
	flat_load_b128 v[12:15], v[62:63]
	;; [unrolled: 10-line block ×3, first 2 shown]
	s_wait_loadcnt_dscnt 0x0
	v_mul_f64_e32 v[70:71], v[10:11], v[14:15]
	s_delay_alu instid0(VALU_DEP_1) | instskip(SKIP_1) | instid1(VALU_DEP_2)
	v_fma_f64 v[70:71], v[8:9], v[12:13], -v[70:71]
	v_mul_f64_e32 v[8:9], v[8:9], v[14:15]
	v_add_f64_e32 v[70:71], 0, v[70:71]
	s_delay_alu instid0(VALU_DEP_2) | instskip(NEXT) | instid1(VALU_DEP_1)
	v_fma_f64 v[8:9], v[10:11], v[12:13], v[8:9]
	v_add_f64_e32 v[72:73], 0, v[8:9]
	scratch_load_b128 v[8:11], off, off offset:16
	flat_load_b128 v[12:15], v[1:2] offset:16
	s_wait_loadcnt_dscnt 0x0
	v_mul_f64_e32 v[74:75], v[10:11], v[14:15]
	v_mul_f64_e32 v[14:15], v[8:9], v[14:15]
	s_delay_alu instid0(VALU_DEP_2) | instskip(NEXT) | instid1(VALU_DEP_2)
	v_fma_f64 v[74:75], v[8:9], v[12:13], -v[74:75]
	v_fma_f64 v[12:13], v[10:11], v[12:13], v[14:15]
	s_delay_alu instid0(VALU_DEP_2) | instskip(NEXT) | instid1(VALU_DEP_2)
	v_add_f64_e32 v[16:17], v[16:17], v[74:75]
	v_add_f64_e32 v[18:19], v[18:19], v[12:13]
	flat_load_b128 v[12:15], v[50:51] offset:16
	s_wait_loadcnt_dscnt 0x0
	v_mul_f64_e32 v[74:75], v[10:11], v[14:15]
	v_mul_f64_e32 v[14:15], v[8:9], v[14:15]
	s_delay_alu instid0(VALU_DEP_2) | instskip(NEXT) | instid1(VALU_DEP_2)
	v_fma_f64 v[74:75], v[8:9], v[12:13], -v[74:75]
	v_fma_f64 v[12:13], v[10:11], v[12:13], v[14:15]
	s_delay_alu instid0(VALU_DEP_2) | instskip(NEXT) | instid1(VALU_DEP_2)
	v_add_f64_e32 v[20:21], v[20:21], v[74:75]
	v_add_f64_e32 v[22:23], v[22:23], v[12:13]
	;; [unrolled: 10-line block ×3, first 2 shown]
	flat_load_b128 v[12:15], v[68:69] offset:16
	s_wait_loadcnt_dscnt 0x0
	v_mul_f64_e32 v[74:75], v[10:11], v[14:15]
	s_delay_alu instid0(VALU_DEP_1) | instskip(SKIP_1) | instid1(VALU_DEP_2)
	v_fma_f64 v[74:75], v[8:9], v[12:13], -v[74:75]
	v_mul_f64_e32 v[8:9], v[8:9], v[14:15]
	v_add_f64_e32 v[70:71], v[70:71], v[74:75]
	s_delay_alu instid0(VALU_DEP_2) | instskip(NEXT) | instid1(VALU_DEP_1)
	v_fma_f64 v[8:9], v[10:11], v[12:13], v[8:9]
	v_add_f64_e32 v[72:73], v[72:73], v[8:9]
	scratch_load_b128 v[8:11], off, off offset:32
	flat_load_b128 v[12:15], v[1:2] offset:32
	s_wait_loadcnt_dscnt 0x0
	v_mul_f64_e32 v[74:75], v[10:11], v[14:15]
	v_mul_f64_e32 v[14:15], v[8:9], v[14:15]
	s_delay_alu instid0(VALU_DEP_2) | instskip(NEXT) | instid1(VALU_DEP_2)
	v_fma_f64 v[74:75], v[8:9], v[12:13], -v[74:75]
	v_fma_f64 v[12:13], v[10:11], v[12:13], v[14:15]
	s_delay_alu instid0(VALU_DEP_2) | instskip(NEXT) | instid1(VALU_DEP_2)
	v_add_f64_e32 v[16:17], v[16:17], v[74:75]
	v_add_f64_e32 v[18:19], v[18:19], v[12:13]
	flat_load_b128 v[12:15], v[50:51] offset:32
	s_wait_loadcnt_dscnt 0x0
	v_mul_f64_e32 v[74:75], v[10:11], v[14:15]
	v_mul_f64_e32 v[14:15], v[8:9], v[14:15]
	s_delay_alu instid0(VALU_DEP_2) | instskip(NEXT) | instid1(VALU_DEP_2)
	v_fma_f64 v[74:75], v[8:9], v[12:13], -v[74:75]
	v_fma_f64 v[12:13], v[10:11], v[12:13], v[14:15]
	s_delay_alu instid0(VALU_DEP_2) | instskip(NEXT) | instid1(VALU_DEP_2)
	v_add_f64_e32 v[74:75], v[20:21], v[74:75]
	v_add_f64_e32 v[76:77], v[22:23], v[12:13]
	;; [unrolled: 10-line block ×3, first 2 shown]
	flat_load_b128 v[12:15], v[68:69] offset:32
	s_wait_loadcnt_dscnt 0x0
	v_mul_f64_e32 v[20:21], v[10:11], v[14:15]
	s_delay_alu instid0(VALU_DEP_1) | instskip(SKIP_1) | instid1(VALU_DEP_2)
	v_fma_f64 v[20:21], v[8:9], v[12:13], -v[20:21]
	v_mul_f64_e32 v[8:9], v[8:9], v[14:15]
	v_add_f64_e32 v[70:71], v[70:71], v[20:21]
	s_delay_alu instid0(VALU_DEP_2) | instskip(NEXT) | instid1(VALU_DEP_1)
	v_fma_f64 v[8:9], v[10:11], v[12:13], v[8:9]
	v_add_f64_e32 v[72:73], v[72:73], v[8:9]
	scratch_load_b128 v[20:23], off, off offset:48
	s_clause 0x1
	flat_load_b128 v[8:11], v[1:2] offset:48
	flat_load_b128 v[12:15], v[50:51] offset:48
	s_wait_loadcnt_dscnt 0x101
	v_mul_f64_e32 v[1:2], v[22:23], v[10:11]
	v_mul_f64_e32 v[10:11], v[20:21], v[10:11]
	s_delay_alu instid0(VALU_DEP_2) | instskip(NEXT) | instid1(VALU_DEP_2)
	v_fma_f64 v[1:2], v[20:21], v[8:9], -v[1:2]
	v_fma_f64 v[8:9], v[22:23], v[8:9], v[10:11]
	s_delay_alu instid0(VALU_DEP_2) | instskip(NEXT) | instid1(VALU_DEP_2)
	v_add_f64_e32 v[10:11], v[16:17], v[1:2]
	v_add_f64_e32 v[8:9], v[18:19], v[8:9]
	flat_load_b128 v[16:19], v[62:63] offset:48
	s_wait_loadcnt_dscnt 0x101
	v_mul_f64_e32 v[1:2], v[22:23], v[14:15]
	v_mul_f64_e32 v[14:15], v[20:21], v[14:15]
	s_delay_alu instid0(VALU_DEP_2) | instskip(NEXT) | instid1(VALU_DEP_2)
	v_fma_f64 v[1:2], v[20:21], v[12:13], -v[1:2]
	v_fma_f64 v[14:15], v[22:23], v[12:13], v[14:15]
	s_delay_alu instid0(VALU_DEP_2) | instskip(NEXT) | instid1(VALU_DEP_2)
	v_add_f64_e32 v[12:13], v[74:75], v[1:2]
	v_add_f64_e32 v[14:15], v[76:77], v[14:15]
	s_wait_loadcnt_dscnt 0x0
	v_mul_f64_e32 v[1:2], v[22:23], v[18:19]
	v_mul_f64_e32 v[18:19], v[20:21], v[18:19]
	s_delay_alu instid0(VALU_DEP_2) | instskip(NEXT) | instid1(VALU_DEP_2)
	v_fma_f64 v[1:2], v[20:21], v[16:17], -v[1:2]
	v_fma_f64 v[18:19], v[22:23], v[16:17], v[18:19]
	s_delay_alu instid0(VALU_DEP_2) | instskip(SKIP_4) | instid1(VALU_DEP_1)
	v_add_f64_e32 v[16:17], v[64:65], v[1:2]
	flat_load_b128 v[62:65], v[68:69] offset:48
	v_add_f64_e32 v[18:19], v[66:67], v[18:19]
	s_wait_loadcnt_dscnt 0x0
	v_mul_f64_e32 v[1:2], v[22:23], v[64:65]
	v_fma_f64 v[1:2], v[20:21], v[62:63], -v[1:2]
	v_mul_f64_e32 v[20:21], v[20:21], v[64:65]
	s_delay_alu instid0(VALU_DEP_1) | instskip(NEXT) | instid1(VALU_DEP_3)
	v_fma_f64 v[22:23], v[22:23], v[62:63], v[20:21]
	v_add_f64_e32 v[20:21], v[70:71], v[1:2]
	s_delay_alu instid0(VALU_DEP_2)
	v_add_f64_e32 v[22:23], v[72:73], v[22:23]
	s_and_not1_saveexec_b32 s6, s6
	s_cbranch_execz .LBB353_18
.LBB353_44:                             ;   in Loop: Header=BB353_16 Depth=2
	s_wait_dscnt 0x0
	v_mov_b32_e32 v20, 0
	v_mov_b32_e32 v16, 0
	;; [unrolled: 1-line block ×3, first 2 shown]
	v_dual_mov_b32 v10, 0 :: v_dual_mov_b32 v21, 0
	v_dual_mov_b32 v22, 0 :: v_dual_mov_b32 v17, 0
	;; [unrolled: 1-line block ×5, first 2 shown]
	v_mov_b32_e32 v19, 0
	v_mov_b32_e32 v15, 0
	;; [unrolled: 1-line block ×3, first 2 shown]
	s_and_saveexec_b32 s7, s2
	s_cbranch_execz .LBB353_60
; %bb.45:                               ;   in Loop: Header=BB353_16 Depth=2
	s_and_not1_b32 vcc_lo, exec_lo, s58
	s_wait_alu 0xfffe
	s_cbranch_vccnz .LBB353_59
; %bb.46:                               ;   in Loop: Header=BB353_16 Depth=2
	v_dual_mov_b32 v1, v40 :: v_dual_mov_b32 v2, v41
	s_mov_b32 s8, 0
	s_mov_b32 s9, s56
.LBB353_47:                             ;   Parent Loop BB353_3 Depth=1
                                        ;     Parent Loop BB353_16 Depth=2
                                        ; =>    This Inner Loop Header: Depth=3
	flat_load_b128 v[8:11], v[1:2]
	v_add_co_u32 v1, vcc_lo, v1, s46
	s_wait_alu 0xfffd
	v_add_co_ci_u32_e64 v2, null, s47, v2, vcc_lo
	s_wait_alu 0xfffe
	s_add_co_i32 s9, s9, -1
	s_wait_loadcnt_dscnt 0x0
	scratch_store_b128 off, v[8:11], s8
	s_add_co_i32 s8, s8, 16
	s_wait_alu 0xfffe
	s_cmp_eq_u32 s9, 0
	s_cbranch_scc0 .LBB353_47
; %bb.48:                               ;   in Loop: Header=BB353_16 Depth=2
	v_mov_b32_e32 v8, 0
	v_mov_b32_e32 v14, 0
	v_mov_b32_e32 v18, 0
	v_dual_mov_b32 v22, 0 :: v_dual_mov_b32 v9, 0
	v_dual_mov_b32 v10, 0 :: v_dual_mov_b32 v15, 0
	;; [unrolled: 1-line block ×5, first 2 shown]
	v_mov_b32_e32 v13, 0
	v_mov_b32_e32 v17, 0
	v_mov_b32_e32 v21, 0
	v_dual_mov_b32 v1, v48 :: v_dual_mov_b32 v2, v49
	s_mov_b32 s8, s61
	s_mov_b32 s9, s56
.LBB353_49:                             ;   Parent Loop BB353_3 Depth=1
                                        ;     Parent Loop BB353_16 Depth=2
                                        ; =>    This Inner Loop Header: Depth=3
	s_delay_alu instid0(VALU_DEP_1)
	v_add_co_u32 v50, vcc_lo, v1, s50
	s_wait_alu 0xfffd
	v_add_co_ci_u32_e64 v51, null, s51, v2, vcc_lo
	scratch_load_b128 v[62:65], off, s8 offset:-8
	v_add_co_u32 v74, vcc_lo, v50, s50
	s_wait_alu 0xfffd
	v_add_co_ci_u32_e64 v75, null, s51, v51, vcc_lo
	flat_load_b128 v[66:69], v[1:2]
	v_add_co_u32 v78, vcc_lo, v74, s50
	s_wait_alu 0xfffd
	v_add_co_ci_u32_e64 v79, null, s51, v75, vcc_lo
	v_add_co_u32 v1, vcc_lo, v1, 16
	s_clause 0x2
	flat_load_b128 v[70:73], v[50:51]
	flat_load_b128 v[74:77], v[74:75]
	flat_load_b128 v[78:81], v[78:79]
	s_wait_alu 0xfffd
	v_add_co_ci_u32_e64 v2, null, 0, v2, vcc_lo
	s_wait_alu 0xfffe
	s_add_co_i32 s9, s9, -1
	s_add_co_i32 s8, s8, 16
	s_wait_alu 0xfffe
	s_cmp_lg_u32 s9, 0
	s_wait_loadcnt_dscnt 0x303
	v_mul_f64_e32 v[50:51], v[64:65], v[68:69]
	v_mul_f64_e32 v[68:69], v[62:63], v[68:69]
	s_wait_loadcnt_dscnt 0x202
	v_mul_f64_e32 v[82:83], v[64:65], v[72:73]
	v_mul_f64_e32 v[72:73], v[62:63], v[72:73]
	;; [unrolled: 3-line block ×4, first 2 shown]
	v_fma_f64 v[50:51], v[62:63], v[66:67], -v[50:51]
	v_fma_f64 v[66:67], v[64:65], v[66:67], v[68:69]
	v_fma_f64 v[68:69], v[62:63], v[70:71], -v[82:83]
	v_fma_f64 v[70:71], v[64:65], v[70:71], v[72:73]
	;; [unrolled: 2-line block ×4, first 2 shown]
	v_add_f64_e32 v[10:11], v[10:11], v[50:51]
	v_add_f64_e32 v[8:9], v[8:9], v[66:67]
	;; [unrolled: 1-line block ×8, first 2 shown]
	s_cbranch_scc1 .LBB353_49
	s_branch .LBB353_60
.LBB353_50:                             ;   in Loop: Header=BB353_16 Depth=2
	ds_load_b128 v[8:11], v52
	s_wait_alu 0xfffe
	s_or_b32 exec_lo, exec_lo, s6
	s_and_saveexec_b32 s6, s3
	s_cbranch_execz .LBB353_24
.LBB353_51:                             ;   in Loop: Header=BB353_16 Depth=2
	s_wait_dscnt 0x0
	ds_bpermute_b32 v1, v59, v8
	ds_bpermute_b32 v2, v59, v9
	ds_bpermute_b32 v50, v59, v10
	ds_bpermute_b32 v51, v59, v11
	s_wait_dscnt 0x2
	v_add_f64_e32 v[1:2], v[8:9], v[1:2]
	s_wait_dscnt 0x0
	v_add_f64_e32 v[8:9], v[10:11], v[50:51]
	ds_bpermute_b32 v10, v60, v1
	ds_bpermute_b32 v11, v60, v2
	ds_bpermute_b32 v50, v60, v8
	ds_bpermute_b32 v51, v60, v9
	s_wait_dscnt 0x2
	v_add_f64_e32 v[1:2], v[1:2], v[10:11]
	s_wait_dscnt 0x0
	v_add_f64_e32 v[10:11], v[8:9], v[50:51]
	;; [unrolled: 8-line block ×3, first 2 shown]
	s_wait_alu 0xfffe
	s_or_b32 exec_lo, exec_lo, s6
	s_and_saveexec_b32 s6, s3
	s_cbranch_execnz .LBB353_25
	s_branch .LBB353_26
.LBB353_52:                             ;   in Loop: Header=BB353_16 Depth=2
	ds_load_b128 v[12:15], v52
	s_wait_alu 0xfffe
	s_or_b32 exec_lo, exec_lo, s6
	s_and_saveexec_b32 s6, s3
	s_cbranch_execz .LBB353_30
.LBB353_53:                             ;   in Loop: Header=BB353_16 Depth=2
	s_wait_dscnt 0x0
	ds_bpermute_b32 v1, v59, v12
	ds_bpermute_b32 v2, v59, v13
	ds_bpermute_b32 v50, v59, v14
	ds_bpermute_b32 v51, v59, v15
	s_wait_dscnt 0x2
	v_add_f64_e32 v[1:2], v[12:13], v[1:2]
	s_wait_dscnt 0x0
	v_add_f64_e32 v[12:13], v[14:15], v[50:51]
	ds_bpermute_b32 v14, v60, v1
	ds_bpermute_b32 v15, v60, v2
	ds_bpermute_b32 v50, v60, v12
	ds_bpermute_b32 v51, v60, v13
	s_wait_dscnt 0x2
	v_add_f64_e32 v[1:2], v[1:2], v[14:15]
	s_wait_dscnt 0x0
	v_add_f64_e32 v[14:15], v[12:13], v[50:51]
	;; [unrolled: 8-line block ×3, first 2 shown]
	s_wait_alu 0xfffe
	s_or_b32 exec_lo, exec_lo, s6
	s_and_saveexec_b32 s6, s3
	s_cbranch_execnz .LBB353_31
	s_branch .LBB353_32
.LBB353_54:                             ;   in Loop: Header=BB353_16 Depth=2
	ds_load_b128 v[16:19], v52
	s_wait_alu 0xfffe
	s_or_b32 exec_lo, exec_lo, s6
	s_and_saveexec_b32 s6, s3
	s_cbranch_execz .LBB353_36
.LBB353_55:                             ;   in Loop: Header=BB353_16 Depth=2
	s_wait_dscnt 0x0
	ds_bpermute_b32 v1, v59, v16
	ds_bpermute_b32 v2, v59, v17
	ds_bpermute_b32 v50, v59, v18
	ds_bpermute_b32 v51, v59, v19
	s_wait_dscnt 0x2
	v_add_f64_e32 v[1:2], v[16:17], v[1:2]
	s_wait_dscnt 0x0
	v_add_f64_e32 v[16:17], v[18:19], v[50:51]
	ds_bpermute_b32 v18, v60, v1
	ds_bpermute_b32 v19, v60, v2
	ds_bpermute_b32 v50, v60, v16
	ds_bpermute_b32 v51, v60, v17
	s_wait_dscnt 0x2
	v_add_f64_e32 v[1:2], v[1:2], v[18:19]
	s_wait_dscnt 0x0
	v_add_f64_e32 v[18:19], v[16:17], v[50:51]
	;; [unrolled: 8-line block ×3, first 2 shown]
	s_wait_alu 0xfffe
	s_or_b32 exec_lo, exec_lo, s6
	s_and_saveexec_b32 s6, s3
	s_cbranch_execnz .LBB353_37
	s_branch .LBB353_38
.LBB353_56:                             ;   in Loop: Header=BB353_16 Depth=2
	ds_load_b128 v[20:23], v52
	s_wait_alu 0xfffe
	s_or_b32 exec_lo, exec_lo, s6
	s_and_saveexec_b32 s6, s3
	s_cbranch_execz .LBB353_42
.LBB353_57:                             ;   in Loop: Header=BB353_16 Depth=2
	s_wait_dscnt 0x0
	ds_bpermute_b32 v1, v59, v20
	ds_bpermute_b32 v2, v59, v21
	ds_bpermute_b32 v50, v59, v22
	ds_bpermute_b32 v51, v59, v23
	s_wait_dscnt 0x2
	v_add_f64_e32 v[1:2], v[20:21], v[1:2]
	s_wait_dscnt 0x0
	v_add_f64_e32 v[20:21], v[22:23], v[50:51]
	ds_bpermute_b32 v22, v60, v1
	ds_bpermute_b32 v23, v60, v2
	ds_bpermute_b32 v50, v60, v20
	ds_bpermute_b32 v51, v60, v21
	s_wait_dscnt 0x2
	v_add_f64_e32 v[1:2], v[1:2], v[22:23]
	s_wait_dscnt 0x0
	v_add_f64_e32 v[22:23], v[20:21], v[50:51]
	;; [unrolled: 8-line block ×3, first 2 shown]
	s_wait_alu 0xfffe
	s_or_b32 exec_lo, exec_lo, s6
	s_and_saveexec_b32 s6, s0
	s_cbranch_execz .LBB353_15
.LBB353_58:                             ;   in Loop: Header=BB353_16 Depth=2
	v_mul_f64_e32 v[1:2], v[6:7], v[10:11]
	v_mul_f64_e32 v[10:11], v[4:5], v[10:11]
	;; [unrolled: 1-line block ×6, first 2 shown]
	s_wait_dscnt 0x0
	v_mul_f64_e32 v[68:69], v[6:7], v[22:23]
	v_mul_f64_e32 v[22:23], v[4:5], v[22:23]
	s_or_b32 s64, s24, 1
	s_mov_b32 s65, s25
	s_mul_u64 s[8:9], s[24:25], s[30:31]
	s_or_b32 s66, s24, 2
	s_mov_b32 s67, s25
	s_or_b32 s68, s24, 3
	s_mov_b32 s69, s25
	s_mul_u64 s[64:65], s[64:65], s[30:31]
	s_mul_u64 s[66:67], s[66:67], s[30:31]
	;; [unrolled: 1-line block ×3, first 2 shown]
	s_wait_alu 0xfffe
	s_lshl_b64 s[8:9], s[8:9], 4
	s_lshl_b64 s[64:65], s[64:65], 4
	s_wait_alu 0xfffe
	s_add_nc_u64 s[8:9], s[52:53], s[8:9]
	s_lshl_b64 s[66:67], s[66:67], 4
	s_lshl_b64 s[68:69], s[68:69], 4
	s_add_nc_u64 s[64:65], s[52:53], s[64:65]
	s_add_nc_u64 s[66:67], s[52:53], s[66:67]
	s_add_nc_u64 s[68:69], s[52:53], s[68:69]
	v_fma_f64 v[62:63], v[4:5], v[8:9], -v[1:2]
	v_fma_f64 v[64:65], v[6:7], v[8:9], v[10:11]
	v_fma_f64 v[8:9], v[4:5], v[12:13], -v[50:51]
	v_fma_f64 v[10:11], v[6:7], v[12:13], v[14:15]
	;; [unrolled: 2-line block ×4, first 2 shown]
	s_clause 0x3
	global_store_b128 v0, v[62:65], s[8:9]
	global_store_b128 v0, v[8:11], s[64:65]
	;; [unrolled: 1-line block ×4, first 2 shown]
	s_branch .LBB353_15
.LBB353_59:                             ;   in Loop: Header=BB353_16 Depth=2
	v_mov_b32_e32 v20, 0
	v_mov_b32_e32 v16, 0
	;; [unrolled: 1-line block ×3, first 2 shown]
	v_dual_mov_b32 v10, 0 :: v_dual_mov_b32 v21, 0
	v_dual_mov_b32 v22, 0 :: v_dual_mov_b32 v17, 0
	;; [unrolled: 1-line block ×5, first 2 shown]
	v_mov_b32_e32 v19, 0
	v_mov_b32_e32 v15, 0
	;; [unrolled: 1-line block ×3, first 2 shown]
.LBB353_60:                             ;   in Loop: Header=BB353_16 Depth=2
	s_wait_alu 0xfffe
	s_or_b32 exec_lo, exec_lo, s7
	s_delay_alu instid0(SALU_CYCLE_1)
	s_or_b32 exec_lo, exec_lo, s6
	s_and_saveexec_b32 s6, s3
	s_cbranch_execnz .LBB353_19
	s_branch .LBB353_20
.LBB353_61:                             ;   in Loop: Header=BB353_3 Depth=1
	s_mov_b32 s24, 0
.LBB353_62:                             ;   in Loop: Header=BB353_3 Depth=1
	s_wait_alu 0xfffe
	s_cmp_ge_i32 s24, s29
	s_cbranch_scc1 .LBB353_2
; %bb.63:                               ;   in Loop: Header=BB353_3 Depth=1
	v_cmp_gt_u32_e32 vcc_lo, 24, v56
	s_wait_alu 0xfffd
	v_cndmask_b32_e64 v1, 0, 8, vcc_lo
	v_cmp_gt_u32_e32 vcc_lo, 28, v56
	s_delay_alu instid0(VALU_DEP_2)
	v_add_lshl_u32 v40, v1, v56, 2
	s_wait_alu 0xfffd
	v_cndmask_b32_e64 v3, 0, 4, vcc_lo
	v_cmp_gt_u32_e32 vcc_lo, 30, v56
	s_wait_dscnt 0x0
	s_wait_alu 0xfffd
	v_cndmask_b32_e64 v8, 0, 2, vcc_lo
	v_add_co_u32 v1, vcc_lo, v38, v54
	s_wait_alu 0xfffd
	v_add_co_ci_u32_e64 v2, null, v39, v55, vcc_lo
	v_cmp_ne_u32_e32 vcc_lo, 31, v56
	v_add_lshl_u32 v38, v3, v56, 2
	v_add_lshl_u32 v39, v8, v56, 2
	s_delay_alu instid0(VALU_DEP_4)
	v_mad_co_u64_u32 v[12:13], null, s50, s24, v[1:2]
	s_wait_alu 0xfffd
	v_add_co_ci_u32_e64 v9, null, 0, v56, vcc_lo
	v_add_co_u32 v14, vcc_lo, v36, v26
	s_wait_alu 0xfffd
	v_add_co_ci_u32_e64 v15, null, v37, v27, vcc_lo
	s_delay_alu instid0(VALU_DEP_4) | instskip(SKIP_3) | instid1(VALU_DEP_3)
	v_mov_b32_e32 v1, v13
	v_add_co_u32 v16, vcc_lo, v36, v28
	s_wait_alu 0xfffd
	v_add_co_ci_u32_e64 v17, null, v37, v29, vcc_lo
	v_mad_co_u64_u32 v[1:2], null, s51, s24, v[1:2]
	v_add_co_u32 v18, vcc_lo, v36, v30
	s_wait_alu 0xfffd
	v_add_co_ci_u32_e64 v19, null, v37, v31, vcc_lo
	s_wait_dscnt 0x0
	v_add_co_u32 v20, vcc_lo, v36, v32
	v_lshlrev_b32_e32 v41, 2, v9
	s_wait_alu 0xfffd
	v_add_co_ci_u32_e64 v21, null, v37, v33, vcc_lo
	v_mov_b32_e32 v13, v1
	s_branch .LBB353_65
.LBB353_64:                             ;   in Loop: Header=BB353_65 Depth=2
	s_wait_alu 0xfffe
	s_or_b32 exec_lo, exec_lo, s6
	v_add_co_u32 v12, vcc_lo, v12, s50
	s_wait_alu 0xfffd
	v_add_co_ci_u32_e64 v13, null, s51, v13, vcc_lo
	s_add_co_i32 s24, s24, 1
	s_wait_alu 0xfffe
	s_cmp_lt_i32 s24, s29
	s_cbranch_scc0 .LBB353_2
.LBB353_65:                             ;   Parent Loop BB353_3 Depth=1
                                        ; =>  This Loop Header: Depth=2
                                        ;       Child Loop BB353_77 Depth 3
                                        ;       Child Loop BB353_79 Depth 3
                                        ; implicit-def: $vgpr8_vgpr9
                                        ; implicit-def: $vgpr10_vgpr11
	s_and_saveexec_b32 s6, s1
	s_wait_alu 0xfffe
	s_xor_b32 s6, exec_lo, s6
	s_cbranch_execnz .LBB353_74
; %bb.66:                               ;   in Loop: Header=BB353_65 Depth=2
	s_wait_alu 0xfffe
	s_and_not1_saveexec_b32 s6, s6
	s_cbranch_execnz .LBB353_75
.LBB353_67:                             ;   in Loop: Header=BB353_65 Depth=2
	s_wait_alu 0xfffe
	s_or_b32 exec_lo, exec_lo, s6
	s_and_saveexec_b32 s6, s3
.LBB353_68:                             ;   in Loop: Header=BB353_65 Depth=2
	v_dual_mov_b32 v1, v0 :: v_dual_mov_b32 v2, v0
	v_mov_b32_e32 v3, v0
	ds_store_b128 v52, v[0:3]
.LBB353_69:                             ;   in Loop: Header=BB353_65 Depth=2
	s_wait_alu 0xfffe
	s_or_b32 exec_lo, exec_lo, s6
	s_wait_dscnt 0x0
	ds_bpermute_b32 v1, v57, v8
	ds_bpermute_b32 v2, v57, v9
	;; [unrolled: 1-line block ×4, first 2 shown]
	s_wait_storecnt 0x0
	s_wait_loadcnt_dscnt 0x0
	s_barrier_signal -1
	s_barrier_wait -1
	global_inv scope:SCOPE_SE
	v_add_f64_e32 v[1:2], v[8:9], v[1:2]
	v_add_f64_e32 v[8:9], v[10:11], v[22:23]
	ds_bpermute_b32 v10, v40, v1
	ds_bpermute_b32 v11, v40, v2
	ds_bpermute_b32 v22, v40, v8
	ds_bpermute_b32 v23, v40, v9
	s_wait_dscnt 0x2
	v_add_f64_e32 v[1:2], v[1:2], v[10:11]
	s_wait_dscnt 0x0
	v_add_f64_e32 v[8:9], v[8:9], v[22:23]
	ds_bpermute_b32 v10, v38, v1
	ds_bpermute_b32 v11, v38, v2
	ds_bpermute_b32 v22, v38, v8
	ds_bpermute_b32 v23, v38, v9
	s_wait_dscnt 0x2
	v_add_f64_e32 v[1:2], v[1:2], v[10:11]
	s_wait_dscnt 0x0
	;; [unrolled: 8-line block ×3, first 2 shown]
	v_add_f64_e32 v[10:11], v[8:9], v[22:23]
	ds_bpermute_b32 v8, v41, v1
	ds_bpermute_b32 v9, v41, v2
	;; [unrolled: 1-line block ×4, first 2 shown]
	s_and_saveexec_b32 s6, s4
	s_cbranch_execz .LBB353_71
; %bb.70:                               ;   in Loop: Header=BB353_65 Depth=2
	s_wait_dscnt 0x0
	v_add_f64_e32 v[10:11], v[10:11], v[22:23]
	v_add_f64_e32 v[8:9], v[1:2], v[8:9]
	ds_store_b128 v53, v[8:11]
.LBB353_71:                             ;   in Loop: Header=BB353_65 Depth=2
	s_wait_alu 0xfffe
	s_or_b32 exec_lo, exec_lo, s6
	v_mov_b32_e32 v10, 0
	s_wait_dscnt 0x2
	v_dual_mov_b32 v11, 0 :: v_dual_mov_b32 v8, 0
	v_mov_b32_e32 v9, 0
	s_wait_loadcnt_dscnt 0x0
	s_barrier_signal -1
	s_barrier_wait -1
	global_inv scope:SCOPE_SE
	s_and_saveexec_b32 s6, s5
	s_cbranch_execnz .LBB353_81
; %bb.72:                               ;   in Loop: Header=BB353_65 Depth=2
	s_wait_alu 0xfffe
	s_or_b32 exec_lo, exec_lo, s6
	s_and_saveexec_b32 s6, s3
	s_cbranch_execnz .LBB353_82
.LBB353_73:                             ;   in Loop: Header=BB353_65 Depth=2
	s_wait_alu 0xfffe
	s_or_b32 exec_lo, exec_lo, s6
	s_and_saveexec_b32 s6, s0
	s_cbranch_execz .LBB353_64
	s_branch .LBB353_83
.LBB353_74:                             ;   in Loop: Header=BB353_65 Depth=2
	s_wait_dscnt 0x0
	s_clause 0x2
	flat_load_b128 v[8:11], v[16:17]
	flat_load_b128 v[42:45], v[18:19]
	;; [unrolled: 1-line block ×3, first 2 shown]
	s_mul_u64 s[8:9], s[24:25], s[26:27]
	s_wait_alu 0xfffe
	s_lshl_b64 s[8:9], s[8:9], 4
	s_wait_alu 0xfffe
	v_add_co_u32 v1, vcc_lo, v34, s8
	s_wait_alu 0xfffd
	v_add_co_ci_u32_e64 v2, null, s9, v35, vcc_lo
	flat_load_b128 v[58:61], v[14:15]
	s_clause 0x1
	flat_load_b128 v[62:65], v[1:2]
	flat_load_b128 v[66:69], v[1:2] offset:16
	s_wait_loadcnt_dscnt 0x505
	scratch_store_b128 off, v[8:11], s28
	s_wait_loadcnt_dscnt 0x404
	scratch_store_b128 off, v[42:45], s59
	s_clause 0x1
	scratch_load_b128 v[8:11], off, off offset:16
	scratch_load_b128 v[42:45], off, off offset:32
	s_clause 0x1
	flat_load_b128 v[70:73], v[1:2] offset:32
	flat_load_b128 v[74:77], v[1:2] offset:48
	s_wait_loadcnt_dscnt 0x705
	scratch_store_b128 off, v[46:49], s60
	scratch_load_b128 v[46:49], off, off offset:48
	s_wait_loadcnt_dscnt 0x704
	scratch_store_b128 off, v[58:61], off
	s_wait_loadcnt_dscnt 0x603
	v_mul_f64_e32 v[1:2], v[64:65], v[60:61]
	v_mul_f64_e32 v[22:23], v[62:63], v[60:61]
	s_delay_alu instid0(VALU_DEP_2) | instskip(NEXT) | instid1(VALU_DEP_2)
	v_fma_f64 v[1:2], v[62:63], v[58:59], -v[1:2]
	v_fma_f64 v[22:23], v[64:65], v[58:59], v[22:23]
	s_delay_alu instid0(VALU_DEP_2) | instskip(NEXT) | instid1(VALU_DEP_2)
	v_add_f64_e32 v[1:2], 0, v[1:2]
	v_add_f64_e32 v[22:23], 0, v[22:23]
	s_wait_loadcnt_dscnt 0x402
	v_mul_f64_e32 v[36:37], v[68:69], v[10:11]
	v_mul_f64_e32 v[10:11], v[66:67], v[10:11]
	s_wait_loadcnt_dscnt 0x201
	v_mul_f64_e32 v[50:51], v[72:73], v[44:45]
	v_mul_f64_e32 v[44:45], v[70:71], v[44:45]
	s_delay_alu instid0(VALU_DEP_4) | instskip(NEXT) | instid1(VALU_DEP_4)
	v_fma_f64 v[36:37], v[66:67], v[8:9], -v[36:37]
	v_fma_f64 v[8:9], v[68:69], v[8:9], v[10:11]
	s_wait_loadcnt_dscnt 0x0
	v_mul_f64_e32 v[10:11], v[76:77], v[48:49]
	v_mul_f64_e32 v[48:49], v[74:75], v[48:49]
	v_fma_f64 v[50:51], v[70:71], v[42:43], -v[50:51]
	v_fma_f64 v[42:43], v[72:73], v[42:43], v[44:45]
	v_add_f64_e32 v[1:2], v[1:2], v[36:37]
	v_add_f64_e32 v[8:9], v[22:23], v[8:9]
	v_fma_f64 v[10:11], v[74:75], v[46:47], -v[10:11]
	v_fma_f64 v[22:23], v[76:77], v[46:47], v[48:49]
	s_delay_alu instid0(VALU_DEP_4) | instskip(NEXT) | instid1(VALU_DEP_4)
	v_add_f64_e32 v[1:2], v[1:2], v[50:51]
	v_add_f64_e32 v[36:37], v[8:9], v[42:43]
	s_delay_alu instid0(VALU_DEP_2) | instskip(NEXT) | instid1(VALU_DEP_2)
	v_add_f64_e32 v[8:9], v[1:2], v[10:11]
	v_add_f64_e32 v[10:11], v[36:37], v[22:23]
	s_and_not1_saveexec_b32 s6, s6
	s_cbranch_execz .LBB353_67
.LBB353_75:                             ;   in Loop: Header=BB353_65 Depth=2
	s_wait_dscnt 0x0
	v_mov_b32_e32 v8, 0
	v_dual_mov_b32 v9, 0 :: v_dual_mov_b32 v10, 0
	v_mov_b32_e32 v11, 0
	s_and_saveexec_b32 s7, s62
	s_cbranch_execz .LBB353_80
; %bb.76:                               ;   in Loop: Header=BB353_65 Depth=2
	v_dual_mov_b32 v1, v14 :: v_dual_mov_b32 v2, v15
	s_mov_b32 s8, 0
	s_mov_b32 s9, s56
.LBB353_77:                             ;   Parent Loop BB353_3 Depth=1
                                        ;     Parent Loop BB353_65 Depth=2
                                        ; =>    This Inner Loop Header: Depth=3
	flat_load_b128 v[8:11], v[1:2]
	v_add_co_u32 v1, vcc_lo, v1, s46
	s_wait_alu 0xfffd
	v_add_co_ci_u32_e64 v2, null, s47, v2, vcc_lo
	s_wait_alu 0xfffe
	s_add_co_i32 s9, s9, -1
	s_wait_loadcnt_dscnt 0x0
	scratch_store_b128 off, v[8:11], s8
	s_add_co_i32 s8, s8, 16
	s_wait_alu 0xfffe
	s_cmp_eq_u32 s9, 0
	s_cbranch_scc0 .LBB353_77
; %bb.78:                               ;   in Loop: Header=BB353_65 Depth=2
	v_mov_b32_e32 v8, 0
	v_dual_mov_b32 v9, 0 :: v_dual_mov_b32 v10, 0
	v_mov_b32_e32 v11, 0
	v_dual_mov_b32 v1, v12 :: v_dual_mov_b32 v2, v13
	s_mov_b32 s8, s61
	s_mov_b32 s9, s56
.LBB353_79:                             ;   Parent Loop BB353_3 Depth=1
                                        ;     Parent Loop BB353_65 Depth=2
                                        ; =>    This Inner Loop Header: Depth=3
	flat_load_b128 v[42:45], v[1:2] offset:-8
	scratch_load_b128 v[46:49], off, s8 offset:-8
	v_add_co_u32 v1, vcc_lo, v1, 16
	s_wait_alu 0xfffd
	v_add_co_ci_u32_e64 v2, null, 0, v2, vcc_lo
	s_wait_alu 0xfffe
	s_add_co_i32 s9, s9, -1
	s_add_co_i32 s8, s8, 16
	s_wait_alu 0xfffe
	s_cmp_lg_u32 s9, 0
	s_wait_loadcnt_dscnt 0x0
	v_mul_f64_e32 v[22:23], v[44:45], v[48:49]
	v_mul_f64_e32 v[36:37], v[42:43], v[48:49]
	s_delay_alu instid0(VALU_DEP_2) | instskip(NEXT) | instid1(VALU_DEP_2)
	v_fma_f64 v[22:23], v[42:43], v[46:47], -v[22:23]
	v_fma_f64 v[36:37], v[44:45], v[46:47], v[36:37]
	s_delay_alu instid0(VALU_DEP_2) | instskip(NEXT) | instid1(VALU_DEP_2)
	v_add_f64_e32 v[8:9], v[8:9], v[22:23]
	v_add_f64_e32 v[10:11], v[10:11], v[36:37]
	s_cbranch_scc1 .LBB353_79
.LBB353_80:                             ;   in Loop: Header=BB353_65 Depth=2
	s_wait_alu 0xfffe
	s_or_b32 exec_lo, exec_lo, s7
	s_delay_alu instid0(SALU_CYCLE_1)
	s_or_b32 exec_lo, exec_lo, s6
	s_and_saveexec_b32 s6, s3
	s_cbranch_execnz .LBB353_68
	s_branch .LBB353_69
.LBB353_81:                             ;   in Loop: Header=BB353_65 Depth=2
	ds_load_b128 v[8:11], v52
	s_wait_alu 0xfffe
	s_or_b32 exec_lo, exec_lo, s6
	s_and_saveexec_b32 s6, s3
	s_cbranch_execz .LBB353_73
.LBB353_82:                             ;   in Loop: Header=BB353_65 Depth=2
	s_wait_dscnt 0x0
	ds_bpermute_b32 v1, v38, v8
	ds_bpermute_b32 v2, v38, v9
	ds_bpermute_b32 v22, v38, v10
	ds_bpermute_b32 v23, v38, v11
	s_wait_dscnt 0x2
	v_add_f64_e32 v[1:2], v[8:9], v[1:2]
	s_wait_dscnt 0x0
	v_add_f64_e32 v[8:9], v[10:11], v[22:23]
	ds_bpermute_b32 v10, v39, v1
	ds_bpermute_b32 v11, v39, v2
	ds_bpermute_b32 v22, v39, v8
	ds_bpermute_b32 v23, v39, v9
	s_wait_dscnt 0x2
	v_add_f64_e32 v[1:2], v[1:2], v[10:11]
	s_wait_dscnt 0x0
	v_add_f64_e32 v[10:11], v[8:9], v[22:23]
	;; [unrolled: 8-line block ×3, first 2 shown]
	s_wait_alu 0xfffe
	s_or_b32 exec_lo, exec_lo, s6
	s_and_saveexec_b32 s6, s0
	s_cbranch_execz .LBB353_64
.LBB353_83:                             ;   in Loop: Header=BB353_65 Depth=2
	s_wait_dscnt 0x0
	s_delay_alu instid0(VALU_DEP_1)
	v_mul_f64_e32 v[1:2], v[6:7], v[10:11]
	v_mul_f64_e32 v[10:11], v[4:5], v[10:11]
	s_mul_u64 s[8:9], s[24:25], s[30:31]
	s_wait_alu 0xfffe
	s_lshl_b64 s[8:9], s[8:9], 4
	s_wait_alu 0xfffe
	s_add_nc_u64 s[8:9], s[52:53], s[8:9]
	s_delay_alu instid0(VALU_DEP_2) | instskip(NEXT) | instid1(VALU_DEP_2)
	v_fma_f64 v[42:43], v[4:5], v[8:9], -v[1:2]
	v_fma_f64 v[44:45], v[6:7], v[8:9], v[10:11]
	global_store_b128 v0, v[42:45], s[8:9]
	s_branch .LBB353_64
.LBB353_84:
	s_endpgm
	.section	.rodata,"a",@progbits
	.p2align	6, 0x0
	.amdhsa_kernel _ZL23rocblas_gemvt_sn_kernelILb0ELi256ELi4ElPK19rocblas_complex_numIdES3_S1_EviiT4_lPKT3_lilS7_lilPT5_i
		.amdhsa_group_segment_fixed_size 512
		.amdhsa_private_segment_fixed_size 80
		.amdhsa_kernarg_size 360
		.amdhsa_user_sgpr_count 2
		.amdhsa_user_sgpr_dispatch_ptr 0
		.amdhsa_user_sgpr_queue_ptr 0
		.amdhsa_user_sgpr_kernarg_segment_ptr 1
		.amdhsa_user_sgpr_dispatch_id 0
		.amdhsa_user_sgpr_private_segment_size 0
		.amdhsa_wavefront_size32 1
		.amdhsa_uses_dynamic_stack 0
		.amdhsa_enable_private_segment 1
		.amdhsa_system_sgpr_workgroup_id_x 1
		.amdhsa_system_sgpr_workgroup_id_y 0
		.amdhsa_system_sgpr_workgroup_id_z 1
		.amdhsa_system_sgpr_workgroup_info 0
		.amdhsa_system_vgpr_workitem_id 0
		.amdhsa_next_free_vgpr 88
		.amdhsa_next_free_sgpr 70
		.amdhsa_reserve_vcc 1
		.amdhsa_float_round_mode_32 0
		.amdhsa_float_round_mode_16_64 0
		.amdhsa_float_denorm_mode_32 3
		.amdhsa_float_denorm_mode_16_64 3
		.amdhsa_fp16_overflow 0
		.amdhsa_workgroup_processor_mode 1
		.amdhsa_memory_ordered 1
		.amdhsa_forward_progress 1
		.amdhsa_inst_pref_size 58
		.amdhsa_round_robin_scheduling 0
		.amdhsa_exception_fp_ieee_invalid_op 0
		.amdhsa_exception_fp_denorm_src 0
		.amdhsa_exception_fp_ieee_div_zero 0
		.amdhsa_exception_fp_ieee_overflow 0
		.amdhsa_exception_fp_ieee_underflow 0
		.amdhsa_exception_fp_ieee_inexact 0
		.amdhsa_exception_int_div_zero 0
	.end_amdhsa_kernel
	.section	.text._ZL23rocblas_gemvt_sn_kernelILb0ELi256ELi4ElPK19rocblas_complex_numIdES3_S1_EviiT4_lPKT3_lilS7_lilPT5_i,"axG",@progbits,_ZL23rocblas_gemvt_sn_kernelILb0ELi256ELi4ElPK19rocblas_complex_numIdES3_S1_EviiT4_lPKT3_lilS7_lilPT5_i,comdat
.Lfunc_end353:
	.size	_ZL23rocblas_gemvt_sn_kernelILb0ELi256ELi4ElPK19rocblas_complex_numIdES3_S1_EviiT4_lPKT3_lilS7_lilPT5_i, .Lfunc_end353-_ZL23rocblas_gemvt_sn_kernelILb0ELi256ELi4ElPK19rocblas_complex_numIdES3_S1_EviiT4_lPKT3_lilS7_lilPT5_i
                                        ; -- End function
	.set _ZL23rocblas_gemvt_sn_kernelILb0ELi256ELi4ElPK19rocblas_complex_numIdES3_S1_EviiT4_lPKT3_lilS7_lilPT5_i.num_vgpr, 88
	.set _ZL23rocblas_gemvt_sn_kernelILb0ELi256ELi4ElPK19rocblas_complex_numIdES3_S1_EviiT4_lPKT3_lilS7_lilPT5_i.num_agpr, 0
	.set _ZL23rocblas_gemvt_sn_kernelILb0ELi256ELi4ElPK19rocblas_complex_numIdES3_S1_EviiT4_lPKT3_lilS7_lilPT5_i.numbered_sgpr, 70
	.set _ZL23rocblas_gemvt_sn_kernelILb0ELi256ELi4ElPK19rocblas_complex_numIdES3_S1_EviiT4_lPKT3_lilS7_lilPT5_i.num_named_barrier, 0
	.set _ZL23rocblas_gemvt_sn_kernelILb0ELi256ELi4ElPK19rocblas_complex_numIdES3_S1_EviiT4_lPKT3_lilS7_lilPT5_i.private_seg_size, 80
	.set _ZL23rocblas_gemvt_sn_kernelILb0ELi256ELi4ElPK19rocblas_complex_numIdES3_S1_EviiT4_lPKT3_lilS7_lilPT5_i.uses_vcc, 1
	.set _ZL23rocblas_gemvt_sn_kernelILb0ELi256ELi4ElPK19rocblas_complex_numIdES3_S1_EviiT4_lPKT3_lilS7_lilPT5_i.uses_flat_scratch, 1
	.set _ZL23rocblas_gemvt_sn_kernelILb0ELi256ELi4ElPK19rocblas_complex_numIdES3_S1_EviiT4_lPKT3_lilS7_lilPT5_i.has_dyn_sized_stack, 0
	.set _ZL23rocblas_gemvt_sn_kernelILb0ELi256ELi4ElPK19rocblas_complex_numIdES3_S1_EviiT4_lPKT3_lilS7_lilPT5_i.has_recursion, 0
	.set _ZL23rocblas_gemvt_sn_kernelILb0ELi256ELi4ElPK19rocblas_complex_numIdES3_S1_EviiT4_lPKT3_lilS7_lilPT5_i.has_indirect_call, 0
	.section	.AMDGPU.csdata,"",@progbits
; Kernel info:
; codeLenInByte = 7316
; TotalNumSgprs: 72
; NumVgprs: 88
; ScratchSize: 80
; MemoryBound: 0
; FloatMode: 240
; IeeeMode: 1
; LDSByteSize: 512 bytes/workgroup (compile time only)
; SGPRBlocks: 0
; VGPRBlocks: 10
; NumSGPRsForWavesPerEU: 72
; NumVGPRsForWavesPerEU: 88
; Occupancy: 16
; WaveLimiterHint : 0
; COMPUTE_PGM_RSRC2:SCRATCH_EN: 1
; COMPUTE_PGM_RSRC2:USER_SGPR: 2
; COMPUTE_PGM_RSRC2:TRAP_HANDLER: 0
; COMPUTE_PGM_RSRC2:TGID_X_EN: 1
; COMPUTE_PGM_RSRC2:TGID_Y_EN: 0
; COMPUTE_PGM_RSRC2:TGID_Z_EN: 1
; COMPUTE_PGM_RSRC2:TIDIG_COMP_CNT: 0
	.section	.text._ZL23rocblas_gemvt_sn_reduceILi256ELi8E19rocblas_complex_numIdEPKS1_KPS1_EviT2_lPT3_lilPT1_i,"axG",@progbits,_ZL23rocblas_gemvt_sn_reduceILi256ELi8E19rocblas_complex_numIdEPKS1_KPS1_EviT2_lPT3_lilPT1_i,comdat
	.globl	_ZL23rocblas_gemvt_sn_reduceILi256ELi8E19rocblas_complex_numIdEPKS1_KPS1_EviT2_lPT3_lilPT1_i ; -- Begin function _ZL23rocblas_gemvt_sn_reduceILi256ELi8E19rocblas_complex_numIdEPKS1_KPS1_EviT2_lPT3_lilPT1_i
	.p2align	8
	.type	_ZL23rocblas_gemvt_sn_reduceILi256ELi8E19rocblas_complex_numIdEPKS1_KPS1_EviT2_lPT3_lilPT1_i,@function
_ZL23rocblas_gemvt_sn_reduceILi256ELi8E19rocblas_complex_numIdEPKS1_KPS1_EviT2_lPT3_lilPT1_i: ; @_ZL23rocblas_gemvt_sn_reduceILi256ELi8E19rocblas_complex_numIdEPKS1_KPS1_EviT2_lPT3_lilPT1_i
; %bb.0:
	s_load_b32 s7, s[0:1], 0x40
	s_lshr_b32 s16, ttmp7, 16
	s_wait_kmcnt 0x0
	s_cmp_ge_u32 s16, s7
	s_cbranch_scc1 .LBB354_21
; %bb.1:
	s_clause 0x5
	s_load_b32 s18, s[0:1], 0x0
	s_load_b32 s28, s[0:1], 0x4c
	;; [unrolled: 1-line block ×4, first 2 shown]
	s_load_b64 s[20:21], s[0:1], 0x38
	s_load_b256 s[8:15], s[0:1], 0x8
	v_mbcnt_lo_u32_b32 v5, -1, 0
	v_dual_mov_b32 v1, 0 :: v_dual_and_b32 v4, 31, v0
	v_lshlrev_b32_e32 v21, 3, v0
	v_cmp_gt_u32_e64 s0, 32, v0
	s_delay_alu instid0(VALU_DEP_4) | instskip(NEXT) | instid1(VALU_DEP_4)
	v_cmp_gt_u32_e32 vcc_lo, 24, v5
	v_dual_mov_b32 v3, v1 :: v_dual_lshlrev_b32 v22, 4, v4
	v_cmp_eq_u32_e64 s3, 0, v4
	v_lshlrev_b32_e32 v4, 7, v0
	v_cndmask_b32_e64 v6, 0, 8, vcc_lo
	v_cmp_gt_u32_e32 vcc_lo, 28, v5
	v_cmp_gt_u32_e64 s4, 8, v0
	v_cmp_eq_u32_e64 s5, 0, v0
	s_wait_kmcnt 0x0
	s_ashr_i32 s19, s18, 31
	v_xad_u32 v2, v0, -1, s18
	s_wait_alu 0xfffd
	v_cndmask_b32_e64 v7, 0, 4, vcc_lo
	s_lshr_b32 s1, s19, 29
	v_cmp_gt_u32_e32 vcc_lo, 30, v5
	s_add_co_i32 s1, s18, s1
	s_and_b32 s6, s2, 0xffff
	s_and_b32 s29, s1, -8
	v_add_lshl_u32 v24, v6, v5, 2
	s_wait_alu 0xfffd
	v_cndmask_b32_e64 v8, 0, 2, vcc_lo
	v_cmp_ne_u32_e32 vcc_lo, 31, v5
	s_sub_co_i32 s2, s18, s29
	v_lshrrev_b32_e32 v6, 1, v0
	v_cmp_gt_u32_e64 s2, s2, v0
	v_add_co_u32 v0, s26, s20, v4
	s_wait_alu 0xfffd
	v_add_co_ci_u32_e64 v9, null, 0, v5, vcc_lo
	v_add_co_ci_u32_e64 v4, null, s21, 0, s26
	s_mov_b32 s17, 0
	v_add_co_u32 v13, vcc_lo, 0x78, v0
	s_and_b32 s22, ttmp7, 0xffff
	s_ashr_i32 s25, s24, 31
	s_mov_b32 s23, s17
	v_lshlrev_b64_e32 v[15:16], 4, v[2:3]
	v_lshl_or_b32 v23, v5, 2, 64
	v_cmp_gt_i32_e64 s1, s29, v21
	v_add_lshl_u32 v25, v7, v5, 2
	v_add_lshl_u32 v26, v8, v5, 2
	v_lshlrev_b32_e32 v27, 2, v9
	v_and_b32_e32 v28, 0x70, v6
	s_wait_alu 0xfffd
	v_add_co_ci_u32_e64 v14, null, 0, v4, vcc_lo
	s_mul_u64 s[26:27], s[24:25], s[22:23]
	s_mul_i32 s23, s16, s28
	s_lshl_b32 s30, s6, 3
	s_lshl_b64 s[24:25], s[18:19], 4
	s_add_co_i32 s23, s22, s23
	s_lshl_b32 s31, s28, 16
	s_lshl_b32 s33, s6, 7
	s_lshl_b64 s[14:15], s[14:15], 4
	s_wait_alu 0xfffe
	s_lshl_b64 s[26:27], s[26:27], 4
	s_branch .LBB354_4
.LBB354_2:                              ;   in Loop: Header=BB354_4 Depth=1
	v_add_co_u32 v3, vcc_lo, v0, s26
	s_wait_alu 0xfffd
	v_add_co_ci_u32_e64 v4, null, s27, v2, vcc_lo
	s_wait_dscnt 0x0
	flat_store_b128 v[3:4], v[9:12]
.LBB354_3:                              ;   in Loop: Header=BB354_4 Depth=1
	s_wait_alu 0xfffe
	s_or_b32 exec_lo, exec_lo, s34
	s_add_co_i32 s16, s16, 0x10000
	s_add_co_i32 s23, s23, s31
	s_cmp_lt_u32 s16, s7
	s_cbranch_scc0 .LBB354_21
.LBB354_4:                              ; =>This Loop Header: Depth=1
                                        ;     Child Loop BB354_14 Depth 2
	s_mul_u64 s[34:35], s[10:11], s[16:17]
	s_lshl_b64 s[36:37], s[16:17], 3
	s_wait_alu 0xfffe
	s_lshl_b64 s[34:35], s[34:35], 4
	s_add_nc_u64 s[36:37], s[12:13], s[36:37]
	s_wait_alu 0xfffe
	s_add_nc_u64 s[34:35], s[8:9], s[34:35]
	s_clause 0x1
	global_load_b64 v[17:18], v1, s[36:37]
	global_load_b128 v[5:8], v1, s[34:35]
	s_wait_dscnt 0x0
	v_mov_b32_e32 v9, 0
	v_dual_mov_b32 v10, 0 :: v_dual_mov_b32 v11, 0
	v_mov_b32_e32 v12, 0
	s_and_saveexec_b32 s34, s1
	s_cbranch_execnz .LBB354_13
; %bb.5:                                ;   in Loop: Header=BB354_4 Depth=1
	s_wait_alu 0xfffe
	s_or_b32 exec_lo, exec_lo, s34
	s_and_saveexec_b32 s6, s2
	s_cbranch_execnz .LBB354_16
.LBB354_6:                              ;   in Loop: Header=BB354_4 Depth=1
	s_wait_alu 0xfffe
	s_or_b32 exec_lo, exec_lo, s6
	s_and_saveexec_b32 s6, s0
.LBB354_7:                              ;   in Loop: Header=BB354_4 Depth=1
	v_dual_mov_b32 v2, v1 :: v_dual_mov_b32 v3, v1
	v_mov_b32_e32 v4, v1
	ds_store_b128 v22, v[1:4]
.LBB354_8:                              ;   in Loop: Header=BB354_4 Depth=1
	s_wait_alu 0xfffe
	s_or_b32 exec_lo, exec_lo, s6
	ds_bpermute_b32 v2, v23, v11
	ds_bpermute_b32 v3, v23, v12
	;; [unrolled: 1-line block ×4, first 2 shown]
	s_wait_loadcnt_dscnt 0x0
	s_barrier_signal -1
	s_barrier_wait -1
	global_inv scope:SCOPE_SE
	v_add_f64_e32 v[2:3], v[11:12], v[2:3]
	v_add_f64_e32 v[9:10], v[9:10], v[19:20]
	ds_bpermute_b32 v11, v24, v2
	ds_bpermute_b32 v12, v24, v3
	ds_bpermute_b32 v19, v24, v9
	ds_bpermute_b32 v20, v24, v10
	s_wait_dscnt 0x2
	v_add_f64_e32 v[2:3], v[2:3], v[11:12]
	s_wait_dscnt 0x0
	v_add_f64_e32 v[9:10], v[9:10], v[19:20]
	ds_bpermute_b32 v11, v25, v2
	ds_bpermute_b32 v12, v25, v3
	ds_bpermute_b32 v19, v25, v9
	ds_bpermute_b32 v20, v25, v10
	s_wait_dscnt 0x2
	v_add_f64_e32 v[2:3], v[2:3], v[11:12]
	s_wait_dscnt 0x0
	;; [unrolled: 8-line block ×3, first 2 shown]
	v_add_f64_e32 v[11:12], v[9:10], v[19:20]
	ds_bpermute_b32 v9, v27, v2
	ds_bpermute_b32 v10, v27, v3
	;; [unrolled: 1-line block ×4, first 2 shown]
	s_and_saveexec_b32 s6, s3
	s_cbranch_execz .LBB354_10
; %bb.9:                                ;   in Loop: Header=BB354_4 Depth=1
	s_wait_dscnt 0x0
	v_add_f64_e32 v[11:12], v[11:12], v[19:20]
	v_add_f64_e32 v[9:10], v[2:3], v[9:10]
	ds_store_b128 v28, v[9:12]
.LBB354_10:                             ;   in Loop: Header=BB354_4 Depth=1
	s_wait_alu 0xfffe
	s_or_b32 exec_lo, exec_lo, s6
	v_mov_b32_e32 v11, 0
	s_wait_dscnt 0x2
	v_dual_mov_b32 v12, 0 :: v_dual_mov_b32 v9, 0
	v_mov_b32_e32 v10, 0
	s_wait_loadcnt_dscnt 0x0
	s_barrier_signal -1
	s_barrier_wait -1
	global_inv scope:SCOPE_SE
	s_and_saveexec_b32 s6, s4
	s_cbranch_execnz .LBB354_17
; %bb.11:                               ;   in Loop: Header=BB354_4 Depth=1
	s_wait_alu 0xfffe
	s_or_b32 exec_lo, exec_lo, s6
	s_and_saveexec_b32 s6, s0
	s_cbranch_execnz .LBB354_18
.LBB354_12:                             ;   in Loop: Header=BB354_4 Depth=1
	s_wait_alu 0xfffe
	s_or_b32 exec_lo, exec_lo, s6
	s_and_saveexec_b32 s34, s5
	s_cbranch_execz .LBB354_3
	s_branch .LBB354_19
.LBB354_13:                             ;   in Loop: Header=BB354_4 Depth=1
	v_mad_co_u64_u32 v[2:3], null, s24, s23, v[13:14]
	s_mov_b32 s35, 0
	v_mov_b32_e32 v9, 0
	v_dual_mov_b32 v10, 0 :: v_dual_mov_b32 v11, 0
	v_mov_b32_e32 v12, 0
	v_mov_b32_e32 v0, v3
	s_delay_alu instid0(VALU_DEP_1)
	v_mad_co_u64_u32 v[3:4], null, s25, s23, v[0:1]
	v_mov_b32_e32 v0, v21
.LBB354_14:                             ;   Parent Loop BB354_4 Depth=1
                                        ; =>  This Inner Loop Header: Depth=2
	s_clause 0x7
	global_load_b128 v[29:32], v[2:3], off offset:-120
	global_load_b128 v[33:36], v[2:3], off offset:-104
	;; [unrolled: 1-line block ×8, first 2 shown]
	v_add_nc_u32_e32 v0, s30, v0
	v_add_co_u32 v2, s6, v2, s33
	s_wait_alu 0xf1ff
	v_add_co_ci_u32_e64 v3, null, 0, v3, s6
	s_delay_alu instid0(VALU_DEP_3)
	v_cmp_le_i32_e32 vcc_lo, s29, v0
	s_wait_alu 0xfffe
	s_or_b32 s35, vcc_lo, s35
	s_wait_loadcnt 0x7
	v_add_f64_e32 v[11:12], v[11:12], v[29:30]
	v_add_f64_e32 v[9:10], v[9:10], v[31:32]
	s_wait_loadcnt 0x6
	s_delay_alu instid0(VALU_DEP_2) | instskip(NEXT) | instid1(VALU_DEP_2)
	v_add_f64_e32 v[11:12], v[11:12], v[33:34]
	v_add_f64_e32 v[9:10], v[9:10], v[35:36]
	s_wait_loadcnt 0x5
	s_delay_alu instid0(VALU_DEP_2) | instskip(NEXT) | instid1(VALU_DEP_2)
	;; [unrolled: 4-line block ×7, first 2 shown]
	v_add_f64_e32 v[11:12], v[11:12], v[57:58]
	v_add_f64_e32 v[9:10], v[9:10], v[59:60]
	s_wait_alu 0xfffe
	s_and_not1_b32 exec_lo, exec_lo, s35
	s_cbranch_execnz .LBB354_14
; %bb.15:                               ;   in Loop: Header=BB354_4 Depth=1
	s_or_b32 exec_lo, exec_lo, s35
	s_delay_alu instid0(SALU_CYCLE_1)
	s_or_b32 exec_lo, exec_lo, s34
	s_and_saveexec_b32 s6, s2
	s_cbranch_execz .LBB354_6
.LBB354_16:                             ;   in Loop: Header=BB354_4 Depth=1
	s_mul_i32 s34, s28, s16
	s_mov_b32 s35, s17
	s_wait_alu 0xfffe
	s_add_co_i32 s34, s34, s22
	s_wait_alu 0xfffe
	s_mul_u64 s[34:35], s[34:35], s[18:19]
	s_wait_alu 0xfffe
	s_lshl_b64 s[34:35], s[34:35], 4
	s_wait_alu 0xfffe
	s_add_nc_u64 s[34:35], s[20:21], s[34:35]
	s_wait_alu 0xfffe
	v_add_co_u32 v2, vcc_lo, s34, v15
	s_wait_alu 0xfffd
	v_add_co_ci_u32_e64 v3, null, s35, v16, vcc_lo
	global_load_b128 v[29:32], v[2:3], off
	s_wait_loadcnt 0x0
	v_add_f64_e32 v[11:12], v[11:12], v[29:30]
	v_add_f64_e32 v[9:10], v[9:10], v[31:32]
	s_or_b32 exec_lo, exec_lo, s6
	s_and_saveexec_b32 s6, s0
	s_cbranch_execnz .LBB354_7
	s_branch .LBB354_8
.LBB354_17:                             ;   in Loop: Header=BB354_4 Depth=1
	ds_load_b128 v[9:12], v22
	s_wait_alu 0xfffe
	s_or_b32 exec_lo, exec_lo, s6
	s_and_saveexec_b32 s6, s0
	s_cbranch_execz .LBB354_12
.LBB354_18:                             ;   in Loop: Header=BB354_4 Depth=1
	s_wait_dscnt 0x0
	ds_bpermute_b32 v2, v25, v9
	ds_bpermute_b32 v3, v25, v10
	ds_bpermute_b32 v19, v25, v11
	ds_bpermute_b32 v20, v25, v12
	s_wait_dscnt 0x2
	v_add_f64_e32 v[2:3], v[9:10], v[2:3]
	s_wait_dscnt 0x0
	v_add_f64_e32 v[9:10], v[11:12], v[19:20]
	ds_bpermute_b32 v11, v26, v2
	ds_bpermute_b32 v12, v26, v3
	ds_bpermute_b32 v19, v26, v9
	ds_bpermute_b32 v20, v26, v10
	s_wait_dscnt 0x2
	v_add_f64_e32 v[2:3], v[2:3], v[11:12]
	s_wait_dscnt 0x0
	v_add_f64_e32 v[11:12], v[9:10], v[19:20]
	;; [unrolled: 8-line block ×3, first 2 shown]
	s_wait_alu 0xfffe
	s_or_b32 exec_lo, exec_lo, s6
	s_and_saveexec_b32 s34, s5
	s_cbranch_execz .LBB354_3
.LBB354_19:                             ;   in Loop: Header=BB354_4 Depth=1
	v_cmp_neq_f64_e32 vcc_lo, 0, v[5:6]
	v_cmp_neq_f64_e64 s6, 0, v[7:8]
	s_or_b32 s6, vcc_lo, s6
	v_add_co_u32 v0, vcc_lo, v17, s14
	s_wait_alu 0xfffd
	v_add_co_ci_u32_e64 v2, null, s15, v18, vcc_lo
	s_wait_alu 0xfffe
	s_and_not1_b32 vcc_lo, exec_lo, s6
	s_wait_alu 0xfffe
	s_cbranch_vccnz .LBB354_2
; %bb.20:                               ;   in Loop: Header=BB354_4 Depth=1
	v_add_co_u32 v3, vcc_lo, v0, s26
	s_wait_alu 0xfffd
	v_add_co_ci_u32_e64 v4, null, s27, v2, vcc_lo
	flat_load_b128 v[17:20], v[3:4]
	s_wait_loadcnt_dscnt 0x0
	v_mul_f64_e32 v[3:4], v[7:8], v[19:20]
	v_mul_f64_e32 v[19:20], v[5:6], v[19:20]
	s_delay_alu instid0(VALU_DEP_2) | instskip(NEXT) | instid1(VALU_DEP_2)
	v_fma_f64 v[3:4], v[5:6], v[17:18], -v[3:4]
	v_fma_f64 v[5:6], v[7:8], v[17:18], v[19:20]
	s_delay_alu instid0(VALU_DEP_2) | instskip(NEXT) | instid1(VALU_DEP_2)
	v_add_f64_e32 v[9:10], v[9:10], v[3:4]
	v_add_f64_e32 v[11:12], v[11:12], v[5:6]
	s_branch .LBB354_2
.LBB354_21:
	s_endpgm
	.section	.rodata,"a",@progbits
	.p2align	6, 0x0
	.amdhsa_kernel _ZL23rocblas_gemvt_sn_reduceILi256ELi8E19rocblas_complex_numIdEPKS1_KPS1_EviT2_lPT3_lilPT1_i
		.amdhsa_group_segment_fixed_size 512
		.amdhsa_private_segment_fixed_size 0
		.amdhsa_kernarg_size 328
		.amdhsa_user_sgpr_count 2
		.amdhsa_user_sgpr_dispatch_ptr 0
		.amdhsa_user_sgpr_queue_ptr 0
		.amdhsa_user_sgpr_kernarg_segment_ptr 1
		.amdhsa_user_sgpr_dispatch_id 0
		.amdhsa_user_sgpr_private_segment_size 0
		.amdhsa_wavefront_size32 1
		.amdhsa_uses_dynamic_stack 0
		.amdhsa_enable_private_segment 0
		.amdhsa_system_sgpr_workgroup_id_x 1
		.amdhsa_system_sgpr_workgroup_id_y 1
		.amdhsa_system_sgpr_workgroup_id_z 1
		.amdhsa_system_sgpr_workgroup_info 0
		.amdhsa_system_vgpr_workitem_id 0
		.amdhsa_next_free_vgpr 61
		.amdhsa_next_free_sgpr 38
		.amdhsa_reserve_vcc 1
		.amdhsa_float_round_mode_32 0
		.amdhsa_float_round_mode_16_64 0
		.amdhsa_float_denorm_mode_32 3
		.amdhsa_float_denorm_mode_16_64 3
		.amdhsa_fp16_overflow 0
		.amdhsa_workgroup_processor_mode 1
		.amdhsa_memory_ordered 1
		.amdhsa_forward_progress 1
		.amdhsa_inst_pref_size 14
		.amdhsa_round_robin_scheduling 0
		.amdhsa_exception_fp_ieee_invalid_op 0
		.amdhsa_exception_fp_denorm_src 0
		.amdhsa_exception_fp_ieee_div_zero 0
		.amdhsa_exception_fp_ieee_overflow 0
		.amdhsa_exception_fp_ieee_underflow 0
		.amdhsa_exception_fp_ieee_inexact 0
		.amdhsa_exception_int_div_zero 0
	.end_amdhsa_kernel
	.section	.text._ZL23rocblas_gemvt_sn_reduceILi256ELi8E19rocblas_complex_numIdEPKS1_KPS1_EviT2_lPT3_lilPT1_i,"axG",@progbits,_ZL23rocblas_gemvt_sn_reduceILi256ELi8E19rocblas_complex_numIdEPKS1_KPS1_EviT2_lPT3_lilPT1_i,comdat
.Lfunc_end354:
	.size	_ZL23rocblas_gemvt_sn_reduceILi256ELi8E19rocblas_complex_numIdEPKS1_KPS1_EviT2_lPT3_lilPT1_i, .Lfunc_end354-_ZL23rocblas_gemvt_sn_reduceILi256ELi8E19rocblas_complex_numIdEPKS1_KPS1_EviT2_lPT3_lilPT1_i
                                        ; -- End function
	.set _ZL23rocblas_gemvt_sn_reduceILi256ELi8E19rocblas_complex_numIdEPKS1_KPS1_EviT2_lPT3_lilPT1_i.num_vgpr, 61
	.set _ZL23rocblas_gemvt_sn_reduceILi256ELi8E19rocblas_complex_numIdEPKS1_KPS1_EviT2_lPT3_lilPT1_i.num_agpr, 0
	.set _ZL23rocblas_gemvt_sn_reduceILi256ELi8E19rocblas_complex_numIdEPKS1_KPS1_EviT2_lPT3_lilPT1_i.numbered_sgpr, 38
	.set _ZL23rocblas_gemvt_sn_reduceILi256ELi8E19rocblas_complex_numIdEPKS1_KPS1_EviT2_lPT3_lilPT1_i.num_named_barrier, 0
	.set _ZL23rocblas_gemvt_sn_reduceILi256ELi8E19rocblas_complex_numIdEPKS1_KPS1_EviT2_lPT3_lilPT1_i.private_seg_size, 0
	.set _ZL23rocblas_gemvt_sn_reduceILi256ELi8E19rocblas_complex_numIdEPKS1_KPS1_EviT2_lPT3_lilPT1_i.uses_vcc, 1
	.set _ZL23rocblas_gemvt_sn_reduceILi256ELi8E19rocblas_complex_numIdEPKS1_KPS1_EviT2_lPT3_lilPT1_i.uses_flat_scratch, 0
	.set _ZL23rocblas_gemvt_sn_reduceILi256ELi8E19rocblas_complex_numIdEPKS1_KPS1_EviT2_lPT3_lilPT1_i.has_dyn_sized_stack, 0
	.set _ZL23rocblas_gemvt_sn_reduceILi256ELi8E19rocblas_complex_numIdEPKS1_KPS1_EviT2_lPT3_lilPT1_i.has_recursion, 0
	.set _ZL23rocblas_gemvt_sn_reduceILi256ELi8E19rocblas_complex_numIdEPKS1_KPS1_EviT2_lPT3_lilPT1_i.has_indirect_call, 0
	.section	.AMDGPU.csdata,"",@progbits
; Kernel info:
; codeLenInByte = 1756
; TotalNumSgprs: 40
; NumVgprs: 61
; ScratchSize: 0
; MemoryBound: 1
; FloatMode: 240
; IeeeMode: 1
; LDSByteSize: 512 bytes/workgroup (compile time only)
; SGPRBlocks: 0
; VGPRBlocks: 7
; NumSGPRsForWavesPerEU: 40
; NumVGPRsForWavesPerEU: 61
; Occupancy: 16
; WaveLimiterHint : 1
; COMPUTE_PGM_RSRC2:SCRATCH_EN: 0
; COMPUTE_PGM_RSRC2:USER_SGPR: 2
; COMPUTE_PGM_RSRC2:TRAP_HANDLER: 0
; COMPUTE_PGM_RSRC2:TGID_X_EN: 1
; COMPUTE_PGM_RSRC2:TGID_Y_EN: 1
; COMPUTE_PGM_RSRC2:TGID_Z_EN: 1
; COMPUTE_PGM_RSRC2:TIDIG_COMP_CNT: 0
	.section	.text._ZL23rocblas_gemvt_sn_kernelILb0ELi256ELi4EiPK19rocblas_complex_numIdES1_S1_EviiT4_lPKT3_lilS7_lilPT5_i,"axG",@progbits,_ZL23rocblas_gemvt_sn_kernelILb0ELi256ELi4EiPK19rocblas_complex_numIdES1_S1_EviiT4_lPKT3_lilS7_lilPT5_i,comdat
	.globl	_ZL23rocblas_gemvt_sn_kernelILb0ELi256ELi4EiPK19rocblas_complex_numIdES1_S1_EviiT4_lPKT3_lilS7_lilPT5_i ; -- Begin function _ZL23rocblas_gemvt_sn_kernelILb0ELi256ELi4EiPK19rocblas_complex_numIdES1_S1_EviiT4_lPKT3_lilS7_lilPT5_i
	.p2align	8
	.type	_ZL23rocblas_gemvt_sn_kernelILb0ELi256ELi4EiPK19rocblas_complex_numIdES1_S1_EviiT4_lPKT3_lilS7_lilPT5_i,@function
_ZL23rocblas_gemvt_sn_kernelILb0ELi256ELi4EiPK19rocblas_complex_numIdES1_S1_EviiT4_lPKT3_lilS7_lilPT5_i: ; @_ZL23rocblas_gemvt_sn_kernelILb0ELi256ELi4EiPK19rocblas_complex_numIdES1_S1_EviiT4_lPKT3_lilS7_lilPT5_i
; %bb.0:
	s_load_b32 s33, s[0:1], 0x68
	s_lshr_b32 s10, ttmp7, 16
	s_wait_kmcnt 0x0
	s_cmp_ge_u32 s10, s33
	s_cbranch_scc1 .LBB355_86
; %bb.1:
	s_clause 0x7
	s_load_b128 s[12:15], s[0:1], 0x8
	s_load_b64 s[26:27], s[0:1], 0x0
	s_load_b32 s28, s[0:1], 0x70
	s_load_b64 s[30:31], s[0:1], 0x60
	s_load_b128 s[16:19], s[0:1], 0x20
	s_load_b32 s52, s[0:1], 0x30
	s_load_b128 s[20:23], s[0:1], 0x40
	s_load_b32 s53, s[0:1], 0x50
	s_mov_b32 s35, 0
	v_dual_mov_b32 v1, 0 :: v_dual_and_b32 v2, 31, v0
	s_mov_b32 s29, s35
	v_cmp_eq_u32_e64 s0, 0, v0
	v_lshrrev_b32_e32 v3, 1, v0
	s_delay_alu instid0(VALU_DEP_3)
	v_cmp_eq_u32_e64 s3, 0, v2
	v_lshlrev_b32_e32 v47, 4, v2
	v_cmp_gt_u32_e64 s1, 32, v0
	v_cmp_gt_u32_e64 s2, 8, v0
	v_and_b32_e32 v48, 0x70, v3
	v_mbcnt_lo_u32_b32 v51, -1, 0
	s_mov_b32 s24, ttmp9
	s_wait_kmcnt 0x0
	s_ashr_i32 s5, s27, 31
	s_mov_b32 s4, s27
	s_mov_b32 s25, s35
	s_mul_u64 s[36:37], s[4:5], s[28:29]
	s_mov_b32 s60, 16
	v_cmp_neq_f64_e64 s6, s[12:13], 0
	v_cmp_neq_f64_e64 s7, s[14:15], 0
	s_mov_b32 s61, 32
	s_mov_b32 s62, 48
	s_mul_i32 s65, s52, 3
	s_or_b32 s4, s6, s7
	s_delay_alu instid0(SALU_CYCLE_1)
	s_xor_b32 s54, s4, -1
	s_cmp_gt_i32 s27, 0
	v_cndmask_b32_e64 v49, 0, 1, s4
	s_cselect_b32 s4, -1, 0
	s_lshl_b32 s6, ttmp9, 10
	s_ashr_i32 s7, s26, 31
	v_lshl_or_b32 v2, v0, 2, s6
	s_wait_alu 0xfffe
	s_and_b32 s55, s0, s4
	s_lshr_b32 s4, s7, 30
	s_lshr_b32 s5, s5, 30
	s_wait_alu 0xfffe
	s_add_co_i32 s4, s26, s4
	v_mul_lo_u32 v21, s53, v2
	v_ashrrev_i32_e32 v3, 31, v2
	s_wait_alu 0xfffe
	s_and_b32 s4, s4, -4
	v_add_nc_u32_e32 v0, 4, v2
	s_wait_alu 0xfffe
	s_sub_co_i32 s57, s26, s4
	s_add_co_i32 s5, s27, s5
	v_add_nc_u32_e32 v4, s57, v2
	v_lshlrev_b64_e32 v[23:24], 4, v[2:3]
	v_add_nc_u32_e32 v2, s53, v21
	s_wait_alu 0xfffe
	s_and_b32 s56, s5, -4
	v_ashrrev_i32_e32 v22, 31, v21
	v_cmp_ge_i32_e64 s5, s26, v4
	s_wait_alu 0xfffe
	s_cmp_gt_i32 s56, 0
	v_add_nc_u32_e32 v4, s53, v2
	v_ashrrev_i32_e32 v3, 31, v2
	s_cselect_b32 s58, -1, 0
	s_cmp_gt_i32 s57, 0
	v_lshlrev_b64_e32 v[25:26], 4, v[21:22]
	v_add_nc_u32_e32 v6, s53, v4
	v_ashrrev_i32_e32 v5, 31, v4
	s_cselect_b32 s59, -1, 0
	s_lshl_b64 s[38:39], s[24:25], 4
	v_lshlrev_b64_e32 v[27:28], 4, v[2:3]
	v_ashrrev_i32_e32 v7, 31, v6
	v_lshlrev_b64_e32 v[29:30], 4, v[4:5]
	v_cmp_ge_i32_e64 s4, s26, v0
	v_or_b32_e32 v0, 8, v23
	v_mov_b32_e32 v50, v24
	v_lshlrev_b64_e32 v[31:32], 4, v[6:7]
	v_lshl_or_b32 v22, v51, 2, 64
	s_add_nc_u64 s[6:7], s[30:31], s[38:39]
	s_or_b32 s63, 0, 8
	s_lshl_b64 s[40:41], s[36:37], 4
	s_lshl_b64 s[42:43], s[28:29], 4
	s_lshl_b32 s25, s52, 2
	s_lshl_b32 s64, s52, 1
	s_wait_alu 0xfffe
	s_add_nc_u64 s[44:45], s[6:7], 8
	s_and_b32 s26, s59, s5
	s_lshl_b64 s[18:19], s[18:19], 4
	s_lshl_b64 s[22:23], s[22:23], 4
	s_branch .LBB355_3
.LBB355_2:                              ;   in Loop: Header=BB355_3 Depth=1
	s_add_co_i32 s10, s10, 0x10000
	s_delay_alu instid0(SALU_CYCLE_1)
	s_cmp_lt_u32 s10, s33
	s_cbranch_scc0 .LBB355_86
.LBB355_3:                              ; =>This Loop Header: Depth=1
                                        ;     Child Loop BB355_13 Depth 2
                                        ;     Child Loop BB355_18 Depth 2
                                        ;       Child Loop BB355_49 Depth 3
                                        ;       Child Loop BB355_51 Depth 3
                                        ;     Child Loop BB355_67 Depth 2
                                        ;       Child Loop BB355_79 Depth 3
                                        ;       Child Loop BB355_81 Depth 3
	s_mov_b32 s11, s35
	s_and_not1_b32 vcc_lo, exec_lo, s54
	s_mov_b32 s6, -1
	s_wait_alu 0xfffe
	s_cbranch_vccnz .LBB355_5
; %bb.4:                                ;   in Loop: Header=BB355_3 Depth=1
	s_mov_b32 s6, 0
.LBB355_5:                              ;   in Loop: Header=BB355_3 Depth=1
	v_mov_b32_e32 v33, 0
	v_dual_mov_b32 v34, 0 :: v_dual_mov_b32 v35, 0
	v_mov_b32_e32 v36, 0
	s_wait_alu 0xfffe
	s_and_not1_b32 vcc_lo, exec_lo, s6
	s_wait_alu 0xfffe
	s_cbranch_vccz .LBB355_9
; %bb.6:                                ;   in Loop: Header=BB355_3 Depth=1
	v_cmp_ne_u32_e32 vcc_lo, 1, v49
	s_cbranch_vccz .LBB355_10
.LBB355_7:                              ;   in Loop: Header=BB355_3 Depth=1
	s_and_not1_b32 vcc_lo, exec_lo, s54
	s_mov_b32 s6, -1
	s_wait_alu 0xfffe
	s_cbranch_vccz .LBB355_11
.LBB355_8:                              ;   in Loop: Header=BB355_3 Depth=1
	s_wait_alu 0xfffe
	s_and_not1_b32 vcc_lo, exec_lo, s6
	s_wait_alu 0xfffe
	s_cbranch_vccnz .LBB355_2
	s_branch .LBB355_15
.LBB355_9:                              ;   in Loop: Header=BB355_3 Depth=1
	s_lshl_b64 s[6:7], s[10:11], 3
	s_wait_alu 0xfffe
	s_add_nc_u64 s[6:7], s[16:17], s[6:7]
	s_wait_dscnt 0x0
	global_load_b64 v[2:3], v1, s[6:7]
	s_wait_loadcnt 0x0
	v_add_co_u32 v35, vcc_lo, v2, s18
	s_wait_alu 0xfffd
	v_add_co_ci_u32_e64 v36, null, s19, v3, vcc_lo
	v_cmp_ne_u32_e32 vcc_lo, 1, v49
	s_cbranch_vccnz .LBB355_7
.LBB355_10:                             ;   in Loop: Header=BB355_3 Depth=1
	s_lshl_b64 s[6:7], s[10:11], 3
	s_wait_alu 0xfffe
	s_add_nc_u64 s[6:7], s[20:21], s[6:7]
	s_wait_dscnt 0x0
	global_load_b64 v[2:3], v1, s[6:7]
	s_wait_loadcnt 0x0
	v_add_co_u32 v33, vcc_lo, v2, s22
	s_wait_alu 0xfffd
	v_add_co_ci_u32_e64 v34, null, s23, v3, vcc_lo
	s_and_not1_b32 vcc_lo, exec_lo, s54
	s_mov_b32 s6, -1
	s_wait_alu 0xfffe
	s_cbranch_vccnz .LBB355_8
.LBB355_11:                             ;   in Loop: Header=BB355_3 Depth=1
	s_and_saveexec_b32 s8, s55
	s_cbranch_execz .LBB355_14
; %bb.12:                               ;   in Loop: Header=BB355_3 Depth=1
	s_mul_u64 s[6:7], s[40:41], s[10:11]
	s_mov_b32 s9, s27
	s_wait_alu 0xfffe
	s_add_nc_u64 s[6:7], s[44:45], s[6:7]
.LBB355_13:                             ;   Parent Loop BB355_3 Depth=1
                                        ; =>  This Inner Loop Header: Depth=2
	s_wait_dscnt 0x0
	v_dual_mov_b32 v2, v1 :: v_dual_mov_b32 v3, v1
	v_mov_b32_e32 v4, v1
	s_add_co_i32 s9, s9, -1
	s_wait_alu 0xfffe
	s_cmp_eq_u32 s9, 0
	global_store_b128 v1, v[1:4], s[6:7] offset:-8
	s_add_nc_u64 s[6:7], s[6:7], s[42:43]
	s_cbranch_scc0 .LBB355_13
.LBB355_14:                             ;   in Loop: Header=BB355_3 Depth=1
	s_wait_alu 0xfffe
	s_or_b32 exec_lo, exec_lo, s8
	s_cbranch_execnz .LBB355_2
.LBB355_15:                             ;   in Loop: Header=BB355_3 Depth=1
	v_add_co_u32 v52, vcc_lo, v35, v23
	s_mul_u64 s[46:47], s[36:37], s[10:11]
	s_wait_alu 0xfffd
	v_add_co_ci_u32_e64 v53, null, v36, v24, vcc_lo
	v_cmp_gt_u32_e64 s9, 24, v51
	v_cmp_gt_u32_e64 s8, 28, v51
	v_cmp_gt_u32_e64 s7, 30, v51
	v_cmp_ne_u32_e64 s6, 31, v51
	s_wait_alu 0xfffe
	s_lshl_b64 s[46:47], s[46:47], 4
	s_and_not1_b32 vcc_lo, exec_lo, s58
	s_wait_alu 0xfffe
	s_add_nc_u64 s[46:47], s[30:31], s[46:47]
	s_cbranch_vccnz .LBB355_63
; %bb.16:                               ;   in Loop: Header=BB355_3 Depth=1
	v_add_co_u32 v37, vcc_lo, v33, v25
	s_wait_alu 0xfffd
	v_add_co_ci_u32_e64 v38, null, v34, v26, vcc_lo
	v_add_co_u32 v39, vcc_lo, v33, v27
	s_wait_alu 0xfffd
	v_add_co_ci_u32_e64 v40, null, v34, v28, vcc_lo
	v_add_co_u32 v41, vcc_lo, v33, v29
	s_wait_dscnt 0x0
	v_cndmask_b32_e64 v2, 0, 8, s9
	v_cndmask_b32_e64 v3, 0, 4, s8
	;; [unrolled: 1-line block ×3, first 2 shown]
	v_add_co_ci_u32_e64 v5, null, 0, v51, s6
	s_wait_alu 0xfffd
	v_add_co_ci_u32_e64 v42, null, v34, v30, vcc_lo
	v_add_co_u32 v43, vcc_lo, v33, v31
	s_wait_alu 0xfffd
	v_add_co_ci_u32_e64 v44, null, v34, v32, vcc_lo
	v_add_co_u32 v58, vcc_lo, v35, v0
	v_add_lshl_u32 v54, v2, v51, 2
	v_add_lshl_u32 v55, v3, v51, 2
	;; [unrolled: 1-line block ×3, first 2 shown]
	v_lshlrev_b32_e32 v57, 2, v5
	s_wait_alu 0xfffd
	v_add_co_ci_u32_e64 v59, null, v36, v50, vcc_lo
	s_mov_b32 s6, 0
	s_mov_b32 s66, s65
	;; [unrolled: 1-line block ×5, first 2 shown]
	s_branch .LBB355_18
.LBB355_17:                             ;   in Loop: Header=BB355_18 Depth=2
	s_wait_alu 0xfffe
	s_or_b32 exec_lo, exec_lo, s7
	s_add_co_i32 s11, s11, 4
	s_add_co_i32 s68, s68, s25
	;; [unrolled: 1-line block ×5, first 2 shown]
	s_cmp_ge_i32 s11, s56
	s_cbranch_scc1 .LBB355_64
.LBB355_18:                             ;   Parent Loop BB355_3 Depth=1
                                        ; =>  This Loop Header: Depth=2
                                        ;       Child Loop BB355_49 Depth 3
                                        ;       Child Loop BB355_51 Depth 3
                                        ; implicit-def: $vgpr17_vgpr18
                                        ; implicit-def: $vgpr19_vgpr20
                                        ; implicit-def: $vgpr13_vgpr14
                                        ; implicit-def: $vgpr15_vgpr16
                                        ; implicit-def: $vgpr9_vgpr10
                                        ; implicit-def: $vgpr11_vgpr12
                                        ; implicit-def: $vgpr7_vgpr8
                                        ; implicit-def: $vgpr5_vgpr6
	s_and_saveexec_b32 s7, s4
	s_wait_alu 0xfffe
	s_xor_b32 s7, exec_lo, s7
	s_cbranch_execnz .LBB355_45
; %bb.19:                               ;   in Loop: Header=BB355_18 Depth=2
	s_wait_alu 0xfffe
	s_and_not1_saveexec_b32 s34, s7
	s_cbranch_execnz .LBB355_46
.LBB355_20:                             ;   in Loop: Header=BB355_18 Depth=2
	s_or_b32 exec_lo, exec_lo, s34
	s_and_saveexec_b32 s7, s1
.LBB355_21:                             ;   in Loop: Header=BB355_18 Depth=2
	v_dual_mov_b32 v2, v1 :: v_dual_mov_b32 v3, v1
	v_mov_b32_e32 v4, v1
	ds_store_b128 v47, v[1:4]
.LBB355_22:                             ;   in Loop: Header=BB355_18 Depth=2
	s_wait_alu 0xfffe
	s_or_b32 exec_lo, exec_lo, s7
	ds_bpermute_b32 v2, v22, v7
	ds_bpermute_b32 v3, v22, v8
	;; [unrolled: 1-line block ×4, first 2 shown]
	s_wait_storecnt_dscnt 0x0
	s_barrier_signal -1
	s_barrier_wait -1
	global_inv scope:SCOPE_SE
	v_add_f64_e32 v[2:3], v[7:8], v[2:3]
	v_add_f64_e32 v[4:5], v[5:6], v[45:46]
	ds_bpermute_b32 v6, v54, v2
	ds_bpermute_b32 v7, v54, v3
	ds_bpermute_b32 v45, v54, v4
	ds_bpermute_b32 v46, v54, v5
	s_wait_dscnt 0x2
	v_add_f64_e32 v[2:3], v[2:3], v[6:7]
	s_wait_dscnt 0x0
	v_add_f64_e32 v[4:5], v[4:5], v[45:46]
	ds_bpermute_b32 v6, v55, v2
	ds_bpermute_b32 v7, v55, v3
	ds_bpermute_b32 v45, v55, v4
	ds_bpermute_b32 v46, v55, v5
	s_wait_dscnt 0x2
	v_add_f64_e32 v[2:3], v[2:3], v[6:7]
	s_wait_dscnt 0x0
	;; [unrolled: 8-line block ×3, first 2 shown]
	v_add_f64_e32 v[6:7], v[4:5], v[45:46]
	ds_bpermute_b32 v4, v57, v2
	ds_bpermute_b32 v5, v57, v3
	;; [unrolled: 1-line block ×4, first 2 shown]
	s_and_saveexec_b32 s7, s3
	s_cbranch_execz .LBB355_24
; %bb.23:                               ;   in Loop: Header=BB355_18 Depth=2
	s_wait_dscnt 0x0
	v_add_f64_e32 v[6:7], v[6:7], v[45:46]
	v_add_f64_e32 v[4:5], v[2:3], v[4:5]
	ds_store_b128 v48, v[4:7]
.LBB355_24:                             ;   in Loop: Header=BB355_18 Depth=2
	s_wait_alu 0xfffe
	s_or_b32 exec_lo, exec_lo, s7
	v_mov_b32_e32 v7, 0
	s_wait_dscnt 0x2
	v_dual_mov_b32 v8, 0 :: v_dual_mov_b32 v5, 0
	v_mov_b32_e32 v6, 0
	s_wait_loadcnt_dscnt 0x0
	s_barrier_signal -1
	s_barrier_wait -1
	global_inv scope:SCOPE_SE
	s_and_saveexec_b32 s7, s2
	s_cbranch_execnz .LBB355_52
; %bb.25:                               ;   in Loop: Header=BB355_18 Depth=2
	s_wait_alu 0xfffe
	s_or_b32 exec_lo, exec_lo, s7
	s_and_saveexec_b32 s7, s1
	s_cbranch_execnz .LBB355_53
.LBB355_26:                             ;   in Loop: Header=BB355_18 Depth=2
	s_wait_alu 0xfffe
	s_or_b32 exec_lo, exec_lo, s7
	s_and_saveexec_b32 s7, s1
.LBB355_27:                             ;   in Loop: Header=BB355_18 Depth=2
	v_dual_mov_b32 v2, v1 :: v_dual_mov_b32 v3, v1
	v_mov_b32_e32 v4, v1
	ds_store_b128 v47, v[1:4]
.LBB355_28:                             ;   in Loop: Header=BB355_18 Depth=2
	s_wait_alu 0xfffe
	s_or_b32 exec_lo, exec_lo, s7
	ds_bpermute_b32 v2, v22, v9
	ds_bpermute_b32 v3, v22, v10
	;; [unrolled: 1-line block ×4, first 2 shown]
	s_wait_loadcnt_dscnt 0x0
	s_barrier_signal -1
	s_barrier_wait -1
	global_inv scope:SCOPE_SE
	v_add_f64_e32 v[2:3], v[9:10], v[2:3]
	v_add_f64_e32 v[9:10], v[11:12], v[45:46]
	ds_bpermute_b32 v11, v54, v2
	ds_bpermute_b32 v12, v54, v3
	ds_bpermute_b32 v45, v54, v9
	ds_bpermute_b32 v46, v54, v10
	s_wait_dscnt 0x2
	v_add_f64_e32 v[2:3], v[2:3], v[11:12]
	s_wait_dscnt 0x0
	v_add_f64_e32 v[9:10], v[9:10], v[45:46]
	ds_bpermute_b32 v11, v55, v2
	ds_bpermute_b32 v12, v55, v3
	ds_bpermute_b32 v45, v55, v9
	ds_bpermute_b32 v46, v55, v10
	s_wait_dscnt 0x2
	v_add_f64_e32 v[2:3], v[2:3], v[11:12]
	s_wait_dscnt 0x0
	;; [unrolled: 8-line block ×3, first 2 shown]
	v_add_f64_e32 v[11:12], v[9:10], v[45:46]
	ds_bpermute_b32 v9, v57, v2
	ds_bpermute_b32 v10, v57, v3
	;; [unrolled: 1-line block ×4, first 2 shown]
	s_and_saveexec_b32 s7, s3
	s_cbranch_execz .LBB355_30
; %bb.29:                               ;   in Loop: Header=BB355_18 Depth=2
	s_wait_dscnt 0x0
	v_add_f64_e32 v[11:12], v[11:12], v[45:46]
	v_add_f64_e32 v[9:10], v[2:3], v[9:10]
	ds_store_b128 v48, v[9:12]
.LBB355_30:                             ;   in Loop: Header=BB355_18 Depth=2
	s_wait_alu 0xfffe
	s_or_b32 exec_lo, exec_lo, s7
	v_mov_b32_e32 v11, 0
	s_wait_dscnt 0x2
	v_dual_mov_b32 v12, 0 :: v_dual_mov_b32 v9, 0
	v_mov_b32_e32 v10, 0
	s_wait_loadcnt_dscnt 0x0
	s_barrier_signal -1
	s_barrier_wait -1
	global_inv scope:SCOPE_SE
	s_and_saveexec_b32 s7, s2
	s_cbranch_execnz .LBB355_54
; %bb.31:                               ;   in Loop: Header=BB355_18 Depth=2
	s_wait_alu 0xfffe
	s_or_b32 exec_lo, exec_lo, s7
	s_and_saveexec_b32 s7, s1
	s_cbranch_execnz .LBB355_55
.LBB355_32:                             ;   in Loop: Header=BB355_18 Depth=2
	s_wait_alu 0xfffe
	s_or_b32 exec_lo, exec_lo, s7
	s_and_saveexec_b32 s7, s1
.LBB355_33:                             ;   in Loop: Header=BB355_18 Depth=2
	v_dual_mov_b32 v2, v1 :: v_dual_mov_b32 v3, v1
	v_mov_b32_e32 v4, v1
	ds_store_b128 v47, v[1:4]
.LBB355_34:                             ;   in Loop: Header=BB355_18 Depth=2
	s_wait_alu 0xfffe
	s_or_b32 exec_lo, exec_lo, s7
	ds_bpermute_b32 v2, v22, v13
	ds_bpermute_b32 v3, v22, v14
	;; [unrolled: 1-line block ×4, first 2 shown]
	s_wait_loadcnt_dscnt 0x0
	s_barrier_signal -1
	s_barrier_wait -1
	global_inv scope:SCOPE_SE
	v_add_f64_e32 v[2:3], v[13:14], v[2:3]
	v_add_f64_e32 v[13:14], v[15:16], v[45:46]
	ds_bpermute_b32 v15, v54, v2
	ds_bpermute_b32 v16, v54, v3
	ds_bpermute_b32 v45, v54, v13
	ds_bpermute_b32 v46, v54, v14
	s_wait_dscnt 0x2
	v_add_f64_e32 v[2:3], v[2:3], v[15:16]
	s_wait_dscnt 0x0
	v_add_f64_e32 v[13:14], v[13:14], v[45:46]
	ds_bpermute_b32 v15, v55, v2
	ds_bpermute_b32 v16, v55, v3
	ds_bpermute_b32 v45, v55, v13
	ds_bpermute_b32 v46, v55, v14
	s_wait_dscnt 0x2
	v_add_f64_e32 v[2:3], v[2:3], v[15:16]
	s_wait_dscnt 0x0
	v_add_f64_e32 v[13:14], v[13:14], v[45:46]
	ds_bpermute_b32 v15, v56, v2
	ds_bpermute_b32 v16, v56, v3
	ds_bpermute_b32 v45, v56, v13
	ds_bpermute_b32 v46, v56, v14
	s_wait_dscnt 0x2
	v_add_f64_e32 v[2:3], v[2:3], v[15:16]
	s_wait_dscnt 0x0
	v_add_f64_e32 v[15:16], v[13:14], v[45:46]
	ds_bpermute_b32 v13, v57, v2
	ds_bpermute_b32 v14, v57, v3
	;; [unrolled: 1-line block ×4, first 2 shown]
	s_and_saveexec_b32 s7, s3
	s_cbranch_execz .LBB355_36
; %bb.35:                               ;   in Loop: Header=BB355_18 Depth=2
	s_wait_dscnt 0x0
	v_add_f64_e32 v[15:16], v[15:16], v[45:46]
	v_add_f64_e32 v[13:14], v[2:3], v[13:14]
	ds_store_b128 v48, v[13:16]
.LBB355_36:                             ;   in Loop: Header=BB355_18 Depth=2
	s_wait_alu 0xfffe
	s_or_b32 exec_lo, exec_lo, s7
	v_mov_b32_e32 v15, 0
	s_wait_dscnt 0x2
	v_dual_mov_b32 v16, 0 :: v_dual_mov_b32 v13, 0
	v_mov_b32_e32 v14, 0
	s_wait_loadcnt_dscnt 0x0
	s_barrier_signal -1
	s_barrier_wait -1
	global_inv scope:SCOPE_SE
	s_and_saveexec_b32 s7, s2
	s_cbranch_execnz .LBB355_56
; %bb.37:                               ;   in Loop: Header=BB355_18 Depth=2
	s_wait_alu 0xfffe
	s_or_b32 exec_lo, exec_lo, s7
	s_and_saveexec_b32 s7, s1
	s_cbranch_execnz .LBB355_57
.LBB355_38:                             ;   in Loop: Header=BB355_18 Depth=2
	s_wait_alu 0xfffe
	s_or_b32 exec_lo, exec_lo, s7
	s_and_saveexec_b32 s7, s1
.LBB355_39:                             ;   in Loop: Header=BB355_18 Depth=2
	v_dual_mov_b32 v2, v1 :: v_dual_mov_b32 v3, v1
	v_mov_b32_e32 v4, v1
	ds_store_b128 v47, v[1:4]
.LBB355_40:                             ;   in Loop: Header=BB355_18 Depth=2
	s_wait_alu 0xfffe
	s_or_b32 exec_lo, exec_lo, s7
	ds_bpermute_b32 v2, v22, v17
	ds_bpermute_b32 v3, v22, v18
	;; [unrolled: 1-line block ×4, first 2 shown]
	s_wait_loadcnt_dscnt 0x0
	s_barrier_signal -1
	s_barrier_wait -1
	global_inv scope:SCOPE_SE
	v_add_f64_e32 v[2:3], v[17:18], v[2:3]
	v_add_f64_e32 v[17:18], v[19:20], v[45:46]
	ds_bpermute_b32 v19, v54, v2
	ds_bpermute_b32 v20, v54, v3
	ds_bpermute_b32 v45, v54, v17
	ds_bpermute_b32 v46, v54, v18
	s_wait_dscnt 0x2
	v_add_f64_e32 v[2:3], v[2:3], v[19:20]
	s_wait_dscnt 0x0
	v_add_f64_e32 v[17:18], v[17:18], v[45:46]
	ds_bpermute_b32 v19, v55, v2
	ds_bpermute_b32 v20, v55, v3
	ds_bpermute_b32 v45, v55, v17
	ds_bpermute_b32 v46, v55, v18
	s_wait_dscnt 0x2
	v_add_f64_e32 v[2:3], v[2:3], v[19:20]
	s_wait_dscnt 0x0
	;; [unrolled: 8-line block ×3, first 2 shown]
	v_add_f64_e32 v[19:20], v[17:18], v[45:46]
	ds_bpermute_b32 v17, v57, v2
	ds_bpermute_b32 v18, v57, v3
	ds_bpermute_b32 v45, v57, v19
	ds_bpermute_b32 v46, v57, v20
	s_and_saveexec_b32 s7, s3
	s_cbranch_execz .LBB355_42
; %bb.41:                               ;   in Loop: Header=BB355_18 Depth=2
	s_wait_dscnt 0x0
	v_add_f64_e32 v[19:20], v[19:20], v[45:46]
	v_add_f64_e32 v[17:18], v[2:3], v[17:18]
	ds_store_b128 v48, v[17:20]
.LBB355_42:                             ;   in Loop: Header=BB355_18 Depth=2
	s_wait_alu 0xfffe
	s_or_b32 exec_lo, exec_lo, s7
	v_mov_b32_e32 v19, 0
	s_wait_dscnt 0x2
	v_dual_mov_b32 v20, 0 :: v_dual_mov_b32 v17, 0
	v_mov_b32_e32 v18, 0
	s_wait_loadcnt_dscnt 0x0
	s_barrier_signal -1
	s_barrier_wait -1
	global_inv scope:SCOPE_SE
	s_and_saveexec_b32 s7, s2
	s_cbranch_execnz .LBB355_58
; %bb.43:                               ;   in Loop: Header=BB355_18 Depth=2
	s_wait_alu 0xfffe
	s_or_b32 exec_lo, exec_lo, s7
	s_and_saveexec_b32 s7, s1
	s_cbranch_execnz .LBB355_59
.LBB355_44:                             ;   in Loop: Header=BB355_18 Depth=2
	s_wait_alu 0xfffe
	s_or_b32 exec_lo, exec_lo, s7
	s_and_saveexec_b32 s7, s0
	s_cbranch_execz .LBB355_17
	s_branch .LBB355_60
.LBB355_45:                             ;   in Loop: Header=BB355_18 Depth=2
	s_clause 0x2
	flat_load_b128 v[2:5], v[39:40]
	flat_load_b128 v[6:9], v[41:42]
	;; [unrolled: 1-line block ×3, first 2 shown]
	s_mul_i32 s8, s11, s52
	flat_load_b128 v[60:63], v[37:38]
	s_wait_alu 0xfffe
	s_ashr_i32 s9, s8, 31
	s_add_co_i32 s48, s8, s52
	s_wait_alu 0xfffe
	s_lshl_b64 s[8:9], s[8:9], 4
	s_ashr_i32 s49, s48, 31
	s_add_co_i32 s50, s48, s52
	s_wait_alu 0xfffe
	s_lshl_b64 s[48:49], s[48:49], 4
	s_ashr_i32 s51, s50, 31
	s_add_co_i32 s70, s50, s52
	s_wait_dscnt 0x4
	v_add_co_u32 v18, vcc_lo, v52, s8
	s_wait_alu 0xfffd
	v_add_co_ci_u32_e64 v19, null, s9, v53, vcc_lo
	s_lshl_b64 s[8:9], s[50:51], 4
	s_ashr_i32 s71, s70, 31
	s_wait_alu 0xfffe
	v_add_co_u32 v45, vcc_lo, v52, s48
	s_wait_alu 0xfffd
	v_add_co_ci_u32_e64 v46, null, s49, v53, vcc_lo
	s_lshl_b64 s[48:49], s[70:71], 4
	v_add_co_u32 v116, vcc_lo, v52, s8
	s_wait_alu 0xfffd
	v_add_co_ci_u32_e64 v117, null, s9, v53, vcc_lo
	s_wait_alu 0xfffe
	v_add_co_u32 v120, vcc_lo, v52, s48
	s_wait_alu 0xfffd
	v_add_co_ci_u32_e64 v121, null, s49, v53, vcc_lo
	s_clause 0x4
	flat_load_b128 v[14:17], v[18:19]
	flat_load_b128 v[64:67], v[45:46]
	;; [unrolled: 1-line block ×4, first 2 shown]
	flat_load_b128 v[76:79], v[18:19] offset:16
	s_wait_loadcnt_dscnt 0x808
	scratch_store_b128 off, v[2:5], s60
	scratch_load_b128 v[2:5], off, off offset:16
	s_clause 0x3
	flat_load_b128 v[80:83], v[45:46] offset:16
	flat_load_b128 v[84:87], v[116:117] offset:16
	flat_load_b128 v[88:91], v[120:121] offset:16
	flat_load_b128 v[92:95], v[18:19] offset:32
	s_wait_loadcnt_dscnt 0xc0b
	scratch_store_b128 off, v[6:9], s61
	scratch_load_b128 v[6:9], off, off offset:32
	s_clause 0x3
	flat_load_b128 v[96:99], v[45:46] offset:32
	flat_load_b128 v[100:103], v[116:117] offset:32
	flat_load_b128 v[104:107], v[120:121] offset:32
	;; [unrolled: 8-line block ×3, first 2 shown]
	s_wait_loadcnt_dscnt 0x1310
	scratch_store_b128 off, v[60:63], off
	s_wait_loadcnt_dscnt 0x110e
	v_mul_f64_e32 v[45:46], v[62:63], v[66:67]
	v_mul_f64_e32 v[66:67], v[60:61], v[66:67]
	;; [unrolled: 1-line block ×4, first 2 shown]
	s_wait_loadcnt_dscnt 0x100d
	v_mul_f64_e32 v[124:125], v[62:63], v[70:71]
	v_mul_f64_e32 v[70:71], v[60:61], v[70:71]
	s_wait_loadcnt_dscnt 0xf0c
	v_mul_f64_e32 v[126:127], v[62:63], v[74:75]
	v_mul_f64_e32 v[74:75], v[60:61], v[74:75]
	v_fma_f64 v[18:19], v[60:61], v[14:15], -v[18:19]
	v_fma_f64 v[14:15], v[62:63], v[14:15], v[16:17]
	v_fma_f64 v[16:17], v[60:61], v[64:65], -v[45:46]
	v_fma_f64 v[45:46], v[62:63], v[64:65], v[66:67]
	;; [unrolled: 2-line block ×4, first 2 shown]
	v_add_f64_e32 v[18:19], 0, v[18:19]
	v_add_f64_e32 v[14:15], 0, v[14:15]
	;; [unrolled: 1-line block ×8, first 2 shown]
	s_wait_loadcnt_dscnt 0xd0b
	v_mul_f64_e32 v[72:73], v[4:5], v[78:79]
	v_mul_f64_e32 v[74:75], v[2:3], v[78:79]
	s_wait_loadcnt_dscnt 0xc0a
	v_mul_f64_e32 v[78:79], v[4:5], v[82:83]
	v_mul_f64_e32 v[82:83], v[2:3], v[82:83]
	;; [unrolled: 3-line block ×8, first 2 shown]
	v_fma_f64 v[72:73], v[2:3], v[76:77], -v[72:73]
	v_fma_f64 v[74:75], v[4:5], v[76:77], v[74:75]
	v_fma_f64 v[76:77], v[2:3], v[80:81], -v[78:79]
	v_fma_f64 v[78:79], v[4:5], v[80:81], v[82:83]
	v_fma_f64 v[80:81], v[2:3], v[84:85], -v[124:125]
	v_fma_f64 v[82:83], v[4:5], v[84:85], v[86:87]
	v_fma_f64 v[2:3], v[2:3], v[88:89], -v[126:127]
	v_fma_f64 v[4:5], v[4:5], v[88:89], v[90:91]
	s_wait_loadcnt_dscnt 0x303
	v_mul_f64_e32 v[84:85], v[12:13], v[110:111]
	v_mul_f64_e32 v[86:87], v[10:11], v[110:111]
	s_wait_loadcnt_dscnt 0x202
	v_mul_f64_e32 v[88:89], v[12:13], v[114:115]
	v_mul_f64_e32 v[90:91], v[10:11], v[114:115]
	;; [unrolled: 3-line block ×4, first 2 shown]
	v_fma_f64 v[124:125], v[6:7], v[92:93], -v[128:129]
	v_fma_f64 v[92:93], v[8:9], v[92:93], v[94:95]
	v_fma_f64 v[94:95], v[6:7], v[96:97], -v[130:131]
	v_fma_f64 v[96:97], v[8:9], v[96:97], v[98:99]
	;; [unrolled: 2-line block ×4, first 2 shown]
	v_add_f64_e32 v[18:19], v[18:19], v[72:73]
	v_add_f64_e32 v[14:15], v[14:15], v[74:75]
	;; [unrolled: 1-line block ×8, first 2 shown]
	v_fma_f64 v[68:69], v[10:11], v[108:109], -v[84:85]
	v_fma_f64 v[70:71], v[12:13], v[108:109], v[86:87]
	v_fma_f64 v[72:73], v[10:11], v[112:113], -v[88:89]
	v_fma_f64 v[74:75], v[12:13], v[112:113], v[90:91]
	;; [unrolled: 2-line block ×4, first 2 shown]
	v_add_f64_e32 v[10:11], v[18:19], v[124:125]
	v_add_f64_e32 v[12:13], v[14:15], v[92:93]
	;; [unrolled: 1-line block ×16, first 2 shown]
	s_and_not1_saveexec_b32 s34, s7
	s_cbranch_execz .LBB355_20
.LBB355_46:                             ;   in Loop: Header=BB355_18 Depth=2
	s_wait_dscnt 0x0
	v_mov_b32_e32 v17, 0
	v_mov_b32_e32 v13, 0
	;; [unrolled: 1-line block ×3, first 2 shown]
	v_dual_mov_b32 v7, 0 :: v_dual_mov_b32 v18, 0
	v_dual_mov_b32 v19, 0 :: v_dual_mov_b32 v14, 0
	;; [unrolled: 1-line block ×5, first 2 shown]
	v_mov_b32_e32 v16, 0
	v_mov_b32_e32 v12, 0
	;; [unrolled: 1-line block ×3, first 2 shown]
	s_and_saveexec_b32 s69, s5
	s_cbranch_execz .LBB355_62
; %bb.47:                               ;   in Loop: Header=BB355_18 Depth=2
	s_and_not1_b32 vcc_lo, exec_lo, s59
	s_wait_alu 0xfffe
	s_cbranch_vccnz .LBB355_61
; %bb.48:                               ;   in Loop: Header=BB355_18 Depth=2
	v_mov_b32_e32 v2, v21
	s_mov_b32 s7, 0
	s_mov_b32 s8, s57
.LBB355_49:                             ;   Parent Loop BB355_3 Depth=1
                                        ;     Parent Loop BB355_18 Depth=2
                                        ; =>    This Inner Loop Header: Depth=3
	s_delay_alu instid0(VALU_DEP_1) | instskip(SKIP_2) | instid1(VALU_DEP_1)
	v_ashrrev_i32_e32 v3, 31, v2
	s_wait_alu 0xfffe
	s_add_co_i32 s8, s8, -1
	v_lshlrev_b64_e32 v[3:4], 4, v[2:3]
	v_add_nc_u32_e32 v2, s53, v2
	s_delay_alu instid0(VALU_DEP_2) | instskip(SKIP_1) | instid1(VALU_DEP_3)
	v_add_co_u32 v3, vcc_lo, v33, v3
	s_wait_alu 0xfffd
	v_add_co_ci_u32_e64 v4, null, v34, v4, vcc_lo
	flat_load_b128 v[3:6], v[3:4]
	s_wait_loadcnt_dscnt 0x0
	scratch_store_b128 off, v[3:6], s7
	s_add_co_i32 s7, s7, 16
	s_wait_alu 0xfffe
	s_cmp_eq_u32 s8, 0
	s_cbranch_scc0 .LBB355_49
; %bb.50:                               ;   in Loop: Header=BB355_18 Depth=2
	s_ashr_i32 s7, s6, 31
	v_mov_b32_e32 v5, 0
	s_wait_alu 0xfffe
	s_lshl_b64 s[8:9], s[6:7], 4
	v_mov_b32_e32 v11, 0
	s_wait_alu 0xfffe
	v_add_co_u32 v2, vcc_lo, v58, s8
	v_mov_b32_e32 v15, 0
	v_dual_mov_b32 v19, 0 :: v_dual_mov_b32 v6, 0
	v_dual_mov_b32 v7, 0 :: v_dual_mov_b32 v12, 0
	;; [unrolled: 1-line block ×4, first 2 shown]
	v_mov_b32_e32 v17, 0
	s_wait_alu 0xfffd
	v_add_co_ci_u32_e64 v3, null, s9, v59, vcc_lo
	v_mov_b32_e32 v8, 0
	v_mov_b32_e32 v10, 0
	;; [unrolled: 1-line block ×4, first 2 shown]
	s_mov_b32 s7, s63
	s_mov_b32 s8, s66
	;; [unrolled: 1-line block ×5, first 2 shown]
.LBB355_51:                             ;   Parent Loop BB355_3 Depth=1
                                        ;     Parent Loop BB355_18 Depth=2
                                        ; =>    This Inner Loop Header: Depth=3
	s_ashr_i32 s51, s50, 31
	s_wait_alu 0xfffe
	s_ashr_i32 s49, s48, 31
	s_lshl_b64 s[72:73], s[50:51], 4
	s_ashr_i32 s9, s8, 31
	s_wait_alu 0xfffe
	s_lshl_b64 s[74:75], s[48:49], 4
	v_add_co_u32 v45, vcc_lo, v52, s72
	s_lshl_b64 s[76:77], s[8:9], 4
	s_wait_alu 0xfffd
	v_add_co_ci_u32_e64 v46, null, s73, v53, vcc_lo
	s_wait_alu 0xfffe
	v_add_co_u32 v72, vcc_lo, v52, s74
	s_wait_alu 0xfffd
	v_add_co_ci_u32_e64 v73, null, s75, v53, vcc_lo
	v_add_co_u32 v76, vcc_lo, v52, s76
	s_wait_alu 0xfffd
	v_add_co_ci_u32_e64 v77, null, s77, v53, vcc_lo
	scratch_load_b128 v[60:63], off, s7 offset:-8
	flat_load_b128 v[64:67], v[2:3] offset:-8
	s_clause 0x2
	flat_load_b128 v[68:71], v[45:46]
	flat_load_b128 v[72:75], v[72:73]
	;; [unrolled: 1-line block ×3, first 2 shown]
	v_add_co_u32 v2, vcc_lo, v2, 16
	s_wait_alu 0xfffd
	v_add_co_ci_u32_e64 v3, null, 0, v3, vcc_lo
	s_add_co_i32 s70, s70, -1
	s_add_co_i32 s7, s7, 16
	s_add_co_i32 s50, s50, 1
	;; [unrolled: 1-line block ×4, first 2 shown]
	s_cmp_lg_u32 s70, 0
	s_wait_loadcnt_dscnt 0x202
	v_mul_f64_e32 v[80:81], v[62:63], v[70:71]
	v_mul_f64_e32 v[45:46], v[62:63], v[66:67]
	;; [unrolled: 1-line block ×4, first 2 shown]
	s_wait_loadcnt_dscnt 0x101
	v_mul_f64_e32 v[82:83], v[62:63], v[74:75]
	v_mul_f64_e32 v[74:75], v[60:61], v[74:75]
	s_wait_loadcnt_dscnt 0x0
	v_mul_f64_e32 v[84:85], v[62:63], v[78:79]
	v_mul_f64_e32 v[78:79], v[60:61], v[78:79]
	v_fma_f64 v[45:46], v[60:61], v[64:65], -v[45:46]
	v_fma_f64 v[64:65], v[62:63], v[64:65], v[66:67]
	v_fma_f64 v[66:67], v[60:61], v[68:69], -v[80:81]
	v_fma_f64 v[68:69], v[62:63], v[68:69], v[70:71]
	;; [unrolled: 2-line block ×4, first 2 shown]
	v_add_f64_e32 v[7:8], v[7:8], v[45:46]
	v_add_f64_e32 v[5:6], v[5:6], v[64:65]
	;; [unrolled: 1-line block ×8, first 2 shown]
	s_cbranch_scc1 .LBB355_51
	s_branch .LBB355_62
.LBB355_52:                             ;   in Loop: Header=BB355_18 Depth=2
	ds_load_b128 v[5:8], v47
	s_wait_alu 0xfffe
	s_or_b32 exec_lo, exec_lo, s7
	s_and_saveexec_b32 s7, s1
	s_cbranch_execz .LBB355_26
.LBB355_53:                             ;   in Loop: Header=BB355_18 Depth=2
	s_wait_dscnt 0x0
	ds_bpermute_b32 v2, v55, v5
	ds_bpermute_b32 v3, v55, v6
	ds_bpermute_b32 v45, v55, v7
	ds_bpermute_b32 v46, v55, v8
	s_wait_dscnt 0x2
	v_add_f64_e32 v[2:3], v[5:6], v[2:3]
	s_wait_dscnt 0x0
	v_add_f64_e32 v[4:5], v[7:8], v[45:46]
	ds_bpermute_b32 v6, v56, v2
	ds_bpermute_b32 v7, v56, v3
	ds_bpermute_b32 v45, v56, v4
	ds_bpermute_b32 v46, v56, v5
	s_wait_dscnt 0x2
	v_add_f64_e32 v[2:3], v[2:3], v[6:7]
	s_wait_dscnt 0x0
	v_add_f64_e32 v[7:8], v[4:5], v[45:46]
	;; [unrolled: 8-line block ×3, first 2 shown]
	s_wait_alu 0xfffe
	s_or_b32 exec_lo, exec_lo, s7
	s_and_saveexec_b32 s7, s1
	s_cbranch_execnz .LBB355_27
	s_branch .LBB355_28
.LBB355_54:                             ;   in Loop: Header=BB355_18 Depth=2
	ds_load_b128 v[9:12], v47
	s_wait_alu 0xfffe
	s_or_b32 exec_lo, exec_lo, s7
	s_and_saveexec_b32 s7, s1
	s_cbranch_execz .LBB355_32
.LBB355_55:                             ;   in Loop: Header=BB355_18 Depth=2
	s_wait_dscnt 0x0
	ds_bpermute_b32 v2, v55, v9
	ds_bpermute_b32 v3, v55, v10
	ds_bpermute_b32 v45, v55, v11
	ds_bpermute_b32 v46, v55, v12
	s_wait_dscnt 0x2
	v_add_f64_e32 v[2:3], v[9:10], v[2:3]
	s_wait_dscnt 0x0
	v_add_f64_e32 v[9:10], v[11:12], v[45:46]
	ds_bpermute_b32 v11, v56, v2
	ds_bpermute_b32 v12, v56, v3
	ds_bpermute_b32 v45, v56, v9
	ds_bpermute_b32 v46, v56, v10
	s_wait_dscnt 0x2
	v_add_f64_e32 v[2:3], v[2:3], v[11:12]
	s_wait_dscnt 0x0
	v_add_f64_e32 v[11:12], v[9:10], v[45:46]
	;; [unrolled: 8-line block ×3, first 2 shown]
	s_wait_alu 0xfffe
	s_or_b32 exec_lo, exec_lo, s7
	s_and_saveexec_b32 s7, s1
	s_cbranch_execnz .LBB355_33
	s_branch .LBB355_34
.LBB355_56:                             ;   in Loop: Header=BB355_18 Depth=2
	ds_load_b128 v[13:16], v47
	s_wait_alu 0xfffe
	s_or_b32 exec_lo, exec_lo, s7
	s_and_saveexec_b32 s7, s1
	s_cbranch_execz .LBB355_38
.LBB355_57:                             ;   in Loop: Header=BB355_18 Depth=2
	s_wait_dscnt 0x0
	ds_bpermute_b32 v2, v55, v13
	ds_bpermute_b32 v3, v55, v14
	ds_bpermute_b32 v45, v55, v15
	ds_bpermute_b32 v46, v55, v16
	s_wait_dscnt 0x2
	v_add_f64_e32 v[2:3], v[13:14], v[2:3]
	s_wait_dscnt 0x0
	v_add_f64_e32 v[13:14], v[15:16], v[45:46]
	ds_bpermute_b32 v15, v56, v2
	ds_bpermute_b32 v16, v56, v3
	ds_bpermute_b32 v45, v56, v13
	ds_bpermute_b32 v46, v56, v14
	s_wait_dscnt 0x2
	v_add_f64_e32 v[2:3], v[2:3], v[15:16]
	s_wait_dscnt 0x0
	v_add_f64_e32 v[15:16], v[13:14], v[45:46]
	;; [unrolled: 8-line block ×3, first 2 shown]
	s_wait_alu 0xfffe
	s_or_b32 exec_lo, exec_lo, s7
	s_and_saveexec_b32 s7, s1
	s_cbranch_execnz .LBB355_39
	s_branch .LBB355_40
.LBB355_58:                             ;   in Loop: Header=BB355_18 Depth=2
	ds_load_b128 v[17:20], v47
	s_wait_alu 0xfffe
	s_or_b32 exec_lo, exec_lo, s7
	s_and_saveexec_b32 s7, s1
	s_cbranch_execz .LBB355_44
.LBB355_59:                             ;   in Loop: Header=BB355_18 Depth=2
	s_wait_dscnt 0x0
	ds_bpermute_b32 v2, v55, v17
	ds_bpermute_b32 v3, v55, v18
	ds_bpermute_b32 v45, v55, v19
	ds_bpermute_b32 v46, v55, v20
	s_wait_dscnt 0x2
	v_add_f64_e32 v[2:3], v[17:18], v[2:3]
	s_wait_dscnt 0x0
	v_add_f64_e32 v[17:18], v[19:20], v[45:46]
	ds_bpermute_b32 v19, v56, v2
	ds_bpermute_b32 v20, v56, v3
	ds_bpermute_b32 v45, v56, v17
	ds_bpermute_b32 v46, v56, v18
	s_wait_dscnt 0x2
	v_add_f64_e32 v[2:3], v[2:3], v[19:20]
	s_wait_dscnt 0x0
	v_add_f64_e32 v[19:20], v[17:18], v[45:46]
	;; [unrolled: 8-line block ×3, first 2 shown]
	s_wait_alu 0xfffe
	s_or_b32 exec_lo, exec_lo, s7
	s_and_saveexec_b32 s7, s0
	s_cbranch_execz .LBB355_17
.LBB355_60:                             ;   in Loop: Header=BB355_18 Depth=2
	v_mul_f64_e32 v[2:3], s[14:15], v[7:8]
	v_mul_f64_e32 v[7:8], s[12:13], v[7:8]
	;; [unrolled: 1-line block ×6, first 2 shown]
	s_wait_dscnt 0x0
	v_mul_f64_e32 v[62:63], s[14:15], v[19:20]
	v_mul_f64_e32 v[19:20], s[12:13], v[19:20]
	s_mul_i32 s8, s11, s28
	s_wait_alu 0xfffe
	s_add_co_i32 s34, s8, s24
	s_delay_alu instid0(SALU_CYCLE_1)
	s_lshl_b64 s[8:9], s[34:35], 4
	s_add_co_i32 s34, s34, s28
	s_wait_alu 0xfffe
	s_add_nc_u64 s[8:9], s[46:47], s[8:9]
	s_lshl_b64 s[48:49], s[34:35], 4
	s_add_co_i32 s34, s34, s28
	s_wait_alu 0xfffe
	s_add_nc_u64 s[48:49], s[46:47], s[48:49]
	s_lshl_b64 s[50:51], s[34:35], 4
	s_add_co_i32 s34, s34, s28
	s_add_nc_u64 s[50:51], s[46:47], s[50:51]
	s_lshl_b64 s[70:71], s[34:35], 4
	s_delay_alu instid0(SALU_CYCLE_1)
	s_add_nc_u64 s[70:71], s[46:47], s[70:71]
	v_fma_f64 v[2:3], s[12:13], v[5:6], -v[2:3]
	v_fma_f64 v[4:5], s[14:15], v[5:6], v[7:8]
	v_fma_f64 v[6:7], s[12:13], v[9:10], -v[45:46]
	v_fma_f64 v[8:9], s[14:15], v[9:10], v[11:12]
	;; [unrolled: 2-line block ×4, first 2 shown]
	s_clause 0x3
	global_store_b128 v1, v[2:5], s[8:9]
	global_store_b128 v1, v[6:9], s[48:49]
	;; [unrolled: 1-line block ×4, first 2 shown]
	s_branch .LBB355_17
.LBB355_61:                             ;   in Loop: Header=BB355_18 Depth=2
	v_mov_b32_e32 v17, 0
	v_mov_b32_e32 v13, 0
	;; [unrolled: 1-line block ×3, first 2 shown]
	v_dual_mov_b32 v7, 0 :: v_dual_mov_b32 v18, 0
	v_dual_mov_b32 v19, 0 :: v_dual_mov_b32 v14, 0
	;; [unrolled: 1-line block ×5, first 2 shown]
	v_mov_b32_e32 v16, 0
	v_mov_b32_e32 v12, 0
	;; [unrolled: 1-line block ×3, first 2 shown]
.LBB355_62:                             ;   in Loop: Header=BB355_18 Depth=2
	s_or_b32 exec_lo, exec_lo, s69
	s_delay_alu instid0(SALU_CYCLE_1)
	s_or_b32 exec_lo, exec_lo, s34
	s_and_saveexec_b32 s7, s1
	s_cbranch_execnz .LBB355_21
	s_branch .LBB355_22
.LBB355_63:                             ;   in Loop: Header=BB355_3 Depth=1
	s_mov_b32 s11, 0
.LBB355_64:                             ;   in Loop: Header=BB355_3 Depth=1
	s_delay_alu instid0(SALU_CYCLE_1)
	s_cmp_ge_i32 s11, s27
	s_cbranch_scc1 .LBB355_2
; %bb.65:                               ;   in Loop: Header=BB355_3 Depth=1
	v_cmp_gt_u32_e32 vcc_lo, 24, v51
	s_wait_alu 0xfffe
	s_add_nc_u64 s[6:7], s[46:47], s[38:39]
	s_mul_i32 s8, s52, s11
	s_mov_b32 s34, s11
	s_wait_dscnt 0x0
	s_wait_alu 0xfffd
	v_cndmask_b32_e64 v2, 0, 8, vcc_lo
	v_cmp_gt_u32_e32 vcc_lo, 28, v51
	s_wait_dscnt 0x0
	s_delay_alu instid0(VALU_DEP_2) | instskip(SKIP_3) | instid1(VALU_DEP_2)
	v_add_lshl_u32 v18, v2, v51, 2
	s_wait_alu 0xfffd
	v_cndmask_b32_e64 v3, 0, 4, vcc_lo
	v_cmp_gt_u32_e32 vcc_lo, 30, v51
	v_add_lshl_u32 v19, v3, v51, 2
	s_wait_alu 0xfffd
	v_cndmask_b32_e64 v4, 0, 2, vcc_lo
	v_cmp_ne_u32_e32 vcc_lo, 31, v51
	s_delay_alu instid0(VALU_DEP_2)
	v_add_lshl_u32 v20, v4, v51, 2
	s_wait_alu 0xfffd
	v_add_co_ci_u32_e64 v5, null, 0, v51, vcc_lo
	v_add_co_u32 v6, vcc_lo, v33, v25
	s_wait_alu 0xfffd
	v_add_co_ci_u32_e64 v7, null, v34, v26, vcc_lo
	v_add_co_u32 v8, vcc_lo, v33, v27
	;; [unrolled: 3-line block ×5, first 2 shown]
	v_lshlrev_b32_e32 v37, 2, v5
	s_wait_alu 0xfffd
	v_add_co_ci_u32_e64 v36, null, v36, v50, vcc_lo
	s_branch .LBB355_67
.LBB355_66:                             ;   in Loop: Header=BB355_67 Depth=2
	s_wait_alu 0xfffe
	s_or_b32 exec_lo, exec_lo, s9
	s_add_co_i32 s34, s34, 1
	s_add_co_i32 s8, s8, s52
	s_cmp_lt_i32 s34, s27
	s_cbranch_scc0 .LBB355_2
.LBB355_67:                             ;   Parent Loop BB355_3 Depth=1
                                        ; =>  This Loop Header: Depth=2
                                        ;       Child Loop BB355_79 Depth 3
                                        ;       Child Loop BB355_81 Depth 3
                                        ; implicit-def: $vgpr14_vgpr15
                                        ; implicit-def: $vgpr16_vgpr17
	s_and_saveexec_b32 s9, s4
	s_wait_alu 0xfffe
	s_xor_b32 s9, exec_lo, s9
	s_cbranch_execnz .LBB355_76
; %bb.68:                               ;   in Loop: Header=BB355_67 Depth=2
	s_wait_alu 0xfffe
	s_and_not1_saveexec_b32 s11, s9
	s_cbranch_execnz .LBB355_77
.LBB355_69:                             ;   in Loop: Header=BB355_67 Depth=2
	s_or_b32 exec_lo, exec_lo, s11
	s_and_saveexec_b32 s9, s1
	s_cbranch_execz .LBB355_71
.LBB355_70:                             ;   in Loop: Header=BB355_67 Depth=2
	s_wait_dscnt 0x0
	v_dual_mov_b32 v2, v1 :: v_dual_mov_b32 v3, v1
	v_mov_b32_e32 v4, v1
	ds_store_b128 v47, v[1:4]
.LBB355_71:                             ;   in Loop: Header=BB355_67 Depth=2
	s_wait_alu 0xfffe
	s_or_b32 exec_lo, exec_lo, s9
	s_wait_dscnt 0x0
	ds_bpermute_b32 v2, v22, v14
	ds_bpermute_b32 v3, v22, v15
	;; [unrolled: 1-line block ×4, first 2 shown]
	s_wait_storecnt 0x0
	s_wait_loadcnt_dscnt 0x0
	s_barrier_signal -1
	s_barrier_wait -1
	global_inv scope:SCOPE_SE
	v_add_f64_e32 v[2:3], v[14:15], v[2:3]
	v_add_f64_e32 v[4:5], v[16:17], v[4:5]
	ds_bpermute_b32 v14, v18, v2
	ds_bpermute_b32 v15, v18, v3
	ds_bpermute_b32 v16, v18, v4
	ds_bpermute_b32 v17, v18, v5
	s_wait_dscnt 0x2
	v_add_f64_e32 v[2:3], v[2:3], v[14:15]
	s_wait_dscnt 0x0
	v_add_f64_e32 v[4:5], v[4:5], v[16:17]
	ds_bpermute_b32 v14, v19, v2
	ds_bpermute_b32 v15, v19, v3
	ds_bpermute_b32 v16, v19, v4
	ds_bpermute_b32 v17, v19, v5
	s_wait_dscnt 0x2
	v_add_f64_e32 v[2:3], v[2:3], v[14:15]
	s_wait_dscnt 0x0
	;; [unrolled: 8-line block ×3, first 2 shown]
	v_add_f64_e32 v[14:15], v[4:5], v[16:17]
	ds_bpermute_b32 v4, v37, v2
	ds_bpermute_b32 v5, v37, v3
	;; [unrolled: 1-line block ×4, first 2 shown]
	s_and_saveexec_b32 s9, s3
	s_cbranch_execz .LBB355_73
; %bb.72:                               ;   in Loop: Header=BB355_67 Depth=2
	s_wait_dscnt 0x0
	v_add_f64_e32 v[16:17], v[14:15], v[16:17]
	v_add_f64_e32 v[14:15], v[2:3], v[4:5]
	ds_store_b128 v48, v[14:17]
.LBB355_73:                             ;   in Loop: Header=BB355_67 Depth=2
	s_wait_alu 0xfffe
	s_or_b32 exec_lo, exec_lo, s9
	s_wait_dscnt 0x2
	v_mov_b32_e32 v4, 0
	v_dual_mov_b32 v5, 0 :: v_dual_mov_b32 v2, 0
	v_mov_b32_e32 v3, 0
	s_wait_loadcnt_dscnt 0x0
	s_barrier_signal -1
	s_barrier_wait -1
	global_inv scope:SCOPE_SE
	s_and_saveexec_b32 s9, s2
	s_cbranch_execnz .LBB355_83
; %bb.74:                               ;   in Loop: Header=BB355_67 Depth=2
	s_wait_alu 0xfffe
	s_or_b32 exec_lo, exec_lo, s9
	s_and_saveexec_b32 s9, s1
	s_cbranch_execnz .LBB355_84
.LBB355_75:                             ;   in Loop: Header=BB355_67 Depth=2
	s_wait_alu 0xfffe
	s_or_b32 exec_lo, exec_lo, s9
	s_and_saveexec_b32 s9, s0
	s_cbranch_execz .LBB355_66
	s_branch .LBB355_85
.LBB355_76:                             ;   in Loop: Header=BB355_67 Depth=2
	s_wait_dscnt 0x0
	s_clause 0x2
	flat_load_b128 v[2:5], v[8:9]
	flat_load_b128 v[14:17], v[10:11]
	;; [unrolled: 1-line block ×3, first 2 shown]
	s_mul_i32 s46, s34, s52
	s_wait_alu 0xfffe
	s_ashr_i32 s47, s46, 31
	s_wait_alu 0xfffe
	s_lshl_b64 s[46:47], s[46:47], 4
	s_wait_alu 0xfffe
	v_add_co_u32 v66, vcc_lo, v52, s46
	s_wait_alu 0xfffd
	v_add_co_ci_u32_e64 v67, null, s47, v53, vcc_lo
	flat_load_b128 v[42:45], v[6:7]
	s_clause 0x1
	flat_load_b128 v[54:57], v[66:67]
	flat_load_b128 v[58:61], v[66:67] offset:16
	s_wait_loadcnt_dscnt 0x505
	scratch_store_b128 off, v[2:5], s60
	s_wait_loadcnt_dscnt 0x404
	scratch_store_b128 off, v[14:17], s61
	s_clause 0x1
	scratch_load_b128 v[2:5], off, off offset:16
	scratch_load_b128 v[14:17], off, off offset:32
	s_clause 0x1
	flat_load_b128 v[62:65], v[66:67] offset:32
	flat_load_b128 v[66:69], v[66:67] offset:48
	s_wait_loadcnt_dscnt 0x705
	scratch_store_b128 off, v[38:41], s62
	scratch_load_b128 v[38:41], off, off offset:48
	s_wait_loadcnt_dscnt 0x704
	scratch_store_b128 off, v[42:45], off
	s_wait_loadcnt_dscnt 0x603
	v_mul_f64_e32 v[70:71], v[56:57], v[44:45]
	v_mul_f64_e32 v[72:73], v[54:55], v[44:45]
	s_delay_alu instid0(VALU_DEP_2) | instskip(NEXT) | instid1(VALU_DEP_2)
	v_fma_f64 v[54:55], v[54:55], v[42:43], -v[70:71]
	v_fma_f64 v[56:57], v[56:57], v[42:43], v[72:73]
	s_delay_alu instid0(VALU_DEP_2) | instskip(NEXT) | instid1(VALU_DEP_2)
	v_add_f64_e32 v[54:55], 0, v[54:55]
	v_add_f64_e32 v[56:57], 0, v[56:57]
	s_wait_loadcnt_dscnt 0x402
	v_mul_f64_e32 v[70:71], v[60:61], v[4:5]
	v_mul_f64_e32 v[4:5], v[58:59], v[4:5]
	s_wait_loadcnt_dscnt 0x201
	v_mul_f64_e32 v[72:73], v[64:65], v[16:17]
	v_mul_f64_e32 v[16:17], v[62:63], v[16:17]
	s_delay_alu instid0(VALU_DEP_4) | instskip(NEXT) | instid1(VALU_DEP_4)
	v_fma_f64 v[58:59], v[58:59], v[2:3], -v[70:71]
	v_fma_f64 v[2:3], v[60:61], v[2:3], v[4:5]
	s_wait_loadcnt_dscnt 0x0
	v_mul_f64_e32 v[4:5], v[68:69], v[40:41]
	v_mul_f64_e32 v[40:41], v[66:67], v[40:41]
	v_fma_f64 v[60:61], v[62:63], v[14:15], -v[72:73]
	v_fma_f64 v[14:15], v[64:65], v[14:15], v[16:17]
	v_add_f64_e32 v[16:17], v[54:55], v[58:59]
	v_add_f64_e32 v[2:3], v[56:57], v[2:3]
	v_fma_f64 v[4:5], v[66:67], v[38:39], -v[4:5]
	v_fma_f64 v[38:39], v[68:69], v[38:39], v[40:41]
	s_delay_alu instid0(VALU_DEP_4) | instskip(NEXT) | instid1(VALU_DEP_4)
	v_add_f64_e32 v[16:17], v[16:17], v[60:61]
	v_add_f64_e32 v[2:3], v[2:3], v[14:15]
	s_delay_alu instid0(VALU_DEP_2) | instskip(NEXT) | instid1(VALU_DEP_2)
	v_add_f64_e32 v[14:15], v[16:17], v[4:5]
	v_add_f64_e32 v[16:17], v[2:3], v[38:39]
	s_and_not1_saveexec_b32 s11, s9
	s_cbranch_execz .LBB355_69
.LBB355_77:                             ;   in Loop: Header=BB355_67 Depth=2
	v_mov_b32_e32 v14, 0
	v_dual_mov_b32 v15, 0 :: v_dual_mov_b32 v16, 0
	v_mov_b32_e32 v17, 0
	s_and_saveexec_b32 s46, s26
	s_cbranch_execz .LBB355_82
; %bb.78:                               ;   in Loop: Header=BB355_67 Depth=2
	s_wait_dscnt 0x0
	v_mov_b32_e32 v2, v21
	s_mov_b32 s9, 0
	s_mov_b32 s47, s57
.LBB355_79:                             ;   Parent Loop BB355_3 Depth=1
                                        ;     Parent Loop BB355_67 Depth=2
                                        ; =>    This Inner Loop Header: Depth=3
	s_delay_alu instid0(VALU_DEP_1) | instskip(SKIP_2) | instid1(VALU_DEP_1)
	v_ashrrev_i32_e32 v3, 31, v2
	s_wait_alu 0xfffe
	s_add_co_i32 s47, s47, -1
	v_lshlrev_b64_e32 v[3:4], 4, v[2:3]
	v_add_nc_u32_e32 v2, s53, v2
	s_delay_alu instid0(VALU_DEP_2) | instskip(SKIP_1) | instid1(VALU_DEP_3)
	v_add_co_u32 v3, vcc_lo, v33, v3
	s_wait_alu 0xfffd
	v_add_co_ci_u32_e64 v4, null, v34, v4, vcc_lo
	flat_load_b128 v[14:17], v[3:4]
	s_wait_loadcnt_dscnt 0x0
	scratch_store_b128 off, v[14:17], s9
	s_add_co_i32 s9, s9, 16
	s_wait_alu 0xfffe
	s_cmp_eq_u32 s47, 0
	s_cbranch_scc0 .LBB355_79
; %bb.80:                               ;   in Loop: Header=BB355_67 Depth=2
	s_ashr_i32 s9, s8, 31
	v_mov_b32_e32 v14, 0
	s_wait_alu 0xfffe
	s_lshl_b64 s[48:49], s[8:9], 4
	v_dual_mov_b32 v15, 0 :: v_dual_mov_b32 v16, 0
	s_wait_alu 0xfffe
	v_add_co_u32 v2, vcc_lo, v35, s48
	v_mov_b32_e32 v17, 0
	s_wait_alu 0xfffd
	v_add_co_ci_u32_e64 v3, null, s49, v36, vcc_lo
	s_mov_b32 s9, s63
	s_mov_b32 s47, s57
.LBB355_81:                             ;   Parent Loop BB355_3 Depth=1
                                        ;     Parent Loop BB355_67 Depth=2
                                        ; =>    This Inner Loop Header: Depth=3
	flat_load_b128 v[38:41], v[2:3] offset:-8
	scratch_load_b128 v[42:45], off, s9 offset:-8
	v_add_co_u32 v2, vcc_lo, v2, 16
	s_wait_alu 0xfffd
	v_add_co_ci_u32_e64 v3, null, 0, v3, vcc_lo
	s_wait_alu 0xfffe
	s_add_co_i32 s47, s47, -1
	s_add_co_i32 s9, s9, 16
	s_wait_alu 0xfffe
	s_cmp_lg_u32 s47, 0
	s_wait_loadcnt_dscnt 0x0
	v_mul_f64_e32 v[4:5], v[40:41], v[44:45]
	v_mul_f64_e32 v[44:45], v[38:39], v[44:45]
	s_delay_alu instid0(VALU_DEP_2) | instskip(NEXT) | instid1(VALU_DEP_2)
	v_fma_f64 v[4:5], v[38:39], v[42:43], -v[4:5]
	v_fma_f64 v[38:39], v[40:41], v[42:43], v[44:45]
	s_delay_alu instid0(VALU_DEP_2) | instskip(NEXT) | instid1(VALU_DEP_2)
	v_add_f64_e32 v[14:15], v[14:15], v[4:5]
	v_add_f64_e32 v[16:17], v[16:17], v[38:39]
	s_cbranch_scc1 .LBB355_81
.LBB355_82:                             ;   in Loop: Header=BB355_67 Depth=2
	s_wait_alu 0xfffe
	s_or_b32 exec_lo, exec_lo, s46
	s_delay_alu instid0(SALU_CYCLE_1)
	s_or_b32 exec_lo, exec_lo, s11
	s_and_saveexec_b32 s9, s1
	s_cbranch_execnz .LBB355_70
	s_branch .LBB355_71
.LBB355_83:                             ;   in Loop: Header=BB355_67 Depth=2
	ds_load_b128 v[2:5], v47
	s_wait_alu 0xfffe
	s_or_b32 exec_lo, exec_lo, s9
	s_and_saveexec_b32 s9, s1
	s_cbranch_execz .LBB355_75
.LBB355_84:                             ;   in Loop: Header=BB355_67 Depth=2
	s_wait_dscnt 0x0
	ds_bpermute_b32 v14, v19, v2
	ds_bpermute_b32 v15, v19, v3
	ds_bpermute_b32 v16, v19, v4
	ds_bpermute_b32 v17, v19, v5
	s_wait_dscnt 0x2
	v_add_f64_e32 v[2:3], v[2:3], v[14:15]
	s_wait_dscnt 0x0
	v_add_f64_e32 v[4:5], v[4:5], v[16:17]
	ds_bpermute_b32 v14, v20, v2
	ds_bpermute_b32 v15, v20, v3
	ds_bpermute_b32 v16, v20, v4
	ds_bpermute_b32 v17, v20, v5
	s_wait_dscnt 0x2
	v_add_f64_e32 v[2:3], v[2:3], v[14:15]
	s_wait_dscnt 0x0
	v_add_f64_e32 v[4:5], v[4:5], v[16:17]
	;; [unrolled: 8-line block ×3, first 2 shown]
	s_wait_alu 0xfffe
	s_or_b32 exec_lo, exec_lo, s9
	s_and_saveexec_b32 s9, s0
	s_cbranch_execz .LBB355_66
.LBB355_85:                             ;   in Loop: Header=BB355_67 Depth=2
	s_wait_dscnt 0x0
	s_delay_alu instid0(VALU_DEP_1)
	v_mul_f64_e32 v[14:15], s[14:15], v[4:5]
	v_mul_f64_e32 v[4:5], s[12:13], v[4:5]
	s_mul_u64 s[46:47], s[34:35], s[28:29]
	s_wait_alu 0xfffe
	s_lshl_b64 s[46:47], s[46:47], 4
	s_wait_alu 0xfffe
	s_add_nc_u64 s[46:47], s[6:7], s[46:47]
	s_delay_alu instid0(VALU_DEP_2) | instskip(NEXT) | instid1(VALU_DEP_2)
	v_fma_f64 v[14:15], s[12:13], v[2:3], -v[14:15]
	v_fma_f64 v[16:17], s[14:15], v[2:3], v[4:5]
	global_store_b128 v1, v[14:17], s[46:47]
	s_branch .LBB355_66
.LBB355_86:
	s_nop 0
	s_sendmsg sendmsg(MSG_DEALLOC_VGPRS)
	s_endpgm
	.section	.rodata,"a",@progbits
	.p2align	6, 0x0
	.amdhsa_kernel _ZL23rocblas_gemvt_sn_kernelILb0ELi256ELi4EiPK19rocblas_complex_numIdES1_S1_EviiT4_lPKT3_lilS7_lilPT5_i
		.amdhsa_group_segment_fixed_size 512
		.amdhsa_private_segment_fixed_size 80
		.amdhsa_kernarg_size 368
		.amdhsa_user_sgpr_count 2
		.amdhsa_user_sgpr_dispatch_ptr 0
		.amdhsa_user_sgpr_queue_ptr 0
		.amdhsa_user_sgpr_kernarg_segment_ptr 1
		.amdhsa_user_sgpr_dispatch_id 0
		.amdhsa_user_sgpr_private_segment_size 0
		.amdhsa_wavefront_size32 1
		.amdhsa_uses_dynamic_stack 0
		.amdhsa_enable_private_segment 1
		.amdhsa_system_sgpr_workgroup_id_x 1
		.amdhsa_system_sgpr_workgroup_id_y 0
		.amdhsa_system_sgpr_workgroup_id_z 1
		.amdhsa_system_sgpr_workgroup_info 0
		.amdhsa_system_vgpr_workitem_id 0
		.amdhsa_next_free_vgpr 136
		.amdhsa_next_free_sgpr 78
		.amdhsa_reserve_vcc 1
		.amdhsa_float_round_mode_32 0
		.amdhsa_float_round_mode_16_64 0
		.amdhsa_float_denorm_mode_32 3
		.amdhsa_float_denorm_mode_16_64 3
		.amdhsa_fp16_overflow 0
		.amdhsa_workgroup_processor_mode 1
		.amdhsa_memory_ordered 1
		.amdhsa_forward_progress 1
		.amdhsa_inst_pref_size 57
		.amdhsa_round_robin_scheduling 0
		.amdhsa_exception_fp_ieee_invalid_op 0
		.amdhsa_exception_fp_denorm_src 0
		.amdhsa_exception_fp_ieee_div_zero 0
		.amdhsa_exception_fp_ieee_overflow 0
		.amdhsa_exception_fp_ieee_underflow 0
		.amdhsa_exception_fp_ieee_inexact 0
		.amdhsa_exception_int_div_zero 0
	.end_amdhsa_kernel
	.section	.text._ZL23rocblas_gemvt_sn_kernelILb0ELi256ELi4EiPK19rocblas_complex_numIdES1_S1_EviiT4_lPKT3_lilS7_lilPT5_i,"axG",@progbits,_ZL23rocblas_gemvt_sn_kernelILb0ELi256ELi4EiPK19rocblas_complex_numIdES1_S1_EviiT4_lPKT3_lilS7_lilPT5_i,comdat
.Lfunc_end355:
	.size	_ZL23rocblas_gemvt_sn_kernelILb0ELi256ELi4EiPK19rocblas_complex_numIdES1_S1_EviiT4_lPKT3_lilS7_lilPT5_i, .Lfunc_end355-_ZL23rocblas_gemvt_sn_kernelILb0ELi256ELi4EiPK19rocblas_complex_numIdES1_S1_EviiT4_lPKT3_lilS7_lilPT5_i
                                        ; -- End function
	.set _ZL23rocblas_gemvt_sn_kernelILb0ELi256ELi4EiPK19rocblas_complex_numIdES1_S1_EviiT4_lPKT3_lilS7_lilPT5_i.num_vgpr, 136
	.set _ZL23rocblas_gemvt_sn_kernelILb0ELi256ELi4EiPK19rocblas_complex_numIdES1_S1_EviiT4_lPKT3_lilS7_lilPT5_i.num_agpr, 0
	.set _ZL23rocblas_gemvt_sn_kernelILb0ELi256ELi4EiPK19rocblas_complex_numIdES1_S1_EviiT4_lPKT3_lilS7_lilPT5_i.numbered_sgpr, 78
	.set _ZL23rocblas_gemvt_sn_kernelILb0ELi256ELi4EiPK19rocblas_complex_numIdES1_S1_EviiT4_lPKT3_lilS7_lilPT5_i.num_named_barrier, 0
	.set _ZL23rocblas_gemvt_sn_kernelILb0ELi256ELi4EiPK19rocblas_complex_numIdES1_S1_EviiT4_lPKT3_lilS7_lilPT5_i.private_seg_size, 80
	.set _ZL23rocblas_gemvt_sn_kernelILb0ELi256ELi4EiPK19rocblas_complex_numIdES1_S1_EviiT4_lPKT3_lilS7_lilPT5_i.uses_vcc, 1
	.set _ZL23rocblas_gemvt_sn_kernelILb0ELi256ELi4EiPK19rocblas_complex_numIdES1_S1_EviiT4_lPKT3_lilS7_lilPT5_i.uses_flat_scratch, 1
	.set _ZL23rocblas_gemvt_sn_kernelILb0ELi256ELi4EiPK19rocblas_complex_numIdES1_S1_EviiT4_lPKT3_lilS7_lilPT5_i.has_dyn_sized_stack, 0
	.set _ZL23rocblas_gemvt_sn_kernelILb0ELi256ELi4EiPK19rocblas_complex_numIdES1_S1_EviiT4_lPKT3_lilS7_lilPT5_i.has_recursion, 0
	.set _ZL23rocblas_gemvt_sn_kernelILb0ELi256ELi4EiPK19rocblas_complex_numIdES1_S1_EviiT4_lPKT3_lilS7_lilPT5_i.has_indirect_call, 0
	.section	.AMDGPU.csdata,"",@progbits
; Kernel info:
; codeLenInByte = 7292
; TotalNumSgprs: 80
; NumVgprs: 136
; ScratchSize: 80
; MemoryBound: 0
; FloatMode: 240
; IeeeMode: 1
; LDSByteSize: 512 bytes/workgroup (compile time only)
; SGPRBlocks: 0
; VGPRBlocks: 16
; NumSGPRsForWavesPerEU: 80
; NumVGPRsForWavesPerEU: 136
; Occupancy: 10
; WaveLimiterHint : 1
; COMPUTE_PGM_RSRC2:SCRATCH_EN: 1
; COMPUTE_PGM_RSRC2:USER_SGPR: 2
; COMPUTE_PGM_RSRC2:TRAP_HANDLER: 0
; COMPUTE_PGM_RSRC2:TGID_X_EN: 1
; COMPUTE_PGM_RSRC2:TGID_Y_EN: 0
; COMPUTE_PGM_RSRC2:TGID_Z_EN: 1
; COMPUTE_PGM_RSRC2:TIDIG_COMP_CNT: 0
	.section	.text._ZL23rocblas_gemvt_sn_kernelILb0ELi256ELi4ElPK19rocblas_complex_numIdES1_S1_EviiT4_lPKT3_lilS7_lilPT5_i,"axG",@progbits,_ZL23rocblas_gemvt_sn_kernelILb0ELi256ELi4ElPK19rocblas_complex_numIdES1_S1_EviiT4_lPKT3_lilS7_lilPT5_i,comdat
	.globl	_ZL23rocblas_gemvt_sn_kernelILb0ELi256ELi4ElPK19rocblas_complex_numIdES1_S1_EviiT4_lPKT3_lilS7_lilPT5_i ; -- Begin function _ZL23rocblas_gemvt_sn_kernelILb0ELi256ELi4ElPK19rocblas_complex_numIdES1_S1_EviiT4_lPKT3_lilS7_lilPT5_i
	.p2align	8
	.type	_ZL23rocblas_gemvt_sn_kernelILb0ELi256ELi4ElPK19rocblas_complex_numIdES1_S1_EviiT4_lPKT3_lilS7_lilPT5_i,@function
_ZL23rocblas_gemvt_sn_kernelILb0ELi256ELi4ElPK19rocblas_complex_numIdES1_S1_EviiT4_lPKT3_lilS7_lilPT5_i: ; @_ZL23rocblas_gemvt_sn_kernelILb0ELi256ELi4ElPK19rocblas_complex_numIdES1_S1_EviiT4_lPKT3_lilS7_lilPT5_i
; %bb.0:
	s_load_b32 s33, s[0:1], 0x68
	s_lshr_b32 s10, ttmp7, 16
	s_wait_kmcnt 0x0
	s_cmp_ge_u32 s10, s33
	s_cbranch_scc1 .LBB356_86
; %bb.1:
	s_clause 0x7
	s_load_b128 s[12:15], s[0:1], 0x8
	s_load_b32 s26, s[0:1], 0x30
	s_load_b64 s[28:29], s[0:1], 0x0
	s_load_b32 s6, s[0:1], 0x50
	s_load_b32 s30, s[0:1], 0x70
	s_load_b128 s[16:19], s[0:1], 0x20
	s_load_b128 s[20:23], s[0:1], 0x40
	s_load_b64 s[34:35], s[0:1], 0x60
	s_mov_b32 s25, 0
	v_dual_mov_b32 v1, 0 :: v_dual_and_b32 v2, 31, v0
	s_mov_b32 s31, s25
	v_cmp_eq_u32_e64 s0, 0, v0
	v_lshrrev_b32_e32 v3, 1, v0
	s_delay_alu instid0(VALU_DEP_3)
	v_cmp_eq_u32_e64 s3, 0, v2
	v_lshlrev_b32_e32 v50, 4, v2
	v_cmp_gt_u32_e64 s1, 32, v0
	v_cmp_gt_u32_e64 s2, 8, v0
	v_and_b32_e32 v51, 0x70, v3
	v_mbcnt_lo_u32_b32 v49, -1, 0
	s_mov_b32 s24, ttmp9
	s_wait_kmcnt 0x0
	s_ashr_i32 s27, s26, 31
	s_ashr_i32 s5, s29, 31
	s_mov_b32 s4, s29
	s_ashr_i32 s7, s6, 31
	s_mul_u64 s[36:37], s[4:5], s[30:31]
	v_cmp_neq_f64_e64 s8, s[12:13], 0
	v_cmp_neq_f64_e64 s9, s[14:15], 0
	v_lshl_or_b32 v54, v49, 2, 64
	s_mov_b32 s60, 16
	s_mov_b32 s61, 32
	;; [unrolled: 1-line block ×3, first 2 shown]
	s_or_b32 s4, s8, s9
	s_delay_alu instid0(SALU_CYCLE_1)
	s_xor_b32 s54, s4, -1
	s_cmp_gt_i32 s29, 0
	v_cndmask_b32_e64 v52, 0, 1, s4
	s_cselect_b32 s4, -1, 0
	s_lshl_b32 s8, ttmp9, 10
	s_ashr_i32 s9, s28, 31
	v_lshl_or_b32 v2, v0, 2, s8
	s_wait_alu 0xfffe
	s_and_b32 s55, s0, s4
	s_lshr_b32 s4, s9, 30
	s_lshr_b32 s5, s5, 30
	s_wait_alu 0xfffe
	s_add_co_i32 s4, s28, s4
	v_or_b32_e32 v6, 1, v2
	v_or_b32_e32 v8, 2, v2
	;; [unrolled: 1-line block ×3, first 2 shown]
	s_wait_alu 0xfffe
	s_and_b32 s4, s4, -4
	v_ashrrev_i32_e32 v3, 31, v2
	s_add_co_i32 s5, s29, s5
	v_mad_co_i64_i32 v[4:5], null, s6, v2, 0
	s_wait_alu 0xfffe
	s_sub_co_i32 s57, s28, s4
	v_mad_co_i64_i32 v[6:7], null, s6, v6, 0
	v_mad_co_i64_i32 v[8:9], null, s6, v8, 0
	v_mad_co_i64_i32 v[10:11], null, s6, v10, 0
	s_and_b32 s56, s5, -4
	v_add_nc_u32_e32 v12, s57, v2
	v_lshlrev_b64_e32 v[21:22], 4, v[2:3]
	v_add_nc_u32_e32 v0, 4, v2
	s_cmp_gt_i32 s56, 0
	v_lshlrev_b64_e32 v[23:24], 4, v[4:5]
	s_cselect_b32 s58, -1, 0
	s_cmp_gt_i32 s57, 0
	v_cmp_ge_i32_e64 s5, s28, v12
	s_cselect_b32 s59, -1, 0
	s_lshl_b64 s[38:39], s[24:25], 4
	v_lshlrev_b64_e32 v[25:26], 4, v[6:7]
	v_lshlrev_b64_e32 v[27:28], 4, v[8:9]
	v_lshlrev_b64_e32 v[29:30], 4, v[10:11]
	v_cmp_ge_i32_e64 s4, s28, v0
	v_or_b32_e32 v0, 8, v21
	v_mov_b32_e32 v53, v22
	s_lshl_b64 s[44:45], s[6:7], 4
	s_add_nc_u64 s[6:7], s[34:35], s[38:39]
	s_or_b32 s63, 0, 8
	s_lshl_b64 s[40:41], s[36:37], 4
	s_lshl_b64 s[42:43], s[30:31], 4
	;; [unrolled: 1-line block ×3, first 2 shown]
	s_wait_alu 0xfffe
	s_add_nc_u64 s[48:49], s[6:7], 8
	s_and_b32 s28, s59, s5
	s_lshl_b64 s[50:51], s[26:27], 4
	s_lshl_b64 s[18:19], s[18:19], 4
	;; [unrolled: 1-line block ×3, first 2 shown]
	s_branch .LBB356_3
.LBB356_2:                              ;   in Loop: Header=BB356_3 Depth=1
	s_add_co_i32 s10, s10, 0x10000
	s_delay_alu instid0(SALU_CYCLE_1)
	s_cmp_lt_u32 s10, s33
	s_cbranch_scc0 .LBB356_86
.LBB356_3:                              ; =>This Loop Header: Depth=1
                                        ;     Child Loop BB356_13 Depth 2
                                        ;     Child Loop BB356_18 Depth 2
                                        ;       Child Loop BB356_49 Depth 3
                                        ;       Child Loop BB356_51 Depth 3
                                        ;     Child Loop BB356_67 Depth 2
                                        ;       Child Loop BB356_79 Depth 3
                                        ;       Child Loop BB356_81 Depth 3
	s_mov_b32 s11, s25
	s_and_not1_b32 vcc_lo, exec_lo, s54
	s_mov_b32 s6, -1
	s_wait_alu 0xfffe
	s_cbranch_vccnz .LBB356_5
; %bb.4:                                ;   in Loop: Header=BB356_3 Depth=1
	s_mov_b32 s6, 0
.LBB356_5:                              ;   in Loop: Header=BB356_3 Depth=1
	v_mov_b32_e32 v33, 0
	v_dual_mov_b32 v34, 0 :: v_dual_mov_b32 v35, 0
	v_mov_b32_e32 v36, 0
	s_wait_alu 0xfffe
	s_and_not1_b32 vcc_lo, exec_lo, s6
	s_wait_alu 0xfffe
	s_cbranch_vccz .LBB356_9
; %bb.6:                                ;   in Loop: Header=BB356_3 Depth=1
	v_cmp_ne_u32_e32 vcc_lo, 1, v52
	s_cbranch_vccz .LBB356_10
.LBB356_7:                              ;   in Loop: Header=BB356_3 Depth=1
	s_and_not1_b32 vcc_lo, exec_lo, s54
	s_mov_b32 s6, -1
	s_wait_alu 0xfffe
	s_cbranch_vccz .LBB356_11
.LBB356_8:                              ;   in Loop: Header=BB356_3 Depth=1
	s_wait_alu 0xfffe
	s_and_not1_b32 vcc_lo, exec_lo, s6
	s_wait_alu 0xfffe
	s_cbranch_vccnz .LBB356_2
	s_branch .LBB356_15
.LBB356_9:                              ;   in Loop: Header=BB356_3 Depth=1
	s_lshl_b64 s[6:7], s[10:11], 3
	s_wait_alu 0xfffe
	s_add_nc_u64 s[6:7], s[16:17], s[6:7]
	s_wait_dscnt 0x0
	global_load_b64 v[2:3], v1, s[6:7]
	s_wait_loadcnt 0x0
	v_add_co_u32 v35, vcc_lo, v2, s18
	s_wait_alu 0xfffd
	v_add_co_ci_u32_e64 v36, null, s19, v3, vcc_lo
	v_cmp_ne_u32_e32 vcc_lo, 1, v52
	s_cbranch_vccnz .LBB356_7
.LBB356_10:                             ;   in Loop: Header=BB356_3 Depth=1
	s_lshl_b64 s[6:7], s[10:11], 3
	s_wait_alu 0xfffe
	s_add_nc_u64 s[6:7], s[20:21], s[6:7]
	s_wait_dscnt 0x0
	global_load_b64 v[2:3], v1, s[6:7]
	s_wait_loadcnt 0x0
	v_add_co_u32 v33, vcc_lo, v2, s22
	s_wait_alu 0xfffd
	v_add_co_ci_u32_e64 v34, null, s23, v3, vcc_lo
	s_and_not1_b32 vcc_lo, exec_lo, s54
	s_mov_b32 s6, -1
	s_wait_alu 0xfffe
	s_cbranch_vccnz .LBB356_8
.LBB356_11:                             ;   in Loop: Header=BB356_3 Depth=1
	s_and_saveexec_b32 s8, s55
	s_cbranch_execz .LBB356_14
; %bb.12:                               ;   in Loop: Header=BB356_3 Depth=1
	s_mul_u64 s[6:7], s[40:41], s[10:11]
	s_mov_b32 s9, s29
	s_wait_alu 0xfffe
	s_add_nc_u64 s[6:7], s[48:49], s[6:7]
.LBB356_13:                             ;   Parent Loop BB356_3 Depth=1
                                        ; =>  This Inner Loop Header: Depth=2
	s_wait_dscnt 0x0
	v_dual_mov_b32 v2, v1 :: v_dual_mov_b32 v3, v1
	v_mov_b32_e32 v4, v1
	s_add_co_i32 s9, s9, -1
	s_wait_alu 0xfffe
	s_cmp_eq_u32 s9, 0
	global_store_b128 v1, v[1:4], s[6:7] offset:-8
	s_add_nc_u64 s[6:7], s[6:7], s[42:43]
	s_cbranch_scc0 .LBB356_13
.LBB356_14:                             ;   in Loop: Header=BB356_3 Depth=1
	s_wait_alu 0xfffe
	s_or_b32 exec_lo, exec_lo, s8
	s_cbranch_execnz .LBB356_2
.LBB356_15:                             ;   in Loop: Header=BB356_3 Depth=1
	s_mul_u64 s[6:7], s[36:37], s[10:11]
	v_add_co_u32 v31, vcc_lo, v35, v21
	s_wait_alu 0xfffe
	s_lshl_b64 s[52:53], s[6:7], 4
	s_wait_alu 0xfffd
	v_add_co_ci_u32_e64 v32, null, v36, v22, vcc_lo
	v_cmp_gt_u32_e64 s9, 24, v49
	v_cmp_gt_u32_e64 s8, 28, v49
	;; [unrolled: 1-line block ×3, first 2 shown]
	v_cmp_ne_u32_e64 s6, 31, v49
	s_add_nc_u64 s[52:53], s[34:35], s[52:53]
	s_and_not1_b32 vcc_lo, exec_lo, s58
	s_add_nc_u64 s[52:53], s[52:53], s[38:39]
	s_wait_alu 0xfffe
	s_cbranch_vccnz .LBB356_63
; %bb.16:                               ;   in Loop: Header=BB356_3 Depth=1
	v_add_co_u32 v37, vcc_lo, v33, v23
	s_wait_alu 0xfffd
	v_add_co_ci_u32_e64 v38, null, v34, v24, vcc_lo
	v_add_co_u32 v39, vcc_lo, v33, v25
	s_wait_dscnt 0x0
	s_wait_alu 0xf1ff
	v_cndmask_b32_e64 v2, 0, 8, s9
	v_cndmask_b32_e64 v3, 0, 4, s8
	;; [unrolled: 1-line block ×3, first 2 shown]
	v_add_co_ci_u32_e64 v5, null, 0, v49, s6
	s_wait_alu 0xfffd
	v_add_co_ci_u32_e64 v40, null, v34, v26, vcc_lo
	v_add_co_u32 v41, vcc_lo, v33, v27
	s_wait_alu 0xfffd
	v_add_co_ci_u32_e64 v42, null, v34, v28, vcc_lo
	v_add_co_u32 v43, vcc_lo, v33, v29
	v_mov_b32_e32 v46, v32
	v_add_lshl_u32 v55, v2, v49, 2
	v_add_lshl_u32 v56, v3, v49, 2
	;; [unrolled: 1-line block ×3, first 2 shown]
	v_dual_mov_b32 v45, v31 :: v_dual_lshlrev_b32 v58, 2, v5
	s_wait_alu 0xfffd
	v_add_co_ci_u32_e64 v44, null, v34, v30, vcc_lo
	s_mov_b32 s24, 0
	s_branch .LBB356_18
.LBB356_17:                             ;   in Loop: Header=BB356_18 Depth=2
	s_wait_alu 0xfffe
	s_or_b32 exec_lo, exec_lo, s6
	v_add_co_u32 v45, vcc_lo, v45, s46
	s_wait_alu 0xfffd
	v_add_co_ci_u32_e64 v46, null, s47, v46, vcc_lo
	s_add_co_i32 s24, s24, 4
	s_wait_alu 0xfffe
	s_cmp_ge_i32 s24, s56
	s_cbranch_scc1 .LBB356_64
.LBB356_18:                             ;   Parent Loop BB356_3 Depth=1
                                        ; =>  This Loop Header: Depth=2
                                        ;       Child Loop BB356_49 Depth 3
                                        ;       Child Loop BB356_51 Depth 3
                                        ; implicit-def: $vgpr17_vgpr18
                                        ; implicit-def: $vgpr19_vgpr20
                                        ; implicit-def: $vgpr13_vgpr14
                                        ; implicit-def: $vgpr15_vgpr16
                                        ; implicit-def: $vgpr9_vgpr10
                                        ; implicit-def: $vgpr11_vgpr12
                                        ; implicit-def: $vgpr7_vgpr8
                                        ; implicit-def: $vgpr5_vgpr6
	s_and_saveexec_b32 s6, s4
	s_wait_alu 0xfffe
	s_xor_b32 s8, exec_lo, s6
	s_cbranch_execnz .LBB356_45
; %bb.19:                               ;   in Loop: Header=BB356_18 Depth=2
	s_wait_alu 0xfffe
	s_and_not1_saveexec_b32 s6, s8
	s_cbranch_execnz .LBB356_46
.LBB356_20:                             ;   in Loop: Header=BB356_18 Depth=2
	s_wait_alu 0xfffe
	s_or_b32 exec_lo, exec_lo, s6
	s_and_saveexec_b32 s6, s1
.LBB356_21:                             ;   in Loop: Header=BB356_18 Depth=2
	v_dual_mov_b32 v2, v1 :: v_dual_mov_b32 v3, v1
	v_mov_b32_e32 v4, v1
	ds_store_b128 v50, v[1:4]
.LBB356_22:                             ;   in Loop: Header=BB356_18 Depth=2
	s_wait_alu 0xfffe
	s_or_b32 exec_lo, exec_lo, s6
	ds_bpermute_b32 v2, v54, v7
	ds_bpermute_b32 v3, v54, v8
	;; [unrolled: 1-line block ×4, first 2 shown]
	s_wait_storecnt_dscnt 0x0
	s_barrier_signal -1
	s_barrier_wait -1
	global_inv scope:SCOPE_SE
	v_add_f64_e32 v[2:3], v[7:8], v[2:3]
	v_add_f64_e32 v[4:5], v[5:6], v[47:48]
	ds_bpermute_b32 v6, v55, v2
	ds_bpermute_b32 v7, v55, v3
	ds_bpermute_b32 v47, v55, v4
	ds_bpermute_b32 v48, v55, v5
	s_wait_dscnt 0x2
	v_add_f64_e32 v[2:3], v[2:3], v[6:7]
	s_wait_dscnt 0x0
	v_add_f64_e32 v[4:5], v[4:5], v[47:48]
	ds_bpermute_b32 v6, v56, v2
	ds_bpermute_b32 v7, v56, v3
	ds_bpermute_b32 v47, v56, v4
	ds_bpermute_b32 v48, v56, v5
	s_wait_dscnt 0x2
	v_add_f64_e32 v[2:3], v[2:3], v[6:7]
	s_wait_dscnt 0x0
	;; [unrolled: 8-line block ×3, first 2 shown]
	v_add_f64_e32 v[6:7], v[4:5], v[47:48]
	ds_bpermute_b32 v4, v58, v2
	ds_bpermute_b32 v5, v58, v3
	;; [unrolled: 1-line block ×4, first 2 shown]
	s_and_saveexec_b32 s6, s3
	s_cbranch_execz .LBB356_24
; %bb.23:                               ;   in Loop: Header=BB356_18 Depth=2
	s_wait_dscnt 0x0
	v_add_f64_e32 v[6:7], v[6:7], v[47:48]
	v_add_f64_e32 v[4:5], v[2:3], v[4:5]
	ds_store_b128 v51, v[4:7]
.LBB356_24:                             ;   in Loop: Header=BB356_18 Depth=2
	s_wait_alu 0xfffe
	s_or_b32 exec_lo, exec_lo, s6
	v_mov_b32_e32 v7, 0
	s_wait_dscnt 0x2
	v_dual_mov_b32 v8, 0 :: v_dual_mov_b32 v5, 0
	v_mov_b32_e32 v6, 0
	s_wait_loadcnt_dscnt 0x0
	s_barrier_signal -1
	s_barrier_wait -1
	global_inv scope:SCOPE_SE
	s_and_saveexec_b32 s6, s2
	s_cbranch_execnz .LBB356_52
; %bb.25:                               ;   in Loop: Header=BB356_18 Depth=2
	s_wait_alu 0xfffe
	s_or_b32 exec_lo, exec_lo, s6
	s_and_saveexec_b32 s6, s1
	s_cbranch_execnz .LBB356_53
.LBB356_26:                             ;   in Loop: Header=BB356_18 Depth=2
	s_wait_alu 0xfffe
	s_or_b32 exec_lo, exec_lo, s6
	s_and_saveexec_b32 s6, s1
.LBB356_27:                             ;   in Loop: Header=BB356_18 Depth=2
	v_dual_mov_b32 v2, v1 :: v_dual_mov_b32 v3, v1
	v_mov_b32_e32 v4, v1
	ds_store_b128 v50, v[1:4]
.LBB356_28:                             ;   in Loop: Header=BB356_18 Depth=2
	s_wait_alu 0xfffe
	s_or_b32 exec_lo, exec_lo, s6
	ds_bpermute_b32 v2, v54, v9
	ds_bpermute_b32 v3, v54, v10
	;; [unrolled: 1-line block ×4, first 2 shown]
	s_wait_loadcnt_dscnt 0x0
	s_barrier_signal -1
	s_barrier_wait -1
	global_inv scope:SCOPE_SE
	v_add_f64_e32 v[2:3], v[9:10], v[2:3]
	v_add_f64_e32 v[9:10], v[11:12], v[47:48]
	ds_bpermute_b32 v11, v55, v2
	ds_bpermute_b32 v12, v55, v3
	ds_bpermute_b32 v47, v55, v9
	ds_bpermute_b32 v48, v55, v10
	s_wait_dscnt 0x2
	v_add_f64_e32 v[2:3], v[2:3], v[11:12]
	s_wait_dscnt 0x0
	v_add_f64_e32 v[9:10], v[9:10], v[47:48]
	ds_bpermute_b32 v11, v56, v2
	ds_bpermute_b32 v12, v56, v3
	ds_bpermute_b32 v47, v56, v9
	ds_bpermute_b32 v48, v56, v10
	s_wait_dscnt 0x2
	v_add_f64_e32 v[2:3], v[2:3], v[11:12]
	s_wait_dscnt 0x0
	;; [unrolled: 8-line block ×3, first 2 shown]
	v_add_f64_e32 v[11:12], v[9:10], v[47:48]
	ds_bpermute_b32 v9, v58, v2
	ds_bpermute_b32 v10, v58, v3
	ds_bpermute_b32 v47, v58, v11
	ds_bpermute_b32 v48, v58, v12
	s_and_saveexec_b32 s6, s3
	s_cbranch_execz .LBB356_30
; %bb.29:                               ;   in Loop: Header=BB356_18 Depth=2
	s_wait_dscnt 0x0
	v_add_f64_e32 v[11:12], v[11:12], v[47:48]
	v_add_f64_e32 v[9:10], v[2:3], v[9:10]
	ds_store_b128 v51, v[9:12]
.LBB356_30:                             ;   in Loop: Header=BB356_18 Depth=2
	s_wait_alu 0xfffe
	s_or_b32 exec_lo, exec_lo, s6
	v_mov_b32_e32 v11, 0
	s_wait_dscnt 0x2
	v_dual_mov_b32 v12, 0 :: v_dual_mov_b32 v9, 0
	v_mov_b32_e32 v10, 0
	s_wait_loadcnt_dscnt 0x0
	s_barrier_signal -1
	s_barrier_wait -1
	global_inv scope:SCOPE_SE
	s_and_saveexec_b32 s6, s2
	s_cbranch_execnz .LBB356_54
; %bb.31:                               ;   in Loop: Header=BB356_18 Depth=2
	s_wait_alu 0xfffe
	s_or_b32 exec_lo, exec_lo, s6
	s_and_saveexec_b32 s6, s1
	s_cbranch_execnz .LBB356_55
.LBB356_32:                             ;   in Loop: Header=BB356_18 Depth=2
	s_wait_alu 0xfffe
	s_or_b32 exec_lo, exec_lo, s6
	s_and_saveexec_b32 s6, s1
.LBB356_33:                             ;   in Loop: Header=BB356_18 Depth=2
	v_dual_mov_b32 v2, v1 :: v_dual_mov_b32 v3, v1
	v_mov_b32_e32 v4, v1
	ds_store_b128 v50, v[1:4]
.LBB356_34:                             ;   in Loop: Header=BB356_18 Depth=2
	s_wait_alu 0xfffe
	s_or_b32 exec_lo, exec_lo, s6
	ds_bpermute_b32 v2, v54, v13
	ds_bpermute_b32 v3, v54, v14
	;; [unrolled: 1-line block ×4, first 2 shown]
	s_wait_loadcnt_dscnt 0x0
	s_barrier_signal -1
	s_barrier_wait -1
	global_inv scope:SCOPE_SE
	v_add_f64_e32 v[2:3], v[13:14], v[2:3]
	v_add_f64_e32 v[13:14], v[15:16], v[47:48]
	ds_bpermute_b32 v15, v55, v2
	ds_bpermute_b32 v16, v55, v3
	ds_bpermute_b32 v47, v55, v13
	ds_bpermute_b32 v48, v55, v14
	s_wait_dscnt 0x2
	v_add_f64_e32 v[2:3], v[2:3], v[15:16]
	s_wait_dscnt 0x0
	v_add_f64_e32 v[13:14], v[13:14], v[47:48]
	ds_bpermute_b32 v15, v56, v2
	ds_bpermute_b32 v16, v56, v3
	ds_bpermute_b32 v47, v56, v13
	ds_bpermute_b32 v48, v56, v14
	s_wait_dscnt 0x2
	v_add_f64_e32 v[2:3], v[2:3], v[15:16]
	s_wait_dscnt 0x0
	;; [unrolled: 8-line block ×3, first 2 shown]
	v_add_f64_e32 v[15:16], v[13:14], v[47:48]
	ds_bpermute_b32 v13, v58, v2
	ds_bpermute_b32 v14, v58, v3
	ds_bpermute_b32 v47, v58, v15
	ds_bpermute_b32 v48, v58, v16
	s_and_saveexec_b32 s6, s3
	s_cbranch_execz .LBB356_36
; %bb.35:                               ;   in Loop: Header=BB356_18 Depth=2
	s_wait_dscnt 0x0
	v_add_f64_e32 v[15:16], v[15:16], v[47:48]
	v_add_f64_e32 v[13:14], v[2:3], v[13:14]
	ds_store_b128 v51, v[13:16]
.LBB356_36:                             ;   in Loop: Header=BB356_18 Depth=2
	s_wait_alu 0xfffe
	s_or_b32 exec_lo, exec_lo, s6
	v_mov_b32_e32 v15, 0
	s_wait_dscnt 0x2
	v_dual_mov_b32 v16, 0 :: v_dual_mov_b32 v13, 0
	v_mov_b32_e32 v14, 0
	s_wait_loadcnt_dscnt 0x0
	s_barrier_signal -1
	s_barrier_wait -1
	global_inv scope:SCOPE_SE
	s_and_saveexec_b32 s6, s2
	s_cbranch_execnz .LBB356_56
; %bb.37:                               ;   in Loop: Header=BB356_18 Depth=2
	s_wait_alu 0xfffe
	s_or_b32 exec_lo, exec_lo, s6
	s_and_saveexec_b32 s6, s1
	s_cbranch_execnz .LBB356_57
.LBB356_38:                             ;   in Loop: Header=BB356_18 Depth=2
	s_wait_alu 0xfffe
	s_or_b32 exec_lo, exec_lo, s6
	s_and_saveexec_b32 s6, s1
.LBB356_39:                             ;   in Loop: Header=BB356_18 Depth=2
	v_dual_mov_b32 v2, v1 :: v_dual_mov_b32 v3, v1
	v_mov_b32_e32 v4, v1
	ds_store_b128 v50, v[1:4]
.LBB356_40:                             ;   in Loop: Header=BB356_18 Depth=2
	s_wait_alu 0xfffe
	s_or_b32 exec_lo, exec_lo, s6
	ds_bpermute_b32 v2, v54, v17
	ds_bpermute_b32 v3, v54, v18
	;; [unrolled: 1-line block ×4, first 2 shown]
	s_wait_loadcnt_dscnt 0x0
	s_barrier_signal -1
	s_barrier_wait -1
	global_inv scope:SCOPE_SE
	v_add_f64_e32 v[2:3], v[17:18], v[2:3]
	v_add_f64_e32 v[17:18], v[19:20], v[47:48]
	ds_bpermute_b32 v19, v55, v2
	ds_bpermute_b32 v20, v55, v3
	ds_bpermute_b32 v47, v55, v17
	ds_bpermute_b32 v48, v55, v18
	s_wait_dscnt 0x2
	v_add_f64_e32 v[2:3], v[2:3], v[19:20]
	s_wait_dscnt 0x0
	v_add_f64_e32 v[17:18], v[17:18], v[47:48]
	ds_bpermute_b32 v19, v56, v2
	ds_bpermute_b32 v20, v56, v3
	ds_bpermute_b32 v47, v56, v17
	ds_bpermute_b32 v48, v56, v18
	s_wait_dscnt 0x2
	v_add_f64_e32 v[2:3], v[2:3], v[19:20]
	s_wait_dscnt 0x0
	;; [unrolled: 8-line block ×3, first 2 shown]
	v_add_f64_e32 v[19:20], v[17:18], v[47:48]
	ds_bpermute_b32 v17, v58, v2
	ds_bpermute_b32 v18, v58, v3
	;; [unrolled: 1-line block ×4, first 2 shown]
	s_and_saveexec_b32 s6, s3
	s_cbranch_execz .LBB356_42
; %bb.41:                               ;   in Loop: Header=BB356_18 Depth=2
	s_wait_dscnt 0x0
	v_add_f64_e32 v[19:20], v[19:20], v[47:48]
	v_add_f64_e32 v[17:18], v[2:3], v[17:18]
	ds_store_b128 v51, v[17:20]
.LBB356_42:                             ;   in Loop: Header=BB356_18 Depth=2
	s_wait_alu 0xfffe
	s_or_b32 exec_lo, exec_lo, s6
	v_mov_b32_e32 v19, 0
	s_wait_dscnt 0x2
	v_dual_mov_b32 v20, 0 :: v_dual_mov_b32 v17, 0
	v_mov_b32_e32 v18, 0
	s_wait_loadcnt_dscnt 0x0
	s_barrier_signal -1
	s_barrier_wait -1
	global_inv scope:SCOPE_SE
	s_and_saveexec_b32 s6, s2
	s_cbranch_execnz .LBB356_58
; %bb.43:                               ;   in Loop: Header=BB356_18 Depth=2
	s_wait_alu 0xfffe
	s_or_b32 exec_lo, exec_lo, s6
	s_and_saveexec_b32 s6, s1
	s_cbranch_execnz .LBB356_59
.LBB356_44:                             ;   in Loop: Header=BB356_18 Depth=2
	s_wait_alu 0xfffe
	s_or_b32 exec_lo, exec_lo, s6
	s_and_saveexec_b32 s6, s0
	s_cbranch_execz .LBB356_17
	s_branch .LBB356_60
.LBB356_45:                             ;   in Loop: Header=BB356_18 Depth=2
	s_clause 0x2
	flat_load_b128 v[2:5], v[39:40]
	flat_load_b128 v[6:9], v[41:42]
	;; [unrolled: 1-line block ×3, first 2 shown]
	s_mul_u64 s[6:7], s[24:25], s[26:27]
	s_or_b32 s64, s24, 1
	s_mov_b32 s65, s25
	s_or_b32 s66, s24, 2
	s_mov_b32 s67, s25
	s_wait_alu 0xfffe
	s_lshl_b64 s[6:7], s[6:7], 4
	s_mul_u64 s[64:65], s[64:65], s[26:27]
	s_or_b32 s68, s24, 3
	s_mov_b32 s69, s25
	s_mul_u64 s[66:67], s[66:67], s[26:27]
	s_wait_alu 0xfffe
	s_lshl_b64 s[64:65], s[64:65], 4
	s_wait_dscnt 0x3
	v_add_co_u32 v18, vcc_lo, v31, s6
	s_mul_u64 s[68:69], s[68:69], s[26:27]
	s_lshl_b64 s[66:67], s[66:67], 4
	s_wait_alu 0xfffd
	v_add_co_ci_u32_e64 v19, null, s7, v32, vcc_lo
	s_wait_alu 0xfffe
	v_add_co_u32 v47, vcc_lo, v31, s64
	s_lshl_b64 s[68:69], s[68:69], 4
	s_wait_alu 0xfffd
	v_add_co_ci_u32_e64 v48, null, s65, v32, vcc_lo
	v_add_co_u32 v115, vcc_lo, v31, s66
	s_wait_alu 0xfffd
	v_add_co_ci_u32_e64 v116, null, s67, v32, vcc_lo
	s_wait_alu 0xfffe
	v_add_co_u32 v119, vcc_lo, v31, s68
	s_wait_alu 0xfffd
	v_add_co_ci_u32_e64 v120, null, s69, v32, vcc_lo
	flat_load_b128 v[59:62], v[37:38]
	s_clause 0x4
	flat_load_b128 v[14:17], v[18:19]
	flat_load_b128 v[63:66], v[47:48]
	;; [unrolled: 1-line block ×4, first 2 shown]
	flat_load_b128 v[75:78], v[18:19] offset:16
	s_wait_loadcnt_dscnt 0x808
	scratch_store_b128 off, v[2:5], s60
	scratch_load_b128 v[2:5], off, off offset:16
	s_clause 0x3
	flat_load_b128 v[79:82], v[47:48] offset:16
	flat_load_b128 v[83:86], v[115:116] offset:16
	flat_load_b128 v[87:90], v[119:120] offset:16
	flat_load_b128 v[91:94], v[18:19] offset:32
	s_wait_loadcnt_dscnt 0xc0b
	scratch_store_b128 off, v[6:9], s61
	scratch_load_b128 v[6:9], off, off offset:32
	s_clause 0x3
	flat_load_b128 v[95:98], v[47:48] offset:32
	flat_load_b128 v[99:102], v[115:116] offset:32
	flat_load_b128 v[103:106], v[119:120] offset:32
	;; [unrolled: 8-line block ×3, first 2 shown]
	s_wait_loadcnt_dscnt 0x1310
	scratch_store_b128 off, v[59:62], off
	s_wait_loadcnt_dscnt 0x120f
	v_mul_f64_e32 v[18:19], v[61:62], v[16:17]
	v_mul_f64_e32 v[16:17], v[59:60], v[16:17]
	s_wait_loadcnt_dscnt 0x110e
	v_mul_f64_e32 v[47:48], v[61:62], v[65:66]
	v_mul_f64_e32 v[65:66], v[59:60], v[65:66]
	s_wait_loadcnt_dscnt 0x100d
	v_mul_f64_e32 v[123:124], v[61:62], v[69:70]
	v_mul_f64_e32 v[69:70], v[59:60], v[69:70]
	s_wait_loadcnt_dscnt 0xf0c
	v_mul_f64_e32 v[125:126], v[61:62], v[73:74]
	v_mul_f64_e32 v[73:74], v[59:60], v[73:74]
	v_fma_f64 v[18:19], v[59:60], v[14:15], -v[18:19]
	v_fma_f64 v[14:15], v[61:62], v[14:15], v[16:17]
	v_fma_f64 v[16:17], v[59:60], v[63:64], -v[47:48]
	v_fma_f64 v[47:48], v[61:62], v[63:64], v[65:66]
	;; [unrolled: 2-line block ×4, first 2 shown]
	v_add_f64_e32 v[18:19], 0, v[18:19]
	v_add_f64_e32 v[14:15], 0, v[14:15]
	;; [unrolled: 1-line block ×8, first 2 shown]
	s_wait_loadcnt_dscnt 0xd0b
	v_mul_f64_e32 v[71:72], v[4:5], v[77:78]
	v_mul_f64_e32 v[73:74], v[2:3], v[77:78]
	s_wait_loadcnt_dscnt 0xc0a
	v_mul_f64_e32 v[77:78], v[4:5], v[81:82]
	v_mul_f64_e32 v[81:82], v[2:3], v[81:82]
	;; [unrolled: 3-line block ×8, first 2 shown]
	v_fma_f64 v[71:72], v[2:3], v[75:76], -v[71:72]
	v_fma_f64 v[73:74], v[4:5], v[75:76], v[73:74]
	v_fma_f64 v[75:76], v[2:3], v[79:80], -v[77:78]
	v_fma_f64 v[77:78], v[4:5], v[79:80], v[81:82]
	;; [unrolled: 2-line block ×4, first 2 shown]
	s_wait_loadcnt_dscnt 0x303
	v_mul_f64_e32 v[83:84], v[12:13], v[109:110]
	v_mul_f64_e32 v[85:86], v[10:11], v[109:110]
	s_wait_loadcnt_dscnt 0x202
	v_mul_f64_e32 v[87:88], v[12:13], v[113:114]
	v_mul_f64_e32 v[89:90], v[10:11], v[113:114]
	;; [unrolled: 3-line block ×4, first 2 shown]
	v_fma_f64 v[123:124], v[6:7], v[91:92], -v[127:128]
	v_fma_f64 v[91:92], v[8:9], v[91:92], v[93:94]
	v_fma_f64 v[93:94], v[6:7], v[95:96], -v[129:130]
	v_fma_f64 v[95:96], v[8:9], v[95:96], v[97:98]
	;; [unrolled: 2-line block ×4, first 2 shown]
	v_add_f64_e32 v[18:19], v[18:19], v[71:72]
	v_add_f64_e32 v[14:15], v[14:15], v[73:74]
	;; [unrolled: 1-line block ×8, first 2 shown]
	v_fma_f64 v[67:68], v[10:11], v[107:108], -v[83:84]
	v_fma_f64 v[69:70], v[12:13], v[107:108], v[85:86]
	v_fma_f64 v[71:72], v[10:11], v[111:112], -v[87:88]
	v_fma_f64 v[73:74], v[12:13], v[111:112], v[89:90]
	;; [unrolled: 2-line block ×4, first 2 shown]
	v_add_f64_e32 v[10:11], v[18:19], v[123:124]
	v_add_f64_e32 v[12:13], v[14:15], v[91:92]
	;; [unrolled: 1-line block ×16, first 2 shown]
	s_and_not1_saveexec_b32 s6, s8
	s_cbranch_execz .LBB356_20
.LBB356_46:                             ;   in Loop: Header=BB356_18 Depth=2
	s_wait_dscnt 0x0
	v_mov_b32_e32 v17, 0
	v_mov_b32_e32 v13, 0
	;; [unrolled: 1-line block ×3, first 2 shown]
	v_dual_mov_b32 v7, 0 :: v_dual_mov_b32 v18, 0
	v_dual_mov_b32 v19, 0 :: v_dual_mov_b32 v14, 0
	;; [unrolled: 1-line block ×5, first 2 shown]
	v_mov_b32_e32 v16, 0
	v_mov_b32_e32 v12, 0
	;; [unrolled: 1-line block ×3, first 2 shown]
	s_and_saveexec_b32 s7, s5
	s_cbranch_execz .LBB356_62
; %bb.47:                               ;   in Loop: Header=BB356_18 Depth=2
	s_and_not1_b32 vcc_lo, exec_lo, s59
	s_wait_alu 0xfffe
	s_cbranch_vccnz .LBB356_61
; %bb.48:                               ;   in Loop: Header=BB356_18 Depth=2
	v_dual_mov_b32 v2, v37 :: v_dual_mov_b32 v3, v38
	s_mov_b32 s8, 0
	s_mov_b32 s9, s57
.LBB356_49:                             ;   Parent Loop BB356_3 Depth=1
                                        ;     Parent Loop BB356_18 Depth=2
                                        ; =>    This Inner Loop Header: Depth=3
	flat_load_b128 v[4:7], v[2:3]
	v_add_co_u32 v2, vcc_lo, v2, s44
	s_wait_alu 0xfffd
	v_add_co_ci_u32_e64 v3, null, s45, v3, vcc_lo
	s_wait_alu 0xfffe
	s_add_co_i32 s9, s9, -1
	s_wait_loadcnt_dscnt 0x0
	scratch_store_b128 off, v[4:7], s8
	s_add_co_i32 s8, s8, 16
	s_wait_alu 0xfffe
	s_cmp_eq_u32 s9, 0
	s_cbranch_scc0 .LBB356_49
; %bb.50:                               ;   in Loop: Header=BB356_18 Depth=2
	v_mov_b32_e32 v5, 0
	v_mov_b32_e32 v11, 0
	;; [unrolled: 1-line block ×3, first 2 shown]
	v_dual_mov_b32 v19, 0 :: v_dual_mov_b32 v6, 0
	v_dual_mov_b32 v7, 0 :: v_dual_mov_b32 v12, 0
	v_dual_mov_b32 v9, 0 :: v_dual_mov_b32 v16, 0
	v_dual_mov_b32 v13, 0 :: v_dual_mov_b32 v20, 0
	v_dual_mov_b32 v17, 0 :: v_dual_mov_b32 v8, 0
	v_mov_b32_e32 v10, 0
	v_mov_b32_e32 v14, 0
	;; [unrolled: 1-line block ×3, first 2 shown]
	v_dual_mov_b32 v2, v45 :: v_dual_mov_b32 v3, v46
	s_mov_b32 s8, s63
	s_mov_b32 s9, s57
.LBB356_51:                             ;   Parent Loop BB356_3 Depth=1
                                        ;     Parent Loop BB356_18 Depth=2
                                        ; =>    This Inner Loop Header: Depth=3
	s_delay_alu instid0(VALU_DEP_1)
	v_add_co_u32 v47, vcc_lo, v2, s50
	s_wait_alu 0xfffd
	v_add_co_ci_u32_e64 v48, null, s51, v3, vcc_lo
	scratch_load_b128 v[59:62], off, s8 offset:-8
	v_add_co_u32 v71, vcc_lo, v47, s50
	s_wait_alu 0xfffd
	v_add_co_ci_u32_e64 v72, null, s51, v48, vcc_lo
	flat_load_b128 v[63:66], v[2:3]
	v_add_co_u32 v75, vcc_lo, v71, s50
	s_wait_alu 0xfffd
	v_add_co_ci_u32_e64 v76, null, s51, v72, vcc_lo
	v_add_co_u32 v2, vcc_lo, v2, 16
	s_clause 0x2
	flat_load_b128 v[67:70], v[47:48]
	flat_load_b128 v[71:74], v[71:72]
	;; [unrolled: 1-line block ×3, first 2 shown]
	s_wait_alu 0xfffd
	v_add_co_ci_u32_e64 v3, null, 0, v3, vcc_lo
	s_wait_alu 0xfffe
	s_add_co_i32 s9, s9, -1
	s_add_co_i32 s8, s8, 16
	s_wait_alu 0xfffe
	s_cmp_lg_u32 s9, 0
	s_wait_loadcnt_dscnt 0x303
	v_mul_f64_e32 v[47:48], v[61:62], v[65:66]
	v_mul_f64_e32 v[65:66], v[59:60], v[65:66]
	s_wait_loadcnt_dscnt 0x202
	v_mul_f64_e32 v[79:80], v[61:62], v[69:70]
	v_mul_f64_e32 v[69:70], v[59:60], v[69:70]
	;; [unrolled: 3-line block ×4, first 2 shown]
	v_fma_f64 v[47:48], v[59:60], v[63:64], -v[47:48]
	v_fma_f64 v[63:64], v[61:62], v[63:64], v[65:66]
	v_fma_f64 v[65:66], v[59:60], v[67:68], -v[79:80]
	v_fma_f64 v[67:68], v[61:62], v[67:68], v[69:70]
	;; [unrolled: 2-line block ×4, first 2 shown]
	v_add_f64_e32 v[7:8], v[7:8], v[47:48]
	v_add_f64_e32 v[5:6], v[5:6], v[63:64]
	;; [unrolled: 1-line block ×8, first 2 shown]
	s_cbranch_scc1 .LBB356_51
	s_branch .LBB356_62
.LBB356_52:                             ;   in Loop: Header=BB356_18 Depth=2
	ds_load_b128 v[5:8], v50
	s_wait_alu 0xfffe
	s_or_b32 exec_lo, exec_lo, s6
	s_and_saveexec_b32 s6, s1
	s_cbranch_execz .LBB356_26
.LBB356_53:                             ;   in Loop: Header=BB356_18 Depth=2
	s_wait_dscnt 0x0
	ds_bpermute_b32 v2, v56, v5
	ds_bpermute_b32 v3, v56, v6
	ds_bpermute_b32 v47, v56, v7
	ds_bpermute_b32 v48, v56, v8
	s_wait_dscnt 0x2
	v_add_f64_e32 v[2:3], v[5:6], v[2:3]
	s_wait_dscnt 0x0
	v_add_f64_e32 v[4:5], v[7:8], v[47:48]
	ds_bpermute_b32 v6, v57, v2
	ds_bpermute_b32 v7, v57, v3
	ds_bpermute_b32 v47, v57, v4
	ds_bpermute_b32 v48, v57, v5
	s_wait_dscnt 0x2
	v_add_f64_e32 v[2:3], v[2:3], v[6:7]
	s_wait_dscnt 0x0
	v_add_f64_e32 v[7:8], v[4:5], v[47:48]
	ds_bpermute_b32 v4, v58, v2
	ds_bpermute_b32 v5, v58, v3
	ds_bpermute_b32 v47, v58, v7
	ds_bpermute_b32 v48, v58, v8
	s_wait_dscnt 0x2
	v_add_f64_e32 v[5:6], v[2:3], v[4:5]
	s_wait_dscnt 0x0
	v_add_f64_e32 v[7:8], v[7:8], v[47:48]
	s_wait_alu 0xfffe
	s_or_b32 exec_lo, exec_lo, s6
	s_and_saveexec_b32 s6, s1
	s_cbranch_execnz .LBB356_27
	s_branch .LBB356_28
.LBB356_54:                             ;   in Loop: Header=BB356_18 Depth=2
	ds_load_b128 v[9:12], v50
	s_wait_alu 0xfffe
	s_or_b32 exec_lo, exec_lo, s6
	s_and_saveexec_b32 s6, s1
	s_cbranch_execz .LBB356_32
.LBB356_55:                             ;   in Loop: Header=BB356_18 Depth=2
	s_wait_dscnt 0x0
	ds_bpermute_b32 v2, v56, v9
	ds_bpermute_b32 v3, v56, v10
	ds_bpermute_b32 v47, v56, v11
	ds_bpermute_b32 v48, v56, v12
	s_wait_dscnt 0x2
	v_add_f64_e32 v[2:3], v[9:10], v[2:3]
	s_wait_dscnt 0x0
	v_add_f64_e32 v[9:10], v[11:12], v[47:48]
	ds_bpermute_b32 v11, v57, v2
	ds_bpermute_b32 v12, v57, v3
	ds_bpermute_b32 v47, v57, v9
	ds_bpermute_b32 v48, v57, v10
	s_wait_dscnt 0x2
	v_add_f64_e32 v[2:3], v[2:3], v[11:12]
	s_wait_dscnt 0x0
	v_add_f64_e32 v[11:12], v[9:10], v[47:48]
	;; [unrolled: 8-line block ×3, first 2 shown]
	s_wait_alu 0xfffe
	s_or_b32 exec_lo, exec_lo, s6
	s_and_saveexec_b32 s6, s1
	s_cbranch_execnz .LBB356_33
	s_branch .LBB356_34
.LBB356_56:                             ;   in Loop: Header=BB356_18 Depth=2
	ds_load_b128 v[13:16], v50
	s_wait_alu 0xfffe
	s_or_b32 exec_lo, exec_lo, s6
	s_and_saveexec_b32 s6, s1
	s_cbranch_execz .LBB356_38
.LBB356_57:                             ;   in Loop: Header=BB356_18 Depth=2
	s_wait_dscnt 0x0
	ds_bpermute_b32 v2, v56, v13
	ds_bpermute_b32 v3, v56, v14
	ds_bpermute_b32 v47, v56, v15
	ds_bpermute_b32 v48, v56, v16
	s_wait_dscnt 0x2
	v_add_f64_e32 v[2:3], v[13:14], v[2:3]
	s_wait_dscnt 0x0
	v_add_f64_e32 v[13:14], v[15:16], v[47:48]
	ds_bpermute_b32 v15, v57, v2
	ds_bpermute_b32 v16, v57, v3
	ds_bpermute_b32 v47, v57, v13
	ds_bpermute_b32 v48, v57, v14
	s_wait_dscnt 0x2
	v_add_f64_e32 v[2:3], v[2:3], v[15:16]
	s_wait_dscnt 0x0
	v_add_f64_e32 v[15:16], v[13:14], v[47:48]
	;; [unrolled: 8-line block ×3, first 2 shown]
	s_wait_alu 0xfffe
	s_or_b32 exec_lo, exec_lo, s6
	s_and_saveexec_b32 s6, s1
	s_cbranch_execnz .LBB356_39
	s_branch .LBB356_40
.LBB356_58:                             ;   in Loop: Header=BB356_18 Depth=2
	ds_load_b128 v[17:20], v50
	s_wait_alu 0xfffe
	s_or_b32 exec_lo, exec_lo, s6
	s_and_saveexec_b32 s6, s1
	s_cbranch_execz .LBB356_44
.LBB356_59:                             ;   in Loop: Header=BB356_18 Depth=2
	s_wait_dscnt 0x0
	ds_bpermute_b32 v2, v56, v17
	ds_bpermute_b32 v3, v56, v18
	ds_bpermute_b32 v47, v56, v19
	ds_bpermute_b32 v48, v56, v20
	s_wait_dscnt 0x2
	v_add_f64_e32 v[2:3], v[17:18], v[2:3]
	s_wait_dscnt 0x0
	v_add_f64_e32 v[17:18], v[19:20], v[47:48]
	ds_bpermute_b32 v19, v57, v2
	ds_bpermute_b32 v20, v57, v3
	ds_bpermute_b32 v47, v57, v17
	ds_bpermute_b32 v48, v57, v18
	s_wait_dscnt 0x2
	v_add_f64_e32 v[2:3], v[2:3], v[19:20]
	s_wait_dscnt 0x0
	v_add_f64_e32 v[19:20], v[17:18], v[47:48]
	;; [unrolled: 8-line block ×3, first 2 shown]
	s_wait_alu 0xfffe
	s_or_b32 exec_lo, exec_lo, s6
	s_and_saveexec_b32 s6, s0
	s_cbranch_execz .LBB356_17
.LBB356_60:                             ;   in Loop: Header=BB356_18 Depth=2
	v_mul_f64_e32 v[2:3], s[14:15], v[7:8]
	v_mul_f64_e32 v[7:8], s[12:13], v[7:8]
	;; [unrolled: 1-line block ×6, first 2 shown]
	s_wait_dscnt 0x0
	v_mul_f64_e32 v[61:62], s[14:15], v[19:20]
	v_mul_f64_e32 v[19:20], s[12:13], v[19:20]
	s_or_b32 s64, s24, 1
	s_mov_b32 s65, s25
	s_mul_u64 s[8:9], s[24:25], s[30:31]
	s_or_b32 s66, s24, 2
	s_mov_b32 s67, s25
	s_or_b32 s68, s24, 3
	s_mov_b32 s69, s25
	s_wait_alu 0xfffe
	s_mul_u64 s[64:65], s[64:65], s[30:31]
	s_mul_u64 s[66:67], s[66:67], s[30:31]
	;; [unrolled: 1-line block ×3, first 2 shown]
	s_lshl_b64 s[8:9], s[8:9], 4
	s_wait_alu 0xfffe
	s_lshl_b64 s[64:65], s[64:65], 4
	s_add_nc_u64 s[8:9], s[52:53], s[8:9]
	s_lshl_b64 s[66:67], s[66:67], 4
	s_lshl_b64 s[68:69], s[68:69], 4
	s_wait_alu 0xfffe
	s_add_nc_u64 s[64:65], s[52:53], s[64:65]
	s_add_nc_u64 s[66:67], s[52:53], s[66:67]
	;; [unrolled: 1-line block ×3, first 2 shown]
	v_fma_f64 v[2:3], s[12:13], v[5:6], -v[2:3]
	v_fma_f64 v[4:5], s[14:15], v[5:6], v[7:8]
	v_fma_f64 v[6:7], s[12:13], v[9:10], -v[47:48]
	v_fma_f64 v[8:9], s[14:15], v[9:10], v[11:12]
	;; [unrolled: 2-line block ×4, first 2 shown]
	s_clause 0x3
	global_store_b128 v1, v[2:5], s[8:9]
	global_store_b128 v1, v[6:9], s[64:65]
	;; [unrolled: 1-line block ×4, first 2 shown]
	s_branch .LBB356_17
.LBB356_61:                             ;   in Loop: Header=BB356_18 Depth=2
	v_mov_b32_e32 v17, 0
	v_mov_b32_e32 v13, 0
	;; [unrolled: 1-line block ×3, first 2 shown]
	v_dual_mov_b32 v7, 0 :: v_dual_mov_b32 v18, 0
	v_dual_mov_b32 v19, 0 :: v_dual_mov_b32 v14, 0
	v_dual_mov_b32 v15, 0 :: v_dual_mov_b32 v10, 0
	v_dual_mov_b32 v11, 0 :: v_dual_mov_b32 v8, 0
	v_dual_mov_b32 v5, 0 :: v_dual_mov_b32 v20, 0
	v_mov_b32_e32 v16, 0
	v_mov_b32_e32 v12, 0
	;; [unrolled: 1-line block ×3, first 2 shown]
.LBB356_62:                             ;   in Loop: Header=BB356_18 Depth=2
	s_wait_alu 0xfffe
	s_or_b32 exec_lo, exec_lo, s7
	s_delay_alu instid0(SALU_CYCLE_1)
	s_or_b32 exec_lo, exec_lo, s6
	s_and_saveexec_b32 s6, s1
	s_cbranch_execnz .LBB356_21
	s_branch .LBB356_22
.LBB356_63:                             ;   in Loop: Header=BB356_3 Depth=1
	s_mov_b32 s24, 0
.LBB356_64:                             ;   in Loop: Header=BB356_3 Depth=1
	s_wait_alu 0xfffe
	s_cmp_ge_i32 s24, s29
	s_cbranch_scc1 .LBB356_2
; %bb.65:                               ;   in Loop: Header=BB356_3 Depth=1
	v_cmp_gt_u32_e32 vcc_lo, 24, v49
	s_wait_dscnt 0x0
	s_wait_alu 0xfffd
	v_cndmask_b32_e64 v2, 0, 8, vcc_lo
	v_cmp_gt_u32_e32 vcc_lo, 28, v49
	s_wait_dscnt 0x0
	s_delay_alu instid0(VALU_DEP_2)
	v_add_lshl_u32 v20, v2, v49, 2
	s_wait_alu 0xfffd
	v_cndmask_b32_e64 v4, 0, 4, vcc_lo
	v_cmp_gt_u32_e32 vcc_lo, 30, v49
	s_wait_alu 0xfffd
	v_cndmask_b32_e64 v5, 0, 2, vcc_lo
	v_add_co_u32 v2, vcc_lo, v35, v0
	s_wait_alu 0xfffd
	v_add_co_ci_u32_e64 v3, null, v36, v53, vcc_lo
	v_cmp_ne_u32_e32 vcc_lo, 31, v49
	v_add_lshl_u32 v35, v4, v49, 2
	v_add_lshl_u32 v36, v5, v49, 2
	s_delay_alu instid0(VALU_DEP_4) | instskip(SKIP_2) | instid1(VALU_DEP_1)
	v_mad_co_u64_u32 v[6:7], null, s50, s24, v[2:3]
	s_wait_alu 0xfffd
	v_add_co_ci_u32_e64 v8, null, 0, v49, vcc_lo
	v_dual_mov_b32 v2, v7 :: v_dual_lshlrev_b32 v37, 2, v8
	v_add_co_u32 v8, vcc_lo, v33, v23
	s_wait_alu 0xfffd
	v_add_co_ci_u32_e64 v9, null, v34, v24, vcc_lo
	s_delay_alu instid0(VALU_DEP_3)
	v_mad_co_u64_u32 v[2:3], null, s51, s24, v[2:3]
	v_add_co_u32 v10, vcc_lo, v33, v25
	s_wait_alu 0xfffd
	v_add_co_ci_u32_e64 v11, null, v34, v26, vcc_lo
	v_add_co_u32 v12, vcc_lo, v33, v27
	s_wait_alu 0xfffd
	v_add_co_ci_u32_e64 v13, null, v34, v28, vcc_lo
	;; [unrolled: 3-line block ×3, first 2 shown]
	v_mov_b32_e32 v7, v2
	s_branch .LBB356_67
.LBB356_66:                             ;   in Loop: Header=BB356_67 Depth=2
	s_wait_alu 0xfffe
	s_or_b32 exec_lo, exec_lo, s6
	v_add_co_u32 v6, vcc_lo, v6, s50
	s_wait_alu 0xfffd
	v_add_co_ci_u32_e64 v7, null, s51, v7, vcc_lo
	s_add_co_i32 s24, s24, 1
	s_wait_alu 0xfffe
	s_cmp_lt_i32 s24, s29
	s_cbranch_scc0 .LBB356_2
.LBB356_67:                             ;   Parent Loop BB356_3 Depth=1
                                        ; =>  This Loop Header: Depth=2
                                        ;       Child Loop BB356_79 Depth 3
                                        ;       Child Loop BB356_81 Depth 3
                                        ; implicit-def: $vgpr16_vgpr17
                                        ; implicit-def: $vgpr18_vgpr19
	s_and_saveexec_b32 s6, s4
	s_wait_alu 0xfffe
	s_xor_b32 s6, exec_lo, s6
	s_cbranch_execnz .LBB356_76
; %bb.68:                               ;   in Loop: Header=BB356_67 Depth=2
	s_wait_alu 0xfffe
	s_and_not1_saveexec_b32 s6, s6
	s_cbranch_execnz .LBB356_77
.LBB356_69:                             ;   in Loop: Header=BB356_67 Depth=2
	s_wait_alu 0xfffe
	s_or_b32 exec_lo, exec_lo, s6
	s_and_saveexec_b32 s6, s1
	s_cbranch_execz .LBB356_71
.LBB356_70:                             ;   in Loop: Header=BB356_67 Depth=2
	s_wait_dscnt 0x0
	v_dual_mov_b32 v2, v1 :: v_dual_mov_b32 v3, v1
	v_mov_b32_e32 v4, v1
	ds_store_b128 v50, v[1:4]
.LBB356_71:                             ;   in Loop: Header=BB356_67 Depth=2
	s_wait_alu 0xfffe
	s_or_b32 exec_lo, exec_lo, s6
	s_wait_dscnt 0x0
	ds_bpermute_b32 v2, v54, v16
	ds_bpermute_b32 v3, v54, v17
	;; [unrolled: 1-line block ×4, first 2 shown]
	s_wait_storecnt 0x0
	s_wait_loadcnt_dscnt 0x0
	s_barrier_signal -1
	s_barrier_wait -1
	global_inv scope:SCOPE_SE
	v_add_f64_e32 v[2:3], v[16:17], v[2:3]
	v_add_f64_e32 v[4:5], v[18:19], v[4:5]
	ds_bpermute_b32 v16, v20, v2
	ds_bpermute_b32 v17, v20, v3
	ds_bpermute_b32 v18, v20, v4
	ds_bpermute_b32 v19, v20, v5
	s_wait_dscnt 0x2
	v_add_f64_e32 v[2:3], v[2:3], v[16:17]
	s_wait_dscnt 0x0
	v_add_f64_e32 v[4:5], v[4:5], v[18:19]
	ds_bpermute_b32 v16, v35, v2
	ds_bpermute_b32 v17, v35, v3
	ds_bpermute_b32 v18, v35, v4
	ds_bpermute_b32 v19, v35, v5
	s_wait_dscnt 0x2
	v_add_f64_e32 v[2:3], v[2:3], v[16:17]
	s_wait_dscnt 0x0
	;; [unrolled: 8-line block ×3, first 2 shown]
	v_add_f64_e32 v[16:17], v[4:5], v[18:19]
	ds_bpermute_b32 v4, v37, v2
	ds_bpermute_b32 v5, v37, v3
	;; [unrolled: 1-line block ×4, first 2 shown]
	s_and_saveexec_b32 s6, s3
	s_cbranch_execz .LBB356_73
; %bb.72:                               ;   in Loop: Header=BB356_67 Depth=2
	s_wait_dscnt 0x0
	v_add_f64_e32 v[18:19], v[16:17], v[18:19]
	v_add_f64_e32 v[16:17], v[2:3], v[4:5]
	ds_store_b128 v51, v[16:19]
.LBB356_73:                             ;   in Loop: Header=BB356_67 Depth=2
	s_wait_alu 0xfffe
	s_or_b32 exec_lo, exec_lo, s6
	s_wait_dscnt 0x2
	v_mov_b32_e32 v4, 0
	v_dual_mov_b32 v5, 0 :: v_dual_mov_b32 v2, 0
	v_mov_b32_e32 v3, 0
	s_wait_loadcnt_dscnt 0x0
	s_barrier_signal -1
	s_barrier_wait -1
	global_inv scope:SCOPE_SE
	s_and_saveexec_b32 s6, s2
	s_cbranch_execnz .LBB356_83
; %bb.74:                               ;   in Loop: Header=BB356_67 Depth=2
	s_wait_alu 0xfffe
	s_or_b32 exec_lo, exec_lo, s6
	s_and_saveexec_b32 s6, s1
	s_cbranch_execnz .LBB356_84
.LBB356_75:                             ;   in Loop: Header=BB356_67 Depth=2
	s_wait_alu 0xfffe
	s_or_b32 exec_lo, exec_lo, s6
	s_and_saveexec_b32 s6, s0
	s_cbranch_execz .LBB356_66
	s_branch .LBB356_85
.LBB356_76:                             ;   in Loop: Header=BB356_67 Depth=2
	s_wait_dscnt 0x0
	s_clause 0x2
	flat_load_b128 v[2:5], v[10:11]
	flat_load_b128 v[16:19], v[12:13]
	flat_load_b128 v[38:41], v[14:15]
	s_mul_u64 s[8:9], s[24:25], s[26:27]
	s_wait_alu 0xfffe
	s_lshl_b64 s[8:9], s[8:9], 4
	s_wait_alu 0xfffe
	v_add_co_u32 v33, vcc_lo, v31, s8
	s_wait_alu 0xfffd
	v_add_co_ci_u32_e64 v34, null, s9, v32, vcc_lo
	flat_load_b128 v[42:45], v[8:9]
	s_clause 0x1
	flat_load_b128 v[55:58], v[33:34]
	flat_load_b128 v[59:62], v[33:34] offset:16
	s_wait_loadcnt_dscnt 0x505
	scratch_store_b128 off, v[2:5], s60
	s_wait_loadcnt_dscnt 0x404
	scratch_store_b128 off, v[16:19], s61
	s_clause 0x1
	scratch_load_b128 v[2:5], off, off offset:16
	scratch_load_b128 v[16:19], off, off offset:32
	s_clause 0x1
	flat_load_b128 v[63:66], v[33:34] offset:32
	flat_load_b128 v[67:70], v[33:34] offset:48
	s_wait_loadcnt_dscnt 0x705
	scratch_store_b128 off, v[38:41], s62
	scratch_load_b128 v[38:41], off, off offset:48
	s_wait_loadcnt_dscnt 0x704
	scratch_store_b128 off, v[42:45], off
	s_wait_loadcnt_dscnt 0x603
	v_mul_f64_e32 v[33:34], v[57:58], v[44:45]
	v_mul_f64_e32 v[46:47], v[55:56], v[44:45]
	s_delay_alu instid0(VALU_DEP_2) | instskip(NEXT) | instid1(VALU_DEP_2)
	v_fma_f64 v[33:34], v[55:56], v[42:43], -v[33:34]
	v_fma_f64 v[46:47], v[57:58], v[42:43], v[46:47]
	s_delay_alu instid0(VALU_DEP_2) | instskip(NEXT) | instid1(VALU_DEP_2)
	v_add_f64_e32 v[33:34], 0, v[33:34]
	v_add_f64_e32 v[46:47], 0, v[46:47]
	s_wait_loadcnt_dscnt 0x402
	v_mul_f64_e32 v[55:56], v[61:62], v[4:5]
	v_mul_f64_e32 v[4:5], v[59:60], v[4:5]
	s_wait_loadcnt_dscnt 0x201
	v_mul_f64_e32 v[57:58], v[65:66], v[18:19]
	v_mul_f64_e32 v[18:19], v[63:64], v[18:19]
	s_delay_alu instid0(VALU_DEP_4) | instskip(NEXT) | instid1(VALU_DEP_4)
	v_fma_f64 v[55:56], v[59:60], v[2:3], -v[55:56]
	v_fma_f64 v[2:3], v[61:62], v[2:3], v[4:5]
	s_wait_loadcnt_dscnt 0x0
	v_mul_f64_e32 v[4:5], v[69:70], v[40:41]
	v_mul_f64_e32 v[40:41], v[67:68], v[40:41]
	v_fma_f64 v[57:58], v[63:64], v[16:17], -v[57:58]
	v_fma_f64 v[16:17], v[65:66], v[16:17], v[18:19]
	v_add_f64_e32 v[18:19], v[33:34], v[55:56]
	v_add_f64_e32 v[2:3], v[46:47], v[2:3]
	v_fma_f64 v[4:5], v[67:68], v[38:39], -v[4:5]
	v_fma_f64 v[33:34], v[69:70], v[38:39], v[40:41]
	s_delay_alu instid0(VALU_DEP_4) | instskip(NEXT) | instid1(VALU_DEP_4)
	v_add_f64_e32 v[18:19], v[18:19], v[57:58]
	v_add_f64_e32 v[2:3], v[2:3], v[16:17]
	s_delay_alu instid0(VALU_DEP_2) | instskip(NEXT) | instid1(VALU_DEP_2)
	v_add_f64_e32 v[16:17], v[18:19], v[4:5]
	v_add_f64_e32 v[18:19], v[2:3], v[33:34]
	s_and_not1_saveexec_b32 s6, s6
	s_cbranch_execz .LBB356_69
.LBB356_77:                             ;   in Loop: Header=BB356_67 Depth=2
	v_mov_b32_e32 v16, 0
	v_dual_mov_b32 v17, 0 :: v_dual_mov_b32 v18, 0
	v_mov_b32_e32 v19, 0
	s_and_saveexec_b32 s7, s28
	s_cbranch_execz .LBB356_82
; %bb.78:                               ;   in Loop: Header=BB356_67 Depth=2
	s_wait_dscnt 0x0
	v_dual_mov_b32 v2, v8 :: v_dual_mov_b32 v3, v9
	s_mov_b32 s8, 0
	s_mov_b32 s9, s57
.LBB356_79:                             ;   Parent Loop BB356_3 Depth=1
                                        ;     Parent Loop BB356_67 Depth=2
                                        ; =>    This Inner Loop Header: Depth=3
	flat_load_b128 v[16:19], v[2:3]
	v_add_co_u32 v2, vcc_lo, v2, s44
	s_wait_alu 0xfffd
	v_add_co_ci_u32_e64 v3, null, s45, v3, vcc_lo
	s_wait_alu 0xfffe
	s_add_co_i32 s9, s9, -1
	s_wait_loadcnt_dscnt 0x0
	scratch_store_b128 off, v[16:19], s8
	s_add_co_i32 s8, s8, 16
	s_wait_alu 0xfffe
	s_cmp_eq_u32 s9, 0
	s_cbranch_scc0 .LBB356_79
; %bb.80:                               ;   in Loop: Header=BB356_67 Depth=2
	v_mov_b32_e32 v16, 0
	v_dual_mov_b32 v17, 0 :: v_dual_mov_b32 v18, 0
	v_dual_mov_b32 v19, 0 :: v_dual_mov_b32 v2, v6
	v_mov_b32_e32 v3, v7
	s_mov_b32 s8, s63
	s_mov_b32 s9, s57
.LBB356_81:                             ;   Parent Loop BB356_3 Depth=1
                                        ;     Parent Loop BB356_67 Depth=2
                                        ; =>    This Inner Loop Header: Depth=3
	flat_load_b128 v[38:41], v[2:3] offset:-8
	scratch_load_b128 v[42:45], off, s8 offset:-8
	v_add_co_u32 v2, vcc_lo, v2, 16
	s_wait_alu 0xfffd
	v_add_co_ci_u32_e64 v3, null, 0, v3, vcc_lo
	s_wait_alu 0xfffe
	s_add_co_i32 s9, s9, -1
	s_add_co_i32 s8, s8, 16
	s_wait_alu 0xfffe
	s_cmp_lg_u32 s9, 0
	s_wait_loadcnt_dscnt 0x0
	v_mul_f64_e32 v[4:5], v[40:41], v[44:45]
	v_mul_f64_e32 v[33:34], v[38:39], v[44:45]
	s_delay_alu instid0(VALU_DEP_2) | instskip(NEXT) | instid1(VALU_DEP_2)
	v_fma_f64 v[4:5], v[38:39], v[42:43], -v[4:5]
	v_fma_f64 v[33:34], v[40:41], v[42:43], v[33:34]
	s_delay_alu instid0(VALU_DEP_2) | instskip(NEXT) | instid1(VALU_DEP_2)
	v_add_f64_e32 v[16:17], v[16:17], v[4:5]
	v_add_f64_e32 v[18:19], v[18:19], v[33:34]
	s_cbranch_scc1 .LBB356_81
.LBB356_82:                             ;   in Loop: Header=BB356_67 Depth=2
	s_wait_alu 0xfffe
	s_or_b32 exec_lo, exec_lo, s7
	s_delay_alu instid0(SALU_CYCLE_1)
	s_or_b32 exec_lo, exec_lo, s6
	s_and_saveexec_b32 s6, s1
	s_cbranch_execnz .LBB356_70
	s_branch .LBB356_71
.LBB356_83:                             ;   in Loop: Header=BB356_67 Depth=2
	ds_load_b128 v[2:5], v50
	s_wait_alu 0xfffe
	s_or_b32 exec_lo, exec_lo, s6
	s_and_saveexec_b32 s6, s1
	s_cbranch_execz .LBB356_75
.LBB356_84:                             ;   in Loop: Header=BB356_67 Depth=2
	s_wait_dscnt 0x0
	ds_bpermute_b32 v16, v35, v2
	ds_bpermute_b32 v17, v35, v3
	ds_bpermute_b32 v18, v35, v4
	ds_bpermute_b32 v19, v35, v5
	s_wait_dscnt 0x2
	v_add_f64_e32 v[2:3], v[2:3], v[16:17]
	s_wait_dscnt 0x0
	v_add_f64_e32 v[4:5], v[4:5], v[18:19]
	ds_bpermute_b32 v16, v36, v2
	ds_bpermute_b32 v17, v36, v3
	ds_bpermute_b32 v18, v36, v4
	ds_bpermute_b32 v19, v36, v5
	s_wait_dscnt 0x2
	v_add_f64_e32 v[2:3], v[2:3], v[16:17]
	s_wait_dscnt 0x0
	v_add_f64_e32 v[4:5], v[4:5], v[18:19]
	;; [unrolled: 8-line block ×3, first 2 shown]
	s_wait_alu 0xfffe
	s_or_b32 exec_lo, exec_lo, s6
	s_and_saveexec_b32 s6, s0
	s_cbranch_execz .LBB356_66
.LBB356_85:                             ;   in Loop: Header=BB356_67 Depth=2
	s_wait_dscnt 0x0
	s_delay_alu instid0(VALU_DEP_1)
	v_mul_f64_e32 v[16:17], s[14:15], v[4:5]
	v_mul_f64_e32 v[4:5], s[12:13], v[4:5]
	s_mul_u64 s[8:9], s[24:25], s[30:31]
	s_wait_alu 0xfffe
	s_lshl_b64 s[8:9], s[8:9], 4
	s_wait_alu 0xfffe
	s_add_nc_u64 s[8:9], s[52:53], s[8:9]
	s_delay_alu instid0(VALU_DEP_2) | instskip(NEXT) | instid1(VALU_DEP_2)
	v_fma_f64 v[16:17], s[12:13], v[2:3], -v[16:17]
	v_fma_f64 v[18:19], s[14:15], v[2:3], v[4:5]
	global_store_b128 v1, v[16:19], s[8:9]
	s_branch .LBB356_66
.LBB356_86:
	s_nop 0
	s_sendmsg sendmsg(MSG_DEALLOC_VGPRS)
	s_endpgm
	.section	.rodata,"a",@progbits
	.p2align	6, 0x0
	.amdhsa_kernel _ZL23rocblas_gemvt_sn_kernelILb0ELi256ELi4ElPK19rocblas_complex_numIdES1_S1_EviiT4_lPKT3_lilS7_lilPT5_i
		.amdhsa_group_segment_fixed_size 512
		.amdhsa_private_segment_fixed_size 80
		.amdhsa_kernarg_size 368
		.amdhsa_user_sgpr_count 2
		.amdhsa_user_sgpr_dispatch_ptr 0
		.amdhsa_user_sgpr_queue_ptr 0
		.amdhsa_user_sgpr_kernarg_segment_ptr 1
		.amdhsa_user_sgpr_dispatch_id 0
		.amdhsa_user_sgpr_private_segment_size 0
		.amdhsa_wavefront_size32 1
		.amdhsa_uses_dynamic_stack 0
		.amdhsa_enable_private_segment 1
		.amdhsa_system_sgpr_workgroup_id_x 1
		.amdhsa_system_sgpr_workgroup_id_y 0
		.amdhsa_system_sgpr_workgroup_id_z 1
		.amdhsa_system_sgpr_workgroup_info 0
		.amdhsa_system_vgpr_workitem_id 0
		.amdhsa_next_free_vgpr 135
		.amdhsa_next_free_sgpr 70
		.amdhsa_reserve_vcc 1
		.amdhsa_float_round_mode_32 0
		.amdhsa_float_round_mode_16_64 0
		.amdhsa_float_denorm_mode_32 3
		.amdhsa_float_denorm_mode_16_64 3
		.amdhsa_fp16_overflow 0
		.amdhsa_workgroup_processor_mode 1
		.amdhsa_memory_ordered 1
		.amdhsa_forward_progress 1
		.amdhsa_inst_pref_size 57
		.amdhsa_round_robin_scheduling 0
		.amdhsa_exception_fp_ieee_invalid_op 0
		.amdhsa_exception_fp_denorm_src 0
		.amdhsa_exception_fp_ieee_div_zero 0
		.amdhsa_exception_fp_ieee_overflow 0
		.amdhsa_exception_fp_ieee_underflow 0
		.amdhsa_exception_fp_ieee_inexact 0
		.amdhsa_exception_int_div_zero 0
	.end_amdhsa_kernel
	.section	.text._ZL23rocblas_gemvt_sn_kernelILb0ELi256ELi4ElPK19rocblas_complex_numIdES1_S1_EviiT4_lPKT3_lilS7_lilPT5_i,"axG",@progbits,_ZL23rocblas_gemvt_sn_kernelILb0ELi256ELi4ElPK19rocblas_complex_numIdES1_S1_EviiT4_lPKT3_lilS7_lilPT5_i,comdat
.Lfunc_end356:
	.size	_ZL23rocblas_gemvt_sn_kernelILb0ELi256ELi4ElPK19rocblas_complex_numIdES1_S1_EviiT4_lPKT3_lilS7_lilPT5_i, .Lfunc_end356-_ZL23rocblas_gemvt_sn_kernelILb0ELi256ELi4ElPK19rocblas_complex_numIdES1_S1_EviiT4_lPKT3_lilS7_lilPT5_i
                                        ; -- End function
	.set _ZL23rocblas_gemvt_sn_kernelILb0ELi256ELi4ElPK19rocblas_complex_numIdES1_S1_EviiT4_lPKT3_lilS7_lilPT5_i.num_vgpr, 135
	.set _ZL23rocblas_gemvt_sn_kernelILb0ELi256ELi4ElPK19rocblas_complex_numIdES1_S1_EviiT4_lPKT3_lilS7_lilPT5_i.num_agpr, 0
	.set _ZL23rocblas_gemvt_sn_kernelILb0ELi256ELi4ElPK19rocblas_complex_numIdES1_S1_EviiT4_lPKT3_lilS7_lilPT5_i.numbered_sgpr, 70
	.set _ZL23rocblas_gemvt_sn_kernelILb0ELi256ELi4ElPK19rocblas_complex_numIdES1_S1_EviiT4_lPKT3_lilS7_lilPT5_i.num_named_barrier, 0
	.set _ZL23rocblas_gemvt_sn_kernelILb0ELi256ELi4ElPK19rocblas_complex_numIdES1_S1_EviiT4_lPKT3_lilS7_lilPT5_i.private_seg_size, 80
	.set _ZL23rocblas_gemvt_sn_kernelILb0ELi256ELi4ElPK19rocblas_complex_numIdES1_S1_EviiT4_lPKT3_lilS7_lilPT5_i.uses_vcc, 1
	.set _ZL23rocblas_gemvt_sn_kernelILb0ELi256ELi4ElPK19rocblas_complex_numIdES1_S1_EviiT4_lPKT3_lilS7_lilPT5_i.uses_flat_scratch, 1
	.set _ZL23rocblas_gemvt_sn_kernelILb0ELi256ELi4ElPK19rocblas_complex_numIdES1_S1_EviiT4_lPKT3_lilS7_lilPT5_i.has_dyn_sized_stack, 0
	.set _ZL23rocblas_gemvt_sn_kernelILb0ELi256ELi4ElPK19rocblas_complex_numIdES1_S1_EviiT4_lPKT3_lilS7_lilPT5_i.has_recursion, 0
	.set _ZL23rocblas_gemvt_sn_kernelILb0ELi256ELi4ElPK19rocblas_complex_numIdES1_S1_EviiT4_lPKT3_lilS7_lilPT5_i.has_indirect_call, 0
	.section	.AMDGPU.csdata,"",@progbits
; Kernel info:
; codeLenInByte = 7208
; TotalNumSgprs: 72
; NumVgprs: 135
; ScratchSize: 80
; MemoryBound: 0
; FloatMode: 240
; IeeeMode: 1
; LDSByteSize: 512 bytes/workgroup (compile time only)
; SGPRBlocks: 0
; VGPRBlocks: 16
; NumSGPRsForWavesPerEU: 72
; NumVGPRsForWavesPerEU: 135
; Occupancy: 10
; WaveLimiterHint : 1
; COMPUTE_PGM_RSRC2:SCRATCH_EN: 1
; COMPUTE_PGM_RSRC2:USER_SGPR: 2
; COMPUTE_PGM_RSRC2:TRAP_HANDLER: 0
; COMPUTE_PGM_RSRC2:TGID_X_EN: 1
; COMPUTE_PGM_RSRC2:TGID_Y_EN: 0
; COMPUTE_PGM_RSRC2:TGID_Z_EN: 1
; COMPUTE_PGM_RSRC2:TIDIG_COMP_CNT: 0
	.section	.text._ZL23rocblas_gemvt_sn_reduceILi256ELi8E19rocblas_complex_numIdES1_KPS1_EviT2_lPT3_lilPT1_i,"axG",@progbits,_ZL23rocblas_gemvt_sn_reduceILi256ELi8E19rocblas_complex_numIdES1_KPS1_EviT2_lPT3_lilPT1_i,comdat
	.globl	_ZL23rocblas_gemvt_sn_reduceILi256ELi8E19rocblas_complex_numIdES1_KPS1_EviT2_lPT3_lilPT1_i ; -- Begin function _ZL23rocblas_gemvt_sn_reduceILi256ELi8E19rocblas_complex_numIdES1_KPS1_EviT2_lPT3_lilPT1_i
	.p2align	8
	.type	_ZL23rocblas_gemvt_sn_reduceILi256ELi8E19rocblas_complex_numIdES1_KPS1_EviT2_lPT3_lilPT1_i,@function
_ZL23rocblas_gemvt_sn_reduceILi256ELi8E19rocblas_complex_numIdES1_KPS1_EviT2_lPT3_lilPT1_i: ; @_ZL23rocblas_gemvt_sn_reduceILi256ELi8E19rocblas_complex_numIdES1_KPS1_EviT2_lPT3_lilPT1_i
; %bb.0:
	s_load_b32 s7, s[0:1], 0x48
	s_lshr_b32 s16, ttmp7, 16
	s_wait_kmcnt 0x0
	s_cmp_ge_u32 s16, s7
	s_cbranch_scc1 .LBB357_21
; %bb.1:
	s_clause 0x6
	s_load_b128 s[8:11], s[0:1], 0x8
	s_load_b32 s18, s[0:1], 0x0
	s_load_b128 s[12:15], s[0:1], 0x20
	s_load_b32 s4, s[0:1], 0x30
	s_load_b64 s[20:21], s[0:1], 0x40
	s_load_b32 s28, s[0:1], 0x54
	s_load_b32 s6, s[0:1], 0x5c
	v_mbcnt_lo_u32_b32 v4, -1, 0
	v_lshlrev_b32_e32 v6, 7, v0
	v_dual_mov_b32 v1, 0 :: v_dual_lshlrev_b32 v16, 3, v0
	v_and_b32_e32 v2, 31, v0
	s_delay_alu instid0(VALU_DEP_4)
	v_cmp_gt_u32_e32 vcc_lo, 24, v4
	v_lshrrev_b32_e32 v5, 1, v0
	v_lshl_or_b32 v18, v4, 2, 64
	s_mov_b32 s17, 0
	v_mov_b32_e32 v3, v1
	v_cndmask_b32_e64 v7, 0, 8, vcc_lo
	v_cmp_gt_u32_e32 vcc_lo, 28, v4
	v_lshlrev_b32_e32 v17, 4, v2
	s_wait_kmcnt 0x0
	v_cmp_neq_f64_e64 s24, s[8:9], 0
	v_cmp_neq_f64_e64 s25, s[10:11], 0
	s_ashr_i32 s19, s18, 31
	s_wait_alu 0xfffd
	v_cndmask_b32_e64 v8, 0, 4, vcc_lo
	v_cmp_gt_u32_e32 vcc_lo, 30, v4
	s_lshr_b32 s26, s19, 29
	v_add_lshl_u32 v20, v7, v4, 2
	v_cmp_eq_u32_e64 s3, 0, v2
	v_add_lshl_u32 v21, v8, v4, 2
	s_wait_alu 0xfffd
	v_cndmask_b32_e64 v9, 0, 2, vcc_lo
	v_cmp_ne_u32_e32 vcc_lo, 31, v4
	v_xad_u32 v2, v0, -1, s18
	s_add_co_i32 s26, s18, s26
	v_and_b32_e32 v19, 0x70, v5
	v_add_lshl_u32 v22, v9, v4, 2
	s_wait_alu 0xfffd
	v_add_co_ci_u32_e64 v10, null, 0, v4, vcc_lo
	v_add_co_u32 v4, s27, s20, v6
	s_delay_alu instid0(VALU_DEP_1)
	v_add_co_ci_u32_e64 v5, null, s21, 0, s27
	s_and_b32 s22, ttmp7, 0xffff
	s_mov_b32 s23, s17
	s_ashr_i32 s5, s4, 31
	s_and_b32 s30, s26, -8
	s_mul_u64 s[26:27], s[4:5], s[22:23]
	s_sub_co_i32 s5, s18, s30
	v_add_co_u32 v6, vcc_lo, 0x78, v4
	v_lshlrev_b64_e32 v[8:9], 4, v[2:3]
	v_cmp_gt_u32_e64 s0, 32, v0
	v_cmp_gt_u32_e64 s1, 8, v0
	v_cmp_eq_u32_e64 s2, 0, v0
	v_lshlrev_b32_e32 v23, 2, v10
	v_cmp_gt_i32_e64 s4, s30, v16
	v_cmp_gt_u32_e64 s5, s5, v0
	s_wait_alu 0xfffd
	v_add_co_ci_u32_e64 v7, null, 0, v5, vcc_lo
	s_and_b32 s6, s6, 0xffff
	s_mul_i32 s31, s16, s28
	s_lshl_b32 s29, s6, 3
	s_or_b32 s23, s24, s25
	s_lshl_b64 s[24:25], s[18:19], 4
	s_wait_alu 0xfffe
	s_add_co_i32 s31, s22, s31
	s_lshl_b32 s33, s28, 16
	s_lshl_b32 s34, s6, 7
	s_lshl_b64 s[14:15], s[14:15], 4
	s_lshl_b64 s[26:27], s[26:27], 4
	s_branch .LBB357_4
.LBB357_2:                              ;   in Loop: Header=BB357_4 Depth=1
	v_add_co_u32 v11, vcc_lo, v0, s26
	s_wait_alu 0xfffd
	v_add_co_ci_u32_e64 v12, null, s27, v10, vcc_lo
	s_wait_dscnt 0x0
	flat_store_b128 v[11:12], v[2:5]
.LBB357_3:                              ;   in Loop: Header=BB357_4 Depth=1
	s_wait_alu 0xfffe
	s_or_b32 exec_lo, exec_lo, s6
	s_add_co_i32 s16, s16, 0x10000
	s_add_co_i32 s31, s31, s33
	s_cmp_lt_u32 s16, s7
	s_cbranch_scc0 .LBB357_21
.LBB357_4:                              ; =>This Loop Header: Depth=1
                                        ;     Child Loop BB357_14 Depth 2
	s_lshl_b64 s[36:37], s[16:17], 3
	v_mov_b32_e32 v12, 0
	s_wait_alu 0xfffe
	s_add_nc_u64 s[36:37], s[12:13], s[36:37]
	v_dual_mov_b32 v13, 0 :: v_dual_mov_b32 v14, 0
	global_load_b64 v[10:11], v1, s[36:37]
	v_mov_b32_e32 v15, 0
	s_and_saveexec_b32 s35, s4
	s_cbranch_execnz .LBB357_13
; %bb.5:                                ;   in Loop: Header=BB357_4 Depth=1
	s_wait_alu 0xfffe
	s_or_b32 exec_lo, exec_lo, s35
	s_and_saveexec_b32 s6, s5
	s_cbranch_execnz .LBB357_16
.LBB357_6:                              ;   in Loop: Header=BB357_4 Depth=1
	s_wait_alu 0xfffe
	s_or_b32 exec_lo, exec_lo, s6
	s_and_saveexec_b32 s6, s0
	s_cbranch_execz .LBB357_8
.LBB357_7:                              ;   in Loop: Header=BB357_4 Depth=1
	s_wait_dscnt 0x0
	v_dual_mov_b32 v2, v1 :: v_dual_mov_b32 v3, v1
	v_mov_b32_e32 v4, v1
	ds_store_b128 v17, v[1:4]
.LBB357_8:                              ;   in Loop: Header=BB357_4 Depth=1
	s_wait_alu 0xfffe
	s_or_b32 exec_lo, exec_lo, s6
	s_wait_dscnt 0x0
	ds_bpermute_b32 v2, v18, v14
	ds_bpermute_b32 v3, v18, v15
	;; [unrolled: 1-line block ×4, first 2 shown]
	s_wait_loadcnt_dscnt 0x0
	s_barrier_signal -1
	s_barrier_wait -1
	global_inv scope:SCOPE_SE
	v_add_f64_e32 v[2:3], v[14:15], v[2:3]
	v_add_f64_e32 v[4:5], v[12:13], v[4:5]
	ds_bpermute_b32 v12, v20, v2
	ds_bpermute_b32 v13, v20, v3
	ds_bpermute_b32 v14, v20, v4
	ds_bpermute_b32 v15, v20, v5
	s_wait_dscnt 0x2
	v_add_f64_e32 v[2:3], v[2:3], v[12:13]
	s_wait_dscnt 0x0
	v_add_f64_e32 v[4:5], v[4:5], v[14:15]
	ds_bpermute_b32 v12, v21, v2
	ds_bpermute_b32 v13, v21, v3
	ds_bpermute_b32 v14, v21, v4
	ds_bpermute_b32 v15, v21, v5
	s_wait_dscnt 0x2
	v_add_f64_e32 v[2:3], v[2:3], v[12:13]
	s_wait_dscnt 0x0
	;; [unrolled: 8-line block ×3, first 2 shown]
	v_add_f64_e32 v[12:13], v[4:5], v[14:15]
	ds_bpermute_b32 v4, v23, v2
	ds_bpermute_b32 v5, v23, v3
	;; [unrolled: 1-line block ×4, first 2 shown]
	s_and_saveexec_b32 s6, s3
	s_cbranch_execz .LBB357_10
; %bb.9:                                ;   in Loop: Header=BB357_4 Depth=1
	s_wait_dscnt 0x0
	v_add_f64_e32 v[14:15], v[12:13], v[14:15]
	v_add_f64_e32 v[12:13], v[2:3], v[4:5]
	ds_store_b128 v19, v[12:15]
.LBB357_10:                             ;   in Loop: Header=BB357_4 Depth=1
	s_wait_alu 0xfffe
	s_or_b32 exec_lo, exec_lo, s6
	s_wait_dscnt 0x2
	v_mov_b32_e32 v4, 0
	v_dual_mov_b32 v5, 0 :: v_dual_mov_b32 v2, 0
	v_mov_b32_e32 v3, 0
	s_wait_loadcnt_dscnt 0x0
	s_barrier_signal -1
	s_barrier_wait -1
	global_inv scope:SCOPE_SE
	s_and_saveexec_b32 s6, s1
	s_cbranch_execnz .LBB357_17
; %bb.11:                               ;   in Loop: Header=BB357_4 Depth=1
	s_wait_alu 0xfffe
	s_or_b32 exec_lo, exec_lo, s6
	s_and_saveexec_b32 s6, s0
	s_cbranch_execnz .LBB357_18
.LBB357_12:                             ;   in Loop: Header=BB357_4 Depth=1
	s_wait_alu 0xfffe
	s_or_b32 exec_lo, exec_lo, s6
	s_and_saveexec_b32 s6, s2
	s_cbranch_execz .LBB357_3
	s_branch .LBB357_19
.LBB357_13:                             ;   in Loop: Header=BB357_4 Depth=1
	s_wait_dscnt 0x0
	v_mad_co_u64_u32 v[2:3], null, s24, s31, v[6:7]
	v_mov_b32_e32 v12, 0
	v_mov_b32_e32 v14, 0
	;; [unrolled: 1-line block ×3, first 2 shown]
	s_mov_b32 s36, 0
	s_delay_alu instid0(VALU_DEP_4) | instskip(NEXT) | instid1(VALU_DEP_1)
	v_dual_mov_b32 v13, 0 :: v_dual_mov_b32 v0, v3
	v_mad_co_u64_u32 v[3:4], null, s25, s31, v[0:1]
	v_mov_b32_e32 v0, v16
.LBB357_14:                             ;   Parent Loop BB357_4 Depth=1
                                        ; =>  This Inner Loop Header: Depth=2
	s_clause 0x7
	global_load_b128 v[24:27], v[2:3], off offset:-120
	global_load_b128 v[28:31], v[2:3], off offset:-104
	;; [unrolled: 1-line block ×8, first 2 shown]
	v_add_nc_u32_e32 v0, s29, v0
	v_add_co_u32 v2, s6, v2, s34
	s_wait_alu 0xf1ff
	v_add_co_ci_u32_e64 v3, null, 0, v3, s6
	s_delay_alu instid0(VALU_DEP_3)
	v_cmp_le_i32_e32 vcc_lo, s30, v0
	s_wait_alu 0xfffe
	s_or_b32 s36, vcc_lo, s36
	s_wait_loadcnt 0x7
	v_add_f64_e32 v[4:5], v[14:15], v[24:25]
	v_add_f64_e32 v[12:13], v[12:13], v[26:27]
	s_wait_loadcnt 0x6
	s_delay_alu instid0(VALU_DEP_2) | instskip(NEXT) | instid1(VALU_DEP_2)
	v_add_f64_e32 v[4:5], v[4:5], v[28:29]
	v_add_f64_e32 v[12:13], v[12:13], v[30:31]
	s_wait_loadcnt 0x5
	s_delay_alu instid0(VALU_DEP_2) | instskip(NEXT) | instid1(VALU_DEP_2)
	;; [unrolled: 4-line block ×7, first 2 shown]
	v_add_f64_e32 v[14:15], v[4:5], v[52:53]
	v_add_f64_e32 v[12:13], v[12:13], v[54:55]
	s_wait_alu 0xfffe
	s_and_not1_b32 exec_lo, exec_lo, s36
	s_cbranch_execnz .LBB357_14
; %bb.15:                               ;   in Loop: Header=BB357_4 Depth=1
	s_or_b32 exec_lo, exec_lo, s36
	s_delay_alu instid0(SALU_CYCLE_1)
	s_or_b32 exec_lo, exec_lo, s35
	s_and_saveexec_b32 s6, s5
	s_cbranch_execz .LBB357_6
.LBB357_16:                             ;   in Loop: Header=BB357_4 Depth=1
	s_mul_i32 s35, s28, s16
	s_mov_b32 s37, s17
	s_wait_alu 0xfffe
	s_add_co_i32 s36, s35, s22
	s_wait_alu 0xfffe
	s_mul_u64 s[36:37], s[36:37], s[18:19]
	s_wait_alu 0xfffe
	s_lshl_b64 s[36:37], s[36:37], 4
	s_wait_alu 0xfffe
	s_add_nc_u64 s[36:37], s[20:21], s[36:37]
	s_wait_dscnt 0x0
	s_wait_alu 0xfffe
	v_add_co_u32 v2, vcc_lo, s36, v8
	s_wait_alu 0xfffd
	v_add_co_ci_u32_e64 v3, null, s37, v9, vcc_lo
	global_load_b128 v[2:5], v[2:3], off
	s_wait_loadcnt 0x0
	v_add_f64_e32 v[14:15], v[14:15], v[2:3]
	v_add_f64_e32 v[12:13], v[12:13], v[4:5]
	s_or_b32 exec_lo, exec_lo, s6
	s_and_saveexec_b32 s6, s0
	s_cbranch_execnz .LBB357_7
	s_branch .LBB357_8
.LBB357_17:                             ;   in Loop: Header=BB357_4 Depth=1
	ds_load_b128 v[2:5], v17
	s_wait_alu 0xfffe
	s_or_b32 exec_lo, exec_lo, s6
	s_and_saveexec_b32 s6, s0
	s_cbranch_execz .LBB357_12
.LBB357_18:                             ;   in Loop: Header=BB357_4 Depth=1
	s_wait_dscnt 0x0
	ds_bpermute_b32 v12, v21, v2
	ds_bpermute_b32 v13, v21, v3
	ds_bpermute_b32 v14, v21, v4
	ds_bpermute_b32 v15, v21, v5
	s_wait_dscnt 0x2
	v_add_f64_e32 v[2:3], v[2:3], v[12:13]
	s_wait_dscnt 0x0
	v_add_f64_e32 v[4:5], v[4:5], v[14:15]
	ds_bpermute_b32 v12, v22, v2
	ds_bpermute_b32 v13, v22, v3
	ds_bpermute_b32 v14, v22, v4
	ds_bpermute_b32 v15, v22, v5
	s_wait_dscnt 0x2
	v_add_f64_e32 v[2:3], v[2:3], v[12:13]
	s_wait_dscnt 0x0
	v_add_f64_e32 v[4:5], v[4:5], v[14:15]
	;; [unrolled: 8-line block ×3, first 2 shown]
	s_wait_alu 0xfffe
	s_or_b32 exec_lo, exec_lo, s6
	s_and_saveexec_b32 s6, s2
	s_cbranch_execz .LBB357_3
.LBB357_19:                             ;   in Loop: Header=BB357_4 Depth=1
	v_add_co_u32 v0, vcc_lo, v10, s14
	s_wait_alu 0xfffd
	v_add_co_ci_u32_e64 v10, null, s15, v11, vcc_lo
	s_and_not1_b32 vcc_lo, exec_lo, s23
	s_wait_alu 0xfffe
	s_cbranch_vccnz .LBB357_2
; %bb.20:                               ;   in Loop: Header=BB357_4 Depth=1
	v_add_co_u32 v11, vcc_lo, v0, s26
	s_wait_alu 0xfffd
	v_add_co_ci_u32_e64 v12, null, s27, v10, vcc_lo
	flat_load_b128 v[11:14], v[11:12]
	s_wait_loadcnt_dscnt 0x0
	v_mul_f64_e32 v[24:25], s[10:11], v[13:14]
	v_mul_f64_e32 v[13:14], s[8:9], v[13:14]
	s_delay_alu instid0(VALU_DEP_2) | instskip(NEXT) | instid1(VALU_DEP_2)
	v_fma_f64 v[24:25], s[8:9], v[11:12], -v[24:25]
	v_fma_f64 v[11:12], s[10:11], v[11:12], v[13:14]
	s_delay_alu instid0(VALU_DEP_2) | instskip(NEXT) | instid1(VALU_DEP_2)
	v_add_f64_e32 v[2:3], v[2:3], v[24:25]
	v_add_f64_e32 v[4:5], v[4:5], v[11:12]
	s_branch .LBB357_2
.LBB357_21:
	s_endpgm
	.section	.rodata,"a",@progbits
	.p2align	6, 0x0
	.amdhsa_kernel _ZL23rocblas_gemvt_sn_reduceILi256ELi8E19rocblas_complex_numIdES1_KPS1_EviT2_lPT3_lilPT1_i
		.amdhsa_group_segment_fixed_size 512
		.amdhsa_private_segment_fixed_size 0
		.amdhsa_kernarg_size 336
		.amdhsa_user_sgpr_count 2
		.amdhsa_user_sgpr_dispatch_ptr 0
		.amdhsa_user_sgpr_queue_ptr 0
		.amdhsa_user_sgpr_kernarg_segment_ptr 1
		.amdhsa_user_sgpr_dispatch_id 0
		.amdhsa_user_sgpr_private_segment_size 0
		.amdhsa_wavefront_size32 1
		.amdhsa_uses_dynamic_stack 0
		.amdhsa_enable_private_segment 0
		.amdhsa_system_sgpr_workgroup_id_x 1
		.amdhsa_system_sgpr_workgroup_id_y 1
		.amdhsa_system_sgpr_workgroup_id_z 1
		.amdhsa_system_sgpr_workgroup_info 0
		.amdhsa_system_vgpr_workitem_id 0
		.amdhsa_next_free_vgpr 56
		.amdhsa_next_free_sgpr 38
		.amdhsa_reserve_vcc 1
		.amdhsa_float_round_mode_32 0
		.amdhsa_float_round_mode_16_64 0
		.amdhsa_float_denorm_mode_32 3
		.amdhsa_float_denorm_mode_16_64 3
		.amdhsa_fp16_overflow 0
		.amdhsa_workgroup_processor_mode 1
		.amdhsa_memory_ordered 1
		.amdhsa_forward_progress 1
		.amdhsa_inst_pref_size 14
		.amdhsa_round_robin_scheduling 0
		.amdhsa_exception_fp_ieee_invalid_op 0
		.amdhsa_exception_fp_denorm_src 0
		.amdhsa_exception_fp_ieee_div_zero 0
		.amdhsa_exception_fp_ieee_overflow 0
		.amdhsa_exception_fp_ieee_underflow 0
		.amdhsa_exception_fp_ieee_inexact 0
		.amdhsa_exception_int_div_zero 0
	.end_amdhsa_kernel
	.section	.text._ZL23rocblas_gemvt_sn_reduceILi256ELi8E19rocblas_complex_numIdES1_KPS1_EviT2_lPT3_lilPT1_i,"axG",@progbits,_ZL23rocblas_gemvt_sn_reduceILi256ELi8E19rocblas_complex_numIdES1_KPS1_EviT2_lPT3_lilPT1_i,comdat
.Lfunc_end357:
	.size	_ZL23rocblas_gemvt_sn_reduceILi256ELi8E19rocblas_complex_numIdES1_KPS1_EviT2_lPT3_lilPT1_i, .Lfunc_end357-_ZL23rocblas_gemvt_sn_reduceILi256ELi8E19rocblas_complex_numIdES1_KPS1_EviT2_lPT3_lilPT1_i
                                        ; -- End function
	.set _ZL23rocblas_gemvt_sn_reduceILi256ELi8E19rocblas_complex_numIdES1_KPS1_EviT2_lPT3_lilPT1_i.num_vgpr, 56
	.set _ZL23rocblas_gemvt_sn_reduceILi256ELi8E19rocblas_complex_numIdES1_KPS1_EviT2_lPT3_lilPT1_i.num_agpr, 0
	.set _ZL23rocblas_gemvt_sn_reduceILi256ELi8E19rocblas_complex_numIdES1_KPS1_EviT2_lPT3_lilPT1_i.numbered_sgpr, 38
	.set _ZL23rocblas_gemvt_sn_reduceILi256ELi8E19rocblas_complex_numIdES1_KPS1_EviT2_lPT3_lilPT1_i.num_named_barrier, 0
	.set _ZL23rocblas_gemvt_sn_reduceILi256ELi8E19rocblas_complex_numIdES1_KPS1_EviT2_lPT3_lilPT1_i.private_seg_size, 0
	.set _ZL23rocblas_gemvt_sn_reduceILi256ELi8E19rocblas_complex_numIdES1_KPS1_EviT2_lPT3_lilPT1_i.uses_vcc, 1
	.set _ZL23rocblas_gemvt_sn_reduceILi256ELi8E19rocblas_complex_numIdES1_KPS1_EviT2_lPT3_lilPT1_i.uses_flat_scratch, 0
	.set _ZL23rocblas_gemvt_sn_reduceILi256ELi8E19rocblas_complex_numIdES1_KPS1_EviT2_lPT3_lilPT1_i.has_dyn_sized_stack, 0
	.set _ZL23rocblas_gemvt_sn_reduceILi256ELi8E19rocblas_complex_numIdES1_KPS1_EviT2_lPT3_lilPT1_i.has_recursion, 0
	.set _ZL23rocblas_gemvt_sn_reduceILi256ELi8E19rocblas_complex_numIdES1_KPS1_EviT2_lPT3_lilPT1_i.has_indirect_call, 0
	.section	.AMDGPU.csdata,"",@progbits
; Kernel info:
; codeLenInByte = 1752
; TotalNumSgprs: 40
; NumVgprs: 56
; ScratchSize: 0
; MemoryBound: 1
; FloatMode: 240
; IeeeMode: 1
; LDSByteSize: 512 bytes/workgroup (compile time only)
; SGPRBlocks: 0
; VGPRBlocks: 6
; NumSGPRsForWavesPerEU: 40
; NumVGPRsForWavesPerEU: 56
; Occupancy: 16
; WaveLimiterHint : 1
; COMPUTE_PGM_RSRC2:SCRATCH_EN: 0
; COMPUTE_PGM_RSRC2:USER_SGPR: 2
; COMPUTE_PGM_RSRC2:TRAP_HANDLER: 0
; COMPUTE_PGM_RSRC2:TGID_X_EN: 1
; COMPUTE_PGM_RSRC2:TGID_Y_EN: 1
; COMPUTE_PGM_RSRC2:TGID_Z_EN: 1
; COMPUTE_PGM_RSRC2:TIDIG_COMP_CNT: 0
	.section	.text._ZL32rocblas_gemvt_warp_reduce_kernelILb0ELi256EiPK19rocblas_complex_numIdES3_KPS1_EviiT3_lPKT2_lT1_lS9_lSA_lS6_lPT4_lSA_li,"axG",@progbits,_ZL32rocblas_gemvt_warp_reduce_kernelILb0ELi256EiPK19rocblas_complex_numIdES3_KPS1_EviiT3_lPKT2_lT1_lS9_lSA_lS6_lPT4_lSA_li,comdat
	.globl	_ZL32rocblas_gemvt_warp_reduce_kernelILb0ELi256EiPK19rocblas_complex_numIdES3_KPS1_EviiT3_lPKT2_lT1_lS9_lSA_lS6_lPT4_lSA_li ; -- Begin function _ZL32rocblas_gemvt_warp_reduce_kernelILb0ELi256EiPK19rocblas_complex_numIdES3_KPS1_EviiT3_lPKT2_lT1_lS9_lSA_lS6_lPT4_lSA_li
	.p2align	8
	.type	_ZL32rocblas_gemvt_warp_reduce_kernelILb0ELi256EiPK19rocblas_complex_numIdES3_KPS1_EviiT3_lPKT2_lT1_lS9_lSA_lS6_lPT4_lSA_li,@function
_ZL32rocblas_gemvt_warp_reduce_kernelILb0ELi256EiPK19rocblas_complex_numIdES3_KPS1_EviiT3_lPKT2_lT1_lS9_lSA_lS6_lPT4_lSA_li: ; @_ZL32rocblas_gemvt_warp_reduce_kernelILb0ELi256EiPK19rocblas_complex_numIdES3_KPS1_EviiT3_lPKT2_lT1_lS9_lSA_lS6_lPT4_lSA_li
; %bb.0:
	s_load_b32 s7, s[0:1], 0x88
	s_lshr_b32 s28, ttmp7, 16
	s_wait_kmcnt 0x0
	s_cmp_ge_u32 s28, s7
	s_cbranch_scc1 .LBB358_39
; %bb.1:
	s_clause 0x6
	s_load_b32 s6, s[0:1], 0x0
	s_load_b32 s4, s[0:1], 0x78
	s_load_b256 s[8:15], s[0:1], 0x8
	s_load_b32 s5, s[0:1], 0x28
	s_load_b128 s[24:27], s[0:1], 0x38
	s_load_b32 s33, s[0:1], 0x48
	s_load_b256 s[16:23], s[0:1], 0x58
	v_lshrrev_b32_e32 v3, 1, v0
	v_dual_mov_b32 v1, 0 :: v_dual_and_b32 v2, 31, v0
	v_cmp_eq_u32_e64 s0, 0, v0
	v_cmp_gt_u32_e64 s1, 32, v0
	s_delay_alu instid0(VALU_DEP_4) | instskip(NEXT) | instid1(VALU_DEP_4)
	v_and_b32_e32 v26, 0x70, v3
	v_cmp_eq_u32_e64 s3, 0, v2
	v_cmp_gt_u32_e64 s2, 8, v0
	v_mbcnt_lo_u32_b32 v31, -1, 0
	s_mov_b32 s29, 0
	s_wait_kmcnt 0x0
	s_ashr_i32 s30, s6, 31
	s_mul_i32 s36, s4, ttmp9
	s_lshr_b32 s4, s30, 24
	v_cmp_gt_i32_e32 vcc_lo, s6, v0
	s_add_co_i32 s30, s6, s4
	v_lshlrev_b32_e32 v25, 4, v2
	s_and_b32 s30, s30, 0xffffff00
	s_mul_i32 s4, s5, ttmp9
	v_or_b32_e32 v3, s30, v0
	v_cndmask_b32_e32 v4, 0, v0, vcc_lo
	s_ashr_i32 s5, s4, 31
	v_mul_lo_u32 v29, v0, s33
	s_lshl_b64 s[34:35], s[4:5], 4
	v_mul_lo_u32 v2, s33, v3
	v_lshlrev_b32_e32 v5, 4, v4
	v_cmp_gt_i32_e64 s4, s30, v0
	v_lshlrev_b32_e32 v30, 4, v4
	s_ashr_i32 s37, s36, 31
	s_ashr_i32 s31, s30, 31
	v_add_co_u32 v5, s5, s34, v5
	s_delay_alu instid0(VALU_DEP_1) | instskip(SKIP_2) | instid1(VALU_DEP_4)
	v_add_co_ci_u32_e64 v27, null, s35, 0, s5
	v_cmp_gt_i32_e64 s5, s6, v3
	v_ashrrev_i32_e32 v3, 31, v2
	v_or_b32_e32 v28, 8, v5
	s_lshl_b32 s33, s33, 8
	s_lshl_b64 s[14:15], s[14:15], 4
	s_lshl_b64 s[26:27], s[26:27], 4
	v_lshlrev_b64_e32 v[21:22], 4, v[2:3]
	s_lshl_b64 s[22:23], s[22:23], 4
	s_lshl_b64 s[36:37], s[36:37], 4
	s_wait_alu 0xfffe
	s_lshl_b64 s[38:39], s[30:31], 4
	s_branch .LBB358_4
.LBB358_2:                              ;   in Loop: Header=BB358_4 Depth=1
	s_wait_alu 0xfffe
	s_or_b32 exec_lo, exec_lo, s6
.LBB358_3:                              ;   in Loop: Header=BB358_4 Depth=1
	s_add_co_i32 s28, s28, 0x10000
	s_delay_alu instid0(SALU_CYCLE_1)
	s_cmp_lt_u32 s28, s7
	s_cbranch_scc0 .LBB358_39
.LBB358_4:                              ; =>This Loop Header: Depth=1
                                        ;     Child Loop BB358_28 Depth 2
	s_mul_u64 s[40:41], s[10:11], s[28:29]
	s_delay_alu instid0(SALU_CYCLE_1) | instskip(NEXT) | instid1(SALU_CYCLE_1)
	s_lshl_b64 s[40:41], s[40:41], 4
	s_add_nc_u64 s[40:41], s[8:9], s[40:41]
	global_load_b128 v[9:12], v1, s[40:41]
	s_mul_u64 s[40:41], s[18:19], s[28:29]
	s_delay_alu instid0(SALU_CYCLE_1) | instskip(NEXT) | instid1(SALU_CYCLE_1)
	s_lshl_b64 s[40:41], s[40:41], 4
	s_add_nc_u64 s[40:41], s[16:17], s[40:41]
	s_wait_loadcnt 0x1
	global_load_b128 v[5:8], v1, s[40:41]
	s_mov_b32 s40, -1
	s_wait_loadcnt 0x1
	v_cmp_neq_f64_e32 vcc_lo, 0, v[9:10]
	v_cmp_neq_f64_e64 s6, 0, v[11:12]
	s_or_b32 s31, vcc_lo, s6
	s_mov_b32 s6, s29
	s_wait_alu 0xfffe
	s_and_b32 vcc_lo, exec_lo, s31
	s_wait_alu 0xfffe
	s_cbranch_vccz .LBB358_7
; %bb.5:                                ;   in Loop: Header=BB358_4 Depth=1
	v_mov_b32_e32 v2, 0
	v_mov_b32_e32 v3, 0
	s_and_not1_b32 vcc_lo, exec_lo, s40
	s_wait_alu 0xfffe
	s_cbranch_vccz .LBB358_8
.LBB358_6:                              ;   in Loop: Header=BB358_4 Depth=1
	s_wait_alu 0xfffe
	s_and_not1_b32 vcc_lo, exec_lo, s6
	s_wait_alu 0xfffe
	s_cbranch_vccnz .LBB358_3
	s_branch .LBB358_9
.LBB358_7:                              ;   in Loop: Header=BB358_4 Depth=1
	s_wait_loadcnt 0x0
	v_cmp_neq_f64_e32 vcc_lo, 1.0, v[5:6]
	v_cmp_neq_f64_e64 s6, 0, v[7:8]
	s_or_b32 s6, vcc_lo, s6
	v_mov_b32_e32 v2, 0
	v_mov_b32_e32 v3, 0
	s_cbranch_execnz .LBB358_6
.LBB358_8:                              ;   in Loop: Header=BB358_4 Depth=1
	s_lshl_b64 s[40:41], s[28:29], 3
	s_delay_alu instid0(SALU_CYCLE_1)
	s_add_nc_u64 s[40:41], s[12:13], s[40:41]
	global_load_b64 v[2:3], v1, s[40:41]
	s_wait_loadcnt 0x0
	v_add_co_u32 v2, vcc_lo, v2, s14
	s_wait_alu 0xfffd
	v_add_co_ci_u32_e64 v3, null, s15, v3, vcc_lo
.LBB358_9:                              ;   in Loop: Header=BB358_4 Depth=1
	s_wait_dscnt 0x0
	v_mov_b32_e32 v17, 0
	v_mov_b32_e32 v18, 0
	s_and_not1_b32 vcc_lo, exec_lo, s31
	s_wait_alu 0xfffe
	s_cbranch_vccnz .LBB358_11
; %bb.10:                               ;   in Loop: Header=BB358_4 Depth=1
	s_lshl_b64 s[40:41], s[28:29], 3
	s_delay_alu instid0(SALU_CYCLE_1)
	s_add_nc_u64 s[40:41], s[24:25], s[40:41]
	global_load_b64 v[13:14], v1, s[40:41]
	s_wait_loadcnt 0x0
	v_add_co_u32 v17, vcc_lo, v13, s26
	s_wait_alu 0xfffd
	v_add_co_ci_u32_e64 v18, null, s27, v14, vcc_lo
.LBB358_11:                             ;   in Loop: Header=BB358_4 Depth=1
	s_lshl_b64 s[40:41], s[28:29], 3
	s_xor_b32 s6, s31, -1
	s_add_nc_u64 s[40:41], s[20:21], s[40:41]
	global_load_b64 v[13:14], v1, s[40:41]
	s_wait_loadcnt 0x0
	v_add_co_u32 v32, vcc_lo, v13, s22
	s_wait_alu 0xfffd
	v_add_co_ci_u32_e64 v33, null, s23, v14, vcc_lo
	s_wait_alu 0xfffe
	s_and_not1_b32 vcc_lo, exec_lo, s6
	s_wait_alu 0xfffe
	s_cbranch_vccnz .LBB358_16
; %bb.12:                               ;   in Loop: Header=BB358_4 Depth=1
	s_mov_b32 s40, 0
	s_mov_b32 s31, 0
                                        ; implicit-def: $vgpr15_vgpr16
	s_and_saveexec_b32 s41, s0
	s_cbranch_execz .LBB358_17
; %bb.13:                               ;   in Loop: Header=BB358_4 Depth=1
	v_cmp_neq_f64_e32 vcc_lo, 0, v[5:6]
	v_cmp_neq_f64_e64 s6, 0, v[7:8]
	v_mov_b32_e32 v15, 0
	v_dual_mov_b32 v16, 0 :: v_dual_mov_b32 v13, 0
	v_mov_b32_e32 v14, 0
	s_or_b32 s6, vcc_lo, s6
	s_wait_alu 0xfffe
	s_and_not1_b32 vcc_lo, exec_lo, s6
	s_wait_alu 0xfffe
	s_cbranch_vccnz .LBB358_15
; %bb.14:                               ;   in Loop: Header=BB358_4 Depth=1
	v_add_co_u32 v13, vcc_lo, v32, s36
	s_wait_alu 0xfffd
	v_add_co_ci_u32_e64 v14, null, s37, v33, vcc_lo
	flat_load_b128 v[34:37], v[13:14]
	s_wait_loadcnt_dscnt 0x0
	v_mul_f64_e32 v[13:14], v[7:8], v[36:37]
	v_mul_f64_e32 v[15:16], v[5:6], v[36:37]
	s_delay_alu instid0(VALU_DEP_2) | instskip(NEXT) | instid1(VALU_DEP_2)
	v_fma_f64 v[13:14], v[5:6], v[34:35], -v[13:14]
	v_fma_f64 v[15:16], v[7:8], v[34:35], v[15:16]
.LBB358_15:                             ;   in Loop: Header=BB358_4 Depth=1
	s_mov_b32 s31, exec_lo
	s_or_b32 exec_lo, exec_lo, s41
	s_delay_alu instid0(SALU_CYCLE_1)
	s_and_b32 vcc_lo, exec_lo, s40
	s_wait_alu 0xfffe
	s_cbranch_vccnz .LBB358_18
	s_branch .LBB358_37
.LBB358_16:                             ;   in Loop: Header=BB358_4 Depth=1
	s_mov_b32 s31, 0
                                        ; implicit-def: $vgpr15_vgpr16
	s_cbranch_execnz .LBB358_18
	s_branch .LBB358_37
.LBB358_17:                             ;   in Loop: Header=BB358_4 Depth=1
	s_or_b32 exec_lo, exec_lo, s41
	s_delay_alu instid0(SALU_CYCLE_1)
	s_and_b32 vcc_lo, exec_lo, s40
	s_wait_alu 0xfffe
	s_cbranch_vccz .LBB358_37
.LBB358_18:                             ;   in Loop: Header=BB358_4 Depth=1
	v_mov_b32_e32 v13, 0
	v_dual_mov_b32 v14, 0 :: v_dual_mov_b32 v15, 0
	v_mov_b32_e32 v16, 0
	s_and_saveexec_b32 s40, s4
	s_cbranch_execnz .LBB358_27
; %bb.19:                               ;   in Loop: Header=BB358_4 Depth=1
	s_or_b32 exec_lo, exec_lo, s40
	s_and_saveexec_b32 s6, s5
	s_cbranch_execnz .LBB358_30
.LBB358_20:                             ;   in Loop: Header=BB358_4 Depth=1
	s_wait_alu 0xfffe
	s_or_b32 exec_lo, exec_lo, s6
	s_and_saveexec_b32 s6, s1
.LBB358_21:                             ;   in Loop: Header=BB358_4 Depth=1
	v_dual_mov_b32 v2, v1 :: v_dual_mov_b32 v3, v1
	v_mov_b32_e32 v4, v1
	ds_store_b128 v25, v[1:4]
.LBB358_22:                             ;   in Loop: Header=BB358_4 Depth=1
	s_wait_alu 0xfffe
	s_or_b32 exec_lo, exec_lo, s6
	v_lshl_or_b32 v4, v31, 2, 64
	v_cmp_gt_u32_e32 vcc_lo, 24, v31
	s_wait_dscnt 0x0
	s_barrier_signal -1
	s_barrier_wait -1
	ds_bpermute_b32 v2, v4, v15
	ds_bpermute_b32 v3, v4, v16
	;; [unrolled: 1-line block ×4, first 2 shown]
	s_wait_alu 0xfffd
	v_cndmask_b32_e64 v4, 0, 8, vcc_lo
	v_cmp_gt_u32_e32 vcc_lo, 28, v31
	s_wait_dscnt 0x0
	global_inv scope:SCOPE_SE
	v_add_lshl_u32 v4, v4, v31, 2
	v_add_f64_e32 v[2:3], v[15:16], v[2:3]
	v_add_f64_e32 v[13:14], v[13:14], v[17:18]
	ds_bpermute_b32 v15, v4, v2
	ds_bpermute_b32 v16, v4, v3
	;; [unrolled: 1-line block ×4, first 2 shown]
	s_wait_alu 0xfffd
	v_cndmask_b32_e64 v4, 0, 4, vcc_lo
	v_cmp_gt_u32_e32 vcc_lo, 30, v31
	s_delay_alu instid0(VALU_DEP_2)
	v_add_lshl_u32 v4, v4, v31, 2
	s_wait_dscnt 0x2
	v_add_f64_e32 v[2:3], v[2:3], v[15:16]
	s_wait_dscnt 0x0
	v_add_f64_e32 v[13:14], v[13:14], v[17:18]
	ds_bpermute_b32 v15, v4, v2
	ds_bpermute_b32 v16, v4, v3
	;; [unrolled: 1-line block ×4, first 2 shown]
	s_wait_dscnt 0x2
	v_add_f64_e32 v[2:3], v[2:3], v[15:16]
	s_wait_alu 0xfffd
	v_cndmask_b32_e64 v15, 0, 2, vcc_lo
	s_wait_dscnt 0x0
	v_add_f64_e32 v[13:14], v[13:14], v[17:18]
	v_cmp_ne_u32_e32 vcc_lo, 31, v31
	s_delay_alu instid0(VALU_DEP_3)
	v_add_lshl_u32 v23, v15, v31, 2
	ds_bpermute_b32 v15, v23, v2
	ds_bpermute_b32 v16, v23, v3
	;; [unrolled: 1-line block ×4, first 2 shown]
	s_wait_dscnt 0x2
	v_add_f64_e32 v[2:3], v[2:3], v[15:16]
	s_wait_alu 0xfffd
	v_add_co_ci_u32_e64 v15, null, 0, v31, vcc_lo
	s_wait_dscnt 0x0
	v_add_f64_e32 v[13:14], v[13:14], v[17:18]
	s_delay_alu instid0(VALU_DEP_2)
	v_lshlrev_b32_e32 v24, 2, v15
	ds_bpermute_b32 v15, v24, v2
	ds_bpermute_b32 v16, v24, v3
	ds_bpermute_b32 v17, v24, v13
	ds_bpermute_b32 v18, v24, v14
	s_and_saveexec_b32 s6, s3
	s_cbranch_execz .LBB358_24
; %bb.23:                               ;   in Loop: Header=BB358_4 Depth=1
	s_wait_dscnt 0x0
	v_add_f64_e32 v[17:18], v[13:14], v[17:18]
	v_add_f64_e32 v[15:16], v[2:3], v[15:16]
	ds_store_b128 v26, v[15:18]
.LBB358_24:                             ;   in Loop: Header=BB358_4 Depth=1
	s_wait_alu 0xfffe
	s_or_b32 exec_lo, exec_lo, s6
	v_mov_b32_e32 v19, 0
	s_wait_dscnt 0x0
	v_dual_mov_b32 v20, 0 :: v_dual_mov_b32 v17, 0
	v_mov_b32_e32 v18, 0
	s_wait_loadcnt 0x0
	s_barrier_signal -1
	s_barrier_wait -1
	global_inv scope:SCOPE_SE
	s_and_saveexec_b32 s6, s2
	s_cbranch_execnz .LBB358_31
; %bb.25:                               ;   in Loop: Header=BB358_4 Depth=1
	s_wait_alu 0xfffe
	s_or_b32 exec_lo, exec_lo, s6
	s_and_saveexec_b32 s6, s1
	s_cbranch_execnz .LBB358_32
.LBB358_26:                             ;   in Loop: Header=BB358_4 Depth=1
	s_wait_alu 0xfffe
	s_or_b32 exec_lo, exec_lo, s6
                                        ; implicit-def: $vgpr15_vgpr16
	s_and_saveexec_b32 s40, s0
	s_cbranch_execnz .LBB358_33
	s_branch .LBB358_36
.LBB358_27:                             ;   in Loop: Header=BB358_4 Depth=1
	v_add_co_u32 v19, vcc_lo, v2, v28
	v_mov_b32_e32 v13, 0
	v_dual_mov_b32 v15, 0 :: v_dual_mov_b32 v4, v0
	s_wait_alu 0xfffd
	v_add_co_ci_u32_e64 v20, null, v3, v27, vcc_lo
	v_dual_mov_b32 v14, 0 :: v_dual_mov_b32 v23, v29
	v_mov_b32_e32 v16, 0
	s_mov_b32 s41, 0
.LBB358_28:                             ;   Parent Loop BB358_4 Depth=1
                                        ; =>  This Inner Loop Header: Depth=2
	s_delay_alu instid0(VALU_DEP_2) | instskip(SKIP_1) | instid1(VALU_DEP_2)
	v_ashrrev_i32_e32 v24, 31, v23
	v_add_nc_u32_e32 v4, 0x100, v4
	v_lshlrev_b64_e32 v[34:35], 4, v[23:24]
	s_delay_alu instid0(VALU_DEP_2)
	v_cmp_le_i32_e64 s6, s30, v4
	v_add_nc_u32_e32 v23, s33, v23
	s_or_b32 s41, s6, s41
	v_add_co_u32 v38, vcc_lo, v17, v34
	s_wait_alu 0xfffd
	v_add_co_ci_u32_e64 v39, null, v18, v35, vcc_lo
	flat_load_b128 v[34:37], v[19:20] offset:-8
	flat_load_b128 v[38:41], v[38:39]
	v_add_co_u32 v19, vcc_lo, 0x1000, v19
	s_wait_alu 0xfffd
	v_add_co_ci_u32_e64 v20, null, 0, v20, vcc_lo
	s_wait_loadcnt_dscnt 0x0
	v_mul_f64_e32 v[42:43], v[36:37], v[40:41]
	v_mul_f64_e32 v[40:41], v[34:35], v[40:41]
	s_delay_alu instid0(VALU_DEP_2) | instskip(NEXT) | instid1(VALU_DEP_2)
	v_fma_f64 v[34:35], v[34:35], v[38:39], -v[42:43]
	v_fma_f64 v[36:37], v[36:37], v[38:39], v[40:41]
	s_delay_alu instid0(VALU_DEP_2) | instskip(NEXT) | instid1(VALU_DEP_2)
	v_add_f64_e32 v[15:16], v[15:16], v[34:35]
	v_add_f64_e32 v[13:14], v[13:14], v[36:37]
	s_and_not1_b32 exec_lo, exec_lo, s41
	s_cbranch_execnz .LBB358_28
; %bb.29:                               ;   in Loop: Header=BB358_4 Depth=1
	s_or_b32 exec_lo, exec_lo, s41
	s_delay_alu instid0(SALU_CYCLE_1)
	s_or_b32 exec_lo, exec_lo, s40
	s_and_saveexec_b32 s6, s5
	s_cbranch_execz .LBB358_20
.LBB358_30:                             ;   in Loop: Header=BB358_4 Depth=1
	v_add_co_u32 v2, vcc_lo, v2, v30
	s_wait_alu 0xfffd
	v_add_co_ci_u32_e64 v3, null, 0, v3, vcc_lo
	s_delay_alu instid0(VALU_DEP_2) | instskip(SKIP_1) | instid1(VALU_DEP_2)
	v_add_co_u32 v4, vcc_lo, v2, s34
	s_wait_alu 0xfffd
	v_add_co_ci_u32_e64 v19, null, s35, v3, vcc_lo
	v_add_co_u32 v2, vcc_lo, v17, v21
	s_wait_alu 0xfffd
	v_add_co_ci_u32_e64 v3, null, v18, v22, vcc_lo
	;; [unrolled: 3-line block ×3, first 2 shown]
	flat_load_b128 v[17:20], v[2:3]
	flat_load_b128 v[34:37], v[23:24]
	s_wait_loadcnt_dscnt 0x0
	v_mul_f64_e32 v[2:3], v[36:37], v[19:20]
	v_mul_f64_e32 v[19:20], v[34:35], v[19:20]
	s_delay_alu instid0(VALU_DEP_2) | instskip(NEXT) | instid1(VALU_DEP_2)
	v_fma_f64 v[2:3], v[34:35], v[17:18], -v[2:3]
	v_fma_f64 v[17:18], v[36:37], v[17:18], v[19:20]
	s_delay_alu instid0(VALU_DEP_2) | instskip(NEXT) | instid1(VALU_DEP_2)
	v_add_f64_e32 v[15:16], v[15:16], v[2:3]
	v_add_f64_e32 v[13:14], v[13:14], v[17:18]
	s_wait_alu 0xfffe
	s_or_b32 exec_lo, exec_lo, s6
	s_and_saveexec_b32 s6, s1
	s_cbranch_execnz .LBB358_21
	s_branch .LBB358_22
.LBB358_31:                             ;   in Loop: Header=BB358_4 Depth=1
	ds_load_b128 v[17:20], v25
	s_wait_alu 0xfffe
	s_or_b32 exec_lo, exec_lo, s6
	s_and_saveexec_b32 s6, s1
	s_cbranch_execz .LBB358_26
.LBB358_32:                             ;   in Loop: Header=BB358_4 Depth=1
	s_wait_dscnt 0x0
	ds_bpermute_b32 v2, v4, v17
	ds_bpermute_b32 v3, v4, v18
	ds_bpermute_b32 v13, v4, v19
	ds_bpermute_b32 v14, v4, v20
	s_wait_dscnt 0x2
	v_add_f64_e32 v[2:3], v[17:18], v[2:3]
	s_wait_dscnt 0x0
	v_add_f64_e32 v[13:14], v[19:20], v[13:14]
	ds_bpermute_b32 v15, v23, v2
	ds_bpermute_b32 v16, v23, v3
	ds_bpermute_b32 v17, v23, v13
	ds_bpermute_b32 v18, v23, v14
	s_wait_dscnt 0x2
	v_add_f64_e32 v[2:3], v[2:3], v[15:16]
	s_wait_dscnt 0x0
	v_add_f64_e32 v[13:14], v[13:14], v[17:18]
	;; [unrolled: 8-line block ×3, first 2 shown]
	s_wait_alu 0xfffe
	s_or_b32 exec_lo, exec_lo, s6
                                        ; implicit-def: $vgpr15_vgpr16
	s_and_saveexec_b32 s40, s0
	s_cbranch_execz .LBB358_36
.LBB358_33:                             ;   in Loop: Header=BB358_4 Depth=1
	s_wait_dscnt 0x0
	s_delay_alu instid0(VALU_DEP_1) | instskip(SKIP_3) | instid1(VALU_DEP_4)
	v_mul_f64_e32 v[2:3], v[11:12], v[19:20]
	v_mul_f64_e32 v[15:16], v[9:10], v[19:20]
	v_cmp_neq_f64_e32 vcc_lo, 0, v[5:6]
	v_cmp_neq_f64_e64 s6, 0, v[7:8]
	v_fma_f64 v[13:14], v[9:10], v[17:18], -v[2:3]
	s_delay_alu instid0(VALU_DEP_4)
	v_fma_f64 v[15:16], v[11:12], v[17:18], v[15:16]
	s_or_b32 s6, vcc_lo, s6
	s_wait_alu 0xfffe
	s_and_not1_b32 vcc_lo, exec_lo, s6
	s_wait_alu 0xfffe
	s_cbranch_vccnz .LBB358_35
; %bb.34:                               ;   in Loop: Header=BB358_4 Depth=1
	v_add_co_u32 v2, vcc_lo, v32, s36
	s_wait_alu 0xfffd
	v_add_co_ci_u32_e64 v3, null, s37, v33, vcc_lo
	flat_load_b128 v[9:12], v[2:3]
	s_wait_loadcnt_dscnt 0x0
	v_mul_f64_e32 v[2:3], v[7:8], v[11:12]
	v_mul_f64_e32 v[11:12], v[5:6], v[11:12]
	s_delay_alu instid0(VALU_DEP_2) | instskip(NEXT) | instid1(VALU_DEP_2)
	v_fma_f64 v[2:3], v[5:6], v[9:10], -v[2:3]
	v_fma_f64 v[4:5], v[7:8], v[9:10], v[11:12]
	s_delay_alu instid0(VALU_DEP_2) | instskip(NEXT) | instid1(VALU_DEP_2)
	v_add_f64_e32 v[13:14], v[13:14], v[2:3]
	v_add_f64_e32 v[15:16], v[15:16], v[4:5]
.LBB358_35:                             ;   in Loop: Header=BB358_4 Depth=1
	s_or_b32 s31, s31, exec_lo
.LBB358_36:                             ;   in Loop: Header=BB358_4 Depth=1
	s_or_b32 exec_lo, exec_lo, s40
.LBB358_37:                             ;   in Loop: Header=BB358_4 Depth=1
	s_wait_alu 0xfffe
	s_and_saveexec_b32 s6, s31
	s_cbranch_execz .LBB358_2
; %bb.38:                               ;   in Loop: Header=BB358_4 Depth=1
	v_add_co_u32 v2, vcc_lo, v32, s36
	s_wait_alu 0xfffd
	v_add_co_ci_u32_e64 v3, null, s37, v33, vcc_lo
	flat_store_b128 v[2:3], v[13:16]
	s_branch .LBB358_2
.LBB358_39:
	s_endpgm
	.section	.rodata,"a",@progbits
	.p2align	6, 0x0
	.amdhsa_kernel _ZL32rocblas_gemvt_warp_reduce_kernelILb0ELi256EiPK19rocblas_complex_numIdES3_KPS1_EviiT3_lPKT2_lT1_lS9_lSA_lS6_lPT4_lSA_li
		.amdhsa_group_segment_fixed_size 512
		.amdhsa_private_segment_fixed_size 0
		.amdhsa_kernarg_size 140
		.amdhsa_user_sgpr_count 2
		.amdhsa_user_sgpr_dispatch_ptr 0
		.amdhsa_user_sgpr_queue_ptr 0
		.amdhsa_user_sgpr_kernarg_segment_ptr 1
		.amdhsa_user_sgpr_dispatch_id 0
		.amdhsa_user_sgpr_private_segment_size 0
		.amdhsa_wavefront_size32 1
		.amdhsa_uses_dynamic_stack 0
		.amdhsa_enable_private_segment 0
		.amdhsa_system_sgpr_workgroup_id_x 1
		.amdhsa_system_sgpr_workgroup_id_y 0
		.amdhsa_system_sgpr_workgroup_id_z 1
		.amdhsa_system_sgpr_workgroup_info 0
		.amdhsa_system_vgpr_workitem_id 0
		.amdhsa_next_free_vgpr 44
		.amdhsa_next_free_sgpr 42
		.amdhsa_reserve_vcc 1
		.amdhsa_float_round_mode_32 0
		.amdhsa_float_round_mode_16_64 0
		.amdhsa_float_denorm_mode_32 3
		.amdhsa_float_denorm_mode_16_64 3
		.amdhsa_fp16_overflow 0
		.amdhsa_workgroup_processor_mode 1
		.amdhsa_memory_ordered 1
		.amdhsa_forward_progress 1
		.amdhsa_inst_pref_size 18
		.amdhsa_round_robin_scheduling 0
		.amdhsa_exception_fp_ieee_invalid_op 0
		.amdhsa_exception_fp_denorm_src 0
		.amdhsa_exception_fp_ieee_div_zero 0
		.amdhsa_exception_fp_ieee_overflow 0
		.amdhsa_exception_fp_ieee_underflow 0
		.amdhsa_exception_fp_ieee_inexact 0
		.amdhsa_exception_int_div_zero 0
	.end_amdhsa_kernel
	.section	.text._ZL32rocblas_gemvt_warp_reduce_kernelILb0ELi256EiPK19rocblas_complex_numIdES3_KPS1_EviiT3_lPKT2_lT1_lS9_lSA_lS6_lPT4_lSA_li,"axG",@progbits,_ZL32rocblas_gemvt_warp_reduce_kernelILb0ELi256EiPK19rocblas_complex_numIdES3_KPS1_EviiT3_lPKT2_lT1_lS9_lSA_lS6_lPT4_lSA_li,comdat
.Lfunc_end358:
	.size	_ZL32rocblas_gemvt_warp_reduce_kernelILb0ELi256EiPK19rocblas_complex_numIdES3_KPS1_EviiT3_lPKT2_lT1_lS9_lSA_lS6_lPT4_lSA_li, .Lfunc_end358-_ZL32rocblas_gemvt_warp_reduce_kernelILb0ELi256EiPK19rocblas_complex_numIdES3_KPS1_EviiT3_lPKT2_lT1_lS9_lSA_lS6_lPT4_lSA_li
                                        ; -- End function
	.set _ZL32rocblas_gemvt_warp_reduce_kernelILb0ELi256EiPK19rocblas_complex_numIdES3_KPS1_EviiT3_lPKT2_lT1_lS9_lSA_lS6_lPT4_lSA_li.num_vgpr, 44
	.set _ZL32rocblas_gemvt_warp_reduce_kernelILb0ELi256EiPK19rocblas_complex_numIdES3_KPS1_EviiT3_lPKT2_lT1_lS9_lSA_lS6_lPT4_lSA_li.num_agpr, 0
	.set _ZL32rocblas_gemvt_warp_reduce_kernelILb0ELi256EiPK19rocblas_complex_numIdES3_KPS1_EviiT3_lPKT2_lT1_lS9_lSA_lS6_lPT4_lSA_li.numbered_sgpr, 42
	.set _ZL32rocblas_gemvt_warp_reduce_kernelILb0ELi256EiPK19rocblas_complex_numIdES3_KPS1_EviiT3_lPKT2_lT1_lS9_lSA_lS6_lPT4_lSA_li.num_named_barrier, 0
	.set _ZL32rocblas_gemvt_warp_reduce_kernelILb0ELi256EiPK19rocblas_complex_numIdES3_KPS1_EviiT3_lPKT2_lT1_lS9_lSA_lS6_lPT4_lSA_li.private_seg_size, 0
	.set _ZL32rocblas_gemvt_warp_reduce_kernelILb0ELi256EiPK19rocblas_complex_numIdES3_KPS1_EviiT3_lPKT2_lT1_lS9_lSA_lS6_lPT4_lSA_li.uses_vcc, 1
	.set _ZL32rocblas_gemvt_warp_reduce_kernelILb0ELi256EiPK19rocblas_complex_numIdES3_KPS1_EviiT3_lPKT2_lT1_lS9_lSA_lS6_lPT4_lSA_li.uses_flat_scratch, 0
	.set _ZL32rocblas_gemvt_warp_reduce_kernelILb0ELi256EiPK19rocblas_complex_numIdES3_KPS1_EviiT3_lPKT2_lT1_lS9_lSA_lS6_lPT4_lSA_li.has_dyn_sized_stack, 0
	.set _ZL32rocblas_gemvt_warp_reduce_kernelILb0ELi256EiPK19rocblas_complex_numIdES3_KPS1_EviiT3_lPKT2_lT1_lS9_lSA_lS6_lPT4_lSA_li.has_recursion, 0
	.set _ZL32rocblas_gemvt_warp_reduce_kernelILb0ELi256EiPK19rocblas_complex_numIdES3_KPS1_EviiT3_lPKT2_lT1_lS9_lSA_lS6_lPT4_lSA_li.has_indirect_call, 0
	.section	.AMDGPU.csdata,"",@progbits
; Kernel info:
; codeLenInByte = 2244
; TotalNumSgprs: 44
; NumVgprs: 44
; ScratchSize: 0
; MemoryBound: 0
; FloatMode: 240
; IeeeMode: 1
; LDSByteSize: 512 bytes/workgroup (compile time only)
; SGPRBlocks: 0
; VGPRBlocks: 5
; NumSGPRsForWavesPerEU: 44
; NumVGPRsForWavesPerEU: 44
; Occupancy: 16
; WaveLimiterHint : 1
; COMPUTE_PGM_RSRC2:SCRATCH_EN: 0
; COMPUTE_PGM_RSRC2:USER_SGPR: 2
; COMPUTE_PGM_RSRC2:TRAP_HANDLER: 0
; COMPUTE_PGM_RSRC2:TGID_X_EN: 1
; COMPUTE_PGM_RSRC2:TGID_Y_EN: 0
; COMPUTE_PGM_RSRC2:TGID_Z_EN: 1
; COMPUTE_PGM_RSRC2:TIDIG_COMP_CNT: 0
	.section	.text._ZL32rocblas_gemvt_warp_reduce_kernelILb0ELi256ElPK19rocblas_complex_numIdES3_KPS1_EviiT3_lPKT2_lT1_lS9_lSA_lS6_lPT4_lSA_li,"axG",@progbits,_ZL32rocblas_gemvt_warp_reduce_kernelILb0ELi256ElPK19rocblas_complex_numIdES3_KPS1_EviiT3_lPKT2_lT1_lS9_lSA_lS6_lPT4_lSA_li,comdat
	.globl	_ZL32rocblas_gemvt_warp_reduce_kernelILb0ELi256ElPK19rocblas_complex_numIdES3_KPS1_EviiT3_lPKT2_lT1_lS9_lSA_lS6_lPT4_lSA_li ; -- Begin function _ZL32rocblas_gemvt_warp_reduce_kernelILb0ELi256ElPK19rocblas_complex_numIdES3_KPS1_EviiT3_lPKT2_lT1_lS9_lSA_lS6_lPT4_lSA_li
	.p2align	8
	.type	_ZL32rocblas_gemvt_warp_reduce_kernelILb0ELi256ElPK19rocblas_complex_numIdES3_KPS1_EviiT3_lPKT2_lT1_lS9_lSA_lS6_lPT4_lSA_li,@function
_ZL32rocblas_gemvt_warp_reduce_kernelILb0ELi256ElPK19rocblas_complex_numIdES3_KPS1_EviiT3_lPKT2_lT1_lS9_lSA_lS6_lPT4_lSA_li: ; @_ZL32rocblas_gemvt_warp_reduce_kernelILb0ELi256ElPK19rocblas_complex_numIdES3_KPS1_EviiT3_lPKT2_lT1_lS9_lSA_lS6_lPT4_lSA_li
; %bb.0:
	s_load_b32 s7, s[0:1], 0x88
	s_lshr_b32 s28, ttmp7, 16
	s_wait_kmcnt 0x0
	s_cmp_ge_u32 s28, s7
	s_cbranch_scc1 .LBB359_39
; %bb.1:
	s_clause 0x6
	s_load_b64 s[38:39], s[0:1], 0x48
	s_load_b64 s[30:31], s[0:1], 0x78
	s_load_b32 s6, s[0:1], 0x0
	s_load_b64 s[34:35], s[0:1], 0x28
	s_load_b256 s[8:15], s[0:1], 0x8
	s_load_b128 s[24:27], s[0:1], 0x38
	s_load_b256 s[16:23], s[0:1], 0x58
	s_mov_b32 s4, ttmp9
	s_ashr_i32 s5, ttmp9, 31
	v_dual_mov_b32 v1, 0 :: v_dual_and_b32 v4, 31, v0
	v_lshrrev_b32_e32 v5, 1, v0
	v_cmp_eq_u32_e64 s0, 0, v0
	v_cmp_gt_u32_e64 s1, 32, v0
	s_delay_alu instid0(VALU_DEP_4)
	v_lshlrev_b32_e32 v27, 4, v4
	v_cmp_eq_u32_e64 s3, 0, v4
	v_and_b32_e32 v28, 0x70, v5
	v_cmp_gt_u32_e64 s2, 8, v0
	v_mbcnt_lo_u32_b32 v32, -1, 0
	s_mov_b32 s29, 0
	s_wait_kmcnt 0x0
	v_mad_co_u64_u32 v[2:3], null, s38, v0, 0
	s_mul_u64 s[40:41], s[30:31], s[4:5]
	s_ashr_i32 s30, s6, 31
	s_mul_u64 s[4:5], s[34:35], s[4:5]
	s_lshr_b32 s33, s30, 24
	v_cmp_gt_i32_e32 vcc_lo, s6, v0
	s_add_co_i32 s33, s6, s33
	v_mad_co_u64_u32 v[3:4], null, s39, v0, v[3:4]
	s_and_b32 s34, s33, 0xffffff00
	v_cndmask_b32_e32 v6, 0, v0, vcc_lo
	v_or_b32_e32 v7, s34, v0
	s_ashr_i32 s35, s34, 31
	s_lshl_b64 s[36:37], s[4:5], 4
	s_wait_alu 0xfffe
	s_mul_i32 s33, s38, s35
	v_lshlrev_b32_e32 v8, 4, v6
	v_mul_lo_u32 v9, s39, v7
	v_mad_co_u64_u32 v[4:5], null, s38, v7, 0
	v_lshlrev_b64_e32 v[21:22], 4, v[2:3]
	s_delay_alu instid0(VALU_DEP_4)
	v_add_co_u32 v2, s5, s36, v8
	v_cmp_gt_i32_e64 s4, s34, v0
	v_add_co_ci_u32_e64 v29, null, s37, 0, s5
	v_add3_u32 v5, v5, s33, v9
	v_cmp_gt_i32_e64 s5, s6, v7
	v_or_b32_e32 v30, 8, v2
	v_or_b32_e32 v21, 8, v21
	v_lshlrev_b32_e32 v31, 4, v6
	v_lshlrev_b64_e32 v[23:24], 4, v[4:5]
	s_lshl_b64 s[30:31], s[38:39], 12
	s_lshl_b64 s[14:15], s[14:15], 4
	s_lshl_b64 s[26:27], s[26:27], 4
	s_lshl_b64 s[22:23], s[22:23], 4
	s_lshl_b64 s[38:39], s[40:41], 4
	s_lshl_b64 s[40:41], s[34:35], 4
	s_branch .LBB359_4
.LBB359_2:                              ;   in Loop: Header=BB359_4 Depth=1
	s_wait_alu 0xfffe
	s_or_b32 exec_lo, exec_lo, s6
.LBB359_3:                              ;   in Loop: Header=BB359_4 Depth=1
	s_add_co_i32 s28, s28, 0x10000
	s_delay_alu instid0(SALU_CYCLE_1)
	s_cmp_lt_u32 s28, s7
	s_cbranch_scc0 .LBB359_39
.LBB359_4:                              ; =>This Loop Header: Depth=1
                                        ;     Child Loop BB359_28 Depth 2
	s_mul_u64 s[42:43], s[10:11], s[28:29]
	s_mov_b32 s35, -1
	s_lshl_b64 s[42:43], s[42:43], 4
	s_delay_alu instid0(SALU_CYCLE_1) | instskip(SKIP_2) | instid1(SALU_CYCLE_1)
	s_add_nc_u64 s[42:43], s[8:9], s[42:43]
	global_load_b128 v[9:12], v1, s[42:43]
	s_mul_u64 s[42:43], s[18:19], s[28:29]
	s_lshl_b64 s[42:43], s[42:43], 4
	s_delay_alu instid0(SALU_CYCLE_1)
	s_add_nc_u64 s[42:43], s[16:17], s[42:43]
	s_wait_loadcnt 0x1
	global_load_b128 v[5:8], v1, s[42:43]
	s_wait_loadcnt 0x1
	v_cmp_neq_f64_e32 vcc_lo, 0, v[9:10]
	v_cmp_neq_f64_e64 s6, 0, v[11:12]
	s_or_b32 s33, vcc_lo, s6
	s_mov_b32 s6, s29
	s_wait_alu 0xfffe
	s_and_b32 vcc_lo, exec_lo, s33
	s_wait_alu 0xfffe
	s_cbranch_vccz .LBB359_7
; %bb.5:                                ;   in Loop: Header=BB359_4 Depth=1
	v_mov_b32_e32 v2, 0
	v_mov_b32_e32 v3, 0
	s_and_not1_b32 vcc_lo, exec_lo, s35
	s_wait_alu 0xfffe
	s_cbranch_vccz .LBB359_8
.LBB359_6:                              ;   in Loop: Header=BB359_4 Depth=1
	s_wait_alu 0xfffe
	s_and_not1_b32 vcc_lo, exec_lo, s6
	s_wait_alu 0xfffe
	s_cbranch_vccnz .LBB359_3
	s_branch .LBB359_9
.LBB359_7:                              ;   in Loop: Header=BB359_4 Depth=1
	s_wait_loadcnt 0x0
	v_cmp_neq_f64_e32 vcc_lo, 1.0, v[5:6]
	v_cmp_neq_f64_e64 s6, 0, v[7:8]
	s_or_b32 s6, vcc_lo, s6
	v_mov_b32_e32 v2, 0
	v_mov_b32_e32 v3, 0
	s_cbranch_execnz .LBB359_6
.LBB359_8:                              ;   in Loop: Header=BB359_4 Depth=1
	s_lshl_b64 s[42:43], s[28:29], 3
	s_delay_alu instid0(SALU_CYCLE_1)
	s_add_nc_u64 s[42:43], s[12:13], s[42:43]
	global_load_b64 v[2:3], v1, s[42:43]
	s_wait_loadcnt 0x0
	v_add_co_u32 v2, vcc_lo, v2, s14
	s_wait_alu 0xfffd
	v_add_co_ci_u32_e64 v3, null, s15, v3, vcc_lo
.LBB359_9:                              ;   in Loop: Header=BB359_4 Depth=1
	s_wait_dscnt 0x0
	v_mov_b32_e32 v17, 0
	v_mov_b32_e32 v18, 0
	s_and_not1_b32 vcc_lo, exec_lo, s33
	s_wait_alu 0xfffe
	s_cbranch_vccnz .LBB359_11
; %bb.10:                               ;   in Loop: Header=BB359_4 Depth=1
	s_lshl_b64 s[42:43], s[28:29], 3
	s_delay_alu instid0(SALU_CYCLE_1)
	s_add_nc_u64 s[42:43], s[24:25], s[42:43]
	global_load_b64 v[13:14], v1, s[42:43]
	s_wait_loadcnt 0x0
	v_add_co_u32 v17, vcc_lo, v13, s26
	s_wait_alu 0xfffd
	v_add_co_ci_u32_e64 v18, null, s27, v14, vcc_lo
.LBB359_11:                             ;   in Loop: Header=BB359_4 Depth=1
	s_lshl_b64 s[42:43], s[28:29], 3
	s_xor_b32 s6, s33, -1
	s_add_nc_u64 s[42:43], s[20:21], s[42:43]
	global_load_b64 v[13:14], v1, s[42:43]
	s_wait_loadcnt 0x0
	v_add_co_u32 v33, vcc_lo, v13, s22
	s_wait_alu 0xfffd
	v_add_co_ci_u32_e64 v34, null, s23, v14, vcc_lo
	s_wait_alu 0xfffe
	s_and_not1_b32 vcc_lo, exec_lo, s6
	s_wait_alu 0xfffe
	s_cbranch_vccnz .LBB359_16
; %bb.12:                               ;   in Loop: Header=BB359_4 Depth=1
	s_mov_b32 s35, 0
	s_mov_b32 s33, 0
                                        ; implicit-def: $vgpr15_vgpr16
	s_and_saveexec_b32 s42, s0
	s_cbranch_execz .LBB359_17
; %bb.13:                               ;   in Loop: Header=BB359_4 Depth=1
	v_cmp_neq_f64_e32 vcc_lo, 0, v[5:6]
	v_cmp_neq_f64_e64 s6, 0, v[7:8]
	v_mov_b32_e32 v15, 0
	v_dual_mov_b32 v16, 0 :: v_dual_mov_b32 v13, 0
	v_mov_b32_e32 v14, 0
	s_or_b32 s6, vcc_lo, s6
	s_wait_alu 0xfffe
	s_and_not1_b32 vcc_lo, exec_lo, s6
	s_wait_alu 0xfffe
	s_cbranch_vccnz .LBB359_15
; %bb.14:                               ;   in Loop: Header=BB359_4 Depth=1
	v_add_co_u32 v13, vcc_lo, v33, s38
	s_wait_alu 0xfffd
	v_add_co_ci_u32_e64 v14, null, s39, v34, vcc_lo
	flat_load_b128 v[35:38], v[13:14]
	s_wait_loadcnt_dscnt 0x0
	v_mul_f64_e32 v[13:14], v[7:8], v[37:38]
	v_mul_f64_e32 v[15:16], v[5:6], v[37:38]
	s_delay_alu instid0(VALU_DEP_2) | instskip(NEXT) | instid1(VALU_DEP_2)
	v_fma_f64 v[13:14], v[5:6], v[35:36], -v[13:14]
	v_fma_f64 v[15:16], v[7:8], v[35:36], v[15:16]
.LBB359_15:                             ;   in Loop: Header=BB359_4 Depth=1
	s_mov_b32 s33, exec_lo
	s_or_b32 exec_lo, exec_lo, s42
	s_delay_alu instid0(SALU_CYCLE_1)
	s_and_b32 vcc_lo, exec_lo, s35
	s_wait_alu 0xfffe
	s_cbranch_vccnz .LBB359_18
	s_branch .LBB359_37
.LBB359_16:                             ;   in Loop: Header=BB359_4 Depth=1
	s_mov_b32 s33, 0
                                        ; implicit-def: $vgpr15_vgpr16
	s_cbranch_execnz .LBB359_18
	s_branch .LBB359_37
.LBB359_17:                             ;   in Loop: Header=BB359_4 Depth=1
	s_or_b32 exec_lo, exec_lo, s42
	s_wait_alu 0xfffe
	s_and_b32 vcc_lo, exec_lo, s35
	s_wait_alu 0xfffe
	s_cbranch_vccz .LBB359_37
.LBB359_18:                             ;   in Loop: Header=BB359_4 Depth=1
	v_mov_b32_e32 v13, 0
	v_dual_mov_b32 v14, 0 :: v_dual_mov_b32 v15, 0
	v_mov_b32_e32 v16, 0
	s_and_saveexec_b32 s35, s4
	s_cbranch_execnz .LBB359_27
; %bb.19:                               ;   in Loop: Header=BB359_4 Depth=1
	s_wait_alu 0xfffe
	s_or_b32 exec_lo, exec_lo, s35
	s_and_saveexec_b32 s6, s5
	s_cbranch_execnz .LBB359_30
.LBB359_20:                             ;   in Loop: Header=BB359_4 Depth=1
	s_wait_alu 0xfffe
	s_or_b32 exec_lo, exec_lo, s6
	s_and_saveexec_b32 s6, s1
.LBB359_21:                             ;   in Loop: Header=BB359_4 Depth=1
	v_dual_mov_b32 v2, v1 :: v_dual_mov_b32 v3, v1
	v_mov_b32_e32 v4, v1
	ds_store_b128 v27, v[1:4]
.LBB359_22:                             ;   in Loop: Header=BB359_4 Depth=1
	s_wait_alu 0xfffe
	s_or_b32 exec_lo, exec_lo, s6
	v_lshl_or_b32 v4, v32, 2, 64
	v_cmp_gt_u32_e32 vcc_lo, 24, v32
	s_wait_dscnt 0x0
	s_barrier_signal -1
	s_barrier_wait -1
	ds_bpermute_b32 v2, v4, v15
	ds_bpermute_b32 v3, v4, v16
	;; [unrolled: 1-line block ×4, first 2 shown]
	s_wait_alu 0xfffd
	v_cndmask_b32_e64 v4, 0, 8, vcc_lo
	v_cmp_gt_u32_e32 vcc_lo, 28, v32
	s_wait_dscnt 0x0
	global_inv scope:SCOPE_SE
	v_add_lshl_u32 v4, v4, v32, 2
	v_add_f64_e32 v[2:3], v[15:16], v[2:3]
	v_add_f64_e32 v[13:14], v[13:14], v[17:18]
	ds_bpermute_b32 v15, v4, v2
	ds_bpermute_b32 v16, v4, v3
	;; [unrolled: 1-line block ×4, first 2 shown]
	s_wait_alu 0xfffd
	v_cndmask_b32_e64 v4, 0, 4, vcc_lo
	v_cmp_gt_u32_e32 vcc_lo, 30, v32
	s_delay_alu instid0(VALU_DEP_2)
	v_add_lshl_u32 v4, v4, v32, 2
	s_wait_dscnt 0x2
	v_add_f64_e32 v[2:3], v[2:3], v[15:16]
	s_wait_dscnt 0x0
	v_add_f64_e32 v[13:14], v[13:14], v[17:18]
	ds_bpermute_b32 v15, v4, v2
	ds_bpermute_b32 v16, v4, v3
	;; [unrolled: 1-line block ×4, first 2 shown]
	s_wait_dscnt 0x2
	v_add_f64_e32 v[2:3], v[2:3], v[15:16]
	s_wait_alu 0xfffd
	v_cndmask_b32_e64 v15, 0, 2, vcc_lo
	s_wait_dscnt 0x0
	v_add_f64_e32 v[13:14], v[13:14], v[17:18]
	v_cmp_ne_u32_e32 vcc_lo, 31, v32
	s_delay_alu instid0(VALU_DEP_3)
	v_add_lshl_u32 v25, v15, v32, 2
	ds_bpermute_b32 v15, v25, v2
	ds_bpermute_b32 v16, v25, v3
	ds_bpermute_b32 v17, v25, v13
	ds_bpermute_b32 v18, v25, v14
	s_wait_dscnt 0x2
	v_add_f64_e32 v[2:3], v[2:3], v[15:16]
	s_wait_alu 0xfffd
	v_add_co_ci_u32_e64 v15, null, 0, v32, vcc_lo
	s_wait_dscnt 0x0
	v_add_f64_e32 v[13:14], v[13:14], v[17:18]
	s_delay_alu instid0(VALU_DEP_2)
	v_lshlrev_b32_e32 v26, 2, v15
	ds_bpermute_b32 v15, v26, v2
	ds_bpermute_b32 v16, v26, v3
	;; [unrolled: 1-line block ×4, first 2 shown]
	s_and_saveexec_b32 s6, s3
	s_cbranch_execz .LBB359_24
; %bb.23:                               ;   in Loop: Header=BB359_4 Depth=1
	s_wait_dscnt 0x0
	v_add_f64_e32 v[17:18], v[13:14], v[17:18]
	v_add_f64_e32 v[15:16], v[2:3], v[15:16]
	ds_store_b128 v28, v[15:18]
.LBB359_24:                             ;   in Loop: Header=BB359_4 Depth=1
	s_wait_alu 0xfffe
	s_or_b32 exec_lo, exec_lo, s6
	v_mov_b32_e32 v19, 0
	s_wait_dscnt 0x0
	v_dual_mov_b32 v20, 0 :: v_dual_mov_b32 v17, 0
	v_mov_b32_e32 v18, 0
	s_wait_loadcnt 0x0
	s_barrier_signal -1
	s_barrier_wait -1
	global_inv scope:SCOPE_SE
	s_and_saveexec_b32 s6, s2
	s_cbranch_execnz .LBB359_31
; %bb.25:                               ;   in Loop: Header=BB359_4 Depth=1
	s_wait_alu 0xfffe
	s_or_b32 exec_lo, exec_lo, s6
	s_and_saveexec_b32 s6, s1
	s_cbranch_execnz .LBB359_32
.LBB359_26:                             ;   in Loop: Header=BB359_4 Depth=1
	s_wait_alu 0xfffe
	s_or_b32 exec_lo, exec_lo, s6
                                        ; implicit-def: $vgpr15_vgpr16
	s_and_saveexec_b32 s35, s0
	s_cbranch_execnz .LBB359_33
	s_branch .LBB359_36
.LBB359_27:                             ;   in Loop: Header=BB359_4 Depth=1
	v_add_co_u32 v19, vcc_lo, v2, v30
	s_wait_alu 0xfffd
	v_add_co_ci_u32_e64 v20, null, v3, v29, vcc_lo
	v_add_co_u32 v25, vcc_lo, v17, v21
	v_mov_b32_e32 v13, 0
	v_dual_mov_b32 v14, 0 :: v_dual_mov_b32 v15, 0
	s_wait_alu 0xfffd
	v_add_co_ci_u32_e64 v26, null, v18, v22, vcc_lo
	v_mov_b32_e32 v16, 0
	v_mov_b32_e32 v4, v0
	s_mov_b32 s42, 0
.LBB359_28:                             ;   Parent Loop BB359_4 Depth=1
                                        ; =>  This Inner Loop Header: Depth=2
	flat_load_b128 v[35:38], v[19:20] offset:-8
	flat_load_b128 v[39:42], v[25:26] offset:-8
	v_add_nc_u32_e32 v4, 0x100, v4
	v_add_co_u32 v19, vcc_lo, 0x1000, v19
	s_wait_alu 0xfffd
	v_add_co_ci_u32_e64 v20, null, 0, v20, vcc_lo
	s_delay_alu instid0(VALU_DEP_3)
	v_cmp_le_i32_e32 vcc_lo, s34, v4
	v_add_co_u32 v25, s6, v25, s30
	s_wait_alu 0xf1ff
	v_add_co_ci_u32_e64 v26, null, s31, v26, s6
	s_or_b32 s42, vcc_lo, s42
	s_wait_loadcnt_dscnt 0x0
	v_mul_f64_e32 v[43:44], v[37:38], v[41:42]
	v_mul_f64_e32 v[41:42], v[35:36], v[41:42]
	s_delay_alu instid0(VALU_DEP_2) | instskip(NEXT) | instid1(VALU_DEP_2)
	v_fma_f64 v[35:36], v[35:36], v[39:40], -v[43:44]
	v_fma_f64 v[37:38], v[37:38], v[39:40], v[41:42]
	s_delay_alu instid0(VALU_DEP_2) | instskip(NEXT) | instid1(VALU_DEP_2)
	v_add_f64_e32 v[15:16], v[15:16], v[35:36]
	v_add_f64_e32 v[13:14], v[13:14], v[37:38]
	s_and_not1_b32 exec_lo, exec_lo, s42
	s_cbranch_execnz .LBB359_28
; %bb.29:                               ;   in Loop: Header=BB359_4 Depth=1
	s_or_b32 exec_lo, exec_lo, s42
	s_wait_alu 0xfffe
	s_or_b32 exec_lo, exec_lo, s35
	s_and_saveexec_b32 s6, s5
	s_cbranch_execz .LBB359_20
.LBB359_30:                             ;   in Loop: Header=BB359_4 Depth=1
	v_add_co_u32 v2, vcc_lo, v2, v31
	s_wait_alu 0xfffd
	v_add_co_ci_u32_e64 v3, null, 0, v3, vcc_lo
	s_delay_alu instid0(VALU_DEP_2) | instskip(SKIP_1) | instid1(VALU_DEP_2)
	v_add_co_u32 v4, vcc_lo, v2, s36
	s_wait_alu 0xfffd
	v_add_co_ci_u32_e64 v19, null, s37, v3, vcc_lo
	v_add_co_u32 v2, vcc_lo, v17, v23
	s_wait_alu 0xfffd
	v_add_co_ci_u32_e64 v3, null, v18, v24, vcc_lo
	;; [unrolled: 3-line block ×3, first 2 shown]
	flat_load_b128 v[17:20], v[2:3]
	flat_load_b128 v[35:38], v[25:26]
	s_wait_loadcnt_dscnt 0x0
	v_mul_f64_e32 v[2:3], v[37:38], v[19:20]
	v_mul_f64_e32 v[19:20], v[35:36], v[19:20]
	s_delay_alu instid0(VALU_DEP_2) | instskip(NEXT) | instid1(VALU_DEP_2)
	v_fma_f64 v[2:3], v[35:36], v[17:18], -v[2:3]
	v_fma_f64 v[17:18], v[37:38], v[17:18], v[19:20]
	s_delay_alu instid0(VALU_DEP_2) | instskip(NEXT) | instid1(VALU_DEP_2)
	v_add_f64_e32 v[15:16], v[15:16], v[2:3]
	v_add_f64_e32 v[13:14], v[13:14], v[17:18]
	s_wait_alu 0xfffe
	s_or_b32 exec_lo, exec_lo, s6
	s_and_saveexec_b32 s6, s1
	s_cbranch_execnz .LBB359_21
	s_branch .LBB359_22
.LBB359_31:                             ;   in Loop: Header=BB359_4 Depth=1
	ds_load_b128 v[17:20], v27
	s_wait_alu 0xfffe
	s_or_b32 exec_lo, exec_lo, s6
	s_and_saveexec_b32 s6, s1
	s_cbranch_execz .LBB359_26
.LBB359_32:                             ;   in Loop: Header=BB359_4 Depth=1
	s_wait_dscnt 0x0
	ds_bpermute_b32 v2, v4, v17
	ds_bpermute_b32 v3, v4, v18
	ds_bpermute_b32 v13, v4, v19
	ds_bpermute_b32 v14, v4, v20
	s_wait_dscnt 0x2
	v_add_f64_e32 v[2:3], v[17:18], v[2:3]
	s_wait_dscnt 0x0
	v_add_f64_e32 v[13:14], v[19:20], v[13:14]
	ds_bpermute_b32 v15, v25, v2
	ds_bpermute_b32 v16, v25, v3
	ds_bpermute_b32 v17, v25, v13
	ds_bpermute_b32 v18, v25, v14
	s_wait_dscnt 0x2
	v_add_f64_e32 v[2:3], v[2:3], v[15:16]
	s_wait_dscnt 0x0
	v_add_f64_e32 v[13:14], v[13:14], v[17:18]
	;; [unrolled: 8-line block ×3, first 2 shown]
	s_wait_alu 0xfffe
	s_or_b32 exec_lo, exec_lo, s6
                                        ; implicit-def: $vgpr15_vgpr16
	s_and_saveexec_b32 s35, s0
	s_cbranch_execz .LBB359_36
.LBB359_33:                             ;   in Loop: Header=BB359_4 Depth=1
	s_wait_dscnt 0x0
	s_delay_alu instid0(VALU_DEP_1) | instskip(SKIP_3) | instid1(VALU_DEP_4)
	v_mul_f64_e32 v[2:3], v[11:12], v[19:20]
	v_mul_f64_e32 v[15:16], v[9:10], v[19:20]
	v_cmp_neq_f64_e32 vcc_lo, 0, v[5:6]
	v_cmp_neq_f64_e64 s6, 0, v[7:8]
	v_fma_f64 v[13:14], v[9:10], v[17:18], -v[2:3]
	s_delay_alu instid0(VALU_DEP_4)
	v_fma_f64 v[15:16], v[11:12], v[17:18], v[15:16]
	s_or_b32 s6, vcc_lo, s6
	s_wait_alu 0xfffe
	s_and_not1_b32 vcc_lo, exec_lo, s6
	s_wait_alu 0xfffe
	s_cbranch_vccnz .LBB359_35
; %bb.34:                               ;   in Loop: Header=BB359_4 Depth=1
	v_add_co_u32 v2, vcc_lo, v33, s38
	s_wait_alu 0xfffd
	v_add_co_ci_u32_e64 v3, null, s39, v34, vcc_lo
	flat_load_b128 v[9:12], v[2:3]
	s_wait_loadcnt_dscnt 0x0
	v_mul_f64_e32 v[2:3], v[7:8], v[11:12]
	v_mul_f64_e32 v[11:12], v[5:6], v[11:12]
	s_delay_alu instid0(VALU_DEP_2) | instskip(NEXT) | instid1(VALU_DEP_2)
	v_fma_f64 v[2:3], v[5:6], v[9:10], -v[2:3]
	v_fma_f64 v[4:5], v[7:8], v[9:10], v[11:12]
	s_delay_alu instid0(VALU_DEP_2) | instskip(NEXT) | instid1(VALU_DEP_2)
	v_add_f64_e32 v[13:14], v[13:14], v[2:3]
	v_add_f64_e32 v[15:16], v[15:16], v[4:5]
.LBB359_35:                             ;   in Loop: Header=BB359_4 Depth=1
	s_or_b32 s33, s33, exec_lo
.LBB359_36:                             ;   in Loop: Header=BB359_4 Depth=1
	s_wait_alu 0xfffe
	s_or_b32 exec_lo, exec_lo, s35
.LBB359_37:                             ;   in Loop: Header=BB359_4 Depth=1
	s_wait_alu 0xfffe
	s_and_saveexec_b32 s6, s33
	s_cbranch_execz .LBB359_2
; %bb.38:                               ;   in Loop: Header=BB359_4 Depth=1
	v_add_co_u32 v2, vcc_lo, v33, s38
	s_wait_alu 0xfffd
	v_add_co_ci_u32_e64 v3, null, s39, v34, vcc_lo
	flat_store_b128 v[2:3], v[13:16]
	s_branch .LBB359_2
.LBB359_39:
	s_endpgm
	.section	.rodata,"a",@progbits
	.p2align	6, 0x0
	.amdhsa_kernel _ZL32rocblas_gemvt_warp_reduce_kernelILb0ELi256ElPK19rocblas_complex_numIdES3_KPS1_EviiT3_lPKT2_lT1_lS9_lSA_lS6_lPT4_lSA_li
		.amdhsa_group_segment_fixed_size 512
		.amdhsa_private_segment_fixed_size 0
		.amdhsa_kernarg_size 140
		.amdhsa_user_sgpr_count 2
		.amdhsa_user_sgpr_dispatch_ptr 0
		.amdhsa_user_sgpr_queue_ptr 0
		.amdhsa_user_sgpr_kernarg_segment_ptr 1
		.amdhsa_user_sgpr_dispatch_id 0
		.amdhsa_user_sgpr_private_segment_size 0
		.amdhsa_wavefront_size32 1
		.amdhsa_uses_dynamic_stack 0
		.amdhsa_enable_private_segment 0
		.amdhsa_system_sgpr_workgroup_id_x 1
		.amdhsa_system_sgpr_workgroup_id_y 0
		.amdhsa_system_sgpr_workgroup_id_z 1
		.amdhsa_system_sgpr_workgroup_info 0
		.amdhsa_system_vgpr_workitem_id 0
		.amdhsa_next_free_vgpr 45
		.amdhsa_next_free_sgpr 44
		.amdhsa_reserve_vcc 1
		.amdhsa_float_round_mode_32 0
		.amdhsa_float_round_mode_16_64 0
		.amdhsa_float_denorm_mode_32 3
		.amdhsa_float_denorm_mode_16_64 3
		.amdhsa_fp16_overflow 0
		.amdhsa_workgroup_processor_mode 1
		.amdhsa_memory_ordered 1
		.amdhsa_forward_progress 1
		.amdhsa_inst_pref_size 18
		.amdhsa_round_robin_scheduling 0
		.amdhsa_exception_fp_ieee_invalid_op 0
		.amdhsa_exception_fp_denorm_src 0
		.amdhsa_exception_fp_ieee_div_zero 0
		.amdhsa_exception_fp_ieee_overflow 0
		.amdhsa_exception_fp_ieee_underflow 0
		.amdhsa_exception_fp_ieee_inexact 0
		.amdhsa_exception_int_div_zero 0
	.end_amdhsa_kernel
	.section	.text._ZL32rocblas_gemvt_warp_reduce_kernelILb0ELi256ElPK19rocblas_complex_numIdES3_KPS1_EviiT3_lPKT2_lT1_lS9_lSA_lS6_lPT4_lSA_li,"axG",@progbits,_ZL32rocblas_gemvt_warp_reduce_kernelILb0ELi256ElPK19rocblas_complex_numIdES3_KPS1_EviiT3_lPKT2_lT1_lS9_lSA_lS6_lPT4_lSA_li,comdat
.Lfunc_end359:
	.size	_ZL32rocblas_gemvt_warp_reduce_kernelILb0ELi256ElPK19rocblas_complex_numIdES3_KPS1_EviiT3_lPKT2_lT1_lS9_lSA_lS6_lPT4_lSA_li, .Lfunc_end359-_ZL32rocblas_gemvt_warp_reduce_kernelILb0ELi256ElPK19rocblas_complex_numIdES3_KPS1_EviiT3_lPKT2_lT1_lS9_lSA_lS6_lPT4_lSA_li
                                        ; -- End function
	.set _ZL32rocblas_gemvt_warp_reduce_kernelILb0ELi256ElPK19rocblas_complex_numIdES3_KPS1_EviiT3_lPKT2_lT1_lS9_lSA_lS6_lPT4_lSA_li.num_vgpr, 45
	.set _ZL32rocblas_gemvt_warp_reduce_kernelILb0ELi256ElPK19rocblas_complex_numIdES3_KPS1_EviiT3_lPKT2_lT1_lS9_lSA_lS6_lPT4_lSA_li.num_agpr, 0
	.set _ZL32rocblas_gemvt_warp_reduce_kernelILb0ELi256ElPK19rocblas_complex_numIdES3_KPS1_EviiT3_lPKT2_lT1_lS9_lSA_lS6_lPT4_lSA_li.numbered_sgpr, 44
	.set _ZL32rocblas_gemvt_warp_reduce_kernelILb0ELi256ElPK19rocblas_complex_numIdES3_KPS1_EviiT3_lPKT2_lT1_lS9_lSA_lS6_lPT4_lSA_li.num_named_barrier, 0
	.set _ZL32rocblas_gemvt_warp_reduce_kernelILb0ELi256ElPK19rocblas_complex_numIdES3_KPS1_EviiT3_lPKT2_lT1_lS9_lSA_lS6_lPT4_lSA_li.private_seg_size, 0
	.set _ZL32rocblas_gemvt_warp_reduce_kernelILb0ELi256ElPK19rocblas_complex_numIdES3_KPS1_EviiT3_lPKT2_lT1_lS9_lSA_lS6_lPT4_lSA_li.uses_vcc, 1
	.set _ZL32rocblas_gemvt_warp_reduce_kernelILb0ELi256ElPK19rocblas_complex_numIdES3_KPS1_EviiT3_lPKT2_lT1_lS9_lSA_lS6_lPT4_lSA_li.uses_flat_scratch, 0
	.set _ZL32rocblas_gemvt_warp_reduce_kernelILb0ELi256ElPK19rocblas_complex_numIdES3_KPS1_EviiT3_lPKT2_lT1_lS9_lSA_lS6_lPT4_lSA_li.has_dyn_sized_stack, 0
	.set _ZL32rocblas_gemvt_warp_reduce_kernelILb0ELi256ElPK19rocblas_complex_numIdES3_KPS1_EviiT3_lPKT2_lT1_lS9_lSA_lS6_lPT4_lSA_li.has_recursion, 0
	.set _ZL32rocblas_gemvt_warp_reduce_kernelILb0ELi256ElPK19rocblas_complex_numIdES3_KPS1_EviiT3_lPKT2_lT1_lS9_lSA_lS6_lPT4_lSA_li.has_indirect_call, 0
	.section	.AMDGPU.csdata,"",@progbits
; Kernel info:
; codeLenInByte = 2280
; TotalNumSgprs: 46
; NumVgprs: 45
; ScratchSize: 0
; MemoryBound: 0
; FloatMode: 240
; IeeeMode: 1
; LDSByteSize: 512 bytes/workgroup (compile time only)
; SGPRBlocks: 0
; VGPRBlocks: 5
; NumSGPRsForWavesPerEU: 46
; NumVGPRsForWavesPerEU: 45
; Occupancy: 16
; WaveLimiterHint : 1
; COMPUTE_PGM_RSRC2:SCRATCH_EN: 0
; COMPUTE_PGM_RSRC2:USER_SGPR: 2
; COMPUTE_PGM_RSRC2:TRAP_HANDLER: 0
; COMPUTE_PGM_RSRC2:TGID_X_EN: 1
; COMPUTE_PGM_RSRC2:TGID_Y_EN: 0
; COMPUTE_PGM_RSRC2:TGID_Z_EN: 1
; COMPUTE_PGM_RSRC2:TIDIG_COMP_CNT: 0
	.section	.text._ZL32rocblas_gemvt_warp_reduce_kernelILb0ELi256EiPK19rocblas_complex_numIdES1_KPS1_EviiT3_lPKT2_lT1_lS9_lSA_lS6_lPT4_lSA_li,"axG",@progbits,_ZL32rocblas_gemvt_warp_reduce_kernelILb0ELi256EiPK19rocblas_complex_numIdES1_KPS1_EviiT3_lPKT2_lT1_lS9_lSA_lS6_lPT4_lSA_li,comdat
	.globl	_ZL32rocblas_gemvt_warp_reduce_kernelILb0ELi256EiPK19rocblas_complex_numIdES1_KPS1_EviiT3_lPKT2_lT1_lS9_lSA_lS6_lPT4_lSA_li ; -- Begin function _ZL32rocblas_gemvt_warp_reduce_kernelILb0ELi256EiPK19rocblas_complex_numIdES1_KPS1_EviiT3_lPKT2_lT1_lS9_lSA_lS6_lPT4_lSA_li
	.p2align	8
	.type	_ZL32rocblas_gemvt_warp_reduce_kernelILb0ELi256EiPK19rocblas_complex_numIdES1_KPS1_EviiT3_lPKT2_lT1_lS9_lSA_lS6_lPT4_lSA_li,@function
_ZL32rocblas_gemvt_warp_reduce_kernelILb0ELi256EiPK19rocblas_complex_numIdES1_KPS1_EviiT3_lPKT2_lT1_lS9_lSA_lS6_lPT4_lSA_li: ; @_ZL32rocblas_gemvt_warp_reduce_kernelILb0ELi256EiPK19rocblas_complex_numIdES1_KPS1_EviiT3_lPKT2_lT1_lS9_lSA_lS6_lPT4_lSA_li
; %bb.0:
	s_load_b32 s7, s[0:1], 0x98
	s_lshr_b32 s28, ttmp7, 16
	s_wait_kmcnt 0x0
	s_cmp_ge_u32 s28, s7
	s_cbranch_scc1 .LBB360_40
; %bb.1:
	s_clause 0x8
	s_load_b128 s[8:11], s[0:1], 0x8
	s_load_b128 s[12:15], s[0:1], 0x60
	s_load_b32 s6, s[0:1], 0x0
	s_load_b128 s[16:19], s[0:1], 0x78
	s_load_b32 s4, s[0:1], 0x88
	;; [unrolled: 2-line block ×4, first 2 shown]
	v_dual_mov_b32 v1, 0 :: v_dual_and_b32 v2, 31, v0
	v_lshrrev_b32_e32 v3, 1, v0
	v_cmp_eq_u32_e64 s0, 0, v0
	v_cmp_gt_u32_e64 s1, 32, v0
	v_cmp_gt_u32_e64 s2, 8, v0
	v_cmp_eq_u32_e64 s3, 0, v2
	v_and_b32_e32 v17, 0x70, v3
	v_mbcnt_lo_u32_b32 v23, -1, 0
	s_mov_b32 s29, 0
	s_wait_kmcnt 0x0
	v_cmp_neq_f64_e64 s38, s[8:9], 0
	v_cmp_neq_f64_e64 s42, s[10:11], 0
	v_cmp_neq_f64_e64 s39, s[12:13], 1.0
	v_cmp_neq_f64_e64 s41, s[14:15], 0
	v_cmp_neq_f64_e64 s43, s[12:13], 0
	s_mul_i32 s36, s4, ttmp9
	s_ashr_i32 s4, s6, 31
	v_cmp_gt_i32_e32 vcc_lo, s6, v0
	s_lshr_b32 s30, s4, 24
	s_mul_i32 s4, s5, ttmp9
	s_add_co_i32 s5, s6, s30
	v_dual_cndmask_b32 v3, 0, v0 :: v_dual_lshlrev_b32 v16, 4, v2
	s_and_b32 s30, s5, 0xffffff00
	s_ashr_i32 s5, s4, 31
	v_or_b32_e32 v4, s30, v0
	s_lshl_b64 s[34:35], s[4:5], 4
	v_lshlrev_b32_e32 v5, 4, v3
	v_lshlrev_b32_e32 v19, 4, v3
	v_mul_lo_u32 v18, v0, s31
	v_mul_lo_u32 v2, s31, v4
	v_cmp_gt_i32_e64 s4, s30, v0
	v_add_co_u32 v5, s5, s34, v5
	s_delay_alu instid0(VALU_DEP_1) | instskip(SKIP_1) | instid1(VALU_DEP_3)
	v_add_co_ci_u32_e64 v20, null, s35, 0, s5
	v_cmp_gt_i32_e64 s5, s6, v4
	v_or_b32_e32 v21, 8, v5
	v_ashrrev_i32_e32 v3, 31, v2
	s_lshl_b32 s33, s31, 8
	s_ashr_i32 s37, s36, 31
	s_ashr_i32 s31, s30, 31
	s_lshl_b64 s[22:23], s[22:23], 4
	v_lshlrev_b64_e32 v[10:11], 4, v[2:3]
	s_lshl_b64 s[26:27], s[26:27], 4
	s_lshl_b64 s[18:19], s[18:19], 4
	;; [unrolled: 1-line block ×3, first 2 shown]
	s_or_b32 s6, s38, s42
	s_wait_alu 0xfffe
	v_cndmask_b32_e64 v22, 0, 1, s6
	s_or_b32 s40, s39, s41
	s_or_b32 s41, s43, s41
	s_xor_b32 s42, s6, -1
	s_lshl_b64 s[38:39], s[30:31], 4
	s_branch .LBB360_4
.LBB360_2:                              ;   in Loop: Header=BB360_4 Depth=1
	s_wait_alu 0xfffe
	s_or_b32 exec_lo, exec_lo, s6
.LBB360_3:                              ;   in Loop: Header=BB360_4 Depth=1
	s_add_co_i32 s28, s28, 0x10000
	s_delay_alu instid0(SALU_CYCLE_1)
	s_cmp_lt_u32 s28, s7
	s_cbranch_scc0 .LBB360_40
.LBB360_4:                              ; =>This Loop Header: Depth=1
                                        ;     Child Loop BB360_29 Depth 2
	s_and_not1_b32 vcc_lo, exec_lo, s42
	s_mov_b32 s6, s29
	s_mov_b32 s31, -1
	s_wait_alu 0xfffe
	s_cbranch_vccnz .LBB360_7
; %bb.5:                                ;   in Loop: Header=BB360_4 Depth=1
	s_mov_b32 s31, 0
	s_and_b32 vcc_lo, exec_lo, s40
	s_mov_b32 s6, 0
	s_wait_alu 0xfffe
	s_cbranch_vccz .LBB360_7
; %bb.6:                                ;   in Loop: Header=BB360_4 Depth=1
	s_mov_b32 s6, -1
.LBB360_7:                              ;   in Loop: Header=BB360_4 Depth=1
	s_wait_dscnt 0x0
	v_mov_b32_e32 v6, 0
	v_mov_b32_e32 v7, 0
	s_and_b32 vcc_lo, exec_lo, s31
	s_wait_alu 0xfffe
	s_cbranch_vccnz .LBB360_9
; %bb.8:                                ;   in Loop: Header=BB360_4 Depth=1
	s_and_not1_b32 vcc_lo, exec_lo, s6
	s_wait_alu 0xfffe
	s_cbranch_vccnz .LBB360_3
	s_branch .LBB360_10
.LBB360_9:                              ;   in Loop: Header=BB360_4 Depth=1
	s_lshl_b64 s[44:45], s[28:29], 3
	s_delay_alu instid0(SALU_CYCLE_1)
	s_add_nc_u64 s[44:45], s[20:21], s[44:45]
	global_load_b64 v[2:3], v1, s[44:45]
	s_wait_loadcnt 0x0
	v_add_co_u32 v6, vcc_lo, v2, s22
	s_wait_alu 0xfffd
	v_add_co_ci_u32_e64 v7, null, s23, v3, vcc_lo
.LBB360_10:                             ;   in Loop: Header=BB360_4 Depth=1
	v_cmp_ne_u32_e32 vcc_lo, 1, v22
	v_mov_b32_e32 v8, 0
	v_mov_b32_e32 v9, 0
	s_cbranch_vccnz .LBB360_12
; %bb.11:                               ;   in Loop: Header=BB360_4 Depth=1
	s_lshl_b64 s[44:45], s[28:29], 3
	s_delay_alu instid0(SALU_CYCLE_1)
	s_add_nc_u64 s[44:45], s[24:25], s[44:45]
	global_load_b64 v[2:3], v1, s[44:45]
	s_wait_loadcnt 0x0
	v_add_co_u32 v8, vcc_lo, v2, s26
	s_wait_alu 0xfffd
	v_add_co_ci_u32_e64 v9, null, s27, v3, vcc_lo
.LBB360_12:                             ;   in Loop: Header=BB360_4 Depth=1
	s_lshl_b64 s[44:45], s[28:29], 3
	s_delay_alu instid0(SALU_CYCLE_1)
	s_add_nc_u64 s[44:45], s[16:17], s[44:45]
	global_load_b64 v[2:3], v1, s[44:45]
	s_wait_loadcnt 0x0
	v_add_co_u32 v24, vcc_lo, v2, s18
	s_wait_alu 0xfffd
	v_add_co_ci_u32_e64 v25, null, s19, v3, vcc_lo
	s_and_not1_b32 vcc_lo, exec_lo, s42
	s_wait_alu 0xfffe
	s_cbranch_vccnz .LBB360_17
; %bb.13:                               ;   in Loop: Header=BB360_4 Depth=1
	s_mov_b32 s6, 0
	s_mov_b32 s31, 0
                                        ; implicit-def: $vgpr4_vgpr5
	s_and_saveexec_b32 s43, s0
	s_cbranch_execz .LBB360_18
; %bb.14:                               ;   in Loop: Header=BB360_4 Depth=1
	v_mov_b32_e32 v4, 0
	v_dual_mov_b32 v5, 0 :: v_dual_mov_b32 v2, 0
	v_mov_b32_e32 v3, 0
	s_and_not1_b32 vcc_lo, exec_lo, s41
	s_wait_alu 0xfffe
	s_cbranch_vccnz .LBB360_16
; %bb.15:                               ;   in Loop: Header=BB360_4 Depth=1
	v_add_co_u32 v2, vcc_lo, v24, s36
	s_wait_alu 0xfffd
	v_add_co_ci_u32_e64 v3, null, s37, v25, vcc_lo
	flat_load_b128 v[12:15], v[2:3]
	s_wait_loadcnt_dscnt 0x0
	v_mul_f64_e32 v[2:3], s[14:15], v[14:15]
	v_mul_f64_e32 v[4:5], s[12:13], v[14:15]
	s_delay_alu instid0(VALU_DEP_2) | instskip(NEXT) | instid1(VALU_DEP_2)
	v_fma_f64 v[2:3], s[12:13], v[12:13], -v[2:3]
	v_fma_f64 v[4:5], s[14:15], v[12:13], v[4:5]
.LBB360_16:                             ;   in Loop: Header=BB360_4 Depth=1
	s_mov_b32 s31, exec_lo
	s_or_b32 exec_lo, exec_lo, s43
	s_delay_alu instid0(SALU_CYCLE_1)
	s_and_b32 vcc_lo, exec_lo, s6
	s_wait_alu 0xfffe
	s_cbranch_vccnz .LBB360_19
	s_branch .LBB360_38
.LBB360_17:                             ;   in Loop: Header=BB360_4 Depth=1
	s_mov_b32 s31, 0
                                        ; implicit-def: $vgpr4_vgpr5
	s_cbranch_execnz .LBB360_19
	s_branch .LBB360_38
.LBB360_18:                             ;   in Loop: Header=BB360_4 Depth=1
	s_or_b32 exec_lo, exec_lo, s43
	s_wait_alu 0xfffe
	s_and_b32 vcc_lo, exec_lo, s6
	s_wait_alu 0xfffe
	s_cbranch_vccz .LBB360_38
.LBB360_19:                             ;   in Loop: Header=BB360_4 Depth=1
	v_mov_b32_e32 v12, 0
	v_dual_mov_b32 v13, 0 :: v_dual_mov_b32 v14, 0
	v_mov_b32_e32 v15, 0
	s_and_saveexec_b32 s43, s4
	s_cbranch_execnz .LBB360_28
; %bb.20:                               ;   in Loop: Header=BB360_4 Depth=1
	s_or_b32 exec_lo, exec_lo, s43
	s_and_saveexec_b32 s6, s5
	s_cbranch_execnz .LBB360_31
.LBB360_21:                             ;   in Loop: Header=BB360_4 Depth=1
	s_wait_alu 0xfffe
	s_or_b32 exec_lo, exec_lo, s6
	s_and_saveexec_b32 s6, s1
.LBB360_22:                             ;   in Loop: Header=BB360_4 Depth=1
	v_dual_mov_b32 v2, v1 :: v_dual_mov_b32 v3, v1
	v_mov_b32_e32 v4, v1
	ds_store_b128 v16, v[1:4]
.LBB360_23:                             ;   in Loop: Header=BB360_4 Depth=1
	s_wait_alu 0xfffe
	s_or_b32 exec_lo, exec_lo, s6
	v_lshl_or_b32 v5, v23, 2, 64
	v_cmp_gt_u32_e32 vcc_lo, 24, v23
	s_wait_dscnt 0x0
	s_barrier_signal -1
	s_barrier_wait -1
	ds_bpermute_b32 v2, v5, v14
	ds_bpermute_b32 v3, v5, v15
	;; [unrolled: 1-line block ×4, first 2 shown]
	s_wait_alu 0xfffd
	v_cndmask_b32_e64 v6, 0, 8, vcc_lo
	v_cmp_gt_u32_e32 vcc_lo, 28, v23
	s_wait_dscnt 0x0
	global_inv scope:SCOPE_SE
	v_add_lshl_u32 v9, v6, v23, 2
	v_add_f64_e32 v[2:3], v[14:15], v[2:3]
	v_add_f64_e32 v[4:5], v[12:13], v[4:5]
	ds_bpermute_b32 v6, v9, v2
	ds_bpermute_b32 v7, v9, v3
	;; [unrolled: 1-line block ×4, first 2 shown]
	s_wait_dscnt 0x2
	v_add_f64_e32 v[2:3], v[2:3], v[6:7]
	s_wait_alu 0xfffd
	v_cndmask_b32_e64 v6, 0, 4, vcc_lo
	s_wait_dscnt 0x0
	v_add_f64_e32 v[4:5], v[4:5], v[8:9]
	v_cmp_gt_u32_e32 vcc_lo, 30, v23
	s_delay_alu instid0(VALU_DEP_3)
	v_add_lshl_u32 v12, v6, v23, 2
	ds_bpermute_b32 v6, v12, v2
	ds_bpermute_b32 v7, v12, v3
	;; [unrolled: 1-line block ×4, first 2 shown]
	s_wait_dscnt 0x2
	v_add_f64_e32 v[2:3], v[2:3], v[6:7]
	s_wait_alu 0xfffd
	v_cndmask_b32_e64 v6, 0, 2, vcc_lo
	s_wait_dscnt 0x0
	v_add_f64_e32 v[4:5], v[4:5], v[8:9]
	v_cmp_ne_u32_e32 vcc_lo, 31, v23
	s_delay_alu instid0(VALU_DEP_3)
	v_add_lshl_u32 v13, v6, v23, 2
	ds_bpermute_b32 v6, v13, v2
	ds_bpermute_b32 v7, v13, v3
	;; [unrolled: 1-line block ×4, first 2 shown]
	s_wait_dscnt 0x2
	v_add_f64_e32 v[2:3], v[2:3], v[6:7]
	s_wait_alu 0xfffd
	v_add_co_ci_u32_e64 v6, null, 0, v23, vcc_lo
	s_wait_dscnt 0x0
	v_add_f64_e32 v[4:5], v[4:5], v[8:9]
	s_delay_alu instid0(VALU_DEP_2)
	v_lshlrev_b32_e32 v14, 2, v6
	ds_bpermute_b32 v6, v14, v2
	ds_bpermute_b32 v7, v14, v3
	;; [unrolled: 1-line block ×4, first 2 shown]
	s_and_saveexec_b32 s6, s3
	s_cbranch_execz .LBB360_25
; %bb.24:                               ;   in Loop: Header=BB360_4 Depth=1
	s_wait_dscnt 0x0
	v_add_f64_e32 v[4:5], v[4:5], v[8:9]
	v_add_f64_e32 v[2:3], v[2:3], v[6:7]
	ds_store_b128 v17, v[2:5]
.LBB360_25:                             ;   in Loop: Header=BB360_4 Depth=1
	s_wait_alu 0xfffe
	s_or_b32 exec_lo, exec_lo, s6
	s_wait_dscnt 0x0
	v_mov_b32_e32 v8, 0
	v_dual_mov_b32 v9, 0 :: v_dual_mov_b32 v6, 0
	v_mov_b32_e32 v7, 0
	s_wait_loadcnt 0x0
	s_barrier_signal -1
	s_barrier_wait -1
	global_inv scope:SCOPE_SE
	s_and_saveexec_b32 s6, s2
	s_cbranch_execnz .LBB360_32
; %bb.26:                               ;   in Loop: Header=BB360_4 Depth=1
	s_wait_alu 0xfffe
	s_or_b32 exec_lo, exec_lo, s6
	s_and_saveexec_b32 s6, s1
	s_cbranch_execnz .LBB360_33
.LBB360_27:                             ;   in Loop: Header=BB360_4 Depth=1
	s_wait_alu 0xfffe
	s_or_b32 exec_lo, exec_lo, s6
                                        ; implicit-def: $vgpr4_vgpr5
	s_and_saveexec_b32 s6, s0
	s_cbranch_execnz .LBB360_34
	s_branch .LBB360_37
.LBB360_28:                             ;   in Loop: Header=BB360_4 Depth=1
	v_add_co_u32 v2, vcc_lo, v6, v21
	v_mov_b32_e32 v12, 0
	v_mov_b32_e32 v14, 0
	s_wait_alu 0xfffd
	v_add_co_ci_u32_e64 v3, null, v7, v20, vcc_lo
	v_dual_mov_b32 v13, 0 :: v_dual_mov_b32 v4, v18
	v_dual_mov_b32 v15, 0 :: v_dual_mov_b32 v26, v0
	s_mov_b32 s44, 0
.LBB360_29:                             ;   Parent Loop BB360_4 Depth=1
                                        ; =>  This Inner Loop Header: Depth=2
	s_delay_alu instid0(VALU_DEP_2) | instskip(NEXT) | instid1(VALU_DEP_2)
	v_ashrrev_i32_e32 v5, 31, v4
	v_add_nc_u32_e32 v26, 0x100, v26
	s_delay_alu instid0(VALU_DEP_2) | instskip(NEXT) | instid1(VALU_DEP_2)
	v_lshlrev_b64_e32 v[27:28], 4, v[4:5]
	v_cmp_le_i32_e64 s6, s30, v26
	v_add_nc_u32_e32 v4, s33, v4
	s_or_b32 s44, s6, s44
	v_add_co_u32 v31, vcc_lo, v8, v27
	s_wait_alu 0xfffd
	v_add_co_ci_u32_e64 v32, null, v9, v28, vcc_lo
	flat_load_b128 v[27:30], v[2:3] offset:-8
	flat_load_b128 v[31:34], v[31:32]
	v_add_co_u32 v2, vcc_lo, 0x1000, v2
	s_wait_alu 0xfffd
	v_add_co_ci_u32_e64 v3, null, 0, v3, vcc_lo
	s_wait_loadcnt_dscnt 0x0
	v_mul_f64_e32 v[35:36], v[29:30], v[33:34]
	v_mul_f64_e32 v[33:34], v[27:28], v[33:34]
	s_delay_alu instid0(VALU_DEP_2) | instskip(NEXT) | instid1(VALU_DEP_2)
	v_fma_f64 v[27:28], v[27:28], v[31:32], -v[35:36]
	v_fma_f64 v[29:30], v[29:30], v[31:32], v[33:34]
	s_delay_alu instid0(VALU_DEP_2) | instskip(NEXT) | instid1(VALU_DEP_2)
	v_add_f64_e32 v[14:15], v[14:15], v[27:28]
	v_add_f64_e32 v[12:13], v[12:13], v[29:30]
	s_and_not1_b32 exec_lo, exec_lo, s44
	s_cbranch_execnz .LBB360_29
; %bb.30:                               ;   in Loop: Header=BB360_4 Depth=1
	s_or_b32 exec_lo, exec_lo, s44
	s_delay_alu instid0(SALU_CYCLE_1)
	s_or_b32 exec_lo, exec_lo, s43
	s_and_saveexec_b32 s6, s5
	s_cbranch_execz .LBB360_21
.LBB360_31:                             ;   in Loop: Header=BB360_4 Depth=1
	v_add_co_u32 v2, vcc_lo, v6, v19
	s_wait_alu 0xfffd
	v_add_co_ci_u32_e64 v3, null, 0, v7, vcc_lo
	s_delay_alu instid0(VALU_DEP_2) | instskip(SKIP_1) | instid1(VALU_DEP_2)
	v_add_co_u32 v4, vcc_lo, v2, s34
	s_wait_alu 0xfffd
	v_add_co_ci_u32_e64 v5, null, s35, v3, vcc_lo
	v_add_co_u32 v2, vcc_lo, v8, v10
	s_wait_alu 0xfffd
	v_add_co_ci_u32_e64 v3, null, v9, v11, vcc_lo
	v_add_co_u32 v6, vcc_lo, v4, s38
	s_wait_alu 0xfffd
	v_add_co_ci_u32_e64 v7, null, s39, v5, vcc_lo
	flat_load_b128 v[2:5], v[2:3]
	flat_load_b128 v[6:9], v[6:7]
	s_wait_loadcnt_dscnt 0x0
	v_mul_f64_e32 v[26:27], v[8:9], v[4:5]
	v_mul_f64_e32 v[4:5], v[6:7], v[4:5]
	s_delay_alu instid0(VALU_DEP_2) | instskip(NEXT) | instid1(VALU_DEP_2)
	v_fma_f64 v[6:7], v[6:7], v[2:3], -v[26:27]
	v_fma_f64 v[2:3], v[8:9], v[2:3], v[4:5]
	s_delay_alu instid0(VALU_DEP_2) | instskip(NEXT) | instid1(VALU_DEP_2)
	v_add_f64_e32 v[14:15], v[14:15], v[6:7]
	v_add_f64_e32 v[12:13], v[12:13], v[2:3]
	s_wait_alu 0xfffe
	s_or_b32 exec_lo, exec_lo, s6
	s_and_saveexec_b32 s6, s1
	s_cbranch_execnz .LBB360_22
	s_branch .LBB360_23
.LBB360_32:                             ;   in Loop: Header=BB360_4 Depth=1
	ds_load_b128 v[6:9], v16
	s_wait_alu 0xfffe
	s_or_b32 exec_lo, exec_lo, s6
	s_and_saveexec_b32 s6, s1
	s_cbranch_execz .LBB360_27
.LBB360_33:                             ;   in Loop: Header=BB360_4 Depth=1
	s_wait_dscnt 0x0
	ds_bpermute_b32 v2, v12, v6
	ds_bpermute_b32 v3, v12, v7
	ds_bpermute_b32 v4, v12, v8
	ds_bpermute_b32 v5, v12, v9
	s_wait_dscnt 0x2
	v_add_f64_e32 v[2:3], v[6:7], v[2:3]
	s_wait_dscnt 0x0
	v_add_f64_e32 v[4:5], v[8:9], v[4:5]
	ds_bpermute_b32 v6, v13, v2
	ds_bpermute_b32 v7, v13, v3
	ds_bpermute_b32 v8, v13, v4
	ds_bpermute_b32 v9, v13, v5
	s_wait_dscnt 0x2
	v_add_f64_e32 v[2:3], v[2:3], v[6:7]
	s_wait_dscnt 0x0
	v_add_f64_e32 v[4:5], v[4:5], v[8:9]
	;; [unrolled: 8-line block ×3, first 2 shown]
	s_wait_alu 0xfffe
	s_or_b32 exec_lo, exec_lo, s6
                                        ; implicit-def: $vgpr4_vgpr5
	s_and_saveexec_b32 s6, s0
	s_cbranch_execz .LBB360_37
.LBB360_34:                             ;   in Loop: Header=BB360_4 Depth=1
	s_wait_dscnt 0x0
	s_delay_alu instid0(VALU_DEP_1) | instskip(SKIP_2) | instid1(VALU_DEP_2)
	v_mul_f64_e32 v[2:3], s[10:11], v[8:9]
	v_mul_f64_e32 v[4:5], s[8:9], v[8:9]
	s_and_not1_b32 vcc_lo, exec_lo, s41
	v_fma_f64 v[2:3], s[8:9], v[6:7], -v[2:3]
	s_delay_alu instid0(VALU_DEP_2)
	v_fma_f64 v[4:5], s[10:11], v[6:7], v[4:5]
	s_wait_alu 0xfffe
	s_cbranch_vccnz .LBB360_36
; %bb.35:                               ;   in Loop: Header=BB360_4 Depth=1
	v_add_co_u32 v6, vcc_lo, v24, s36
	s_wait_alu 0xfffd
	v_add_co_ci_u32_e64 v7, null, s37, v25, vcc_lo
	flat_load_b128 v[6:9], v[6:7]
	s_wait_loadcnt_dscnt 0x0
	v_mul_f64_e32 v[12:13], s[14:15], v[8:9]
	v_mul_f64_e32 v[8:9], s[12:13], v[8:9]
	s_delay_alu instid0(VALU_DEP_2) | instskip(NEXT) | instid1(VALU_DEP_2)
	v_fma_f64 v[12:13], s[12:13], v[6:7], -v[12:13]
	v_fma_f64 v[6:7], s[14:15], v[6:7], v[8:9]
	s_delay_alu instid0(VALU_DEP_2) | instskip(NEXT) | instid1(VALU_DEP_2)
	v_add_f64_e32 v[2:3], v[2:3], v[12:13]
	v_add_f64_e32 v[4:5], v[4:5], v[6:7]
.LBB360_36:                             ;   in Loop: Header=BB360_4 Depth=1
	s_or_b32 s31, s31, exec_lo
.LBB360_37:                             ;   in Loop: Header=BB360_4 Depth=1
	s_wait_alu 0xfffe
	s_or_b32 exec_lo, exec_lo, s6
.LBB360_38:                             ;   in Loop: Header=BB360_4 Depth=1
	s_wait_alu 0xfffe
	s_and_saveexec_b32 s6, s31
	s_cbranch_execz .LBB360_2
; %bb.39:                               ;   in Loop: Header=BB360_4 Depth=1
	s_wait_dscnt 0x0
	v_add_co_u32 v6, vcc_lo, v24, s36
	s_wait_alu 0xfffd
	v_add_co_ci_u32_e64 v7, null, s37, v25, vcc_lo
	flat_store_b128 v[6:7], v[2:5]
	s_branch .LBB360_2
.LBB360_40:
	s_endpgm
	.section	.rodata,"a",@progbits
	.p2align	6, 0x0
	.amdhsa_kernel _ZL32rocblas_gemvt_warp_reduce_kernelILb0ELi256EiPK19rocblas_complex_numIdES1_KPS1_EviiT3_lPKT2_lT1_lS9_lSA_lS6_lPT4_lSA_li
		.amdhsa_group_segment_fixed_size 512
		.amdhsa_private_segment_fixed_size 0
		.amdhsa_kernarg_size 156
		.amdhsa_user_sgpr_count 2
		.amdhsa_user_sgpr_dispatch_ptr 0
		.amdhsa_user_sgpr_queue_ptr 0
		.amdhsa_user_sgpr_kernarg_segment_ptr 1
		.amdhsa_user_sgpr_dispatch_id 0
		.amdhsa_user_sgpr_private_segment_size 0
		.amdhsa_wavefront_size32 1
		.amdhsa_uses_dynamic_stack 0
		.amdhsa_enable_private_segment 0
		.amdhsa_system_sgpr_workgroup_id_x 1
		.amdhsa_system_sgpr_workgroup_id_y 0
		.amdhsa_system_sgpr_workgroup_id_z 1
		.amdhsa_system_sgpr_workgroup_info 0
		.amdhsa_system_vgpr_workitem_id 0
		.amdhsa_next_free_vgpr 37
		.amdhsa_next_free_sgpr 46
		.amdhsa_reserve_vcc 1
		.amdhsa_float_round_mode_32 0
		.amdhsa_float_round_mode_16_64 0
		.amdhsa_float_denorm_mode_32 3
		.amdhsa_float_denorm_mode_16_64 3
		.amdhsa_fp16_overflow 0
		.amdhsa_workgroup_processor_mode 1
		.amdhsa_memory_ordered 1
		.amdhsa_forward_progress 1
		.amdhsa_inst_pref_size 18
		.amdhsa_round_robin_scheduling 0
		.amdhsa_exception_fp_ieee_invalid_op 0
		.amdhsa_exception_fp_denorm_src 0
		.amdhsa_exception_fp_ieee_div_zero 0
		.amdhsa_exception_fp_ieee_overflow 0
		.amdhsa_exception_fp_ieee_underflow 0
		.amdhsa_exception_fp_ieee_inexact 0
		.amdhsa_exception_int_div_zero 0
	.end_amdhsa_kernel
	.section	.text._ZL32rocblas_gemvt_warp_reduce_kernelILb0ELi256EiPK19rocblas_complex_numIdES1_KPS1_EviiT3_lPKT2_lT1_lS9_lSA_lS6_lPT4_lSA_li,"axG",@progbits,_ZL32rocblas_gemvt_warp_reduce_kernelILb0ELi256EiPK19rocblas_complex_numIdES1_KPS1_EviiT3_lPKT2_lT1_lS9_lSA_lS6_lPT4_lSA_li,comdat
.Lfunc_end360:
	.size	_ZL32rocblas_gemvt_warp_reduce_kernelILb0ELi256EiPK19rocblas_complex_numIdES1_KPS1_EviiT3_lPKT2_lT1_lS9_lSA_lS6_lPT4_lSA_li, .Lfunc_end360-_ZL32rocblas_gemvt_warp_reduce_kernelILb0ELi256EiPK19rocblas_complex_numIdES1_KPS1_EviiT3_lPKT2_lT1_lS9_lSA_lS6_lPT4_lSA_li
                                        ; -- End function
	.set _ZL32rocblas_gemvt_warp_reduce_kernelILb0ELi256EiPK19rocblas_complex_numIdES1_KPS1_EviiT3_lPKT2_lT1_lS9_lSA_lS6_lPT4_lSA_li.num_vgpr, 37
	.set _ZL32rocblas_gemvt_warp_reduce_kernelILb0ELi256EiPK19rocblas_complex_numIdES1_KPS1_EviiT3_lPKT2_lT1_lS9_lSA_lS6_lPT4_lSA_li.num_agpr, 0
	.set _ZL32rocblas_gemvt_warp_reduce_kernelILb0ELi256EiPK19rocblas_complex_numIdES1_KPS1_EviiT3_lPKT2_lT1_lS9_lSA_lS6_lPT4_lSA_li.numbered_sgpr, 46
	.set _ZL32rocblas_gemvt_warp_reduce_kernelILb0ELi256EiPK19rocblas_complex_numIdES1_KPS1_EviiT3_lPKT2_lT1_lS9_lSA_lS6_lPT4_lSA_li.num_named_barrier, 0
	.set _ZL32rocblas_gemvt_warp_reduce_kernelILb0ELi256EiPK19rocblas_complex_numIdES1_KPS1_EviiT3_lPKT2_lT1_lS9_lSA_lS6_lPT4_lSA_li.private_seg_size, 0
	.set _ZL32rocblas_gemvt_warp_reduce_kernelILb0ELi256EiPK19rocblas_complex_numIdES1_KPS1_EviiT3_lPKT2_lT1_lS9_lSA_lS6_lPT4_lSA_li.uses_vcc, 1
	.set _ZL32rocblas_gemvt_warp_reduce_kernelILb0ELi256EiPK19rocblas_complex_numIdES1_KPS1_EviiT3_lPKT2_lT1_lS9_lSA_lS6_lPT4_lSA_li.uses_flat_scratch, 0
	.set _ZL32rocblas_gemvt_warp_reduce_kernelILb0ELi256EiPK19rocblas_complex_numIdES1_KPS1_EviiT3_lPKT2_lT1_lS9_lSA_lS6_lPT4_lSA_li.has_dyn_sized_stack, 0
	.set _ZL32rocblas_gemvt_warp_reduce_kernelILb0ELi256EiPK19rocblas_complex_numIdES1_KPS1_EviiT3_lPKT2_lT1_lS9_lSA_lS6_lPT4_lSA_li.has_recursion, 0
	.set _ZL32rocblas_gemvt_warp_reduce_kernelILb0ELi256EiPK19rocblas_complex_numIdES1_KPS1_EviiT3_lPKT2_lT1_lS9_lSA_lS6_lPT4_lSA_li.has_indirect_call, 0
	.section	.AMDGPU.csdata,"",@progbits
; Kernel info:
; codeLenInByte = 2184
; TotalNumSgprs: 48
; NumVgprs: 37
; ScratchSize: 0
; MemoryBound: 0
; FloatMode: 240
; IeeeMode: 1
; LDSByteSize: 512 bytes/workgroup (compile time only)
; SGPRBlocks: 0
; VGPRBlocks: 4
; NumSGPRsForWavesPerEU: 48
; NumVGPRsForWavesPerEU: 37
; Occupancy: 16
; WaveLimiterHint : 1
; COMPUTE_PGM_RSRC2:SCRATCH_EN: 0
; COMPUTE_PGM_RSRC2:USER_SGPR: 2
; COMPUTE_PGM_RSRC2:TRAP_HANDLER: 0
; COMPUTE_PGM_RSRC2:TGID_X_EN: 1
; COMPUTE_PGM_RSRC2:TGID_Y_EN: 0
; COMPUTE_PGM_RSRC2:TGID_Z_EN: 1
; COMPUTE_PGM_RSRC2:TIDIG_COMP_CNT: 0
	.section	.text._ZL32rocblas_gemvt_warp_reduce_kernelILb0ELi256ElPK19rocblas_complex_numIdES1_KPS1_EviiT3_lPKT2_lT1_lS9_lSA_lS6_lPT4_lSA_li,"axG",@progbits,_ZL32rocblas_gemvt_warp_reduce_kernelILb0ELi256ElPK19rocblas_complex_numIdES1_KPS1_EviiT3_lPKT2_lT1_lS9_lSA_lS6_lPT4_lSA_li,comdat
	.globl	_ZL32rocblas_gemvt_warp_reduce_kernelILb0ELi256ElPK19rocblas_complex_numIdES1_KPS1_EviiT3_lPKT2_lT1_lS9_lSA_lS6_lPT4_lSA_li ; -- Begin function _ZL32rocblas_gemvt_warp_reduce_kernelILb0ELi256ElPK19rocblas_complex_numIdES1_KPS1_EviiT3_lPKT2_lT1_lS9_lSA_lS6_lPT4_lSA_li
	.p2align	8
	.type	_ZL32rocblas_gemvt_warp_reduce_kernelILb0ELi256ElPK19rocblas_complex_numIdES1_KPS1_EviiT3_lPKT2_lT1_lS9_lSA_lS6_lPT4_lSA_li,@function
_ZL32rocblas_gemvt_warp_reduce_kernelILb0ELi256ElPK19rocblas_complex_numIdES1_KPS1_EviiT3_lPKT2_lT1_lS9_lSA_lS6_lPT4_lSA_li: ; @_ZL32rocblas_gemvt_warp_reduce_kernelILb0ELi256ElPK19rocblas_complex_numIdES1_KPS1_EviiT3_lPKT2_lT1_lS9_lSA_lS6_lPT4_lSA_li
; %bb.0:
	s_load_b32 s7, s[0:1], 0x98
	s_lshr_b32 s28, ttmp7, 16
	s_wait_kmcnt 0x0
	s_cmp_ge_u32 s28, s7
	s_cbranch_scc1 .LBB361_40
; %bb.1:
	s_clause 0x8
	s_load_b128 s[8:11], s[0:1], 0x60
	s_load_b128 s[12:15], s[0:1], 0x8
	s_load_b32 s6, s[0:1], 0x0
	s_load_b128 s[16:19], s[0:1], 0x78
	s_load_b64 s[36:37], s[0:1], 0x50
	s_load_b128 s[20:23], s[0:1], 0x20
	s_load_b64 s[30:31], s[0:1], 0x30
	s_load_b64 s[34:35], s[0:1], 0x88
	s_load_b128 s[24:27], s[0:1], 0x40
	s_mov_b32 s4, ttmp9
	s_ashr_i32 s5, ttmp9, 31
	v_dual_mov_b32 v1, 0 :: v_dual_and_b32 v2, 31, v0
	v_lshrrev_b32_e32 v4, 1, v0
	v_cmp_eq_u32_e64 s0, 0, v0
	v_cmp_gt_u32_e64 s1, 32, v0
	s_delay_alu instid0(VALU_DEP_4)
	v_lshlrev_b32_e32 v18, 4, v2
	v_cmp_eq_u32_e64 s3, 0, v2
	v_and_b32_e32 v19, 0x70, v4
	v_cmp_gt_u32_e64 s2, 8, v0
	s_wait_kmcnt 0x0
	v_cmp_neq_f64_e64 s33, s[8:9], 1.0
	v_cmp_neq_f64_e64 s40, s[12:13], 0
	v_cmp_neq_f64_e64 s42, s[14:15], 0
	;; [unrolled: 1-line block ×4, first 2 shown]
	v_mad_co_u64_u32 v[2:3], null, s36, v0, 0
	s_mul_u64 s[38:39], s[34:35], s[4:5]
	s_ashr_i32 s34, s6, 31
	s_mul_u64 s[4:5], s[30:31], s[4:5]
	s_lshr_b32 s34, s34, 24
	v_cmp_gt_i32_e32 vcc_lo, s6, v0
	s_add_co_i32 s34, s6, s34
	v_mad_co_u64_u32 v[3:4], null, s37, v0, v[3:4]
	s_and_b32 s30, s34, 0xffffff00
	v_cndmask_b32_e32 v6, 0, v0, vcc_lo
	v_or_b32_e32 v7, s30, v0
	s_ashr_i32 s31, s30, 31
	s_lshl_b64 s[34:35], s[4:5], 4
	s_wait_alu 0xfffe
	s_mul_i32 s44, s36, s31
	v_lshlrev_b32_e32 v8, 4, v6
	v_mul_lo_u32 v9, s37, v7
	v_mad_co_u64_u32 v[4:5], null, s36, v7, 0
	v_lshlrev_b64_e32 v[10:11], 4, v[2:3]
	s_delay_alu instid0(VALU_DEP_4) | instskip(NEXT) | instid1(VALU_DEP_1)
	v_add_co_u32 v8, s5, s34, v8
	v_add_co_ci_u32_e64 v20, null, s35, 0, s5
	v_cmp_gt_i32_e64 s5, s6, v7
	v_add3_u32 v5, v5, s44, v9
	v_cmp_gt_i32_e64 s4, s30, v0
	v_or_b32_e32 v21, 8, v8
	v_or_b32_e32 v10, 8, v10
	v_lshlrev_b32_e32 v23, 4, v6
	v_lshlrev_b64_e32 v[12:13], 4, v[4:5]
	v_mbcnt_lo_u32_b32 v24, -1, 0
	s_mov_b32 s29, 0
	s_lshl_b64 s[36:37], s[36:37], 12
	s_or_b32 s6, s40, s42
	s_or_b32 s33, s33, s41
	s_wait_alu 0xfffe
	v_cndmask_b32_e64 v22, 0, 1, s6
	s_xor_b32 s40, s6, -1
	s_lshl_b64 s[22:23], s[22:23], 4
	s_or_b32 s41, s43, s41
	s_lshl_b64 s[26:27], s[26:27], 4
	s_lshl_b64 s[18:19], s[18:19], 4
	;; [unrolled: 1-line block ×3, first 2 shown]
	s_branch .LBB361_4
.LBB361_2:                              ;   in Loop: Header=BB361_4 Depth=1
	s_wait_alu 0xfffe
	s_or_b32 exec_lo, exec_lo, s6
.LBB361_3:                              ;   in Loop: Header=BB361_4 Depth=1
	s_add_co_i32 s28, s28, 0x10000
	s_delay_alu instid0(SALU_CYCLE_1)
	s_cmp_lt_u32 s28, s7
	s_cbranch_scc0 .LBB361_40
.LBB361_4:                              ; =>This Loop Header: Depth=1
                                        ;     Child Loop BB361_29 Depth 2
	s_and_not1_b32 vcc_lo, exec_lo, s40
	s_mov_b32 s6, s29
	s_mov_b32 s42, -1
	s_wait_alu 0xfffe
	s_cbranch_vccnz .LBB361_7
; %bb.5:                                ;   in Loop: Header=BB361_4 Depth=1
	s_mov_b32 s42, 0
	s_and_b32 vcc_lo, exec_lo, s33
	s_mov_b32 s6, 0
	s_wait_alu 0xfffe
	s_cbranch_vccz .LBB361_7
; %bb.6:                                ;   in Loop: Header=BB361_4 Depth=1
	s_mov_b32 s6, -1
.LBB361_7:                              ;   in Loop: Header=BB361_4 Depth=1
	s_wait_dscnt 0x0
	v_mov_b32_e32 v6, 0
	v_mov_b32_e32 v7, 0
	s_and_b32 vcc_lo, exec_lo, s42
	s_wait_alu 0xfffe
	s_cbranch_vccnz .LBB361_9
; %bb.8:                                ;   in Loop: Header=BB361_4 Depth=1
	s_and_not1_b32 vcc_lo, exec_lo, s6
	s_wait_alu 0xfffe
	s_cbranch_vccnz .LBB361_3
	s_branch .LBB361_10
.LBB361_9:                              ;   in Loop: Header=BB361_4 Depth=1
	s_lshl_b64 s[42:43], s[28:29], 3
	s_delay_alu instid0(SALU_CYCLE_1)
	s_add_nc_u64 s[42:43], s[20:21], s[42:43]
	global_load_b64 v[2:3], v1, s[42:43]
	s_wait_loadcnt 0x0
	v_add_co_u32 v6, vcc_lo, v2, s22
	s_wait_alu 0xfffd
	v_add_co_ci_u32_e64 v7, null, s23, v3, vcc_lo
.LBB361_10:                             ;   in Loop: Header=BB361_4 Depth=1
	v_cmp_ne_u32_e32 vcc_lo, 1, v22
	v_mov_b32_e32 v8, 0
	v_mov_b32_e32 v9, 0
	s_cbranch_vccnz .LBB361_12
; %bb.11:                               ;   in Loop: Header=BB361_4 Depth=1
	s_lshl_b64 s[42:43], s[28:29], 3
	s_delay_alu instid0(SALU_CYCLE_1)
	s_add_nc_u64 s[42:43], s[24:25], s[42:43]
	global_load_b64 v[2:3], v1, s[42:43]
	s_wait_loadcnt 0x0
	v_add_co_u32 v8, vcc_lo, v2, s26
	s_wait_alu 0xfffd
	v_add_co_ci_u32_e64 v9, null, s27, v3, vcc_lo
.LBB361_12:                             ;   in Loop: Header=BB361_4 Depth=1
	s_lshl_b64 s[42:43], s[28:29], 3
	s_delay_alu instid0(SALU_CYCLE_1)
	s_add_nc_u64 s[42:43], s[16:17], s[42:43]
	global_load_b64 v[2:3], v1, s[42:43]
	s_wait_loadcnt 0x0
	v_add_co_u32 v25, vcc_lo, v2, s18
	s_wait_alu 0xfffd
	v_add_co_ci_u32_e64 v26, null, s19, v3, vcc_lo
	s_and_not1_b32 vcc_lo, exec_lo, s40
	s_wait_alu 0xfffe
	s_cbranch_vccnz .LBB361_17
; %bb.13:                               ;   in Loop: Header=BB361_4 Depth=1
	s_mov_b32 s6, 0
	s_mov_b32 s42, 0
                                        ; implicit-def: $vgpr4_vgpr5
	s_and_saveexec_b32 s43, s0
	s_cbranch_execz .LBB361_18
; %bb.14:                               ;   in Loop: Header=BB361_4 Depth=1
	v_mov_b32_e32 v4, 0
	v_dual_mov_b32 v5, 0 :: v_dual_mov_b32 v2, 0
	v_mov_b32_e32 v3, 0
	s_and_not1_b32 vcc_lo, exec_lo, s41
	s_wait_alu 0xfffe
	s_cbranch_vccnz .LBB361_16
; %bb.15:                               ;   in Loop: Header=BB361_4 Depth=1
	v_add_co_u32 v2, vcc_lo, v25, s38
	s_wait_alu 0xfffd
	v_add_co_ci_u32_e64 v3, null, s39, v26, vcc_lo
	flat_load_b128 v[14:17], v[2:3]
	s_wait_loadcnt_dscnt 0x0
	v_mul_f64_e32 v[2:3], s[10:11], v[16:17]
	v_mul_f64_e32 v[4:5], s[8:9], v[16:17]
	s_delay_alu instid0(VALU_DEP_2) | instskip(NEXT) | instid1(VALU_DEP_2)
	v_fma_f64 v[2:3], s[8:9], v[14:15], -v[2:3]
	v_fma_f64 v[4:5], s[10:11], v[14:15], v[4:5]
.LBB361_16:                             ;   in Loop: Header=BB361_4 Depth=1
	s_mov_b32 s42, exec_lo
	s_or_b32 exec_lo, exec_lo, s43
	s_delay_alu instid0(SALU_CYCLE_1)
	s_and_b32 vcc_lo, exec_lo, s6
	s_wait_alu 0xfffe
	s_cbranch_vccnz .LBB361_19
	s_branch .LBB361_38
.LBB361_17:                             ;   in Loop: Header=BB361_4 Depth=1
	s_mov_b32 s42, 0
                                        ; implicit-def: $vgpr4_vgpr5
	s_cbranch_execnz .LBB361_19
	s_branch .LBB361_38
.LBB361_18:                             ;   in Loop: Header=BB361_4 Depth=1
	s_or_b32 exec_lo, exec_lo, s43
	s_wait_alu 0xfffe
	s_and_b32 vcc_lo, exec_lo, s6
	s_wait_alu 0xfffe
	s_cbranch_vccz .LBB361_38
.LBB361_19:                             ;   in Loop: Header=BB361_4 Depth=1
	v_mov_b32_e32 v14, 0
	v_dual_mov_b32 v15, 0 :: v_dual_mov_b32 v16, 0
	v_mov_b32_e32 v17, 0
	s_and_saveexec_b32 s43, s4
	s_cbranch_execnz .LBB361_28
; %bb.20:                               ;   in Loop: Header=BB361_4 Depth=1
	s_or_b32 exec_lo, exec_lo, s43
	s_and_saveexec_b32 s6, s5
	s_cbranch_execnz .LBB361_31
.LBB361_21:                             ;   in Loop: Header=BB361_4 Depth=1
	s_wait_alu 0xfffe
	s_or_b32 exec_lo, exec_lo, s6
	s_and_saveexec_b32 s6, s1
.LBB361_22:                             ;   in Loop: Header=BB361_4 Depth=1
	v_dual_mov_b32 v2, v1 :: v_dual_mov_b32 v3, v1
	v_mov_b32_e32 v4, v1
	ds_store_b128 v18, v[1:4]
.LBB361_23:                             ;   in Loop: Header=BB361_4 Depth=1
	s_wait_alu 0xfffe
	s_or_b32 exec_lo, exec_lo, s6
	v_lshl_or_b32 v5, v24, 2, 64
	v_cmp_gt_u32_e32 vcc_lo, 24, v24
	s_wait_dscnt 0x0
	s_barrier_signal -1
	s_barrier_wait -1
	ds_bpermute_b32 v2, v5, v16
	ds_bpermute_b32 v3, v5, v17
	;; [unrolled: 1-line block ×4, first 2 shown]
	s_wait_alu 0xfffd
	v_cndmask_b32_e64 v6, 0, 8, vcc_lo
	v_cmp_gt_u32_e32 vcc_lo, 28, v24
	s_wait_dscnt 0x0
	global_inv scope:SCOPE_SE
	v_add_lshl_u32 v9, v6, v24, 2
	v_add_f64_e32 v[2:3], v[16:17], v[2:3]
	v_add_f64_e32 v[4:5], v[14:15], v[4:5]
	ds_bpermute_b32 v6, v9, v2
	ds_bpermute_b32 v7, v9, v3
	ds_bpermute_b32 v8, v9, v4
	ds_bpermute_b32 v9, v9, v5
	s_wait_dscnt 0x2
	v_add_f64_e32 v[2:3], v[2:3], v[6:7]
	s_wait_alu 0xfffd
	v_cndmask_b32_e64 v6, 0, 4, vcc_lo
	s_wait_dscnt 0x0
	v_add_f64_e32 v[4:5], v[4:5], v[8:9]
	v_cmp_gt_u32_e32 vcc_lo, 30, v24
	s_delay_alu instid0(VALU_DEP_3)
	v_add_lshl_u32 v14, v6, v24, 2
	ds_bpermute_b32 v6, v14, v2
	ds_bpermute_b32 v7, v14, v3
	;; [unrolled: 1-line block ×4, first 2 shown]
	s_wait_dscnt 0x2
	v_add_f64_e32 v[2:3], v[2:3], v[6:7]
	s_wait_alu 0xfffd
	v_cndmask_b32_e64 v6, 0, 2, vcc_lo
	s_wait_dscnt 0x0
	v_add_f64_e32 v[4:5], v[4:5], v[8:9]
	v_cmp_ne_u32_e32 vcc_lo, 31, v24
	s_delay_alu instid0(VALU_DEP_3)
	v_add_lshl_u32 v15, v6, v24, 2
	ds_bpermute_b32 v6, v15, v2
	ds_bpermute_b32 v7, v15, v3
	;; [unrolled: 1-line block ×4, first 2 shown]
	s_wait_dscnt 0x2
	v_add_f64_e32 v[2:3], v[2:3], v[6:7]
	s_wait_alu 0xfffd
	v_add_co_ci_u32_e64 v6, null, 0, v24, vcc_lo
	s_wait_dscnt 0x0
	v_add_f64_e32 v[4:5], v[4:5], v[8:9]
	s_delay_alu instid0(VALU_DEP_2)
	v_lshlrev_b32_e32 v16, 2, v6
	ds_bpermute_b32 v6, v16, v2
	ds_bpermute_b32 v7, v16, v3
	ds_bpermute_b32 v8, v16, v4
	ds_bpermute_b32 v9, v16, v5
	s_and_saveexec_b32 s6, s3
	s_cbranch_execz .LBB361_25
; %bb.24:                               ;   in Loop: Header=BB361_4 Depth=1
	s_wait_dscnt 0x0
	v_add_f64_e32 v[4:5], v[4:5], v[8:9]
	v_add_f64_e32 v[2:3], v[2:3], v[6:7]
	ds_store_b128 v19, v[2:5]
.LBB361_25:                             ;   in Loop: Header=BB361_4 Depth=1
	s_wait_alu 0xfffe
	s_or_b32 exec_lo, exec_lo, s6
	s_wait_dscnt 0x0
	v_mov_b32_e32 v8, 0
	v_dual_mov_b32 v9, 0 :: v_dual_mov_b32 v6, 0
	v_mov_b32_e32 v7, 0
	s_wait_loadcnt 0x0
	s_barrier_signal -1
	s_barrier_wait -1
	global_inv scope:SCOPE_SE
	s_and_saveexec_b32 s6, s2
	s_cbranch_execnz .LBB361_32
; %bb.26:                               ;   in Loop: Header=BB361_4 Depth=1
	s_wait_alu 0xfffe
	s_or_b32 exec_lo, exec_lo, s6
	s_and_saveexec_b32 s6, s1
	s_cbranch_execnz .LBB361_33
.LBB361_27:                             ;   in Loop: Header=BB361_4 Depth=1
	s_wait_alu 0xfffe
	s_or_b32 exec_lo, exec_lo, s6
                                        ; implicit-def: $vgpr4_vgpr5
	s_and_saveexec_b32 s6, s0
	s_cbranch_execnz .LBB361_34
	s_branch .LBB361_37
.LBB361_28:                             ;   in Loop: Header=BB361_4 Depth=1
	v_add_co_u32 v2, vcc_lo, v6, v21
	s_wait_alu 0xfffd
	v_add_co_ci_u32_e64 v3, null, v7, v20, vcc_lo
	v_add_co_u32 v4, vcc_lo, v8, v10
	v_mov_b32_e32 v14, 0
	v_dual_mov_b32 v15, 0 :: v_dual_mov_b32 v16, 0
	s_wait_alu 0xfffd
	v_add_co_ci_u32_e64 v5, null, v9, v11, vcc_lo
	v_mov_b32_e32 v17, 0
	v_mov_b32_e32 v27, v0
	s_mov_b32 s44, 0
.LBB361_29:                             ;   Parent Loop BB361_4 Depth=1
                                        ; =>  This Inner Loop Header: Depth=2
	flat_load_b128 v[28:31], v[2:3] offset:-8
	flat_load_b128 v[32:35], v[4:5] offset:-8
	v_add_nc_u32_e32 v27, 0x100, v27
	v_add_co_u32 v2, vcc_lo, 0x1000, v2
	s_wait_alu 0xfffd
	v_add_co_ci_u32_e64 v3, null, 0, v3, vcc_lo
	s_delay_alu instid0(VALU_DEP_3)
	v_cmp_le_i32_e32 vcc_lo, s30, v27
	v_add_co_u32 v4, s6, v4, s36
	s_wait_alu 0xf1ff
	v_add_co_ci_u32_e64 v5, null, s37, v5, s6
	s_wait_alu 0xfffe
	s_or_b32 s44, vcc_lo, s44
	s_wait_loadcnt_dscnt 0x0
	v_mul_f64_e32 v[36:37], v[30:31], v[34:35]
	v_mul_f64_e32 v[34:35], v[28:29], v[34:35]
	s_delay_alu instid0(VALU_DEP_2) | instskip(NEXT) | instid1(VALU_DEP_2)
	v_fma_f64 v[28:29], v[28:29], v[32:33], -v[36:37]
	v_fma_f64 v[30:31], v[30:31], v[32:33], v[34:35]
	s_delay_alu instid0(VALU_DEP_2) | instskip(NEXT) | instid1(VALU_DEP_2)
	v_add_f64_e32 v[16:17], v[16:17], v[28:29]
	v_add_f64_e32 v[14:15], v[14:15], v[30:31]
	s_wait_alu 0xfffe
	s_and_not1_b32 exec_lo, exec_lo, s44
	s_cbranch_execnz .LBB361_29
; %bb.30:                               ;   in Loop: Header=BB361_4 Depth=1
	s_or_b32 exec_lo, exec_lo, s44
	s_delay_alu instid0(SALU_CYCLE_1)
	s_or_b32 exec_lo, exec_lo, s43
	s_and_saveexec_b32 s6, s5
	s_cbranch_execz .LBB361_21
.LBB361_31:                             ;   in Loop: Header=BB361_4 Depth=1
	v_add_co_u32 v2, vcc_lo, v6, v23
	s_wait_alu 0xfffd
	v_add_co_ci_u32_e64 v3, null, 0, v7, vcc_lo
	s_lshl_b64 s[44:45], s[30:31], 4
	v_add_co_u32 v4, vcc_lo, v2, s34
	s_wait_alu 0xfffd
	v_add_co_ci_u32_e64 v5, null, s35, v3, vcc_lo
	v_add_co_u32 v2, vcc_lo, v8, v12
	s_wait_alu 0xfffd
	v_add_co_ci_u32_e64 v3, null, v9, v13, vcc_lo
	s_wait_alu 0xfffe
	v_add_co_u32 v6, vcc_lo, v4, s44
	s_wait_alu 0xfffd
	v_add_co_ci_u32_e64 v7, null, s45, v5, vcc_lo
	flat_load_b128 v[2:5], v[2:3]
	flat_load_b128 v[6:9], v[6:7]
	s_wait_loadcnt_dscnt 0x0
	v_mul_f64_e32 v[27:28], v[8:9], v[4:5]
	v_mul_f64_e32 v[4:5], v[6:7], v[4:5]
	s_delay_alu instid0(VALU_DEP_2) | instskip(NEXT) | instid1(VALU_DEP_2)
	v_fma_f64 v[6:7], v[6:7], v[2:3], -v[27:28]
	v_fma_f64 v[2:3], v[8:9], v[2:3], v[4:5]
	s_delay_alu instid0(VALU_DEP_2) | instskip(NEXT) | instid1(VALU_DEP_2)
	v_add_f64_e32 v[16:17], v[16:17], v[6:7]
	v_add_f64_e32 v[14:15], v[14:15], v[2:3]
	s_or_b32 exec_lo, exec_lo, s6
	s_and_saveexec_b32 s6, s1
	s_cbranch_execnz .LBB361_22
	s_branch .LBB361_23
.LBB361_32:                             ;   in Loop: Header=BB361_4 Depth=1
	ds_load_b128 v[6:9], v18
	s_wait_alu 0xfffe
	s_or_b32 exec_lo, exec_lo, s6
	s_and_saveexec_b32 s6, s1
	s_cbranch_execz .LBB361_27
.LBB361_33:                             ;   in Loop: Header=BB361_4 Depth=1
	s_wait_dscnt 0x0
	ds_bpermute_b32 v2, v14, v6
	ds_bpermute_b32 v3, v14, v7
	ds_bpermute_b32 v4, v14, v8
	ds_bpermute_b32 v5, v14, v9
	s_wait_dscnt 0x2
	v_add_f64_e32 v[2:3], v[6:7], v[2:3]
	s_wait_dscnt 0x0
	v_add_f64_e32 v[4:5], v[8:9], v[4:5]
	ds_bpermute_b32 v6, v15, v2
	ds_bpermute_b32 v7, v15, v3
	ds_bpermute_b32 v8, v15, v4
	ds_bpermute_b32 v9, v15, v5
	s_wait_dscnt 0x2
	v_add_f64_e32 v[2:3], v[2:3], v[6:7]
	s_wait_dscnt 0x0
	v_add_f64_e32 v[4:5], v[4:5], v[8:9]
	;; [unrolled: 8-line block ×3, first 2 shown]
	s_wait_alu 0xfffe
	s_or_b32 exec_lo, exec_lo, s6
                                        ; implicit-def: $vgpr4_vgpr5
	s_and_saveexec_b32 s6, s0
	s_cbranch_execz .LBB361_37
.LBB361_34:                             ;   in Loop: Header=BB361_4 Depth=1
	s_wait_dscnt 0x0
	s_delay_alu instid0(VALU_DEP_1) | instskip(SKIP_2) | instid1(VALU_DEP_2)
	v_mul_f64_e32 v[2:3], s[14:15], v[8:9]
	v_mul_f64_e32 v[4:5], s[12:13], v[8:9]
	s_and_not1_b32 vcc_lo, exec_lo, s41
	v_fma_f64 v[2:3], s[12:13], v[6:7], -v[2:3]
	s_delay_alu instid0(VALU_DEP_2)
	v_fma_f64 v[4:5], s[14:15], v[6:7], v[4:5]
	s_wait_alu 0xfffe
	s_cbranch_vccnz .LBB361_36
; %bb.35:                               ;   in Loop: Header=BB361_4 Depth=1
	v_add_co_u32 v6, vcc_lo, v25, s38
	s_wait_alu 0xfffd
	v_add_co_ci_u32_e64 v7, null, s39, v26, vcc_lo
	flat_load_b128 v[6:9], v[6:7]
	s_wait_loadcnt_dscnt 0x0
	v_mul_f64_e32 v[14:15], s[10:11], v[8:9]
	v_mul_f64_e32 v[8:9], s[8:9], v[8:9]
	s_delay_alu instid0(VALU_DEP_2) | instskip(NEXT) | instid1(VALU_DEP_2)
	v_fma_f64 v[14:15], s[8:9], v[6:7], -v[14:15]
	v_fma_f64 v[6:7], s[10:11], v[6:7], v[8:9]
	s_delay_alu instid0(VALU_DEP_2) | instskip(NEXT) | instid1(VALU_DEP_2)
	v_add_f64_e32 v[2:3], v[2:3], v[14:15]
	v_add_f64_e32 v[4:5], v[4:5], v[6:7]
.LBB361_36:                             ;   in Loop: Header=BB361_4 Depth=1
	s_or_b32 s42, s42, exec_lo
.LBB361_37:                             ;   in Loop: Header=BB361_4 Depth=1
	s_wait_alu 0xfffe
	s_or_b32 exec_lo, exec_lo, s6
.LBB361_38:                             ;   in Loop: Header=BB361_4 Depth=1
	s_and_saveexec_b32 s6, s42
	s_cbranch_execz .LBB361_2
; %bb.39:                               ;   in Loop: Header=BB361_4 Depth=1
	s_wait_dscnt 0x0
	v_add_co_u32 v6, vcc_lo, v25, s38
	s_wait_alu 0xfffd
	v_add_co_ci_u32_e64 v7, null, s39, v26, vcc_lo
	flat_store_b128 v[6:7], v[2:5]
	s_branch .LBB361_2
.LBB361_40:
	s_endpgm
	.section	.rodata,"a",@progbits
	.p2align	6, 0x0
	.amdhsa_kernel _ZL32rocblas_gemvt_warp_reduce_kernelILb0ELi256ElPK19rocblas_complex_numIdES1_KPS1_EviiT3_lPKT2_lT1_lS9_lSA_lS6_lPT4_lSA_li
		.amdhsa_group_segment_fixed_size 512
		.amdhsa_private_segment_fixed_size 0
		.amdhsa_kernarg_size 156
		.amdhsa_user_sgpr_count 2
		.amdhsa_user_sgpr_dispatch_ptr 0
		.amdhsa_user_sgpr_queue_ptr 0
		.amdhsa_user_sgpr_kernarg_segment_ptr 1
		.amdhsa_user_sgpr_dispatch_id 0
		.amdhsa_user_sgpr_private_segment_size 0
		.amdhsa_wavefront_size32 1
		.amdhsa_uses_dynamic_stack 0
		.amdhsa_enable_private_segment 0
		.amdhsa_system_sgpr_workgroup_id_x 1
		.amdhsa_system_sgpr_workgroup_id_y 0
		.amdhsa_system_sgpr_workgroup_id_z 1
		.amdhsa_system_sgpr_workgroup_info 0
		.amdhsa_system_vgpr_workitem_id 0
		.amdhsa_next_free_vgpr 38
		.amdhsa_next_free_sgpr 46
		.amdhsa_reserve_vcc 1
		.amdhsa_float_round_mode_32 0
		.amdhsa_float_round_mode_16_64 0
		.amdhsa_float_denorm_mode_32 3
		.amdhsa_float_denorm_mode_16_64 3
		.amdhsa_fp16_overflow 0
		.amdhsa_workgroup_processor_mode 1
		.amdhsa_memory_ordered 1
		.amdhsa_forward_progress 1
		.amdhsa_inst_pref_size 18
		.amdhsa_round_robin_scheduling 0
		.amdhsa_exception_fp_ieee_invalid_op 0
		.amdhsa_exception_fp_denorm_src 0
		.amdhsa_exception_fp_ieee_div_zero 0
		.amdhsa_exception_fp_ieee_overflow 0
		.amdhsa_exception_fp_ieee_underflow 0
		.amdhsa_exception_fp_ieee_inexact 0
		.amdhsa_exception_int_div_zero 0
	.end_amdhsa_kernel
	.section	.text._ZL32rocblas_gemvt_warp_reduce_kernelILb0ELi256ElPK19rocblas_complex_numIdES1_KPS1_EviiT3_lPKT2_lT1_lS9_lSA_lS6_lPT4_lSA_li,"axG",@progbits,_ZL32rocblas_gemvt_warp_reduce_kernelILb0ELi256ElPK19rocblas_complex_numIdES1_KPS1_EviiT3_lPKT2_lT1_lS9_lSA_lS6_lPT4_lSA_li,comdat
.Lfunc_end361:
	.size	_ZL32rocblas_gemvt_warp_reduce_kernelILb0ELi256ElPK19rocblas_complex_numIdES1_KPS1_EviiT3_lPKT2_lT1_lS9_lSA_lS6_lPT4_lSA_li, .Lfunc_end361-_ZL32rocblas_gemvt_warp_reduce_kernelILb0ELi256ElPK19rocblas_complex_numIdES1_KPS1_EviiT3_lPKT2_lT1_lS9_lSA_lS6_lPT4_lSA_li
                                        ; -- End function
	.set _ZL32rocblas_gemvt_warp_reduce_kernelILb0ELi256ElPK19rocblas_complex_numIdES1_KPS1_EviiT3_lPKT2_lT1_lS9_lSA_lS6_lPT4_lSA_li.num_vgpr, 38
	.set _ZL32rocblas_gemvt_warp_reduce_kernelILb0ELi256ElPK19rocblas_complex_numIdES1_KPS1_EviiT3_lPKT2_lT1_lS9_lSA_lS6_lPT4_lSA_li.num_agpr, 0
	.set _ZL32rocblas_gemvt_warp_reduce_kernelILb0ELi256ElPK19rocblas_complex_numIdES1_KPS1_EviiT3_lPKT2_lT1_lS9_lSA_lS6_lPT4_lSA_li.numbered_sgpr, 46
	.set _ZL32rocblas_gemvt_warp_reduce_kernelILb0ELi256ElPK19rocblas_complex_numIdES1_KPS1_EviiT3_lPKT2_lT1_lS9_lSA_lS6_lPT4_lSA_li.num_named_barrier, 0
	.set _ZL32rocblas_gemvt_warp_reduce_kernelILb0ELi256ElPK19rocblas_complex_numIdES1_KPS1_EviiT3_lPKT2_lT1_lS9_lSA_lS6_lPT4_lSA_li.private_seg_size, 0
	.set _ZL32rocblas_gemvt_warp_reduce_kernelILb0ELi256ElPK19rocblas_complex_numIdES1_KPS1_EviiT3_lPKT2_lT1_lS9_lSA_lS6_lPT4_lSA_li.uses_vcc, 1
	.set _ZL32rocblas_gemvt_warp_reduce_kernelILb0ELi256ElPK19rocblas_complex_numIdES1_KPS1_EviiT3_lPKT2_lT1_lS9_lSA_lS6_lPT4_lSA_li.uses_flat_scratch, 0
	.set _ZL32rocblas_gemvt_warp_reduce_kernelILb0ELi256ElPK19rocblas_complex_numIdES1_KPS1_EviiT3_lPKT2_lT1_lS9_lSA_lS6_lPT4_lSA_li.has_dyn_sized_stack, 0
	.set _ZL32rocblas_gemvt_warp_reduce_kernelILb0ELi256ElPK19rocblas_complex_numIdES1_KPS1_EviiT3_lPKT2_lT1_lS9_lSA_lS6_lPT4_lSA_li.has_recursion, 0
	.set _ZL32rocblas_gemvt_warp_reduce_kernelILb0ELi256ElPK19rocblas_complex_numIdES1_KPS1_EviiT3_lPKT2_lT1_lS9_lSA_lS6_lPT4_lSA_li.has_indirect_call, 0
	.section	.AMDGPU.csdata,"",@progbits
; Kernel info:
; codeLenInByte = 2220
; TotalNumSgprs: 48
; NumVgprs: 38
; ScratchSize: 0
; MemoryBound: 0
; FloatMode: 240
; IeeeMode: 1
; LDSByteSize: 512 bytes/workgroup (compile time only)
; SGPRBlocks: 0
; VGPRBlocks: 4
; NumSGPRsForWavesPerEU: 48
; NumVGPRsForWavesPerEU: 38
; Occupancy: 16
; WaveLimiterHint : 1
; COMPUTE_PGM_RSRC2:SCRATCH_EN: 0
; COMPUTE_PGM_RSRC2:USER_SGPR: 2
; COMPUTE_PGM_RSRC2:TRAP_HANDLER: 0
; COMPUTE_PGM_RSRC2:TGID_X_EN: 1
; COMPUTE_PGM_RSRC2:TGID_Y_EN: 0
; COMPUTE_PGM_RSRC2:TGID_Z_EN: 1
; COMPUTE_PGM_RSRC2:TIDIG_COMP_CNT: 0
	.section	.text._ZL20rocblas_gemvt_kernelILb0ELi256EPK19rocblas_complex_numIdES3_KPS1_EviiT2_lPKT1_lilS9_lilS6_lPT3_lili,"axG",@progbits,_ZL20rocblas_gemvt_kernelILb0ELi256EPK19rocblas_complex_numIdES3_KPS1_EviiT2_lPKT1_lilS9_lilS6_lPT3_lili,comdat
	.globl	_ZL20rocblas_gemvt_kernelILb0ELi256EPK19rocblas_complex_numIdES3_KPS1_EviiT2_lPKT1_lilS9_lilS6_lPT3_lili ; -- Begin function _ZL20rocblas_gemvt_kernelILb0ELi256EPK19rocblas_complex_numIdES3_KPS1_EviiT2_lPKT1_lilS9_lilS6_lPT3_lili
	.p2align	8
	.type	_ZL20rocblas_gemvt_kernelILb0ELi256EPK19rocblas_complex_numIdES3_KPS1_EviiT2_lPKT1_lilS9_lilS6_lPT3_lili,@function
_ZL20rocblas_gemvt_kernelILb0ELi256EPK19rocblas_complex_numIdES3_KPS1_EviiT2_lPKT1_lilS9_lilS6_lPT3_lili: ; @_ZL20rocblas_gemvt_kernelILb0ELi256EPK19rocblas_complex_numIdES3_KPS1_EviiT2_lPKT1_lilS9_lilS6_lPT3_lili
; %bb.0:
	s_load_b32 s33, s[0:1], 0x88
	s_lshr_b32 s10, ttmp7, 16
	s_wait_kmcnt 0x0
	s_cmp_ge_u32 s10, s33
	s_cbranch_scc1 .LBB362_46
; %bb.1:
	s_clause 0x6
	s_load_b32 s4, s[0:1], 0x28
	s_load_b32 s38, s[0:1], 0x48
	;; [unrolled: 1-line block ×4, first 2 shown]
	s_load_b128 s[28:31], s[0:1], 0x38
	s_load_b256 s[12:19], s[0:1], 0x8
	s_load_b256 s[20:27], s[0:1], 0x58
	s_mov_b32 s2, ttmp9
	s_ashr_i32 s3, ttmp9, 31
	v_cmp_eq_u32_e64 s0, 0, v0
	v_dual_mov_b32 v24, 0 :: v_dual_lshlrev_b32 v25, 4, v0
	v_cmp_gt_u32_e64 s1, 0x80, v0
	s_mov_b32 s11, 0
	s_wait_kmcnt 0x0
	s_ashr_i32 s5, s4, 31
	v_mad_co_i64_i32 v[1:2], null, s38, v0, 0
	s_ashr_i32 s9, s8, 31
	v_cmp_gt_i32_e32 vcc_lo, s8, v0
	s_lshr_b32 s9, s9, 24
	s_ashr_i32 s7, s6, 31
	s_wait_alu 0xfffe
	s_add_co_i32 s9, s8, s9
	s_ashr_i32 s39, s38, 31
	s_wait_alu 0xfffe
	s_and_b32 s34, s9, 0xffffff00
	v_cndmask_b32_e32 v5, 0, v0, vcc_lo
	v_or_b32_e32 v3, s34, v0
	v_lshlrev_b64_e32 v[12:13], 4, v[1:2]
	s_mul_u64 s[40:41], s[6:7], s[2:3]
	s_cmp_gt_i32 s8, 0xff
	v_lshlrev_b32_e32 v1, 4, v5
	s_mul_u64 s[36:37], s[4:5], s[2:3]
	v_cmp_gt_i32_e64 s2, s8, v3
	v_mad_co_i64_i32 v[3:4], null, s38, v3, 0
	s_cselect_b32 s44, -1, 0
	s_lshl_b64 s[36:37], s[36:37], 4
	v_cmp_gt_u32_e64 s3, 64, v0
	v_cmp_gt_u32_e64 s4, 32, v0
	;; [unrolled: 1-line block ×6, first 2 shown]
	v_add_co_u32 v0, s9, s36, v1
	v_lshlrev_b64_e32 v[14:15], 4, v[3:4]
	v_or_b32_e32 v12, 8, v12
	s_wait_alu 0xf1ff
	v_add_co_ci_u32_e64 v26, null, s37, 0, s9
	v_or_b32_e32 v27, 8, v0
	v_lshlrev_b32_e32 v28, 4, v5
	s_ashr_i32 s35, s34, 31
	s_lshl_b64 s[38:39], s[38:39], 12
	s_lshl_b64 s[18:19], s[18:19], 4
	;; [unrolled: 1-line block ×5, first 2 shown]
	s_wait_alu 0xfffe
	s_lshl_b64 s[42:43], s[34:35], 4
	s_branch .LBB362_4
.LBB362_2:                              ;   in Loop: Header=BB362_4 Depth=1
	s_wait_alu 0xfffe
	s_or_b32 exec_lo, exec_lo, s9
.LBB362_3:                              ;   in Loop: Header=BB362_4 Depth=1
	s_add_co_i32 s10, s10, 0x10000
	s_delay_alu instid0(SALU_CYCLE_1)
	s_cmp_lt_u32 s10, s33
	s_cbranch_scc0 .LBB362_46
.LBB362_4:                              ; =>This Loop Header: Depth=1
                                        ;     Child Loop BB362_20 Depth 2
	s_mul_u64 s[46:47], s[14:15], s[10:11]
	s_mov_b32 s45, -1
	s_lshl_b64 s[46:47], s[46:47], 4
	s_delay_alu instid0(SALU_CYCLE_1) | instskip(SKIP_2) | instid1(SALU_CYCLE_1)
	s_add_nc_u64 s[46:47], s[12:13], s[46:47]
	global_load_b128 v[4:7], v24, s[46:47]
	s_mul_u64 s[46:47], s[22:23], s[10:11]
	s_lshl_b64 s[46:47], s[46:47], 4
	s_delay_alu instid0(SALU_CYCLE_1)
	s_add_nc_u64 s[46:47], s[20:21], s[46:47]
	s_wait_loadcnt 0x1
	global_load_b128 v[0:3], v24, s[46:47]
	s_wait_loadcnt 0x1
	v_cmp_neq_f64_e32 vcc_lo, 0, v[4:5]
	v_cmp_neq_f64_e64 s9, 0, v[6:7]
	s_or_b32 s35, vcc_lo, s9
	s_mov_b32 s9, s11
	s_wait_alu 0xfffe
	s_and_b32 vcc_lo, exec_lo, s35
	s_wait_alu 0xfffe
	s_cbranch_vccz .LBB362_7
; %bb.5:                                ;   in Loop: Header=BB362_4 Depth=1
	v_mov_b32_e32 v16, 0
	v_mov_b32_e32 v17, 0
	s_and_not1_b32 vcc_lo, exec_lo, s45
	s_wait_alu 0xfffe
	s_cbranch_vccz .LBB362_8
.LBB362_6:                              ;   in Loop: Header=BB362_4 Depth=1
	s_wait_alu 0xfffe
	s_and_not1_b32 vcc_lo, exec_lo, s9
	s_wait_alu 0xfffe
	s_cbranch_vccnz .LBB362_3
	s_branch .LBB362_9
.LBB362_7:                              ;   in Loop: Header=BB362_4 Depth=1
	s_wait_loadcnt 0x0
	v_cmp_neq_f64_e32 vcc_lo, 1.0, v[0:1]
	v_cmp_neq_f64_e64 s9, 0, v[2:3]
	s_or_b32 s9, vcc_lo, s9
	v_mov_b32_e32 v16, 0
	v_mov_b32_e32 v17, 0
	s_cbranch_execnz .LBB362_6
.LBB362_8:                              ;   in Loop: Header=BB362_4 Depth=1
	s_lshl_b64 s[46:47], s[10:11], 3
	s_delay_alu instid0(SALU_CYCLE_1)
	s_add_nc_u64 s[46:47], s[16:17], s[46:47]
	global_load_b64 v[8:9], v24, s[46:47]
	s_wait_loadcnt 0x0
	v_add_co_u32 v16, vcc_lo, v8, s18
	s_wait_alu 0xfffd
	v_add_co_ci_u32_e64 v17, null, s19, v9, vcc_lo
.LBB362_9:                              ;   in Loop: Header=BB362_4 Depth=1
	v_mov_b32_e32 v18, 0
	v_mov_b32_e32 v19, 0
	s_and_not1_b32 vcc_lo, exec_lo, s35
	s_wait_alu 0xfffe
	s_cbranch_vccnz .LBB362_11
; %bb.10:                               ;   in Loop: Header=BB362_4 Depth=1
	s_lshl_b64 s[46:47], s[10:11], 3
	s_delay_alu instid0(SALU_CYCLE_1)
	s_add_nc_u64 s[46:47], s[28:29], s[46:47]
	global_load_b64 v[8:9], v24, s[46:47]
	s_wait_loadcnt 0x0
	v_add_co_u32 v18, vcc_lo, v8, s30
	s_wait_alu 0xfffd
	v_add_co_ci_u32_e64 v19, null, s31, v9, vcc_lo
.LBB362_11:                             ;   in Loop: Header=BB362_4 Depth=1
	s_lshl_b64 s[46:47], s[10:11], 3
	s_xor_b32 s9, s35, -1
	s_add_nc_u64 s[46:47], s[24:25], s[46:47]
	global_load_b64 v[8:9], v24, s[46:47]
	s_wait_loadcnt 0x0
	v_add_co_u32 v29, vcc_lo, v8, s26
	s_wait_alu 0xfffd
	v_add_co_ci_u32_e64 v30, null, s27, v9, vcc_lo
	s_wait_alu 0xfffe
	s_and_not1_b32 vcc_lo, exec_lo, s9
	s_wait_alu 0xfffe
	s_cbranch_vccnz .LBB362_16
; %bb.12:                               ;   in Loop: Header=BB362_4 Depth=1
	s_mov_b32 s45, 0
	s_mov_b32 s35, 0
                                        ; implicit-def: $vgpr10_vgpr11
	s_and_saveexec_b32 s46, s0
	s_cbranch_execz .LBB362_17
; %bb.13:                               ;   in Loop: Header=BB362_4 Depth=1
	v_cmp_neq_f64_e32 vcc_lo, 0, v[0:1]
	v_cmp_neq_f64_e64 s9, 0, v[2:3]
	v_mov_b32_e32 v10, 0
	v_dual_mov_b32 v11, 0 :: v_dual_mov_b32 v8, 0
	v_mov_b32_e32 v9, 0
	s_or_b32 s9, vcc_lo, s9
	s_wait_alu 0xfffe
	s_and_not1_b32 vcc_lo, exec_lo, s9
	s_wait_alu 0xfffe
	s_cbranch_vccnz .LBB362_15
; %bb.14:                               ;   in Loop: Header=BB362_4 Depth=1
	v_add_co_u32 v8, vcc_lo, v29, s40
	s_wait_alu 0xfffd
	v_add_co_ci_u32_e64 v9, null, s41, v30, vcc_lo
	flat_load_b128 v[20:23], v[8:9]
	s_wait_loadcnt_dscnt 0x0
	v_mul_f64_e32 v[8:9], v[2:3], v[22:23]
	v_mul_f64_e32 v[10:11], v[0:1], v[22:23]
	s_delay_alu instid0(VALU_DEP_2) | instskip(NEXT) | instid1(VALU_DEP_2)
	v_fma_f64 v[8:9], v[0:1], v[20:21], -v[8:9]
	v_fma_f64 v[10:11], v[2:3], v[20:21], v[10:11]
.LBB362_15:                             ;   in Loop: Header=BB362_4 Depth=1
	s_mov_b32 s35, exec_lo
	s_or_b32 exec_lo, exec_lo, s46
	s_delay_alu instid0(SALU_CYCLE_1)
	s_and_b32 vcc_lo, exec_lo, s45
	s_wait_alu 0xfffe
	s_cbranch_vccnz .LBB362_18
	s_branch .LBB362_44
.LBB362_16:                             ;   in Loop: Header=BB362_4 Depth=1
	s_mov_b32 s35, 0
                                        ; implicit-def: $vgpr10_vgpr11
	s_cbranch_execnz .LBB362_18
	s_branch .LBB362_44
.LBB362_17:                             ;   in Loop: Header=BB362_4 Depth=1
	s_or_b32 exec_lo, exec_lo, s46
	s_delay_alu instid0(SALU_CYCLE_1)
	s_and_b32 vcc_lo, exec_lo, s45
	s_wait_alu 0xfffe
	s_cbranch_vccz .LBB362_44
.LBB362_18:                             ;   in Loop: Header=BB362_4 Depth=1
	v_mov_b32_e32 v10, 0
	v_mov_b32_e32 v11, 0
	s_delay_alu instid0(VALU_DEP_2) | instskip(SKIP_1) | instid1(VALU_DEP_2)
	v_mov_b32_e32 v8, v10
	s_and_not1_b32 vcc_lo, exec_lo, s44
	v_mov_b32_e32 v9, v11
	s_wait_alu 0xfffe
	s_cbranch_vccnz .LBB362_21
; %bb.19:                               ;   in Loop: Header=BB362_4 Depth=1
	v_mov_b32_e32 v10, 0
	v_mov_b32_e32 v11, 0
	v_add_co_u32 v20, vcc_lo, v18, v12
	s_wait_alu 0xfffd
	v_add_co_ci_u32_e64 v21, null, v19, v13, vcc_lo
	v_add_co_u32 v22, vcc_lo, v16, v27
	s_wait_alu 0xfffd
	v_add_co_ci_u32_e64 v23, null, v17, v26, vcc_lo
	v_dual_mov_b32 v8, v10 :: v_dual_mov_b32 v9, v11
	s_mov_b32 s9, 0
.LBB362_20:                             ;   Parent Loop BB362_4 Depth=1
                                        ; =>  This Inner Loop Header: Depth=2
	flat_load_b128 v[31:34], v[22:23] offset:-8
	flat_load_b128 v[35:38], v[20:21] offset:-8
	v_add_co_u32 v20, vcc_lo, v20, s38
	s_wait_alu 0xfffd
	v_add_co_ci_u32_e64 v21, null, s39, v21, vcc_lo
	v_add_co_u32 v22, vcc_lo, 0x1000, v22
	s_wait_alu 0xfffd
	v_add_co_ci_u32_e64 v23, null, 0, v23, vcc_lo
	s_wait_alu 0xfffe
	s_addk_co_i32 s9, 0x100
	s_wait_alu 0xfffe
	s_cmp_ge_i32 s9, s34
	s_wait_loadcnt_dscnt 0x0
	v_mul_f64_e32 v[39:40], v[33:34], v[37:38]
	v_mul_f64_e32 v[37:38], v[31:32], v[37:38]
	s_delay_alu instid0(VALU_DEP_2) | instskip(NEXT) | instid1(VALU_DEP_2)
	v_fma_f64 v[31:32], v[31:32], v[35:36], -v[39:40]
	v_fma_f64 v[33:34], v[33:34], v[35:36], v[37:38]
	s_delay_alu instid0(VALU_DEP_2) | instskip(NEXT) | instid1(VALU_DEP_2)
	v_add_f64_e32 v[8:9], v[8:9], v[31:32]
	v_add_f64_e32 v[10:11], v[10:11], v[33:34]
	s_cbranch_scc0 .LBB362_20
.LBB362_21:                             ;   in Loop: Header=BB362_4 Depth=1
	s_and_saveexec_b32 s9, s2
	s_cbranch_execz .LBB362_23
; %bb.22:                               ;   in Loop: Header=BB362_4 Depth=1
	v_add_co_u32 v16, vcc_lo, v16, v28
	s_wait_alu 0xfffd
	v_add_co_ci_u32_e64 v17, null, 0, v17, vcc_lo
	s_delay_alu instid0(VALU_DEP_2) | instskip(SKIP_1) | instid1(VALU_DEP_2)
	v_add_co_u32 v20, vcc_lo, v16, s36
	s_wait_alu 0xfffd
	v_add_co_ci_u32_e64 v21, null, s37, v17, vcc_lo
	v_add_co_u32 v16, vcc_lo, v18, v14
	s_wait_alu 0xfffd
	v_add_co_ci_u32_e64 v17, null, v19, v15, vcc_lo
	v_add_co_u32 v20, vcc_lo, v20, s42
	s_wait_alu 0xfffd
	v_add_co_ci_u32_e64 v21, null, s43, v21, vcc_lo
	flat_load_b128 v[16:19], v[16:17]
	flat_load_b128 v[20:23], v[20:21]
	s_wait_loadcnt_dscnt 0x0
	v_mul_f64_e32 v[31:32], v[22:23], v[18:19]
	v_mul_f64_e32 v[18:19], v[20:21], v[18:19]
	s_delay_alu instid0(VALU_DEP_2) | instskip(NEXT) | instid1(VALU_DEP_2)
	v_fma_f64 v[20:21], v[20:21], v[16:17], -v[31:32]
	v_fma_f64 v[16:17], v[22:23], v[16:17], v[18:19]
	s_delay_alu instid0(VALU_DEP_2) | instskip(NEXT) | instid1(VALU_DEP_2)
	v_add_f64_e32 v[8:9], v[8:9], v[20:21]
	v_add_f64_e32 v[10:11], v[10:11], v[16:17]
.LBB362_23:                             ;   in Loop: Header=BB362_4 Depth=1
	s_wait_alu 0xfffe
	s_or_b32 exec_lo, exec_lo, s9
	ds_store_b128 v25, v[8:11]
	s_wait_dscnt 0x0
	s_barrier_signal -1
	s_barrier_wait -1
	global_inv scope:SCOPE_SE
	s_and_saveexec_b32 s9, s1
	s_cbranch_execz .LBB362_25
; %bb.24:                               ;   in Loop: Header=BB362_4 Depth=1
	ds_load_b128 v[8:11], v25 offset:2048
	ds_load_b128 v[16:19], v25
	s_wait_dscnt 0x0
	v_add_f64_e32 v[8:9], v[8:9], v[16:17]
	v_add_f64_e32 v[10:11], v[10:11], v[18:19]
	ds_store_b128 v25, v[8:11]
.LBB362_25:                             ;   in Loop: Header=BB362_4 Depth=1
	s_wait_alu 0xfffe
	s_or_b32 exec_lo, exec_lo, s9
	s_wait_loadcnt_dscnt 0x0
	s_barrier_signal -1
	s_barrier_wait -1
	global_inv scope:SCOPE_SE
	s_and_saveexec_b32 s9, s3
	s_cbranch_execz .LBB362_27
; %bb.26:                               ;   in Loop: Header=BB362_4 Depth=1
	ds_load_b128 v[8:11], v25 offset:1024
	ds_load_b128 v[16:19], v25
	s_wait_dscnt 0x0
	v_add_f64_e32 v[8:9], v[8:9], v[16:17]
	v_add_f64_e32 v[10:11], v[10:11], v[18:19]
	ds_store_b128 v25, v[8:11]
.LBB362_27:                             ;   in Loop: Header=BB362_4 Depth=1
	s_wait_alu 0xfffe
	s_or_b32 exec_lo, exec_lo, s9
	s_wait_loadcnt_dscnt 0x0
	;; [unrolled: 16-line block ×6, first 2 shown]
	s_barrier_signal -1
	s_barrier_wait -1
	global_inv scope:SCOPE_SE
	s_and_saveexec_b32 s9, s8
	s_cbranch_execz .LBB362_37
; %bb.36:                               ;   in Loop: Header=BB362_4 Depth=1
	ds_load_b128 v[8:11], v25
	ds_load_b128 v[16:19], v25 offset:32
	s_wait_dscnt 0x0
	v_add_f64_e32 v[8:9], v[16:17], v[8:9]
	v_add_f64_e32 v[10:11], v[18:19], v[10:11]
	ds_store_b128 v25, v[8:11]
.LBB362_37:                             ;   in Loop: Header=BB362_4 Depth=1
	s_wait_alu 0xfffe
	s_or_b32 exec_lo, exec_lo, s9
	s_wait_loadcnt_dscnt 0x0
	s_barrier_signal -1
	s_barrier_wait -1
	global_inv scope:SCOPE_SE
	s_and_saveexec_b32 s9, s0
	s_cbranch_execz .LBB362_39
; %bb.38:                               ;   in Loop: Header=BB362_4 Depth=1
	ds_load_b128 v[8:11], v24
	ds_load_b128 v[16:19], v24 offset:16
	s_wait_dscnt 0x0
	v_add_f64_e32 v[8:9], v[16:17], v[8:9]
	v_add_f64_e32 v[10:11], v[18:19], v[10:11]
	ds_store_b128 v24, v[8:11]
.LBB362_39:                             ;   in Loop: Header=BB362_4 Depth=1
	s_wait_alu 0xfffe
	s_or_b32 exec_lo, exec_lo, s9
	s_wait_loadcnt_dscnt 0x0
	s_barrier_signal -1
	s_barrier_wait -1
	global_inv scope:SCOPE_SE
                                        ; implicit-def: $vgpr10_vgpr11
	s_and_saveexec_b32 s45, s0
	s_cbranch_execz .LBB362_43
; %bb.40:                               ;   in Loop: Header=BB362_4 Depth=1
	ds_load_b128 v[16:19], v24
	v_cmp_neq_f64_e32 vcc_lo, 0, v[0:1]
	v_cmp_neq_f64_e64 s9, 0, v[2:3]
	s_wait_dscnt 0x0
	v_mul_f64_e32 v[8:9], v[6:7], v[18:19]
	v_mul_f64_e32 v[10:11], v[4:5], v[18:19]
	s_or_b32 s9, vcc_lo, s9
	s_wait_alu 0xfffe
	s_and_not1_b32 vcc_lo, exec_lo, s9
	s_delay_alu instid0(VALU_DEP_2) | instskip(NEXT) | instid1(VALU_DEP_2)
	v_fma_f64 v[8:9], v[4:5], v[16:17], -v[8:9]
	v_fma_f64 v[10:11], v[6:7], v[16:17], v[10:11]
	s_wait_alu 0xfffe
	s_cbranch_vccnz .LBB362_42
; %bb.41:                               ;   in Loop: Header=BB362_4 Depth=1
	v_add_co_u32 v4, vcc_lo, v29, s40
	s_wait_alu 0xfffd
	v_add_co_ci_u32_e64 v5, null, s41, v30, vcc_lo
	flat_load_b128 v[4:7], v[4:5]
	s_wait_loadcnt_dscnt 0x0
	v_mul_f64_e32 v[16:17], v[2:3], v[6:7]
	v_mul_f64_e32 v[6:7], v[0:1], v[6:7]
	s_delay_alu instid0(VALU_DEP_2) | instskip(NEXT) | instid1(VALU_DEP_2)
	v_fma_f64 v[0:1], v[0:1], v[4:5], -v[16:17]
	v_fma_f64 v[2:3], v[2:3], v[4:5], v[6:7]
	s_delay_alu instid0(VALU_DEP_2) | instskip(NEXT) | instid1(VALU_DEP_2)
	v_add_f64_e32 v[8:9], v[8:9], v[0:1]
	v_add_f64_e32 v[10:11], v[10:11], v[2:3]
.LBB362_42:                             ;   in Loop: Header=BB362_4 Depth=1
	s_or_b32 s35, s35, exec_lo
.LBB362_43:                             ;   in Loop: Header=BB362_4 Depth=1
	s_or_b32 exec_lo, exec_lo, s45
.LBB362_44:                             ;   in Loop: Header=BB362_4 Depth=1
	s_wait_alu 0xfffe
	s_and_saveexec_b32 s9, s35
	s_cbranch_execz .LBB362_2
; %bb.45:                               ;   in Loop: Header=BB362_4 Depth=1
	v_add_co_u32 v0, vcc_lo, v29, s40
	s_wait_alu 0xfffd
	v_add_co_ci_u32_e64 v1, null, s41, v30, vcc_lo
	flat_store_b128 v[0:1], v[8:11]
	s_branch .LBB362_2
.LBB362_46:
	s_endpgm
	.section	.rodata,"a",@progbits
	.p2align	6, 0x0
	.amdhsa_kernel _ZL20rocblas_gemvt_kernelILb0ELi256EPK19rocblas_complex_numIdES3_KPS1_EviiT2_lPKT1_lilS9_lilS6_lPT3_lili
		.amdhsa_group_segment_fixed_size 4096
		.amdhsa_private_segment_fixed_size 0
		.amdhsa_kernarg_size 140
		.amdhsa_user_sgpr_count 2
		.amdhsa_user_sgpr_dispatch_ptr 0
		.amdhsa_user_sgpr_queue_ptr 0
		.amdhsa_user_sgpr_kernarg_segment_ptr 1
		.amdhsa_user_sgpr_dispatch_id 0
		.amdhsa_user_sgpr_private_segment_size 0
		.amdhsa_wavefront_size32 1
		.amdhsa_uses_dynamic_stack 0
		.amdhsa_enable_private_segment 0
		.amdhsa_system_sgpr_workgroup_id_x 1
		.amdhsa_system_sgpr_workgroup_id_y 0
		.amdhsa_system_sgpr_workgroup_id_z 1
		.amdhsa_system_sgpr_workgroup_info 0
		.amdhsa_system_vgpr_workitem_id 0
		.amdhsa_next_free_vgpr 41
		.amdhsa_next_free_sgpr 48
		.amdhsa_reserve_vcc 1
		.amdhsa_float_round_mode_32 0
		.amdhsa_float_round_mode_16_64 0
		.amdhsa_float_denorm_mode_32 3
		.amdhsa_float_denorm_mode_16_64 3
		.amdhsa_fp16_overflow 0
		.amdhsa_workgroup_processor_mode 1
		.amdhsa_memory_ordered 1
		.amdhsa_forward_progress 1
		.amdhsa_inst_pref_size 17
		.amdhsa_round_robin_scheduling 0
		.amdhsa_exception_fp_ieee_invalid_op 0
		.amdhsa_exception_fp_denorm_src 0
		.amdhsa_exception_fp_ieee_div_zero 0
		.amdhsa_exception_fp_ieee_overflow 0
		.amdhsa_exception_fp_ieee_underflow 0
		.amdhsa_exception_fp_ieee_inexact 0
		.amdhsa_exception_int_div_zero 0
	.end_amdhsa_kernel
	.section	.text._ZL20rocblas_gemvt_kernelILb0ELi256EPK19rocblas_complex_numIdES3_KPS1_EviiT2_lPKT1_lilS9_lilS6_lPT3_lili,"axG",@progbits,_ZL20rocblas_gemvt_kernelILb0ELi256EPK19rocblas_complex_numIdES3_KPS1_EviiT2_lPKT1_lilS9_lilS6_lPT3_lili,comdat
.Lfunc_end362:
	.size	_ZL20rocblas_gemvt_kernelILb0ELi256EPK19rocblas_complex_numIdES3_KPS1_EviiT2_lPKT1_lilS9_lilS6_lPT3_lili, .Lfunc_end362-_ZL20rocblas_gemvt_kernelILb0ELi256EPK19rocblas_complex_numIdES3_KPS1_EviiT2_lPKT1_lilS9_lilS6_lPT3_lili
                                        ; -- End function
	.set _ZL20rocblas_gemvt_kernelILb0ELi256EPK19rocblas_complex_numIdES3_KPS1_EviiT2_lPKT1_lilS9_lilS6_lPT3_lili.num_vgpr, 41
	.set _ZL20rocblas_gemvt_kernelILb0ELi256EPK19rocblas_complex_numIdES3_KPS1_EviiT2_lPKT1_lilS9_lilS6_lPT3_lili.num_agpr, 0
	.set _ZL20rocblas_gemvt_kernelILb0ELi256EPK19rocblas_complex_numIdES3_KPS1_EviiT2_lPKT1_lilS9_lilS6_lPT3_lili.numbered_sgpr, 48
	.set _ZL20rocblas_gemvt_kernelILb0ELi256EPK19rocblas_complex_numIdES3_KPS1_EviiT2_lPKT1_lilS9_lilS6_lPT3_lili.num_named_barrier, 0
	.set _ZL20rocblas_gemvt_kernelILb0ELi256EPK19rocblas_complex_numIdES3_KPS1_EviiT2_lPKT1_lilS9_lilS6_lPT3_lili.private_seg_size, 0
	.set _ZL20rocblas_gemvt_kernelILb0ELi256EPK19rocblas_complex_numIdES3_KPS1_EviiT2_lPKT1_lilS9_lilS6_lPT3_lili.uses_vcc, 1
	.set _ZL20rocblas_gemvt_kernelILb0ELi256EPK19rocblas_complex_numIdES3_KPS1_EviiT2_lPKT1_lilS9_lilS6_lPT3_lili.uses_flat_scratch, 0
	.set _ZL20rocblas_gemvt_kernelILb0ELi256EPK19rocblas_complex_numIdES3_KPS1_EviiT2_lPKT1_lilS9_lilS6_lPT3_lili.has_dyn_sized_stack, 0
	.set _ZL20rocblas_gemvt_kernelILb0ELi256EPK19rocblas_complex_numIdES3_KPS1_EviiT2_lPKT1_lilS9_lilS6_lPT3_lili.has_recursion, 0
	.set _ZL20rocblas_gemvt_kernelILb0ELi256EPK19rocblas_complex_numIdES3_KPS1_EviiT2_lPKT1_lilS9_lilS6_lPT3_lili.has_indirect_call, 0
	.section	.AMDGPU.csdata,"",@progbits
; Kernel info:
; codeLenInByte = 2176
; TotalNumSgprs: 50
; NumVgprs: 41
; ScratchSize: 0
; MemoryBound: 0
; FloatMode: 240
; IeeeMode: 1
; LDSByteSize: 4096 bytes/workgroup (compile time only)
; SGPRBlocks: 0
; VGPRBlocks: 5
; NumSGPRsForWavesPerEU: 50
; NumVGPRsForWavesPerEU: 41
; Occupancy: 16
; WaveLimiterHint : 1
; COMPUTE_PGM_RSRC2:SCRATCH_EN: 0
; COMPUTE_PGM_RSRC2:USER_SGPR: 2
; COMPUTE_PGM_RSRC2:TRAP_HANDLER: 0
; COMPUTE_PGM_RSRC2:TGID_X_EN: 1
; COMPUTE_PGM_RSRC2:TGID_Y_EN: 0
; COMPUTE_PGM_RSRC2:TGID_Z_EN: 1
; COMPUTE_PGM_RSRC2:TIDIG_COMP_CNT: 0
	.section	.text._ZL20rocblas_gemvt_kernelILb0ELi256EPK19rocblas_complex_numIdES1_KPS1_EviiT2_lPKT1_lilS9_lilS6_lPT3_lili,"axG",@progbits,_ZL20rocblas_gemvt_kernelILb0ELi256EPK19rocblas_complex_numIdES1_KPS1_EviiT2_lPKT1_lilS9_lilS6_lPT3_lili,comdat
	.globl	_ZL20rocblas_gemvt_kernelILb0ELi256EPK19rocblas_complex_numIdES1_KPS1_EviiT2_lPKT1_lilS9_lilS6_lPT3_lili ; -- Begin function _ZL20rocblas_gemvt_kernelILb0ELi256EPK19rocblas_complex_numIdES1_KPS1_EviiT2_lPKT1_lilS9_lilS6_lPT3_lili
	.p2align	8
	.type	_ZL20rocblas_gemvt_kernelILb0ELi256EPK19rocblas_complex_numIdES1_KPS1_EviiT2_lPKT1_lilS9_lilS6_lPT3_lili,@function
_ZL20rocblas_gemvt_kernelILb0ELi256EPK19rocblas_complex_numIdES1_KPS1_EviiT2_lPKT1_lilS9_lilS6_lPT3_lili: ; @_ZL20rocblas_gemvt_kernelILb0ELi256EPK19rocblas_complex_numIdES1_KPS1_EviiT2_lPKT1_lilS9_lilS6_lPT3_lili
; %bb.0:
	s_load_b32 s33, s[0:1], 0x98
	s_lshr_b32 s10, ttmp7, 16
	s_wait_kmcnt 0x0
	s_cmp_ge_u32 s10, s33
	s_cbranch_scc1 .LBB363_47
; %bb.1:
	s_clause 0x8
	s_load_b128 s[12:15], s[0:1], 0x8
	s_load_b128 s[16:19], s[0:1], 0x60
	s_load_b32 s35, s[0:1], 0x0
	s_load_b128 s[20:23], s[0:1], 0x78
	s_load_b128 s[24:27], s[0:1], 0x40
	s_load_b32 s36, s[0:1], 0x50
	s_load_b128 s[28:31], s[0:1], 0x20
	s_load_b32 s38, s[0:1], 0x30
	s_load_b32 s40, s[0:1], 0x88
	v_cmp_eq_u32_e64 s0, 0, v0
	v_dual_mov_b32 v16, 0 :: v_dual_lshlrev_b32 v17, 4, v0
	v_cmp_gt_u32_e64 s1, 0x80, v0
	v_cmp_gt_u32_e64 s2, 64, v0
	;; [unrolled: 1-line block ×6, first 2 shown]
	s_mov_b32 s8, ttmp9
	s_ashr_i32 s9, ttmp9, 31
	s_mov_b32 s11, 0
	s_wait_kmcnt 0x0
	v_cmp_neq_f64_e64 s42, s[12:13], 0
	v_cmp_neq_f64_e64 s43, s[14:15], 0
	v_cmp_neq_f64_e64 s44, s[16:17], 1.0
	v_cmp_neq_f64_e64 s45, s[18:19], 0
	v_cmp_neq_f64_e64 s46, s[16:17], 0
	s_ashr_i32 s7, s35, 31
	v_cmp_gt_i32_e32 vcc_lo, s35, v0
	s_lshr_b32 s34, s7, 24
	v_mad_co_i64_i32 v[1:2], null, s36, v0, 0
	s_wait_alu 0xfffe
	s_add_co_i32 s34, s35, s34
	v_cmp_gt_u32_e64 s7, 2, v0
	s_wait_alu 0xfffe
	s_and_b32 s34, s34, 0xffffff00
	s_ashr_i32 s39, s38, 31
	s_wait_alu 0xfffe
	v_or_b32_e32 v3, s34, v0
	v_cndmask_b32_e32 v0, 0, v0, vcc_lo
	s_ashr_i32 s41, s40, 31
	v_lshlrev_b64_e32 v[4:5], 4, v[1:2]
	s_ashr_i32 s37, s36, 31
	s_mul_u64 s[40:41], s[40:41], s[8:9]
	s_mul_u64 s[38:39], s[38:39], s[8:9]
	v_lshlrev_b32_e32 v1, 4, v0
	v_mad_co_i64_i32 v[6:7], null, s36, v3, 0
	v_cmp_gt_i32_e64 s8, s35, v3
	v_or_b32_e32 v4, 8, v4
	v_lshlrev_b32_e32 v21, 4, v0
	s_delay_alu instid0(VALU_DEP_4)
	v_lshlrev_b64_e32 v[6:7], 4, v[6:7]
	s_or_b32 s43, s42, s43
	s_or_b32 s9, s44, s45
	v_cndmask_b32_e64 v18, 0, 1, s43
	s_or_b32 s42, s46, s45
	s_xor_b32 s43, s43, -1
	s_cmp_gt_i32 s35, 0xff
	s_cselect_b32 s44, -1, 0
	s_lshl_b64 s[38:39], s[38:39], 4
	s_ashr_i32 s35, s34, 31
	v_add_co_u32 v1, s45, s38, v1
	s_delay_alu instid0(VALU_DEP_1) | instskip(SKIP_2) | instid1(VALU_DEP_2)
	v_add_co_ci_u32_e64 v19, null, s39, 0, s45
	s_wait_alu 0xfffe
	s_lshl_b64 s[36:37], s[36:37], 12
	v_or_b32_e32 v20, 8, v1
	s_lshl_b64 s[30:31], s[30:31], 4
	s_lshl_b64 s[26:27], s[26:27], 4
	;; [unrolled: 1-line block ×4, first 2 shown]
	s_branch .LBB363_4
.LBB363_2:                              ;   in Loop: Header=BB363_4 Depth=1
	s_or_b32 exec_lo, exec_lo, s46
.LBB363_3:                              ;   in Loop: Header=BB363_4 Depth=1
	s_add_co_i32 s10, s10, 0x10000
	s_delay_alu instid0(SALU_CYCLE_1)
	s_cmp_lt_u32 s10, s33
	s_cbranch_scc0 .LBB363_47
.LBB363_4:                              ; =>This Loop Header: Depth=1
                                        ;     Child Loop BB363_21 Depth 2
	s_and_not1_b32 vcc_lo, exec_lo, s43
	s_mov_b32 s45, s11
	s_mov_b32 s46, -1
	s_wait_alu 0xfffe
	s_cbranch_vccnz .LBB363_7
; %bb.5:                                ;   in Loop: Header=BB363_4 Depth=1
	s_mov_b32 s46, 0
	s_and_b32 vcc_lo, exec_lo, s9
	s_mov_b32 s45, 0
	s_wait_alu 0xfffe
	s_cbranch_vccz .LBB363_7
; %bb.6:                                ;   in Loop: Header=BB363_4 Depth=1
	s_mov_b32 s45, -1
.LBB363_7:                              ;   in Loop: Header=BB363_4 Depth=1
	v_mov_b32_e32 v8, 0
	v_mov_b32_e32 v9, 0
	s_and_b32 vcc_lo, exec_lo, s46
	s_wait_alu 0xfffe
	s_cbranch_vccnz .LBB363_9
; %bb.8:                                ;   in Loop: Header=BB363_4 Depth=1
	s_and_not1_b32 vcc_lo, exec_lo, s45
	s_wait_alu 0xfffe
	s_cbranch_vccnz .LBB363_3
	s_branch .LBB363_10
.LBB363_9:                              ;   in Loop: Header=BB363_4 Depth=1
	s_lshl_b64 s[46:47], s[10:11], 3
	s_delay_alu instid0(SALU_CYCLE_1)
	s_add_nc_u64 s[46:47], s[28:29], s[46:47]
	global_load_b64 v[0:1], v16, s[46:47]
	s_wait_loadcnt 0x0
	v_add_co_u32 v8, vcc_lo, v0, s30
	s_wait_alu 0xfffd
	v_add_co_ci_u32_e64 v9, null, s31, v1, vcc_lo
.LBB363_10:                             ;   in Loop: Header=BB363_4 Depth=1
	v_cmp_ne_u32_e32 vcc_lo, 1, v18
	v_mov_b32_e32 v10, 0
	v_mov_b32_e32 v11, 0
	s_cbranch_vccnz .LBB363_12
; %bb.11:                               ;   in Loop: Header=BB363_4 Depth=1
	s_lshl_b64 s[46:47], s[10:11], 3
	s_delay_alu instid0(SALU_CYCLE_1)
	s_add_nc_u64 s[46:47], s[24:25], s[46:47]
	global_load_b64 v[0:1], v16, s[46:47]
	s_wait_loadcnt 0x0
	v_add_co_u32 v10, vcc_lo, v0, s26
	s_wait_alu 0xfffd
	v_add_co_ci_u32_e64 v11, null, s27, v1, vcc_lo
.LBB363_12:                             ;   in Loop: Header=BB363_4 Depth=1
	s_lshl_b64 s[46:47], s[10:11], 3
	s_delay_alu instid0(SALU_CYCLE_1)
	s_add_nc_u64 s[46:47], s[20:21], s[46:47]
	global_load_b64 v[0:1], v16, s[46:47]
	s_wait_loadcnt 0x0
	v_add_co_u32 v22, vcc_lo, v0, s22
	s_wait_alu 0xfffd
	v_add_co_ci_u32_e64 v23, null, s23, v1, vcc_lo
	s_and_not1_b32 vcc_lo, exec_lo, s43
	s_wait_alu 0xfffe
	s_cbranch_vccnz .LBB363_17
; %bb.13:                               ;   in Loop: Header=BB363_4 Depth=1
	s_mov_b32 s46, 0
	s_mov_b32 s45, 0
                                        ; implicit-def: $vgpr2_vgpr3
	s_and_saveexec_b32 s47, s0
	s_cbranch_execz .LBB363_18
; %bb.14:                               ;   in Loop: Header=BB363_4 Depth=1
	v_mov_b32_e32 v2, 0
	v_dual_mov_b32 v3, 0 :: v_dual_mov_b32 v0, 0
	v_mov_b32_e32 v1, 0
	s_and_not1_b32 vcc_lo, exec_lo, s42
	s_wait_alu 0xfffe
	s_cbranch_vccnz .LBB363_16
; %bb.15:                               ;   in Loop: Header=BB363_4 Depth=1
	v_add_co_u32 v0, vcc_lo, v22, s40
	s_wait_alu 0xfffd
	v_add_co_ci_u32_e64 v1, null, s41, v23, vcc_lo
	flat_load_b128 v[12:15], v[0:1]
	s_wait_loadcnt_dscnt 0x0
	v_mul_f64_e32 v[0:1], s[18:19], v[14:15]
	v_mul_f64_e32 v[2:3], s[16:17], v[14:15]
	s_delay_alu instid0(VALU_DEP_2) | instskip(NEXT) | instid1(VALU_DEP_2)
	v_fma_f64 v[0:1], s[16:17], v[12:13], -v[0:1]
	v_fma_f64 v[2:3], s[18:19], v[12:13], v[2:3]
.LBB363_16:                             ;   in Loop: Header=BB363_4 Depth=1
	s_mov_b32 s45, exec_lo
	s_or_b32 exec_lo, exec_lo, s47
	s_delay_alu instid0(SALU_CYCLE_1)
	s_and_b32 vcc_lo, exec_lo, s46
	s_wait_alu 0xfffe
	s_cbranch_vccnz .LBB363_19
	s_branch .LBB363_45
.LBB363_17:                             ;   in Loop: Header=BB363_4 Depth=1
	s_mov_b32 s45, 0
                                        ; implicit-def: $vgpr2_vgpr3
	s_cbranch_execnz .LBB363_19
	s_branch .LBB363_45
.LBB363_18:                             ;   in Loop: Header=BB363_4 Depth=1
	s_or_b32 exec_lo, exec_lo, s47
	s_delay_alu instid0(SALU_CYCLE_1)
	s_and_b32 vcc_lo, exec_lo, s46
	s_wait_alu 0xfffe
	s_cbranch_vccz .LBB363_45
.LBB363_19:                             ;   in Loop: Header=BB363_4 Depth=1
	v_mov_b32_e32 v2, 0
	v_mov_b32_e32 v3, 0
	s_delay_alu instid0(VALU_DEP_2) | instskip(SKIP_1) | instid1(VALU_DEP_2)
	v_mov_b32_e32 v0, v2
	s_and_not1_b32 vcc_lo, exec_lo, s44
	v_mov_b32_e32 v1, v3
	s_wait_alu 0xfffe
	s_cbranch_vccnz .LBB363_22
; %bb.20:                               ;   in Loop: Header=BB363_4 Depth=1
	v_mov_b32_e32 v2, 0
	v_mov_b32_e32 v3, 0
	v_add_co_u32 v12, vcc_lo, v10, v4
	s_wait_alu 0xfffd
	v_add_co_ci_u32_e64 v13, null, v11, v5, vcc_lo
	v_add_co_u32 v14, vcc_lo, v8, v20
	s_wait_alu 0xfffd
	v_add_co_ci_u32_e64 v15, null, v9, v19, vcc_lo
	v_dual_mov_b32 v0, v2 :: v_dual_mov_b32 v1, v3
	s_mov_b32 s46, 0
.LBB363_21:                             ;   Parent Loop BB363_4 Depth=1
                                        ; =>  This Inner Loop Header: Depth=2
	flat_load_b128 v[24:27], v[14:15] offset:-8
	flat_load_b128 v[28:31], v[12:13] offset:-8
	v_add_co_u32 v12, vcc_lo, v12, s36
	s_wait_alu 0xfffd
	v_add_co_ci_u32_e64 v13, null, s37, v13, vcc_lo
	v_add_co_u32 v14, vcc_lo, 0x1000, v14
	s_wait_alu 0xfffd
	v_add_co_ci_u32_e64 v15, null, 0, v15, vcc_lo
	s_addk_co_i32 s46, 0x100
	s_delay_alu instid0(SALU_CYCLE_1) | instskip(SKIP_3) | instid1(VALU_DEP_2)
	s_cmp_ge_i32 s46, s34
	s_wait_loadcnt_dscnt 0x0
	v_mul_f64_e32 v[32:33], v[26:27], v[30:31]
	v_mul_f64_e32 v[30:31], v[24:25], v[30:31]
	v_fma_f64 v[24:25], v[24:25], v[28:29], -v[32:33]
	s_delay_alu instid0(VALU_DEP_2) | instskip(NEXT) | instid1(VALU_DEP_2)
	v_fma_f64 v[26:27], v[26:27], v[28:29], v[30:31]
	v_add_f64_e32 v[0:1], v[0:1], v[24:25]
	s_delay_alu instid0(VALU_DEP_2)
	v_add_f64_e32 v[2:3], v[2:3], v[26:27]
	s_cbranch_scc0 .LBB363_21
.LBB363_22:                             ;   in Loop: Header=BB363_4 Depth=1
	s_and_saveexec_b32 s46, s8
	s_cbranch_execz .LBB363_24
; %bb.23:                               ;   in Loop: Header=BB363_4 Depth=1
	v_add_co_u32 v8, vcc_lo, v8, v21
	s_wait_alu 0xfffd
	v_add_co_ci_u32_e64 v9, null, 0, v9, vcc_lo
	s_lshl_b64 s[48:49], s[34:35], 4
	v_add_co_u32 v12, vcc_lo, v8, s38
	s_wait_alu 0xfffd
	v_add_co_ci_u32_e64 v13, null, s39, v9, vcc_lo
	v_add_co_u32 v8, vcc_lo, v10, v6
	s_wait_alu 0xfffd
	v_add_co_ci_u32_e64 v9, null, v11, v7, vcc_lo
	s_wait_alu 0xfffe
	v_add_co_u32 v12, vcc_lo, v12, s48
	s_wait_alu 0xfffd
	v_add_co_ci_u32_e64 v13, null, s49, v13, vcc_lo
	flat_load_b128 v[8:11], v[8:9]
	flat_load_b128 v[12:15], v[12:13]
	s_wait_loadcnt_dscnt 0x0
	v_mul_f64_e32 v[24:25], v[14:15], v[10:11]
	v_mul_f64_e32 v[10:11], v[12:13], v[10:11]
	s_delay_alu instid0(VALU_DEP_2) | instskip(NEXT) | instid1(VALU_DEP_2)
	v_fma_f64 v[12:13], v[12:13], v[8:9], -v[24:25]
	v_fma_f64 v[8:9], v[14:15], v[8:9], v[10:11]
	s_delay_alu instid0(VALU_DEP_2) | instskip(NEXT) | instid1(VALU_DEP_2)
	v_add_f64_e32 v[0:1], v[0:1], v[12:13]
	v_add_f64_e32 v[2:3], v[2:3], v[8:9]
.LBB363_24:                             ;   in Loop: Header=BB363_4 Depth=1
	s_or_b32 exec_lo, exec_lo, s46
	ds_store_b128 v17, v[0:3]
	s_wait_dscnt 0x0
	s_barrier_signal -1
	s_barrier_wait -1
	global_inv scope:SCOPE_SE
	s_and_saveexec_b32 s46, s1
	s_cbranch_execz .LBB363_26
; %bb.25:                               ;   in Loop: Header=BB363_4 Depth=1
	ds_load_b128 v[0:3], v17 offset:2048
	ds_load_b128 v[8:11], v17
	s_wait_dscnt 0x0
	v_add_f64_e32 v[0:1], v[0:1], v[8:9]
	v_add_f64_e32 v[2:3], v[2:3], v[10:11]
	ds_store_b128 v17, v[0:3]
.LBB363_26:                             ;   in Loop: Header=BB363_4 Depth=1
	s_or_b32 exec_lo, exec_lo, s46
	s_wait_loadcnt_dscnt 0x0
	s_barrier_signal -1
	s_barrier_wait -1
	global_inv scope:SCOPE_SE
	s_and_saveexec_b32 s46, s2
	s_cbranch_execz .LBB363_28
; %bb.27:                               ;   in Loop: Header=BB363_4 Depth=1
	ds_load_b128 v[0:3], v17 offset:1024
	ds_load_b128 v[8:11], v17
	s_wait_dscnt 0x0
	v_add_f64_e32 v[0:1], v[0:1], v[8:9]
	v_add_f64_e32 v[2:3], v[2:3], v[10:11]
	ds_store_b128 v17, v[0:3]
.LBB363_28:                             ;   in Loop: Header=BB363_4 Depth=1
	s_or_b32 exec_lo, exec_lo, s46
	s_wait_loadcnt_dscnt 0x0
	;; [unrolled: 15-line block ×6, first 2 shown]
	s_barrier_signal -1
	s_barrier_wait -1
	global_inv scope:SCOPE_SE
	s_and_saveexec_b32 s46, s7
	s_cbranch_execz .LBB363_38
; %bb.37:                               ;   in Loop: Header=BB363_4 Depth=1
	ds_load_b128 v[0:3], v17
	ds_load_b128 v[8:11], v17 offset:32
	s_wait_dscnt 0x0
	v_add_f64_e32 v[0:1], v[8:9], v[0:1]
	v_add_f64_e32 v[2:3], v[10:11], v[2:3]
	ds_store_b128 v17, v[0:3]
.LBB363_38:                             ;   in Loop: Header=BB363_4 Depth=1
	s_or_b32 exec_lo, exec_lo, s46
	s_wait_loadcnt_dscnt 0x0
	s_barrier_signal -1
	s_barrier_wait -1
	global_inv scope:SCOPE_SE
	s_and_saveexec_b32 s46, s0
	s_cbranch_execz .LBB363_40
; %bb.39:                               ;   in Loop: Header=BB363_4 Depth=1
	ds_load_b128 v[0:3], v16
	ds_load_b128 v[8:11], v16 offset:16
	s_wait_dscnt 0x0
	v_add_f64_e32 v[0:1], v[8:9], v[0:1]
	v_add_f64_e32 v[2:3], v[10:11], v[2:3]
	ds_store_b128 v16, v[0:3]
.LBB363_40:                             ;   in Loop: Header=BB363_4 Depth=1
	s_or_b32 exec_lo, exec_lo, s46
	s_wait_loadcnt_dscnt 0x0
	s_barrier_signal -1
	s_barrier_wait -1
	global_inv scope:SCOPE_SE
                                        ; implicit-def: $vgpr2_vgpr3
	s_and_saveexec_b32 s46, s0
	s_cbranch_execz .LBB363_44
; %bb.41:                               ;   in Loop: Header=BB363_4 Depth=1
	ds_load_b128 v[8:11], v16
	s_and_not1_b32 vcc_lo, exec_lo, s42
	s_wait_dscnt 0x0
	v_mul_f64_e32 v[0:1], s[14:15], v[10:11]
	v_mul_f64_e32 v[2:3], s[12:13], v[10:11]
	s_delay_alu instid0(VALU_DEP_2) | instskip(NEXT) | instid1(VALU_DEP_2)
	v_fma_f64 v[0:1], s[12:13], v[8:9], -v[0:1]
	v_fma_f64 v[2:3], s[14:15], v[8:9], v[2:3]
	s_wait_alu 0xfffe
	s_cbranch_vccnz .LBB363_43
; %bb.42:                               ;   in Loop: Header=BB363_4 Depth=1
	v_add_co_u32 v8, vcc_lo, v22, s40
	s_wait_alu 0xfffd
	v_add_co_ci_u32_e64 v9, null, s41, v23, vcc_lo
	flat_load_b128 v[8:11], v[8:9]
	s_wait_loadcnt_dscnt 0x0
	v_mul_f64_e32 v[12:13], s[18:19], v[10:11]
	v_mul_f64_e32 v[10:11], s[16:17], v[10:11]
	s_delay_alu instid0(VALU_DEP_2) | instskip(NEXT) | instid1(VALU_DEP_2)
	v_fma_f64 v[12:13], s[16:17], v[8:9], -v[12:13]
	v_fma_f64 v[8:9], s[18:19], v[8:9], v[10:11]
	s_delay_alu instid0(VALU_DEP_2) | instskip(NEXT) | instid1(VALU_DEP_2)
	v_add_f64_e32 v[0:1], v[0:1], v[12:13]
	v_add_f64_e32 v[2:3], v[2:3], v[8:9]
.LBB363_43:                             ;   in Loop: Header=BB363_4 Depth=1
	s_or_b32 s45, s45, exec_lo
.LBB363_44:                             ;   in Loop: Header=BB363_4 Depth=1
	s_or_b32 exec_lo, exec_lo, s46
.LBB363_45:                             ;   in Loop: Header=BB363_4 Depth=1
	s_wait_alu 0xfffe
	s_and_saveexec_b32 s46, s45
	s_cbranch_execz .LBB363_2
; %bb.46:                               ;   in Loop: Header=BB363_4 Depth=1
	v_add_co_u32 v8, vcc_lo, v22, s40
	s_wait_alu 0xfffd
	v_add_co_ci_u32_e64 v9, null, s41, v23, vcc_lo
	flat_store_b128 v[8:9], v[0:3]
	s_branch .LBB363_2
.LBB363_47:
	s_endpgm
	.section	.rodata,"a",@progbits
	.p2align	6, 0x0
	.amdhsa_kernel _ZL20rocblas_gemvt_kernelILb0ELi256EPK19rocblas_complex_numIdES1_KPS1_EviiT2_lPKT1_lilS9_lilS6_lPT3_lili
		.amdhsa_group_segment_fixed_size 4096
		.amdhsa_private_segment_fixed_size 0
		.amdhsa_kernarg_size 156
		.amdhsa_user_sgpr_count 2
		.amdhsa_user_sgpr_dispatch_ptr 0
		.amdhsa_user_sgpr_queue_ptr 0
		.amdhsa_user_sgpr_kernarg_segment_ptr 1
		.amdhsa_user_sgpr_dispatch_id 0
		.amdhsa_user_sgpr_private_segment_size 0
		.amdhsa_wavefront_size32 1
		.amdhsa_uses_dynamic_stack 0
		.amdhsa_enable_private_segment 0
		.amdhsa_system_sgpr_workgroup_id_x 1
		.amdhsa_system_sgpr_workgroup_id_y 0
		.amdhsa_system_sgpr_workgroup_id_z 1
		.amdhsa_system_sgpr_workgroup_info 0
		.amdhsa_system_vgpr_workitem_id 0
		.amdhsa_next_free_vgpr 34
		.amdhsa_next_free_sgpr 50
		.amdhsa_reserve_vcc 1
		.amdhsa_float_round_mode_32 0
		.amdhsa_float_round_mode_16_64 0
		.amdhsa_float_denorm_mode_32 3
		.amdhsa_float_denorm_mode_16_64 3
		.amdhsa_fp16_overflow 0
		.amdhsa_workgroup_processor_mode 1
		.amdhsa_memory_ordered 1
		.amdhsa_forward_progress 1
		.amdhsa_inst_pref_size 17
		.amdhsa_round_robin_scheduling 0
		.amdhsa_exception_fp_ieee_invalid_op 0
		.amdhsa_exception_fp_denorm_src 0
		.amdhsa_exception_fp_ieee_div_zero 0
		.amdhsa_exception_fp_ieee_overflow 0
		.amdhsa_exception_fp_ieee_underflow 0
		.amdhsa_exception_fp_ieee_inexact 0
		.amdhsa_exception_int_div_zero 0
	.end_amdhsa_kernel
	.section	.text._ZL20rocblas_gemvt_kernelILb0ELi256EPK19rocblas_complex_numIdES1_KPS1_EviiT2_lPKT1_lilS9_lilS6_lPT3_lili,"axG",@progbits,_ZL20rocblas_gemvt_kernelILb0ELi256EPK19rocblas_complex_numIdES1_KPS1_EviiT2_lPKT1_lilS9_lilS6_lPT3_lili,comdat
.Lfunc_end363:
	.size	_ZL20rocblas_gemvt_kernelILb0ELi256EPK19rocblas_complex_numIdES1_KPS1_EviiT2_lPKT1_lilS9_lilS6_lPT3_lili, .Lfunc_end363-_ZL20rocblas_gemvt_kernelILb0ELi256EPK19rocblas_complex_numIdES1_KPS1_EviiT2_lPKT1_lilS9_lilS6_lPT3_lili
                                        ; -- End function
	.set _ZL20rocblas_gemvt_kernelILb0ELi256EPK19rocblas_complex_numIdES1_KPS1_EviiT2_lPKT1_lilS9_lilS6_lPT3_lili.num_vgpr, 34
	.set _ZL20rocblas_gemvt_kernelILb0ELi256EPK19rocblas_complex_numIdES1_KPS1_EviiT2_lPKT1_lilS9_lilS6_lPT3_lili.num_agpr, 0
	.set _ZL20rocblas_gemvt_kernelILb0ELi256EPK19rocblas_complex_numIdES1_KPS1_EviiT2_lPKT1_lilS9_lilS6_lPT3_lili.numbered_sgpr, 50
	.set _ZL20rocblas_gemvt_kernelILb0ELi256EPK19rocblas_complex_numIdES1_KPS1_EviiT2_lPKT1_lilS9_lilS6_lPT3_lili.num_named_barrier, 0
	.set _ZL20rocblas_gemvt_kernelILb0ELi256EPK19rocblas_complex_numIdES1_KPS1_EviiT2_lPKT1_lilS9_lilS6_lPT3_lili.private_seg_size, 0
	.set _ZL20rocblas_gemvt_kernelILb0ELi256EPK19rocblas_complex_numIdES1_KPS1_EviiT2_lPKT1_lilS9_lilS6_lPT3_lili.uses_vcc, 1
	.set _ZL20rocblas_gemvt_kernelILb0ELi256EPK19rocblas_complex_numIdES1_KPS1_EviiT2_lPKT1_lilS9_lilS6_lPT3_lili.uses_flat_scratch, 0
	.set _ZL20rocblas_gemvt_kernelILb0ELi256EPK19rocblas_complex_numIdES1_KPS1_EviiT2_lPKT1_lilS9_lilS6_lPT3_lili.has_dyn_sized_stack, 0
	.set _ZL20rocblas_gemvt_kernelILb0ELi256EPK19rocblas_complex_numIdES1_KPS1_EviiT2_lPKT1_lilS9_lilS6_lPT3_lili.has_recursion, 0
	.set _ZL20rocblas_gemvt_kernelILb0ELi256EPK19rocblas_complex_numIdES1_KPS1_EviiT2_lPKT1_lilS9_lilS6_lPT3_lili.has_indirect_call, 0
	.section	.AMDGPU.csdata,"",@progbits
; Kernel info:
; codeLenInByte = 2076
; TotalNumSgprs: 52
; NumVgprs: 34
; ScratchSize: 0
; MemoryBound: 0
; FloatMode: 240
; IeeeMode: 1
; LDSByteSize: 4096 bytes/workgroup (compile time only)
; SGPRBlocks: 0
; VGPRBlocks: 4
; NumSGPRsForWavesPerEU: 52
; NumVGPRsForWavesPerEU: 34
; Occupancy: 16
; WaveLimiterHint : 1
; COMPUTE_PGM_RSRC2:SCRATCH_EN: 0
; COMPUTE_PGM_RSRC2:USER_SGPR: 2
; COMPUTE_PGM_RSRC2:TRAP_HANDLER: 0
; COMPUTE_PGM_RSRC2:TGID_X_EN: 1
; COMPUTE_PGM_RSRC2:TGID_Y_EN: 0
; COMPUTE_PGM_RSRC2:TGID_Z_EN: 1
; COMPUTE_PGM_RSRC2:TIDIG_COMP_CNT: 0
	.section	.text._ZL32rocblas_gemvt_warp_reduce_kernelILb0ELi1024EiPK19rocblas_complex_numIdES3_KPS1_EviiT3_lPKT2_lT1_lS9_lSA_lS6_lPT4_lSA_li,"axG",@progbits,_ZL32rocblas_gemvt_warp_reduce_kernelILb0ELi1024EiPK19rocblas_complex_numIdES3_KPS1_EviiT3_lPKT2_lT1_lS9_lSA_lS6_lPT4_lSA_li,comdat
	.globl	_ZL32rocblas_gemvt_warp_reduce_kernelILb0ELi1024EiPK19rocblas_complex_numIdES3_KPS1_EviiT3_lPKT2_lT1_lS9_lSA_lS6_lPT4_lSA_li ; -- Begin function _ZL32rocblas_gemvt_warp_reduce_kernelILb0ELi1024EiPK19rocblas_complex_numIdES3_KPS1_EviiT3_lPKT2_lT1_lS9_lSA_lS6_lPT4_lSA_li
	.p2align	8
	.type	_ZL32rocblas_gemvt_warp_reduce_kernelILb0ELi1024EiPK19rocblas_complex_numIdES3_KPS1_EviiT3_lPKT2_lT1_lS9_lSA_lS6_lPT4_lSA_li,@function
_ZL32rocblas_gemvt_warp_reduce_kernelILb0ELi1024EiPK19rocblas_complex_numIdES3_KPS1_EviiT3_lPKT2_lT1_lS9_lSA_lS6_lPT4_lSA_li: ; @_ZL32rocblas_gemvt_warp_reduce_kernelILb0ELi1024EiPK19rocblas_complex_numIdES3_KPS1_EviiT3_lPKT2_lT1_lS9_lSA_lS6_lPT4_lSA_li
; %bb.0:
	s_load_b32 s33, s[0:1], 0x88
	s_lshr_b32 s6, ttmp7, 16
	s_wait_kmcnt 0x0
	s_cmp_ge_u32 s6, s33
	s_cbranch_scc1 .LBB364_39
; %bb.1:
	s_clause 0x6
	s_load_b32 s36, s[0:1], 0x0
	s_load_b32 s3, s[0:1], 0x78
	s_load_b256 s[8:15], s[0:1], 0x8
	s_load_b32 s4, s[0:1], 0x28
	s_load_b128 s[24:27], s[0:1], 0x38
	s_load_b32 s29, s[0:1], 0x48
	s_load_b256 s[16:23], s[0:1], 0x58
	v_lshrrev_b32_e32 v3, 1, v0
	v_dual_mov_b32 v1, 0 :: v_dual_and_b32 v2, 31, v0
	v_cmp_eq_u32_e64 s0, 0, v0
	v_cmp_gt_u32_e64 s1, 32, v0
	s_delay_alu instid0(VALU_DEP_4) | instskip(NEXT) | instid1(VALU_DEP_4)
	v_and_b32_e32 v26, 0x1f0, v3
	v_cmp_eq_u32_e64 s2, 0, v2
	v_mbcnt_lo_u32_b32 v31, -1, 0
	s_mov_b32 s7, 0
	s_wait_kmcnt 0x0
	s_ashr_i32 s5, s36, 31
	s_mul_i32 s34, s3, ttmp9
	s_lshr_b32 s5, s5, 22
	v_cmp_gt_i32_e32 vcc_lo, s36, v0
	s_add_co_i32 s3, s36, s5
	v_lshlrev_b32_e32 v25, 4, v2
	s_and_b32 s28, s3, 0xfffffc00
	s_mul_i32 s4, s4, ttmp9
	v_or_b32_e32 v3, s28, v0
	v_cndmask_b32_e32 v4, 0, v0, vcc_lo
	s_ashr_i32 s5, s4, 31
	v_mul_lo_u32 v27, v0, s29
	s_lshl_b64 s[30:31], s[4:5], 4
	v_mul_lo_u32 v2, s29, v3
	v_lshlrev_b32_e32 v5, 4, v4
	v_cmp_gt_i32_e64 s4, s36, v3
	v_cmp_gt_i32_e64 s3, s28, v0
	v_lshlrev_b32_e32 v30, 4, v4
	s_lshl_b32 s38, s29, 10
	v_add_co_u32 v5, s5, s30, v5
	v_ashrrev_i32_e32 v3, 31, v2
	v_add_co_ci_u32_e64 v28, null, s31, 0, s5
	s_delay_alu instid0(VALU_DEP_3) | instskip(SKIP_1) | instid1(VALU_DEP_3)
	v_or_b32_e32 v29, 8, v5
	s_ashr_i32 s35, s34, 31
	v_lshlrev_b64_e32 v[21:22], 4, v[2:3]
	s_ashr_i32 s29, s28, 31
	s_lshl_b64 s[14:15], s[14:15], 4
	s_lshl_b64 s[26:27], s[26:27], 4
	s_lshl_b64 s[22:23], s[22:23], 4
	s_lshl_b64 s[34:35], s[34:35], 4
	s_wait_alu 0xfffe
	s_lshl_b64 s[36:37], s[28:29], 4
	s_branch .LBB364_4
.LBB364_2:                              ;   in Loop: Header=BB364_4 Depth=1
	s_wait_alu 0xfffe
	s_or_b32 exec_lo, exec_lo, s5
.LBB364_3:                              ;   in Loop: Header=BB364_4 Depth=1
	s_add_co_i32 s6, s6, 0x10000
	s_delay_alu instid0(SALU_CYCLE_1)
	s_cmp_lt_u32 s6, s33
	s_cbranch_scc0 .LBB364_39
.LBB364_4:                              ; =>This Loop Header: Depth=1
                                        ;     Child Loop BB364_28 Depth 2
	s_mul_u64 s[40:41], s[10:11], s[6:7]
	s_mov_b32 s39, -1
	s_lshl_b64 s[40:41], s[40:41], 4
	s_delay_alu instid0(SALU_CYCLE_1) | instskip(SKIP_2) | instid1(SALU_CYCLE_1)
	s_add_nc_u64 s[40:41], s[8:9], s[40:41]
	global_load_b128 v[9:12], v1, s[40:41]
	s_mul_u64 s[40:41], s[18:19], s[6:7]
	s_lshl_b64 s[40:41], s[40:41], 4
	s_delay_alu instid0(SALU_CYCLE_1)
	s_add_nc_u64 s[40:41], s[16:17], s[40:41]
	s_wait_loadcnt 0x1
	global_load_b128 v[5:8], v1, s[40:41]
	s_wait_loadcnt 0x1
	v_cmp_neq_f64_e32 vcc_lo, 0, v[9:10]
	v_cmp_neq_f64_e64 s5, 0, v[11:12]
	s_or_b32 s29, vcc_lo, s5
	s_mov_b32 s5, s7
	s_wait_alu 0xfffe
	s_and_b32 vcc_lo, exec_lo, s29
	s_wait_alu 0xfffe
	s_cbranch_vccz .LBB364_7
; %bb.5:                                ;   in Loop: Header=BB364_4 Depth=1
	v_mov_b32_e32 v2, 0
	v_mov_b32_e32 v3, 0
	s_and_not1_b32 vcc_lo, exec_lo, s39
	s_wait_alu 0xfffe
	s_cbranch_vccz .LBB364_8
.LBB364_6:                              ;   in Loop: Header=BB364_4 Depth=1
	s_wait_alu 0xfffe
	s_and_not1_b32 vcc_lo, exec_lo, s5
	s_wait_alu 0xfffe
	s_cbranch_vccnz .LBB364_3
	s_branch .LBB364_9
.LBB364_7:                              ;   in Loop: Header=BB364_4 Depth=1
	s_wait_loadcnt 0x0
	v_cmp_neq_f64_e32 vcc_lo, 1.0, v[5:6]
	v_cmp_neq_f64_e64 s5, 0, v[7:8]
	s_or_b32 s5, vcc_lo, s5
	v_mov_b32_e32 v2, 0
	v_mov_b32_e32 v3, 0
	s_cbranch_execnz .LBB364_6
.LBB364_8:                              ;   in Loop: Header=BB364_4 Depth=1
	s_lshl_b64 s[40:41], s[6:7], 3
	s_delay_alu instid0(SALU_CYCLE_1)
	s_add_nc_u64 s[40:41], s[12:13], s[40:41]
	global_load_b64 v[2:3], v1, s[40:41]
	s_wait_loadcnt 0x0
	v_add_co_u32 v2, vcc_lo, v2, s14
	s_wait_alu 0xfffd
	v_add_co_ci_u32_e64 v3, null, s15, v3, vcc_lo
.LBB364_9:                              ;   in Loop: Header=BB364_4 Depth=1
	s_wait_dscnt 0x0
	v_mov_b32_e32 v17, 0
	v_mov_b32_e32 v18, 0
	s_and_not1_b32 vcc_lo, exec_lo, s29
	s_wait_alu 0xfffe
	s_cbranch_vccnz .LBB364_11
; %bb.10:                               ;   in Loop: Header=BB364_4 Depth=1
	s_lshl_b64 s[40:41], s[6:7], 3
	s_delay_alu instid0(SALU_CYCLE_1)
	s_add_nc_u64 s[40:41], s[24:25], s[40:41]
	global_load_b64 v[13:14], v1, s[40:41]
	s_wait_loadcnt 0x0
	v_add_co_u32 v17, vcc_lo, v13, s26
	s_wait_alu 0xfffd
	v_add_co_ci_u32_e64 v18, null, s27, v14, vcc_lo
.LBB364_11:                             ;   in Loop: Header=BB364_4 Depth=1
	s_lshl_b64 s[40:41], s[6:7], 3
	s_xor_b32 s5, s29, -1
	s_add_nc_u64 s[40:41], s[20:21], s[40:41]
	global_load_b64 v[13:14], v1, s[40:41]
	s_wait_loadcnt 0x0
	v_add_co_u32 v32, vcc_lo, v13, s22
	s_wait_alu 0xfffd
	v_add_co_ci_u32_e64 v33, null, s23, v14, vcc_lo
	s_wait_alu 0xfffe
	s_and_not1_b32 vcc_lo, exec_lo, s5
	s_wait_alu 0xfffe
	s_cbranch_vccnz .LBB364_16
; %bb.12:                               ;   in Loop: Header=BB364_4 Depth=1
	s_mov_b32 s39, 0
	s_mov_b32 s29, 0
                                        ; implicit-def: $vgpr15_vgpr16
	s_and_saveexec_b32 s40, s0
	s_cbranch_execz .LBB364_17
; %bb.13:                               ;   in Loop: Header=BB364_4 Depth=1
	v_cmp_neq_f64_e32 vcc_lo, 0, v[5:6]
	v_cmp_neq_f64_e64 s5, 0, v[7:8]
	v_mov_b32_e32 v15, 0
	v_dual_mov_b32 v16, 0 :: v_dual_mov_b32 v13, 0
	v_mov_b32_e32 v14, 0
	s_or_b32 s5, vcc_lo, s5
	s_wait_alu 0xfffe
	s_and_not1_b32 vcc_lo, exec_lo, s5
	s_wait_alu 0xfffe
	s_cbranch_vccnz .LBB364_15
; %bb.14:                               ;   in Loop: Header=BB364_4 Depth=1
	v_add_co_u32 v13, vcc_lo, v32, s34
	s_wait_alu 0xfffd
	v_add_co_ci_u32_e64 v14, null, s35, v33, vcc_lo
	flat_load_b128 v[34:37], v[13:14]
	s_wait_loadcnt_dscnt 0x0
	v_mul_f64_e32 v[13:14], v[7:8], v[36:37]
	v_mul_f64_e32 v[15:16], v[5:6], v[36:37]
	s_delay_alu instid0(VALU_DEP_2) | instskip(NEXT) | instid1(VALU_DEP_2)
	v_fma_f64 v[13:14], v[5:6], v[34:35], -v[13:14]
	v_fma_f64 v[15:16], v[7:8], v[34:35], v[15:16]
.LBB364_15:                             ;   in Loop: Header=BB364_4 Depth=1
	s_mov_b32 s29, exec_lo
	s_or_b32 exec_lo, exec_lo, s40
	s_delay_alu instid0(SALU_CYCLE_1)
	s_and_b32 vcc_lo, exec_lo, s39
	s_wait_alu 0xfffe
	s_cbranch_vccnz .LBB364_18
	s_branch .LBB364_37
.LBB364_16:                             ;   in Loop: Header=BB364_4 Depth=1
	s_mov_b32 s29, 0
                                        ; implicit-def: $vgpr15_vgpr16
	s_cbranch_execnz .LBB364_18
	s_branch .LBB364_37
.LBB364_17:                             ;   in Loop: Header=BB364_4 Depth=1
	s_or_b32 exec_lo, exec_lo, s40
	s_wait_alu 0xfffe
	s_and_b32 vcc_lo, exec_lo, s39
	s_wait_alu 0xfffe
	s_cbranch_vccz .LBB364_37
.LBB364_18:                             ;   in Loop: Header=BB364_4 Depth=1
	v_mov_b32_e32 v13, 0
	v_dual_mov_b32 v14, 0 :: v_dual_mov_b32 v15, 0
	v_mov_b32_e32 v16, 0
	s_and_saveexec_b32 s39, s3
	s_cbranch_execnz .LBB364_27
; %bb.19:                               ;   in Loop: Header=BB364_4 Depth=1
	s_wait_alu 0xfffe
	s_or_b32 exec_lo, exec_lo, s39
	s_and_saveexec_b32 s5, s4
	s_cbranch_execnz .LBB364_30
.LBB364_20:                             ;   in Loop: Header=BB364_4 Depth=1
	s_wait_alu 0xfffe
	s_or_b32 exec_lo, exec_lo, s5
	s_and_saveexec_b32 s5, s1
.LBB364_21:                             ;   in Loop: Header=BB364_4 Depth=1
	v_dual_mov_b32 v2, v1 :: v_dual_mov_b32 v3, v1
	v_mov_b32_e32 v4, v1
	ds_store_b128 v25, v[1:4]
.LBB364_22:                             ;   in Loop: Header=BB364_4 Depth=1
	s_wait_alu 0xfffe
	s_or_b32 exec_lo, exec_lo, s5
	v_lshl_or_b32 v4, v31, 2, 64
	v_cmp_gt_u32_e32 vcc_lo, 24, v31
	s_wait_dscnt 0x0
	s_barrier_signal -1
	s_barrier_wait -1
	ds_bpermute_b32 v2, v4, v15
	ds_bpermute_b32 v3, v4, v16
	;; [unrolled: 1-line block ×4, first 2 shown]
	s_wait_dscnt 0x0
	global_inv scope:SCOPE_SE
	v_add_f64_e32 v[2:3], v[15:16], v[2:3]
	s_wait_alu 0xfffd
	v_cndmask_b32_e64 v15, 0, 8, vcc_lo
	v_add_f64_e32 v[13:14], v[13:14], v[17:18]
	v_cmp_gt_u32_e32 vcc_lo, 28, v31
	s_delay_alu instid0(VALU_DEP_3)
	v_add_lshl_u32 v23, v15, v31, 2
	ds_bpermute_b32 v15, v23, v2
	ds_bpermute_b32 v16, v23, v3
	;; [unrolled: 1-line block ×4, first 2 shown]
	s_wait_dscnt 0x2
	v_add_f64_e32 v[2:3], v[2:3], v[15:16]
	s_wait_alu 0xfffd
	v_cndmask_b32_e64 v15, 0, 4, vcc_lo
	s_wait_dscnt 0x0
	v_add_f64_e32 v[13:14], v[13:14], v[17:18]
	v_cmp_gt_u32_e32 vcc_lo, 30, v31
	s_delay_alu instid0(VALU_DEP_3)
	v_add_lshl_u32 v24, v15, v31, 2
	ds_bpermute_b32 v15, v24, v2
	ds_bpermute_b32 v16, v24, v3
	;; [unrolled: 1-line block ×4, first 2 shown]
	s_wait_dscnt 0x2
	v_add_f64_e32 v[2:3], v[2:3], v[15:16]
	s_wait_alu 0xfffd
	v_cndmask_b32_e64 v15, 0, 2, vcc_lo
	s_wait_dscnt 0x0
	v_add_f64_e32 v[13:14], v[13:14], v[17:18]
	v_cmp_ne_u32_e32 vcc_lo, 31, v31
	s_delay_alu instid0(VALU_DEP_3)
	v_add_lshl_u32 v34, v15, v31, 2
	ds_bpermute_b32 v15, v34, v2
	ds_bpermute_b32 v16, v34, v3
	;; [unrolled: 1-line block ×4, first 2 shown]
	s_wait_dscnt 0x2
	v_add_f64_e32 v[2:3], v[2:3], v[15:16]
	s_wait_alu 0xfffd
	v_add_co_ci_u32_e64 v15, null, 0, v31, vcc_lo
	s_wait_dscnt 0x0
	v_add_f64_e32 v[13:14], v[13:14], v[17:18]
	s_delay_alu instid0(VALU_DEP_2)
	v_lshlrev_b32_e32 v35, 2, v15
	ds_bpermute_b32 v15, v35, v2
	ds_bpermute_b32 v16, v35, v3
	;; [unrolled: 1-line block ×4, first 2 shown]
	s_and_saveexec_b32 s5, s2
	s_cbranch_execz .LBB364_24
; %bb.23:                               ;   in Loop: Header=BB364_4 Depth=1
	s_wait_dscnt 0x0
	v_add_f64_e32 v[17:18], v[13:14], v[17:18]
	v_add_f64_e32 v[15:16], v[2:3], v[15:16]
	ds_store_b128 v26, v[15:18]
.LBB364_24:                             ;   in Loop: Header=BB364_4 Depth=1
	s_wait_alu 0xfffe
	s_or_b32 exec_lo, exec_lo, s5
	v_mov_b32_e32 v19, 0
	s_wait_dscnt 0x0
	v_dual_mov_b32 v20, 0 :: v_dual_mov_b32 v17, 0
	v_mov_b32_e32 v18, 0
	s_wait_loadcnt 0x0
	s_barrier_signal -1
	s_barrier_wait -1
	global_inv scope:SCOPE_SE
	s_and_saveexec_b32 s5, s1
	s_cbranch_execnz .LBB364_31
; %bb.25:                               ;   in Loop: Header=BB364_4 Depth=1
	s_wait_alu 0xfffe
	s_or_b32 exec_lo, exec_lo, s5
	s_and_saveexec_b32 s5, s1
	s_cbranch_execnz .LBB364_32
.LBB364_26:                             ;   in Loop: Header=BB364_4 Depth=1
	s_wait_alu 0xfffe
	s_or_b32 exec_lo, exec_lo, s5
                                        ; implicit-def: $vgpr15_vgpr16
	s_and_saveexec_b32 s39, s0
	s_cbranch_execnz .LBB364_33
	s_branch .LBB364_36
.LBB364_27:                             ;   in Loop: Header=BB364_4 Depth=1
	v_add_co_u32 v19, vcc_lo, v2, v29
	v_dual_mov_b32 v13, 0 :: v_dual_mov_b32 v4, v0
	v_dual_mov_b32 v14, 0 :: v_dual_mov_b32 v15, 0
	s_wait_alu 0xfffd
	v_add_co_ci_u32_e64 v20, null, v3, v28, vcc_lo
	v_dual_mov_b32 v16, 0 :: v_dual_mov_b32 v23, v27
	s_mov_b32 s40, 0
.LBB364_28:                             ;   Parent Loop BB364_4 Depth=1
                                        ; =>  This Inner Loop Header: Depth=2
	s_delay_alu instid0(VALU_DEP_1) | instskip(SKIP_1) | instid1(VALU_DEP_2)
	v_ashrrev_i32_e32 v24, 31, v23
	v_add_nc_u32_e32 v4, 0x400, v4
	v_lshlrev_b64_e32 v[34:35], 4, v[23:24]
	s_delay_alu instid0(VALU_DEP_2)
	v_cmp_le_i32_e64 s5, s28, v4
	v_add_nc_u32_e32 v23, s38, v23
	s_or_b32 s40, s5, s40
	v_add_co_u32 v38, vcc_lo, v17, v34
	s_wait_alu 0xfffd
	v_add_co_ci_u32_e64 v39, null, v18, v35, vcc_lo
	flat_load_b128 v[34:37], v[19:20] offset:-8
	flat_load_b128 v[38:41], v[38:39]
	v_add_co_u32 v19, vcc_lo, 0x4000, v19
	s_wait_alu 0xfffd
	v_add_co_ci_u32_e64 v20, null, 0, v20, vcc_lo
	s_wait_loadcnt_dscnt 0x0
	v_mul_f64_e32 v[42:43], v[36:37], v[40:41]
	v_mul_f64_e32 v[40:41], v[34:35], v[40:41]
	s_delay_alu instid0(VALU_DEP_2) | instskip(NEXT) | instid1(VALU_DEP_2)
	v_fma_f64 v[34:35], v[34:35], v[38:39], -v[42:43]
	v_fma_f64 v[36:37], v[36:37], v[38:39], v[40:41]
	s_delay_alu instid0(VALU_DEP_2) | instskip(NEXT) | instid1(VALU_DEP_2)
	v_add_f64_e32 v[15:16], v[15:16], v[34:35]
	v_add_f64_e32 v[13:14], v[13:14], v[36:37]
	s_and_not1_b32 exec_lo, exec_lo, s40
	s_cbranch_execnz .LBB364_28
; %bb.29:                               ;   in Loop: Header=BB364_4 Depth=1
	s_or_b32 exec_lo, exec_lo, s40
	s_wait_alu 0xfffe
	s_or_b32 exec_lo, exec_lo, s39
	s_and_saveexec_b32 s5, s4
	s_cbranch_execz .LBB364_20
.LBB364_30:                             ;   in Loop: Header=BB364_4 Depth=1
	v_add_co_u32 v2, vcc_lo, v2, v30
	s_wait_alu 0xfffd
	v_add_co_ci_u32_e64 v3, null, 0, v3, vcc_lo
	s_delay_alu instid0(VALU_DEP_2) | instskip(SKIP_1) | instid1(VALU_DEP_2)
	v_add_co_u32 v4, vcc_lo, v2, s30
	s_wait_alu 0xfffd
	v_add_co_ci_u32_e64 v19, null, s31, v3, vcc_lo
	v_add_co_u32 v2, vcc_lo, v17, v21
	s_wait_alu 0xfffd
	v_add_co_ci_u32_e64 v3, null, v18, v22, vcc_lo
	;; [unrolled: 3-line block ×3, first 2 shown]
	flat_load_b128 v[17:20], v[2:3]
	flat_load_b128 v[34:37], v[23:24]
	s_wait_loadcnt_dscnt 0x0
	v_mul_f64_e32 v[2:3], v[36:37], v[19:20]
	v_mul_f64_e32 v[19:20], v[34:35], v[19:20]
	s_delay_alu instid0(VALU_DEP_2) | instskip(NEXT) | instid1(VALU_DEP_2)
	v_fma_f64 v[2:3], v[34:35], v[17:18], -v[2:3]
	v_fma_f64 v[17:18], v[36:37], v[17:18], v[19:20]
	s_delay_alu instid0(VALU_DEP_2) | instskip(NEXT) | instid1(VALU_DEP_2)
	v_add_f64_e32 v[15:16], v[15:16], v[2:3]
	v_add_f64_e32 v[13:14], v[13:14], v[17:18]
	s_wait_alu 0xfffe
	s_or_b32 exec_lo, exec_lo, s5
	s_and_saveexec_b32 s5, s1
	s_cbranch_execnz .LBB364_21
	s_branch .LBB364_22
.LBB364_31:                             ;   in Loop: Header=BB364_4 Depth=1
	ds_load_b128 v[17:20], v25
	s_wait_alu 0xfffe
	s_or_b32 exec_lo, exec_lo, s5
	s_and_saveexec_b32 s5, s1
	s_cbranch_execz .LBB364_26
.LBB364_32:                             ;   in Loop: Header=BB364_4 Depth=1
	s_wait_dscnt 0x0
	ds_bpermute_b32 v2, v4, v17
	ds_bpermute_b32 v3, v4, v18
	ds_bpermute_b32 v13, v4, v19
	ds_bpermute_b32 v14, v4, v20
	s_wait_dscnt 0x2
	v_add_f64_e32 v[2:3], v[17:18], v[2:3]
	s_wait_dscnt 0x0
	v_add_f64_e32 v[13:14], v[19:20], v[13:14]
	ds_bpermute_b32 v15, v23, v2
	ds_bpermute_b32 v16, v23, v3
	ds_bpermute_b32 v17, v23, v13
	ds_bpermute_b32 v18, v23, v14
	s_wait_dscnt 0x2
	v_add_f64_e32 v[2:3], v[2:3], v[15:16]
	s_wait_dscnt 0x0
	v_add_f64_e32 v[13:14], v[13:14], v[17:18]
	;; [unrolled: 8-line block ×5, first 2 shown]
	s_wait_alu 0xfffe
	s_or_b32 exec_lo, exec_lo, s5
                                        ; implicit-def: $vgpr15_vgpr16
	s_and_saveexec_b32 s39, s0
	s_cbranch_execz .LBB364_36
.LBB364_33:                             ;   in Loop: Header=BB364_4 Depth=1
	s_wait_dscnt 0x0
	s_delay_alu instid0(VALU_DEP_1) | instskip(SKIP_3) | instid1(VALU_DEP_4)
	v_mul_f64_e32 v[2:3], v[11:12], v[19:20]
	v_mul_f64_e32 v[15:16], v[9:10], v[19:20]
	v_cmp_neq_f64_e32 vcc_lo, 0, v[5:6]
	v_cmp_neq_f64_e64 s5, 0, v[7:8]
	v_fma_f64 v[13:14], v[9:10], v[17:18], -v[2:3]
	s_delay_alu instid0(VALU_DEP_4)
	v_fma_f64 v[15:16], v[11:12], v[17:18], v[15:16]
	s_or_b32 s5, vcc_lo, s5
	s_wait_alu 0xfffe
	s_and_not1_b32 vcc_lo, exec_lo, s5
	s_wait_alu 0xfffe
	s_cbranch_vccnz .LBB364_35
; %bb.34:                               ;   in Loop: Header=BB364_4 Depth=1
	v_add_co_u32 v2, vcc_lo, v32, s34
	s_wait_alu 0xfffd
	v_add_co_ci_u32_e64 v3, null, s35, v33, vcc_lo
	flat_load_b128 v[9:12], v[2:3]
	s_wait_loadcnt_dscnt 0x0
	v_mul_f64_e32 v[2:3], v[7:8], v[11:12]
	v_mul_f64_e32 v[11:12], v[5:6], v[11:12]
	s_delay_alu instid0(VALU_DEP_2) | instskip(NEXT) | instid1(VALU_DEP_2)
	v_fma_f64 v[2:3], v[5:6], v[9:10], -v[2:3]
	v_fma_f64 v[4:5], v[7:8], v[9:10], v[11:12]
	s_delay_alu instid0(VALU_DEP_2) | instskip(NEXT) | instid1(VALU_DEP_2)
	v_add_f64_e32 v[13:14], v[13:14], v[2:3]
	v_add_f64_e32 v[15:16], v[15:16], v[4:5]
.LBB364_35:                             ;   in Loop: Header=BB364_4 Depth=1
	s_or_b32 s29, s29, exec_lo
.LBB364_36:                             ;   in Loop: Header=BB364_4 Depth=1
	s_wait_alu 0xfffe
	s_or_b32 exec_lo, exec_lo, s39
.LBB364_37:                             ;   in Loop: Header=BB364_4 Depth=1
	s_wait_alu 0xfffe
	s_and_saveexec_b32 s5, s29
	s_cbranch_execz .LBB364_2
; %bb.38:                               ;   in Loop: Header=BB364_4 Depth=1
	v_add_co_u32 v2, vcc_lo, v32, s34
	s_wait_alu 0xfffd
	v_add_co_ci_u32_e64 v3, null, s35, v33, vcc_lo
	flat_store_b128 v[2:3], v[13:16]
	s_branch .LBB364_2
.LBB364_39:
	s_endpgm
	.section	.rodata,"a",@progbits
	.p2align	6, 0x0
	.amdhsa_kernel _ZL32rocblas_gemvt_warp_reduce_kernelILb0ELi1024EiPK19rocblas_complex_numIdES3_KPS1_EviiT3_lPKT2_lT1_lS9_lSA_lS6_lPT4_lSA_li
		.amdhsa_group_segment_fixed_size 512
		.amdhsa_private_segment_fixed_size 0
		.amdhsa_kernarg_size 140
		.amdhsa_user_sgpr_count 2
		.amdhsa_user_sgpr_dispatch_ptr 0
		.amdhsa_user_sgpr_queue_ptr 0
		.amdhsa_user_sgpr_kernarg_segment_ptr 1
		.amdhsa_user_sgpr_dispatch_id 0
		.amdhsa_user_sgpr_private_segment_size 0
		.amdhsa_wavefront_size32 1
		.amdhsa_uses_dynamic_stack 0
		.amdhsa_enable_private_segment 0
		.amdhsa_system_sgpr_workgroup_id_x 1
		.amdhsa_system_sgpr_workgroup_id_y 0
		.amdhsa_system_sgpr_workgroup_id_z 1
		.amdhsa_system_sgpr_workgroup_info 0
		.amdhsa_system_vgpr_workitem_id 0
		.amdhsa_next_free_vgpr 44
		.amdhsa_next_free_sgpr 42
		.amdhsa_reserve_vcc 1
		.amdhsa_float_round_mode_32 0
		.amdhsa_float_round_mode_16_64 0
		.amdhsa_float_denorm_mode_32 3
		.amdhsa_float_denorm_mode_16_64 3
		.amdhsa_fp16_overflow 0
		.amdhsa_workgroup_processor_mode 1
		.amdhsa_memory_ordered 1
		.amdhsa_forward_progress 1
		.amdhsa_inst_pref_size 19
		.amdhsa_round_robin_scheduling 0
		.amdhsa_exception_fp_ieee_invalid_op 0
		.amdhsa_exception_fp_denorm_src 0
		.amdhsa_exception_fp_ieee_div_zero 0
		.amdhsa_exception_fp_ieee_overflow 0
		.amdhsa_exception_fp_ieee_underflow 0
		.amdhsa_exception_fp_ieee_inexact 0
		.amdhsa_exception_int_div_zero 0
	.end_amdhsa_kernel
	.section	.text._ZL32rocblas_gemvt_warp_reduce_kernelILb0ELi1024EiPK19rocblas_complex_numIdES3_KPS1_EviiT3_lPKT2_lT1_lS9_lSA_lS6_lPT4_lSA_li,"axG",@progbits,_ZL32rocblas_gemvt_warp_reduce_kernelILb0ELi1024EiPK19rocblas_complex_numIdES3_KPS1_EviiT3_lPKT2_lT1_lS9_lSA_lS6_lPT4_lSA_li,comdat
.Lfunc_end364:
	.size	_ZL32rocblas_gemvt_warp_reduce_kernelILb0ELi1024EiPK19rocblas_complex_numIdES3_KPS1_EviiT3_lPKT2_lT1_lS9_lSA_lS6_lPT4_lSA_li, .Lfunc_end364-_ZL32rocblas_gemvt_warp_reduce_kernelILb0ELi1024EiPK19rocblas_complex_numIdES3_KPS1_EviiT3_lPKT2_lT1_lS9_lSA_lS6_lPT4_lSA_li
                                        ; -- End function
	.set _ZL32rocblas_gemvt_warp_reduce_kernelILb0ELi1024EiPK19rocblas_complex_numIdES3_KPS1_EviiT3_lPKT2_lT1_lS9_lSA_lS6_lPT4_lSA_li.num_vgpr, 44
	.set _ZL32rocblas_gemvt_warp_reduce_kernelILb0ELi1024EiPK19rocblas_complex_numIdES3_KPS1_EviiT3_lPKT2_lT1_lS9_lSA_lS6_lPT4_lSA_li.num_agpr, 0
	.set _ZL32rocblas_gemvt_warp_reduce_kernelILb0ELi1024EiPK19rocblas_complex_numIdES3_KPS1_EviiT3_lPKT2_lT1_lS9_lSA_lS6_lPT4_lSA_li.numbered_sgpr, 42
	.set _ZL32rocblas_gemvt_warp_reduce_kernelILb0ELi1024EiPK19rocblas_complex_numIdES3_KPS1_EviiT3_lPKT2_lT1_lS9_lSA_lS6_lPT4_lSA_li.num_named_barrier, 0
	.set _ZL32rocblas_gemvt_warp_reduce_kernelILb0ELi1024EiPK19rocblas_complex_numIdES3_KPS1_EviiT3_lPKT2_lT1_lS9_lSA_lS6_lPT4_lSA_li.private_seg_size, 0
	.set _ZL32rocblas_gemvt_warp_reduce_kernelILb0ELi1024EiPK19rocblas_complex_numIdES3_KPS1_EviiT3_lPKT2_lT1_lS9_lSA_lS6_lPT4_lSA_li.uses_vcc, 1
	.set _ZL32rocblas_gemvt_warp_reduce_kernelILb0ELi1024EiPK19rocblas_complex_numIdES3_KPS1_EviiT3_lPKT2_lT1_lS9_lSA_lS6_lPT4_lSA_li.uses_flat_scratch, 0
	.set _ZL32rocblas_gemvt_warp_reduce_kernelILb0ELi1024EiPK19rocblas_complex_numIdES3_KPS1_EviiT3_lPKT2_lT1_lS9_lSA_lS6_lPT4_lSA_li.has_dyn_sized_stack, 0
	.set _ZL32rocblas_gemvt_warp_reduce_kernelILb0ELi1024EiPK19rocblas_complex_numIdES3_KPS1_EviiT3_lPKT2_lT1_lS9_lSA_lS6_lPT4_lSA_li.has_recursion, 0
	.set _ZL32rocblas_gemvt_warp_reduce_kernelILb0ELi1024EiPK19rocblas_complex_numIdES3_KPS1_EviiT3_lPKT2_lT1_lS9_lSA_lS6_lPT4_lSA_li.has_indirect_call, 0
	.section	.AMDGPU.csdata,"",@progbits
; Kernel info:
; codeLenInByte = 2344
; TotalNumSgprs: 44
; NumVgprs: 44
; ScratchSize: 0
; MemoryBound: 0
; FloatMode: 240
; IeeeMode: 1
; LDSByteSize: 512 bytes/workgroup (compile time only)
; SGPRBlocks: 0
; VGPRBlocks: 5
; NumSGPRsForWavesPerEU: 44
; NumVGPRsForWavesPerEU: 44
; Occupancy: 16
; WaveLimiterHint : 1
; COMPUTE_PGM_RSRC2:SCRATCH_EN: 0
; COMPUTE_PGM_RSRC2:USER_SGPR: 2
; COMPUTE_PGM_RSRC2:TRAP_HANDLER: 0
; COMPUTE_PGM_RSRC2:TGID_X_EN: 1
; COMPUTE_PGM_RSRC2:TGID_Y_EN: 0
; COMPUTE_PGM_RSRC2:TGID_Z_EN: 1
; COMPUTE_PGM_RSRC2:TIDIG_COMP_CNT: 0
	.section	.text._ZL32rocblas_gemvt_warp_reduce_kernelILb0ELi1024ElPK19rocblas_complex_numIdES3_KPS1_EviiT3_lPKT2_lT1_lS9_lSA_lS6_lPT4_lSA_li,"axG",@progbits,_ZL32rocblas_gemvt_warp_reduce_kernelILb0ELi1024ElPK19rocblas_complex_numIdES3_KPS1_EviiT3_lPKT2_lT1_lS9_lSA_lS6_lPT4_lSA_li,comdat
	.globl	_ZL32rocblas_gemvt_warp_reduce_kernelILb0ELi1024ElPK19rocblas_complex_numIdES3_KPS1_EviiT3_lPKT2_lT1_lS9_lSA_lS6_lPT4_lSA_li ; -- Begin function _ZL32rocblas_gemvt_warp_reduce_kernelILb0ELi1024ElPK19rocblas_complex_numIdES3_KPS1_EviiT3_lPKT2_lT1_lS9_lSA_lS6_lPT4_lSA_li
	.p2align	8
	.type	_ZL32rocblas_gemvt_warp_reduce_kernelILb0ELi1024ElPK19rocblas_complex_numIdES3_KPS1_EviiT3_lPKT2_lT1_lS9_lSA_lS6_lPT4_lSA_li,@function
_ZL32rocblas_gemvt_warp_reduce_kernelILb0ELi1024ElPK19rocblas_complex_numIdES3_KPS1_EviiT3_lPKT2_lT1_lS9_lSA_lS6_lPT4_lSA_li: ; @_ZL32rocblas_gemvt_warp_reduce_kernelILb0ELi1024ElPK19rocblas_complex_numIdES3_KPS1_EviiT3_lPKT2_lT1_lS9_lSA_lS6_lPT4_lSA_li
; %bb.0:
	s_load_b32 s33, s[0:1], 0x88
	s_lshr_b32 s6, ttmp7, 16
	s_wait_kmcnt 0x0
	s_cmp_ge_u32 s6, s33
	s_cbranch_scc1 .LBB365_39
; %bb.1:
	s_clause 0x6
	s_load_b64 s[36:37], s[0:1], 0x48
	s_load_b64 s[28:29], s[0:1], 0x78
	s_load_b32 s40, s[0:1], 0x0
	s_load_b64 s[30:31], s[0:1], 0x28
	s_load_b256 s[8:15], s[0:1], 0x8
	s_load_b128 s[24:27], s[0:1], 0x38
	s_load_b256 s[16:23], s[0:1], 0x58
	v_dual_mov_b32 v1, 0 :: v_dual_and_b32 v2, 31, v0
	s_mov_b32 s4, ttmp9
	s_ashr_i32 s5, ttmp9, 31
	v_lshrrev_b32_e32 v4, 1, v0
	s_delay_alu instid0(VALU_DEP_2)
	v_cmp_eq_u32_e64 s2, 0, v2
	v_cmp_eq_u32_e64 s0, 0, v0
	v_cmp_gt_u32_e64 s1, 32, v0
	v_mbcnt_lo_u32_b32 v32, -1, 0
	v_and_b32_e32 v28, 0x1f0, v4
	s_mov_b32 s7, 0
	s_wait_kmcnt 0x0
	s_mul_u64 s[38:39], s[28:29], s[4:5]
	s_ashr_i32 s3, s40, 31
	v_cmp_gt_i32_e32 vcc_lo, s40, v0
	s_lshr_b32 s3, s3, 22
	v_lshlrev_b32_e32 v27, 4, v2
	v_mad_co_u64_u32 v[2:3], null, s36, v0, 0
	s_add_co_i32 s3, s40, s3
	s_mul_u64 s[4:5], s[30:31], s[4:5]
	s_and_b32 s30, s3, 0xfffffc00
	v_cndmask_b32_e32 v6, 0, v0, vcc_lo
	v_or_b32_e32 v7, s30, v0
	s_ashr_i32 s31, s30, 31
	v_mad_co_u64_u32 v[3:4], null, s37, v0, v[3:4]
	s_delay_alu instid0(VALU_DEP_3) | instskip(NEXT) | instid1(VALU_DEP_3)
	v_lshlrev_b32_e32 v8, 4, v6
	v_mul_lo_u32 v9, s37, v7
	v_mad_co_u64_u32 v[4:5], null, s36, v7, 0
	s_lshl_b64 s[34:35], s[4:5], 4
	s_wait_alu 0xfffe
	s_mul_i32 s4, s36, s31
	v_lshlrev_b64_e32 v[21:22], 4, v[2:3]
	v_add_co_u32 v2, s5, s34, v8
	v_cmp_gt_i32_e64 s3, s30, v0
	v_add3_u32 v5, v5, s4, v9
	v_add_co_ci_u32_e64 v29, null, s35, 0, s5
	v_cmp_gt_i32_e64 s4, s40, v7
	v_or_b32_e32 v30, 8, v2
	s_delay_alu instid0(VALU_DEP_4)
	v_lshlrev_b64_e32 v[23:24], 4, v[4:5]
	v_or_b32_e32 v21, 8, v21
	v_lshlrev_b32_e32 v31, 4, v6
	s_lshl_b64 s[28:29], s[36:37], 14
	s_lshl_b64 s[14:15], s[14:15], 4
	;; [unrolled: 1-line block ×6, first 2 shown]
	s_branch .LBB365_4
.LBB365_2:                              ;   in Loop: Header=BB365_4 Depth=1
	s_wait_alu 0xfffe
	s_or_b32 exec_lo, exec_lo, s5
.LBB365_3:                              ;   in Loop: Header=BB365_4 Depth=1
	s_add_co_i32 s6, s6, 0x10000
	s_delay_alu instid0(SALU_CYCLE_1)
	s_cmp_lt_u32 s6, s33
	s_cbranch_scc0 .LBB365_39
.LBB365_4:                              ; =>This Loop Header: Depth=1
                                        ;     Child Loop BB365_28 Depth 2
	s_mul_u64 s[40:41], s[10:11], s[6:7]
	s_wait_alu 0xfffe
	s_lshl_b64 s[40:41], s[40:41], 4
	s_wait_alu 0xfffe
	s_add_nc_u64 s[40:41], s[8:9], s[40:41]
	global_load_b128 v[9:12], v1, s[40:41]
	s_mul_u64 s[40:41], s[18:19], s[6:7]
	s_wait_alu 0xfffe
	s_lshl_b64 s[40:41], s[40:41], 4
	s_wait_alu 0xfffe
	s_add_nc_u64 s[40:41], s[16:17], s[40:41]
	s_wait_loadcnt 0x1
	global_load_b128 v[5:8], v1, s[40:41]
	s_mov_b32 s40, -1
	s_wait_loadcnt 0x1
	v_cmp_neq_f64_e32 vcc_lo, 0, v[9:10]
	v_cmp_neq_f64_e64 s5, 0, v[11:12]
	s_or_b32 s31, vcc_lo, s5
	s_mov_b32 s5, s7
	s_wait_alu 0xfffe
	s_and_b32 vcc_lo, exec_lo, s31
	s_wait_alu 0xfffe
	s_cbranch_vccz .LBB365_7
; %bb.5:                                ;   in Loop: Header=BB365_4 Depth=1
	v_mov_b32_e32 v2, 0
	v_mov_b32_e32 v3, 0
	s_and_not1_b32 vcc_lo, exec_lo, s40
	s_wait_alu 0xfffe
	s_cbranch_vccz .LBB365_8
.LBB365_6:                              ;   in Loop: Header=BB365_4 Depth=1
	s_wait_alu 0xfffe
	s_and_not1_b32 vcc_lo, exec_lo, s5
	s_wait_alu 0xfffe
	s_cbranch_vccnz .LBB365_3
	s_branch .LBB365_9
.LBB365_7:                              ;   in Loop: Header=BB365_4 Depth=1
	s_wait_loadcnt 0x0
	v_cmp_neq_f64_e32 vcc_lo, 1.0, v[5:6]
	v_cmp_neq_f64_e64 s5, 0, v[7:8]
	s_or_b32 s5, vcc_lo, s5
	v_mov_b32_e32 v2, 0
	v_mov_b32_e32 v3, 0
	s_cbranch_execnz .LBB365_6
.LBB365_8:                              ;   in Loop: Header=BB365_4 Depth=1
	s_lshl_b64 s[40:41], s[6:7], 3
	s_wait_alu 0xfffe
	s_add_nc_u64 s[40:41], s[12:13], s[40:41]
	global_load_b64 v[2:3], v1, s[40:41]
	s_wait_loadcnt 0x0
	v_add_co_u32 v2, vcc_lo, v2, s14
	s_wait_alu 0xfffd
	v_add_co_ci_u32_e64 v3, null, s15, v3, vcc_lo
.LBB365_9:                              ;   in Loop: Header=BB365_4 Depth=1
	s_wait_dscnt 0x0
	v_mov_b32_e32 v17, 0
	v_mov_b32_e32 v18, 0
	s_and_not1_b32 vcc_lo, exec_lo, s31
	s_wait_alu 0xfffe
	s_cbranch_vccnz .LBB365_11
; %bb.10:                               ;   in Loop: Header=BB365_4 Depth=1
	s_lshl_b64 s[40:41], s[6:7], 3
	s_wait_alu 0xfffe
	s_add_nc_u64 s[40:41], s[24:25], s[40:41]
	global_load_b64 v[13:14], v1, s[40:41]
	s_wait_loadcnt 0x0
	v_add_co_u32 v17, vcc_lo, v13, s26
	s_wait_alu 0xfffd
	v_add_co_ci_u32_e64 v18, null, s27, v14, vcc_lo
.LBB365_11:                             ;   in Loop: Header=BB365_4 Depth=1
	s_lshl_b64 s[40:41], s[6:7], 3
	s_xor_b32 s5, s31, -1
	s_wait_alu 0xfffe
	s_add_nc_u64 s[40:41], s[20:21], s[40:41]
	global_load_b64 v[13:14], v1, s[40:41]
	s_wait_loadcnt 0x0
	v_add_co_u32 v33, vcc_lo, v13, s22
	s_wait_alu 0xfffd
	v_add_co_ci_u32_e64 v34, null, s23, v14, vcc_lo
	s_and_not1_b32 vcc_lo, exec_lo, s5
	s_wait_alu 0xfffe
	s_cbranch_vccnz .LBB365_16
; %bb.12:                               ;   in Loop: Header=BB365_4 Depth=1
	s_mov_b32 s40, 0
	s_mov_b32 s31, 0
                                        ; implicit-def: $vgpr15_vgpr16
	s_and_saveexec_b32 s41, s0
	s_cbranch_execz .LBB365_17
; %bb.13:                               ;   in Loop: Header=BB365_4 Depth=1
	v_cmp_neq_f64_e32 vcc_lo, 0, v[5:6]
	v_cmp_neq_f64_e64 s5, 0, v[7:8]
	v_mov_b32_e32 v15, 0
	v_dual_mov_b32 v16, 0 :: v_dual_mov_b32 v13, 0
	v_mov_b32_e32 v14, 0
	s_or_b32 s5, vcc_lo, s5
	s_wait_alu 0xfffe
	s_and_not1_b32 vcc_lo, exec_lo, s5
	s_wait_alu 0xfffe
	s_cbranch_vccnz .LBB365_15
; %bb.14:                               ;   in Loop: Header=BB365_4 Depth=1
	v_add_co_u32 v13, vcc_lo, v33, s36
	s_wait_alu 0xfffd
	v_add_co_ci_u32_e64 v14, null, s37, v34, vcc_lo
	flat_load_b128 v[35:38], v[13:14]
	s_wait_loadcnt_dscnt 0x0
	v_mul_f64_e32 v[13:14], v[7:8], v[37:38]
	v_mul_f64_e32 v[15:16], v[5:6], v[37:38]
	s_delay_alu instid0(VALU_DEP_2) | instskip(NEXT) | instid1(VALU_DEP_2)
	v_fma_f64 v[13:14], v[5:6], v[35:36], -v[13:14]
	v_fma_f64 v[15:16], v[7:8], v[35:36], v[15:16]
.LBB365_15:                             ;   in Loop: Header=BB365_4 Depth=1
	s_mov_b32 s31, exec_lo
	s_or_b32 exec_lo, exec_lo, s41
	s_delay_alu instid0(SALU_CYCLE_1)
	s_and_b32 vcc_lo, exec_lo, s40
	s_wait_alu 0xfffe
	s_cbranch_vccnz .LBB365_18
	s_branch .LBB365_37
.LBB365_16:                             ;   in Loop: Header=BB365_4 Depth=1
	s_mov_b32 s31, 0
                                        ; implicit-def: $vgpr15_vgpr16
	s_cbranch_execnz .LBB365_18
	s_branch .LBB365_37
.LBB365_17:                             ;   in Loop: Header=BB365_4 Depth=1
	s_wait_alu 0xfffe
	s_or_b32 exec_lo, exec_lo, s41
	s_delay_alu instid0(SALU_CYCLE_1)
	s_and_b32 vcc_lo, exec_lo, s40
	s_wait_alu 0xfffe
	s_cbranch_vccz .LBB365_37
.LBB365_18:                             ;   in Loop: Header=BB365_4 Depth=1
	v_mov_b32_e32 v13, 0
	v_dual_mov_b32 v14, 0 :: v_dual_mov_b32 v15, 0
	v_mov_b32_e32 v16, 0
	s_and_saveexec_b32 s40, s3
	s_cbranch_execnz .LBB365_27
; %bb.19:                               ;   in Loop: Header=BB365_4 Depth=1
	s_wait_alu 0xfffe
	s_or_b32 exec_lo, exec_lo, s40
	s_and_saveexec_b32 s5, s4
	s_cbranch_execnz .LBB365_30
.LBB365_20:                             ;   in Loop: Header=BB365_4 Depth=1
	s_wait_alu 0xfffe
	s_or_b32 exec_lo, exec_lo, s5
	s_and_saveexec_b32 s5, s1
.LBB365_21:                             ;   in Loop: Header=BB365_4 Depth=1
	v_dual_mov_b32 v2, v1 :: v_dual_mov_b32 v3, v1
	v_mov_b32_e32 v4, v1
	ds_store_b128 v27, v[1:4]
.LBB365_22:                             ;   in Loop: Header=BB365_4 Depth=1
	s_wait_alu 0xfffe
	s_or_b32 exec_lo, exec_lo, s5
	v_lshl_or_b32 v4, v32, 2, 64
	v_cmp_gt_u32_e32 vcc_lo, 24, v32
	s_wait_dscnt 0x0
	s_barrier_signal -1
	s_barrier_wait -1
	ds_bpermute_b32 v2, v4, v15
	ds_bpermute_b32 v3, v4, v16
	;; [unrolled: 1-line block ×4, first 2 shown]
	s_wait_dscnt 0x0
	global_inv scope:SCOPE_SE
	v_add_f64_e32 v[2:3], v[15:16], v[2:3]
	s_wait_alu 0xfffd
	v_cndmask_b32_e64 v15, 0, 8, vcc_lo
	v_add_f64_e32 v[13:14], v[13:14], v[17:18]
	v_cmp_gt_u32_e32 vcc_lo, 28, v32
	s_delay_alu instid0(VALU_DEP_3)
	v_add_lshl_u32 v25, v15, v32, 2
	ds_bpermute_b32 v15, v25, v2
	ds_bpermute_b32 v16, v25, v3
	ds_bpermute_b32 v17, v25, v13
	ds_bpermute_b32 v18, v25, v14
	s_wait_dscnt 0x2
	v_add_f64_e32 v[2:3], v[2:3], v[15:16]
	s_wait_alu 0xfffd
	v_cndmask_b32_e64 v15, 0, 4, vcc_lo
	s_wait_dscnt 0x0
	v_add_f64_e32 v[13:14], v[13:14], v[17:18]
	v_cmp_gt_u32_e32 vcc_lo, 30, v32
	s_delay_alu instid0(VALU_DEP_3)
	v_add_lshl_u32 v26, v15, v32, 2
	ds_bpermute_b32 v15, v26, v2
	ds_bpermute_b32 v16, v26, v3
	;; [unrolled: 1-line block ×4, first 2 shown]
	s_wait_dscnt 0x2
	v_add_f64_e32 v[2:3], v[2:3], v[15:16]
	s_wait_alu 0xfffd
	v_cndmask_b32_e64 v15, 0, 2, vcc_lo
	s_wait_dscnt 0x0
	v_add_f64_e32 v[13:14], v[13:14], v[17:18]
	v_cmp_ne_u32_e32 vcc_lo, 31, v32
	s_delay_alu instid0(VALU_DEP_3)
	v_add_lshl_u32 v35, v15, v32, 2
	ds_bpermute_b32 v15, v35, v2
	ds_bpermute_b32 v16, v35, v3
	ds_bpermute_b32 v17, v35, v13
	ds_bpermute_b32 v18, v35, v14
	s_wait_dscnt 0x2
	v_add_f64_e32 v[2:3], v[2:3], v[15:16]
	s_wait_alu 0xfffd
	v_add_co_ci_u32_e64 v15, null, 0, v32, vcc_lo
	s_wait_dscnt 0x0
	v_add_f64_e32 v[13:14], v[13:14], v[17:18]
	s_delay_alu instid0(VALU_DEP_2)
	v_lshlrev_b32_e32 v36, 2, v15
	ds_bpermute_b32 v15, v36, v2
	ds_bpermute_b32 v16, v36, v3
	;; [unrolled: 1-line block ×4, first 2 shown]
	s_and_saveexec_b32 s5, s2
	s_cbranch_execz .LBB365_24
; %bb.23:                               ;   in Loop: Header=BB365_4 Depth=1
	s_wait_dscnt 0x0
	v_add_f64_e32 v[17:18], v[13:14], v[17:18]
	v_add_f64_e32 v[15:16], v[2:3], v[15:16]
	ds_store_b128 v28, v[15:18]
.LBB365_24:                             ;   in Loop: Header=BB365_4 Depth=1
	s_wait_alu 0xfffe
	s_or_b32 exec_lo, exec_lo, s5
	v_mov_b32_e32 v19, 0
	s_wait_dscnt 0x0
	v_dual_mov_b32 v20, 0 :: v_dual_mov_b32 v17, 0
	v_mov_b32_e32 v18, 0
	s_wait_loadcnt 0x0
	s_barrier_signal -1
	s_barrier_wait -1
	global_inv scope:SCOPE_SE
	s_and_saveexec_b32 s5, s1
	s_cbranch_execnz .LBB365_31
; %bb.25:                               ;   in Loop: Header=BB365_4 Depth=1
	s_wait_alu 0xfffe
	s_or_b32 exec_lo, exec_lo, s5
	s_and_saveexec_b32 s5, s1
	s_cbranch_execnz .LBB365_32
.LBB365_26:                             ;   in Loop: Header=BB365_4 Depth=1
	s_wait_alu 0xfffe
	s_or_b32 exec_lo, exec_lo, s5
                                        ; implicit-def: $vgpr15_vgpr16
	s_and_saveexec_b32 s40, s0
	s_cbranch_execnz .LBB365_33
	s_branch .LBB365_36
.LBB365_27:                             ;   in Loop: Header=BB365_4 Depth=1
	v_add_co_u32 v19, vcc_lo, v2, v30
	s_wait_alu 0xfffd
	v_add_co_ci_u32_e64 v20, null, v3, v29, vcc_lo
	v_add_co_u32 v25, vcc_lo, v17, v21
	v_mov_b32_e32 v13, 0
	v_dual_mov_b32 v14, 0 :: v_dual_mov_b32 v15, 0
	s_wait_alu 0xfffd
	v_add_co_ci_u32_e64 v26, null, v18, v22, vcc_lo
	v_mov_b32_e32 v16, 0
	v_mov_b32_e32 v4, v0
	s_mov_b32 s41, 0
.LBB365_28:                             ;   Parent Loop BB365_4 Depth=1
                                        ; =>  This Inner Loop Header: Depth=2
	flat_load_b128 v[35:38], v[19:20] offset:-8
	flat_load_b128 v[39:42], v[25:26] offset:-8
	v_add_nc_u32_e32 v4, 0x400, v4
	v_add_co_u32 v19, vcc_lo, 0x4000, v19
	s_wait_alu 0xfffd
	v_add_co_ci_u32_e64 v20, null, 0, v20, vcc_lo
	s_delay_alu instid0(VALU_DEP_3)
	v_cmp_le_i32_e32 vcc_lo, s30, v4
	v_add_co_u32 v25, s5, v25, s28
	s_wait_alu 0xf1ff
	v_add_co_ci_u32_e64 v26, null, s29, v26, s5
	s_wait_alu 0xfffe
	s_or_b32 s41, vcc_lo, s41
	s_wait_loadcnt_dscnt 0x0
	v_mul_f64_e32 v[43:44], v[37:38], v[41:42]
	v_mul_f64_e32 v[41:42], v[35:36], v[41:42]
	s_delay_alu instid0(VALU_DEP_2) | instskip(NEXT) | instid1(VALU_DEP_2)
	v_fma_f64 v[35:36], v[35:36], v[39:40], -v[43:44]
	v_fma_f64 v[37:38], v[37:38], v[39:40], v[41:42]
	s_delay_alu instid0(VALU_DEP_2) | instskip(NEXT) | instid1(VALU_DEP_2)
	v_add_f64_e32 v[15:16], v[15:16], v[35:36]
	v_add_f64_e32 v[13:14], v[13:14], v[37:38]
	s_wait_alu 0xfffe
	s_and_not1_b32 exec_lo, exec_lo, s41
	s_cbranch_execnz .LBB365_28
; %bb.29:                               ;   in Loop: Header=BB365_4 Depth=1
	s_or_b32 exec_lo, exec_lo, s41
	s_delay_alu instid0(SALU_CYCLE_1)
	s_or_b32 exec_lo, exec_lo, s40
	s_and_saveexec_b32 s5, s4
	s_cbranch_execz .LBB365_20
.LBB365_30:                             ;   in Loop: Header=BB365_4 Depth=1
	v_add_co_u32 v2, vcc_lo, v2, v31
	s_wait_alu 0xfffd
	v_add_co_ci_u32_e64 v3, null, 0, v3, vcc_lo
	s_delay_alu instid0(VALU_DEP_2) | instskip(SKIP_1) | instid1(VALU_DEP_2)
	v_add_co_u32 v4, vcc_lo, v2, s34
	s_wait_alu 0xfffd
	v_add_co_ci_u32_e64 v19, null, s35, v3, vcc_lo
	v_add_co_u32 v2, vcc_lo, v17, v23
	s_wait_alu 0xfffd
	v_add_co_ci_u32_e64 v3, null, v18, v24, vcc_lo
	;; [unrolled: 3-line block ×3, first 2 shown]
	flat_load_b128 v[17:20], v[2:3]
	flat_load_b128 v[35:38], v[25:26]
	s_wait_loadcnt_dscnt 0x0
	v_mul_f64_e32 v[2:3], v[37:38], v[19:20]
	v_mul_f64_e32 v[19:20], v[35:36], v[19:20]
	s_delay_alu instid0(VALU_DEP_2) | instskip(NEXT) | instid1(VALU_DEP_2)
	v_fma_f64 v[2:3], v[35:36], v[17:18], -v[2:3]
	v_fma_f64 v[17:18], v[37:38], v[17:18], v[19:20]
	s_delay_alu instid0(VALU_DEP_2) | instskip(NEXT) | instid1(VALU_DEP_2)
	v_add_f64_e32 v[15:16], v[15:16], v[2:3]
	v_add_f64_e32 v[13:14], v[13:14], v[17:18]
	s_wait_alu 0xfffe
	s_or_b32 exec_lo, exec_lo, s5
	s_and_saveexec_b32 s5, s1
	s_cbranch_execnz .LBB365_21
	s_branch .LBB365_22
.LBB365_31:                             ;   in Loop: Header=BB365_4 Depth=1
	ds_load_b128 v[17:20], v27
	s_wait_alu 0xfffe
	s_or_b32 exec_lo, exec_lo, s5
	s_and_saveexec_b32 s5, s1
	s_cbranch_execz .LBB365_26
.LBB365_32:                             ;   in Loop: Header=BB365_4 Depth=1
	s_wait_dscnt 0x0
	ds_bpermute_b32 v2, v4, v17
	ds_bpermute_b32 v3, v4, v18
	ds_bpermute_b32 v13, v4, v19
	ds_bpermute_b32 v14, v4, v20
	s_wait_dscnt 0x2
	v_add_f64_e32 v[2:3], v[17:18], v[2:3]
	s_wait_dscnt 0x0
	v_add_f64_e32 v[13:14], v[19:20], v[13:14]
	ds_bpermute_b32 v15, v25, v2
	ds_bpermute_b32 v16, v25, v3
	ds_bpermute_b32 v17, v25, v13
	ds_bpermute_b32 v18, v25, v14
	s_wait_dscnt 0x2
	v_add_f64_e32 v[2:3], v[2:3], v[15:16]
	s_wait_dscnt 0x0
	v_add_f64_e32 v[13:14], v[13:14], v[17:18]
	;; [unrolled: 8-line block ×5, first 2 shown]
	s_wait_alu 0xfffe
	s_or_b32 exec_lo, exec_lo, s5
                                        ; implicit-def: $vgpr15_vgpr16
	s_and_saveexec_b32 s40, s0
	s_cbranch_execz .LBB365_36
.LBB365_33:                             ;   in Loop: Header=BB365_4 Depth=1
	s_wait_dscnt 0x0
	s_delay_alu instid0(VALU_DEP_1) | instskip(SKIP_3) | instid1(VALU_DEP_4)
	v_mul_f64_e32 v[2:3], v[11:12], v[19:20]
	v_mul_f64_e32 v[15:16], v[9:10], v[19:20]
	v_cmp_neq_f64_e32 vcc_lo, 0, v[5:6]
	v_cmp_neq_f64_e64 s5, 0, v[7:8]
	v_fma_f64 v[13:14], v[9:10], v[17:18], -v[2:3]
	s_delay_alu instid0(VALU_DEP_4)
	v_fma_f64 v[15:16], v[11:12], v[17:18], v[15:16]
	s_or_b32 s5, vcc_lo, s5
	s_wait_alu 0xfffe
	s_and_not1_b32 vcc_lo, exec_lo, s5
	s_wait_alu 0xfffe
	s_cbranch_vccnz .LBB365_35
; %bb.34:                               ;   in Loop: Header=BB365_4 Depth=1
	v_add_co_u32 v2, vcc_lo, v33, s36
	s_wait_alu 0xfffd
	v_add_co_ci_u32_e64 v3, null, s37, v34, vcc_lo
	flat_load_b128 v[9:12], v[2:3]
	s_wait_loadcnt_dscnt 0x0
	v_mul_f64_e32 v[2:3], v[7:8], v[11:12]
	v_mul_f64_e32 v[11:12], v[5:6], v[11:12]
	s_delay_alu instid0(VALU_DEP_2) | instskip(NEXT) | instid1(VALU_DEP_2)
	v_fma_f64 v[2:3], v[5:6], v[9:10], -v[2:3]
	v_fma_f64 v[4:5], v[7:8], v[9:10], v[11:12]
	s_delay_alu instid0(VALU_DEP_2) | instskip(NEXT) | instid1(VALU_DEP_2)
	v_add_f64_e32 v[13:14], v[13:14], v[2:3]
	v_add_f64_e32 v[15:16], v[15:16], v[4:5]
.LBB365_35:                             ;   in Loop: Header=BB365_4 Depth=1
	s_or_b32 s31, s31, exec_lo
.LBB365_36:                             ;   in Loop: Header=BB365_4 Depth=1
	s_wait_alu 0xfffe
	s_or_b32 exec_lo, exec_lo, s40
.LBB365_37:                             ;   in Loop: Header=BB365_4 Depth=1
	s_wait_alu 0xfffe
	s_and_saveexec_b32 s5, s31
	s_cbranch_execz .LBB365_2
; %bb.38:                               ;   in Loop: Header=BB365_4 Depth=1
	v_add_co_u32 v2, vcc_lo, v33, s36
	s_wait_alu 0xfffd
	v_add_co_ci_u32_e64 v3, null, s37, v34, vcc_lo
	flat_store_b128 v[2:3], v[13:16]
	s_branch .LBB365_2
.LBB365_39:
	s_endpgm
	.section	.rodata,"a",@progbits
	.p2align	6, 0x0
	.amdhsa_kernel _ZL32rocblas_gemvt_warp_reduce_kernelILb0ELi1024ElPK19rocblas_complex_numIdES3_KPS1_EviiT3_lPKT2_lT1_lS9_lSA_lS6_lPT4_lSA_li
		.amdhsa_group_segment_fixed_size 512
		.amdhsa_private_segment_fixed_size 0
		.amdhsa_kernarg_size 140
		.amdhsa_user_sgpr_count 2
		.amdhsa_user_sgpr_dispatch_ptr 0
		.amdhsa_user_sgpr_queue_ptr 0
		.amdhsa_user_sgpr_kernarg_segment_ptr 1
		.amdhsa_user_sgpr_dispatch_id 0
		.amdhsa_user_sgpr_private_segment_size 0
		.amdhsa_wavefront_size32 1
		.amdhsa_uses_dynamic_stack 0
		.amdhsa_enable_private_segment 0
		.amdhsa_system_sgpr_workgroup_id_x 1
		.amdhsa_system_sgpr_workgroup_id_y 0
		.amdhsa_system_sgpr_workgroup_id_z 1
		.amdhsa_system_sgpr_workgroup_info 0
		.amdhsa_system_vgpr_workitem_id 0
		.amdhsa_next_free_vgpr 45
		.amdhsa_next_free_sgpr 42
		.amdhsa_reserve_vcc 1
		.amdhsa_float_round_mode_32 0
		.amdhsa_float_round_mode_16_64 0
		.amdhsa_float_denorm_mode_32 3
		.amdhsa_float_denorm_mode_16_64 3
		.amdhsa_fp16_overflow 0
		.amdhsa_workgroup_processor_mode 1
		.amdhsa_memory_ordered 1
		.amdhsa_forward_progress 1
		.amdhsa_inst_pref_size 19
		.amdhsa_round_robin_scheduling 0
		.amdhsa_exception_fp_ieee_invalid_op 0
		.amdhsa_exception_fp_denorm_src 0
		.amdhsa_exception_fp_ieee_div_zero 0
		.amdhsa_exception_fp_ieee_overflow 0
		.amdhsa_exception_fp_ieee_underflow 0
		.amdhsa_exception_fp_ieee_inexact 0
		.amdhsa_exception_int_div_zero 0
	.end_amdhsa_kernel
	.section	.text._ZL32rocblas_gemvt_warp_reduce_kernelILb0ELi1024ElPK19rocblas_complex_numIdES3_KPS1_EviiT3_lPKT2_lT1_lS9_lSA_lS6_lPT4_lSA_li,"axG",@progbits,_ZL32rocblas_gemvt_warp_reduce_kernelILb0ELi1024ElPK19rocblas_complex_numIdES3_KPS1_EviiT3_lPKT2_lT1_lS9_lSA_lS6_lPT4_lSA_li,comdat
.Lfunc_end365:
	.size	_ZL32rocblas_gemvt_warp_reduce_kernelILb0ELi1024ElPK19rocblas_complex_numIdES3_KPS1_EviiT3_lPKT2_lT1_lS9_lSA_lS6_lPT4_lSA_li, .Lfunc_end365-_ZL32rocblas_gemvt_warp_reduce_kernelILb0ELi1024ElPK19rocblas_complex_numIdES3_KPS1_EviiT3_lPKT2_lT1_lS9_lSA_lS6_lPT4_lSA_li
                                        ; -- End function
	.set _ZL32rocblas_gemvt_warp_reduce_kernelILb0ELi1024ElPK19rocblas_complex_numIdES3_KPS1_EviiT3_lPKT2_lT1_lS9_lSA_lS6_lPT4_lSA_li.num_vgpr, 45
	.set _ZL32rocblas_gemvt_warp_reduce_kernelILb0ELi1024ElPK19rocblas_complex_numIdES3_KPS1_EviiT3_lPKT2_lT1_lS9_lSA_lS6_lPT4_lSA_li.num_agpr, 0
	.set _ZL32rocblas_gemvt_warp_reduce_kernelILb0ELi1024ElPK19rocblas_complex_numIdES3_KPS1_EviiT3_lPKT2_lT1_lS9_lSA_lS6_lPT4_lSA_li.numbered_sgpr, 42
	.set _ZL32rocblas_gemvt_warp_reduce_kernelILb0ELi1024ElPK19rocblas_complex_numIdES3_KPS1_EviiT3_lPKT2_lT1_lS9_lSA_lS6_lPT4_lSA_li.num_named_barrier, 0
	.set _ZL32rocblas_gemvt_warp_reduce_kernelILb0ELi1024ElPK19rocblas_complex_numIdES3_KPS1_EviiT3_lPKT2_lT1_lS9_lSA_lS6_lPT4_lSA_li.private_seg_size, 0
	.set _ZL32rocblas_gemvt_warp_reduce_kernelILb0ELi1024ElPK19rocblas_complex_numIdES3_KPS1_EviiT3_lPKT2_lT1_lS9_lSA_lS6_lPT4_lSA_li.uses_vcc, 1
	.set _ZL32rocblas_gemvt_warp_reduce_kernelILb0ELi1024ElPK19rocblas_complex_numIdES3_KPS1_EviiT3_lPKT2_lT1_lS9_lSA_lS6_lPT4_lSA_li.uses_flat_scratch, 0
	.set _ZL32rocblas_gemvt_warp_reduce_kernelILb0ELi1024ElPK19rocblas_complex_numIdES3_KPS1_EviiT3_lPKT2_lT1_lS9_lSA_lS6_lPT4_lSA_li.has_dyn_sized_stack, 0
	.set _ZL32rocblas_gemvt_warp_reduce_kernelILb0ELi1024ElPK19rocblas_complex_numIdES3_KPS1_EviiT3_lPKT2_lT1_lS9_lSA_lS6_lPT4_lSA_li.has_recursion, 0
	.set _ZL32rocblas_gemvt_warp_reduce_kernelILb0ELi1024ElPK19rocblas_complex_numIdES3_KPS1_EviiT3_lPKT2_lT1_lS9_lSA_lS6_lPT4_lSA_li.has_indirect_call, 0
	.section	.AMDGPU.csdata,"",@progbits
; Kernel info:
; codeLenInByte = 2396
; TotalNumSgprs: 44
; NumVgprs: 45
; ScratchSize: 0
; MemoryBound: 0
; FloatMode: 240
; IeeeMode: 1
; LDSByteSize: 512 bytes/workgroup (compile time only)
; SGPRBlocks: 0
; VGPRBlocks: 5
; NumSGPRsForWavesPerEU: 44
; NumVGPRsForWavesPerEU: 45
; Occupancy: 16
; WaveLimiterHint : 1
; COMPUTE_PGM_RSRC2:SCRATCH_EN: 0
; COMPUTE_PGM_RSRC2:USER_SGPR: 2
; COMPUTE_PGM_RSRC2:TRAP_HANDLER: 0
; COMPUTE_PGM_RSRC2:TGID_X_EN: 1
; COMPUTE_PGM_RSRC2:TGID_Y_EN: 0
; COMPUTE_PGM_RSRC2:TGID_Z_EN: 1
; COMPUTE_PGM_RSRC2:TIDIG_COMP_CNT: 0
	.section	.text._ZL32rocblas_gemvt_warp_reduce_kernelILb0ELi1024EiPK19rocblas_complex_numIdES1_KPS1_EviiT3_lPKT2_lT1_lS9_lSA_lS6_lPT4_lSA_li,"axG",@progbits,_ZL32rocblas_gemvt_warp_reduce_kernelILb0ELi1024EiPK19rocblas_complex_numIdES1_KPS1_EviiT3_lPKT2_lT1_lS9_lSA_lS6_lPT4_lSA_li,comdat
	.globl	_ZL32rocblas_gemvt_warp_reduce_kernelILb0ELi1024EiPK19rocblas_complex_numIdES1_KPS1_EviiT3_lPKT2_lT1_lS9_lSA_lS6_lPT4_lSA_li ; -- Begin function _ZL32rocblas_gemvt_warp_reduce_kernelILb0ELi1024EiPK19rocblas_complex_numIdES1_KPS1_EviiT3_lPKT2_lT1_lS9_lSA_lS6_lPT4_lSA_li
	.p2align	8
	.type	_ZL32rocblas_gemvt_warp_reduce_kernelILb0ELi1024EiPK19rocblas_complex_numIdES1_KPS1_EviiT3_lPKT2_lT1_lS9_lSA_lS6_lPT4_lSA_li,@function
_ZL32rocblas_gemvt_warp_reduce_kernelILb0ELi1024EiPK19rocblas_complex_numIdES1_KPS1_EviiT3_lPKT2_lT1_lS9_lSA_lS6_lPT4_lSA_li: ; @_ZL32rocblas_gemvt_warp_reduce_kernelILb0ELi1024EiPK19rocblas_complex_numIdES1_KPS1_EviiT3_lPKT2_lT1_lS9_lSA_lS6_lPT4_lSA_li
; %bb.0:
	s_load_b32 s33, s[0:1], 0x98
	s_lshr_b32 s6, ttmp7, 16
	s_wait_kmcnt 0x0
	s_cmp_ge_u32 s6, s33
	s_cbranch_scc1 .LBB366_40
; %bb.1:
	s_clause 0x8
	s_load_b128 s[8:11], s[0:1], 0x8
	s_load_b128 s[12:15], s[0:1], 0x60
	s_load_b32 s36, s[0:1], 0x0
	s_load_b32 s3, s[0:1], 0x88
	s_load_b128 s[16:19], s[0:1], 0x78
	s_load_b128 s[20:23], s[0:1], 0x20
	s_load_b32 s4, s[0:1], 0x30
	s_load_b128 s[24:27], s[0:1], 0x40
	s_load_b32 s29, s[0:1], 0x50
	v_dual_mov_b32 v1, 0 :: v_dual_and_b32 v2, 31, v0
	v_lshrrev_b32_e32 v3, 1, v0
	v_cmp_eq_u32_e64 s0, 0, v0
	v_cmp_gt_u32_e64 s1, 32, v0
	s_delay_alu instid0(VALU_DEP_4)
	v_cmp_eq_u32_e64 s2, 0, v2
	v_mbcnt_lo_u32_b32 v23, -1, 0
	v_and_b32_e32 v17, 0x1f0, v3
	s_mov_b32 s7, 0
	s_wait_kmcnt 0x0
	v_cmp_neq_f64_e64 s37, s[8:9], 0
	v_cmp_neq_f64_e64 s41, s[10:11], 0
	v_cmp_neq_f64_e64 s39, s[12:13], 1.0
	v_cmp_neq_f64_e64 s40, s[14:15], 0
	v_cmp_neq_f64_e64 s42, s[12:13], 0
	s_mul_i32 s34, s3, ttmp9
	s_ashr_i32 s3, s36, 31
	v_cmp_gt_i32_e32 vcc_lo, s36, v0
	s_lshr_b32 s3, s3, 22
	v_lshlrev_b32_e32 v16, 4, v2
	s_add_co_i32 s3, s36, s3
	s_mul_i32 s4, s4, ttmp9
	s_and_b32 s28, s3, 0xfffffc00
	v_cndmask_b32_e32 v3, 0, v0, vcc_lo
	v_or_b32_e32 v4, s28, v0
	s_ashr_i32 s5, s4, 31
	v_mul_lo_u32 v18, v0, s29
	s_lshl_b64 s[30:31], s[4:5], 4
	v_lshlrev_b32_e32 v5, 4, v3
	v_mul_lo_u32 v2, s29, v4
	v_lshlrev_b32_e32 v19, 4, v3
	v_cmp_gt_i32_e64 s3, s28, v0
	s_lshl_b32 s38, s29, 10
	v_add_co_u32 v5, s4, s30, v5
	s_delay_alu instid0(VALU_DEP_1) | instskip(SKIP_2) | instid1(VALU_DEP_4)
	v_add_co_ci_u32_e64 v20, null, s31, 0, s4
	v_ashrrev_i32_e32 v3, 31, v2
	v_cmp_gt_i32_e64 s4, s36, v4
	v_or_b32_e32 v21, 8, v5
	s_ashr_i32 s35, s34, 31
	s_ashr_i32 s29, s28, 31
	v_lshlrev_b64_e32 v[10:11], 4, v[2:3]
	s_lshl_b64 s[22:23], s[22:23], 4
	s_lshl_b64 s[26:27], s[26:27], 4
	;; [unrolled: 1-line block ×4, first 2 shown]
	s_or_b32 s5, s37, s41
	s_wait_alu 0xfffe
	s_lshl_b64 s[36:37], s[28:29], 4
	v_cndmask_b32_e64 v22, 0, 1, s5
	s_or_b32 s39, s39, s40
	s_or_b32 s40, s42, s40
	s_xor_b32 s41, s5, -1
	s_branch .LBB366_4
.LBB366_2:                              ;   in Loop: Header=BB366_4 Depth=1
	s_wait_alu 0xfffe
	s_or_b32 exec_lo, exec_lo, s5
.LBB366_3:                              ;   in Loop: Header=BB366_4 Depth=1
	s_add_co_i32 s6, s6, 0x10000
	s_delay_alu instid0(SALU_CYCLE_1)
	s_cmp_lt_u32 s6, s33
	s_cbranch_scc0 .LBB366_40
.LBB366_4:                              ; =>This Loop Header: Depth=1
                                        ;     Child Loop BB366_29 Depth 2
	s_and_not1_b32 vcc_lo, exec_lo, s41
	s_mov_b32 s5, s7
	s_mov_b32 s29, -1
	s_wait_alu 0xfffe
	s_cbranch_vccnz .LBB366_7
; %bb.5:                                ;   in Loop: Header=BB366_4 Depth=1
	s_mov_b32 s29, 0
	s_and_b32 vcc_lo, exec_lo, s39
	s_mov_b32 s5, 0
	s_wait_alu 0xfffe
	s_cbranch_vccz .LBB366_7
; %bb.6:                                ;   in Loop: Header=BB366_4 Depth=1
	s_mov_b32 s5, -1
.LBB366_7:                              ;   in Loop: Header=BB366_4 Depth=1
	s_wait_dscnt 0x0
	v_mov_b32_e32 v6, 0
	v_mov_b32_e32 v7, 0
	s_and_b32 vcc_lo, exec_lo, s29
	s_wait_alu 0xfffe
	s_cbranch_vccnz .LBB366_9
; %bb.8:                                ;   in Loop: Header=BB366_4 Depth=1
	s_and_not1_b32 vcc_lo, exec_lo, s5
	s_wait_alu 0xfffe
	s_cbranch_vccnz .LBB366_3
	s_branch .LBB366_10
.LBB366_9:                              ;   in Loop: Header=BB366_4 Depth=1
	s_lshl_b64 s[42:43], s[6:7], 3
	s_delay_alu instid0(SALU_CYCLE_1)
	s_add_nc_u64 s[42:43], s[20:21], s[42:43]
	global_load_b64 v[2:3], v1, s[42:43]
	s_wait_loadcnt 0x0
	v_add_co_u32 v6, vcc_lo, v2, s22
	s_wait_alu 0xfffd
	v_add_co_ci_u32_e64 v7, null, s23, v3, vcc_lo
.LBB366_10:                             ;   in Loop: Header=BB366_4 Depth=1
	v_cmp_ne_u32_e32 vcc_lo, 1, v22
	v_mov_b32_e32 v8, 0
	v_mov_b32_e32 v9, 0
	s_cbranch_vccnz .LBB366_12
; %bb.11:                               ;   in Loop: Header=BB366_4 Depth=1
	s_lshl_b64 s[42:43], s[6:7], 3
	s_delay_alu instid0(SALU_CYCLE_1)
	s_add_nc_u64 s[42:43], s[24:25], s[42:43]
	global_load_b64 v[2:3], v1, s[42:43]
	s_wait_loadcnt 0x0
	v_add_co_u32 v8, vcc_lo, v2, s26
	s_wait_alu 0xfffd
	v_add_co_ci_u32_e64 v9, null, s27, v3, vcc_lo
.LBB366_12:                             ;   in Loop: Header=BB366_4 Depth=1
	s_lshl_b64 s[42:43], s[6:7], 3
	s_delay_alu instid0(SALU_CYCLE_1)
	s_add_nc_u64 s[42:43], s[16:17], s[42:43]
	global_load_b64 v[2:3], v1, s[42:43]
	s_wait_loadcnt 0x0
	v_add_co_u32 v24, vcc_lo, v2, s18
	s_wait_alu 0xfffd
	v_add_co_ci_u32_e64 v25, null, s19, v3, vcc_lo
	s_and_not1_b32 vcc_lo, exec_lo, s41
	s_wait_alu 0xfffe
	s_cbranch_vccnz .LBB366_17
; %bb.13:                               ;   in Loop: Header=BB366_4 Depth=1
	s_mov_b32 s5, 0
	s_mov_b32 s29, 0
                                        ; implicit-def: $vgpr4_vgpr5
	s_and_saveexec_b32 s42, s0
	s_cbranch_execz .LBB366_18
; %bb.14:                               ;   in Loop: Header=BB366_4 Depth=1
	v_mov_b32_e32 v4, 0
	v_dual_mov_b32 v5, 0 :: v_dual_mov_b32 v2, 0
	v_mov_b32_e32 v3, 0
	s_and_not1_b32 vcc_lo, exec_lo, s40
	s_wait_alu 0xfffe
	s_cbranch_vccnz .LBB366_16
; %bb.15:                               ;   in Loop: Header=BB366_4 Depth=1
	v_add_co_u32 v2, vcc_lo, v24, s34
	s_wait_alu 0xfffd
	v_add_co_ci_u32_e64 v3, null, s35, v25, vcc_lo
	flat_load_b128 v[12:15], v[2:3]
	s_wait_loadcnt_dscnt 0x0
	v_mul_f64_e32 v[2:3], s[14:15], v[14:15]
	v_mul_f64_e32 v[4:5], s[12:13], v[14:15]
	s_delay_alu instid0(VALU_DEP_2) | instskip(NEXT) | instid1(VALU_DEP_2)
	v_fma_f64 v[2:3], s[12:13], v[12:13], -v[2:3]
	v_fma_f64 v[4:5], s[14:15], v[12:13], v[4:5]
.LBB366_16:                             ;   in Loop: Header=BB366_4 Depth=1
	s_mov_b32 s29, exec_lo
	s_or_b32 exec_lo, exec_lo, s42
	s_delay_alu instid0(SALU_CYCLE_1)
	s_and_b32 vcc_lo, exec_lo, s5
	s_wait_alu 0xfffe
	s_cbranch_vccnz .LBB366_19
	s_branch .LBB366_38
.LBB366_17:                             ;   in Loop: Header=BB366_4 Depth=1
	s_mov_b32 s29, 0
                                        ; implicit-def: $vgpr4_vgpr5
	s_cbranch_execnz .LBB366_19
	s_branch .LBB366_38
.LBB366_18:                             ;   in Loop: Header=BB366_4 Depth=1
	s_or_b32 exec_lo, exec_lo, s42
	s_wait_alu 0xfffe
	s_and_b32 vcc_lo, exec_lo, s5
	s_wait_alu 0xfffe
	s_cbranch_vccz .LBB366_38
.LBB366_19:                             ;   in Loop: Header=BB366_4 Depth=1
	v_mov_b32_e32 v12, 0
	v_dual_mov_b32 v13, 0 :: v_dual_mov_b32 v14, 0
	v_mov_b32_e32 v15, 0
	s_and_saveexec_b32 s42, s3
	s_cbranch_execnz .LBB366_28
; %bb.20:                               ;   in Loop: Header=BB366_4 Depth=1
	s_or_b32 exec_lo, exec_lo, s42
	s_and_saveexec_b32 s5, s4
	s_cbranch_execnz .LBB366_31
.LBB366_21:                             ;   in Loop: Header=BB366_4 Depth=1
	s_wait_alu 0xfffe
	s_or_b32 exec_lo, exec_lo, s5
	s_and_saveexec_b32 s5, s1
.LBB366_22:                             ;   in Loop: Header=BB366_4 Depth=1
	v_dual_mov_b32 v2, v1 :: v_dual_mov_b32 v3, v1
	v_mov_b32_e32 v4, v1
	ds_store_b128 v16, v[1:4]
.LBB366_23:                             ;   in Loop: Header=BB366_4 Depth=1
	s_wait_alu 0xfffe
	s_or_b32 exec_lo, exec_lo, s5
	v_lshl_or_b32 v26, v23, 2, 64
	v_cmp_gt_u32_e32 vcc_lo, 24, v23
	s_wait_dscnt 0x0
	s_barrier_signal -1
	s_barrier_wait -1
	ds_bpermute_b32 v2, v26, v14
	ds_bpermute_b32 v3, v26, v15
	;; [unrolled: 1-line block ×4, first 2 shown]
	s_wait_alu 0xfffd
	v_cndmask_b32_e64 v6, 0, 8, vcc_lo
	v_cmp_gt_u32_e32 vcc_lo, 28, v23
	s_wait_dscnt 0x0
	global_inv scope:SCOPE_SE
	v_add_f64_e32 v[2:3], v[14:15], v[2:3]
	v_add_f64_e32 v[4:5], v[12:13], v[4:5]
	v_add_lshl_u32 v12, v6, v23, 2
	ds_bpermute_b32 v6, v12, v2
	ds_bpermute_b32 v7, v12, v3
	;; [unrolled: 1-line block ×4, first 2 shown]
	s_wait_dscnt 0x2
	v_add_f64_e32 v[2:3], v[2:3], v[6:7]
	s_wait_alu 0xfffd
	v_cndmask_b32_e64 v6, 0, 4, vcc_lo
	s_wait_dscnt 0x0
	v_add_f64_e32 v[4:5], v[4:5], v[8:9]
	v_cmp_gt_u32_e32 vcc_lo, 30, v23
	s_delay_alu instid0(VALU_DEP_3)
	v_add_lshl_u32 v13, v6, v23, 2
	ds_bpermute_b32 v6, v13, v2
	ds_bpermute_b32 v7, v13, v3
	;; [unrolled: 1-line block ×4, first 2 shown]
	s_wait_dscnt 0x2
	v_add_f64_e32 v[2:3], v[2:3], v[6:7]
	s_wait_alu 0xfffd
	v_cndmask_b32_e64 v6, 0, 2, vcc_lo
	s_wait_dscnt 0x0
	v_add_f64_e32 v[4:5], v[4:5], v[8:9]
	v_cmp_ne_u32_e32 vcc_lo, 31, v23
	s_delay_alu instid0(VALU_DEP_3)
	v_add_lshl_u32 v14, v6, v23, 2
	ds_bpermute_b32 v6, v14, v2
	ds_bpermute_b32 v7, v14, v3
	;; [unrolled: 1-line block ×4, first 2 shown]
	s_wait_dscnt 0x2
	v_add_f64_e32 v[2:3], v[2:3], v[6:7]
	s_wait_alu 0xfffd
	v_add_co_ci_u32_e64 v6, null, 0, v23, vcc_lo
	s_wait_dscnt 0x0
	v_add_f64_e32 v[4:5], v[4:5], v[8:9]
	s_delay_alu instid0(VALU_DEP_2)
	v_lshlrev_b32_e32 v15, 2, v6
	ds_bpermute_b32 v6, v15, v2
	ds_bpermute_b32 v7, v15, v3
	ds_bpermute_b32 v8, v15, v4
	ds_bpermute_b32 v9, v15, v5
	s_and_saveexec_b32 s5, s2
	s_cbranch_execz .LBB366_25
; %bb.24:                               ;   in Loop: Header=BB366_4 Depth=1
	s_wait_dscnt 0x0
	v_add_f64_e32 v[4:5], v[4:5], v[8:9]
	v_add_f64_e32 v[2:3], v[2:3], v[6:7]
	ds_store_b128 v17, v[2:5]
.LBB366_25:                             ;   in Loop: Header=BB366_4 Depth=1
	s_wait_alu 0xfffe
	s_or_b32 exec_lo, exec_lo, s5
	s_wait_dscnt 0x0
	v_mov_b32_e32 v8, 0
	v_dual_mov_b32 v9, 0 :: v_dual_mov_b32 v6, 0
	v_mov_b32_e32 v7, 0
	s_wait_loadcnt 0x0
	s_barrier_signal -1
	s_barrier_wait -1
	global_inv scope:SCOPE_SE
	s_and_saveexec_b32 s5, s1
	s_cbranch_execnz .LBB366_32
; %bb.26:                               ;   in Loop: Header=BB366_4 Depth=1
	s_wait_alu 0xfffe
	s_or_b32 exec_lo, exec_lo, s5
	s_and_saveexec_b32 s5, s1
	s_cbranch_execnz .LBB366_33
.LBB366_27:                             ;   in Loop: Header=BB366_4 Depth=1
	s_wait_alu 0xfffe
	s_or_b32 exec_lo, exec_lo, s5
                                        ; implicit-def: $vgpr4_vgpr5
	s_and_saveexec_b32 s5, s0
	s_cbranch_execnz .LBB366_34
	s_branch .LBB366_37
.LBB366_28:                             ;   in Loop: Header=BB366_4 Depth=1
	v_add_co_u32 v2, vcc_lo, v6, v21
	v_mov_b32_e32 v12, 0
	v_mov_b32_e32 v14, 0
	s_wait_alu 0xfffd
	v_add_co_ci_u32_e64 v3, null, v7, v20, vcc_lo
	v_dual_mov_b32 v13, 0 :: v_dual_mov_b32 v26, v0
	v_dual_mov_b32 v15, 0 :: v_dual_mov_b32 v4, v18
	s_mov_b32 s43, 0
.LBB366_29:                             ;   Parent Loop BB366_4 Depth=1
                                        ; =>  This Inner Loop Header: Depth=2
	s_delay_alu instid0(VALU_DEP_1) | instskip(NEXT) | instid1(VALU_DEP_3)
	v_ashrrev_i32_e32 v5, 31, v4
	v_add_nc_u32_e32 v26, 0x400, v26
	s_delay_alu instid0(VALU_DEP_2) | instskip(NEXT) | instid1(VALU_DEP_2)
	v_lshlrev_b64_e32 v[27:28], 4, v[4:5]
	v_cmp_le_i32_e64 s5, s28, v26
	v_add_nc_u32_e32 v4, s38, v4
	s_or_b32 s43, s5, s43
	v_add_co_u32 v31, vcc_lo, v8, v27
	s_wait_alu 0xfffd
	v_add_co_ci_u32_e64 v32, null, v9, v28, vcc_lo
	flat_load_b128 v[27:30], v[2:3] offset:-8
	flat_load_b128 v[31:34], v[31:32]
	v_add_co_u32 v2, vcc_lo, 0x4000, v2
	s_wait_alu 0xfffd
	v_add_co_ci_u32_e64 v3, null, 0, v3, vcc_lo
	s_wait_loadcnt_dscnt 0x0
	v_mul_f64_e32 v[35:36], v[29:30], v[33:34]
	v_mul_f64_e32 v[33:34], v[27:28], v[33:34]
	s_delay_alu instid0(VALU_DEP_2) | instskip(NEXT) | instid1(VALU_DEP_2)
	v_fma_f64 v[27:28], v[27:28], v[31:32], -v[35:36]
	v_fma_f64 v[29:30], v[29:30], v[31:32], v[33:34]
	s_delay_alu instid0(VALU_DEP_2) | instskip(NEXT) | instid1(VALU_DEP_2)
	v_add_f64_e32 v[14:15], v[14:15], v[27:28]
	v_add_f64_e32 v[12:13], v[12:13], v[29:30]
	s_and_not1_b32 exec_lo, exec_lo, s43
	s_cbranch_execnz .LBB366_29
; %bb.30:                               ;   in Loop: Header=BB366_4 Depth=1
	s_or_b32 exec_lo, exec_lo, s43
	s_delay_alu instid0(SALU_CYCLE_1)
	s_or_b32 exec_lo, exec_lo, s42
	s_and_saveexec_b32 s5, s4
	s_cbranch_execz .LBB366_21
.LBB366_31:                             ;   in Loop: Header=BB366_4 Depth=1
	v_add_co_u32 v2, vcc_lo, v6, v19
	s_wait_alu 0xfffd
	v_add_co_ci_u32_e64 v3, null, 0, v7, vcc_lo
	s_delay_alu instid0(VALU_DEP_2) | instskip(SKIP_1) | instid1(VALU_DEP_2)
	v_add_co_u32 v4, vcc_lo, v2, s30
	s_wait_alu 0xfffd
	v_add_co_ci_u32_e64 v5, null, s31, v3, vcc_lo
	v_add_co_u32 v2, vcc_lo, v8, v10
	s_wait_alu 0xfffd
	v_add_co_ci_u32_e64 v3, null, v9, v11, vcc_lo
	;; [unrolled: 3-line block ×3, first 2 shown]
	flat_load_b128 v[2:5], v[2:3]
	flat_load_b128 v[6:9], v[6:7]
	s_wait_loadcnt_dscnt 0x0
	v_mul_f64_e32 v[26:27], v[8:9], v[4:5]
	v_mul_f64_e32 v[4:5], v[6:7], v[4:5]
	s_delay_alu instid0(VALU_DEP_2) | instskip(NEXT) | instid1(VALU_DEP_2)
	v_fma_f64 v[6:7], v[6:7], v[2:3], -v[26:27]
	v_fma_f64 v[2:3], v[8:9], v[2:3], v[4:5]
	s_delay_alu instid0(VALU_DEP_2) | instskip(NEXT) | instid1(VALU_DEP_2)
	v_add_f64_e32 v[14:15], v[14:15], v[6:7]
	v_add_f64_e32 v[12:13], v[12:13], v[2:3]
	s_wait_alu 0xfffe
	s_or_b32 exec_lo, exec_lo, s5
	s_and_saveexec_b32 s5, s1
	s_cbranch_execnz .LBB366_22
	s_branch .LBB366_23
.LBB366_32:                             ;   in Loop: Header=BB366_4 Depth=1
	ds_load_b128 v[6:9], v16
	s_wait_alu 0xfffe
	s_or_b32 exec_lo, exec_lo, s5
	s_and_saveexec_b32 s5, s1
	s_cbranch_execz .LBB366_27
.LBB366_33:                             ;   in Loop: Header=BB366_4 Depth=1
	s_wait_dscnt 0x0
	ds_bpermute_b32 v2, v26, v6
	ds_bpermute_b32 v3, v26, v7
	ds_bpermute_b32 v4, v26, v8
	ds_bpermute_b32 v5, v26, v9
	s_wait_dscnt 0x2
	v_add_f64_e32 v[2:3], v[6:7], v[2:3]
	s_wait_dscnt 0x0
	v_add_f64_e32 v[4:5], v[8:9], v[4:5]
	ds_bpermute_b32 v6, v12, v2
	ds_bpermute_b32 v7, v12, v3
	ds_bpermute_b32 v8, v12, v4
	ds_bpermute_b32 v9, v12, v5
	s_wait_dscnt 0x2
	v_add_f64_e32 v[2:3], v[2:3], v[6:7]
	s_wait_dscnt 0x0
	v_add_f64_e32 v[4:5], v[4:5], v[8:9]
	;; [unrolled: 8-line block ×5, first 2 shown]
	s_wait_alu 0xfffe
	s_or_b32 exec_lo, exec_lo, s5
                                        ; implicit-def: $vgpr4_vgpr5
	s_and_saveexec_b32 s5, s0
	s_cbranch_execz .LBB366_37
.LBB366_34:                             ;   in Loop: Header=BB366_4 Depth=1
	s_wait_dscnt 0x0
	s_delay_alu instid0(VALU_DEP_1) | instskip(SKIP_2) | instid1(VALU_DEP_2)
	v_mul_f64_e32 v[2:3], s[10:11], v[8:9]
	v_mul_f64_e32 v[4:5], s[8:9], v[8:9]
	s_and_not1_b32 vcc_lo, exec_lo, s40
	v_fma_f64 v[2:3], s[8:9], v[6:7], -v[2:3]
	s_delay_alu instid0(VALU_DEP_2)
	v_fma_f64 v[4:5], s[10:11], v[6:7], v[4:5]
	s_wait_alu 0xfffe
	s_cbranch_vccnz .LBB366_36
; %bb.35:                               ;   in Loop: Header=BB366_4 Depth=1
	v_add_co_u32 v6, vcc_lo, v24, s34
	s_wait_alu 0xfffd
	v_add_co_ci_u32_e64 v7, null, s35, v25, vcc_lo
	flat_load_b128 v[6:9], v[6:7]
	s_wait_loadcnt_dscnt 0x0
	v_mul_f64_e32 v[12:13], s[14:15], v[8:9]
	v_mul_f64_e32 v[8:9], s[12:13], v[8:9]
	s_delay_alu instid0(VALU_DEP_2) | instskip(NEXT) | instid1(VALU_DEP_2)
	v_fma_f64 v[12:13], s[12:13], v[6:7], -v[12:13]
	v_fma_f64 v[6:7], s[14:15], v[6:7], v[8:9]
	s_delay_alu instid0(VALU_DEP_2) | instskip(NEXT) | instid1(VALU_DEP_2)
	v_add_f64_e32 v[2:3], v[2:3], v[12:13]
	v_add_f64_e32 v[4:5], v[4:5], v[6:7]
.LBB366_36:                             ;   in Loop: Header=BB366_4 Depth=1
	s_or_b32 s29, s29, exec_lo
.LBB366_37:                             ;   in Loop: Header=BB366_4 Depth=1
	s_wait_alu 0xfffe
	s_or_b32 exec_lo, exec_lo, s5
.LBB366_38:                             ;   in Loop: Header=BB366_4 Depth=1
	s_wait_alu 0xfffe
	s_and_saveexec_b32 s5, s29
	s_cbranch_execz .LBB366_2
; %bb.39:                               ;   in Loop: Header=BB366_4 Depth=1
	s_wait_dscnt 0x0
	v_add_co_u32 v6, vcc_lo, v24, s34
	s_wait_alu 0xfffd
	v_add_co_ci_u32_e64 v7, null, s35, v25, vcc_lo
	flat_store_b128 v[6:7], v[2:5]
	s_branch .LBB366_2
.LBB366_40:
	s_endpgm
	.section	.rodata,"a",@progbits
	.p2align	6, 0x0
	.amdhsa_kernel _ZL32rocblas_gemvt_warp_reduce_kernelILb0ELi1024EiPK19rocblas_complex_numIdES1_KPS1_EviiT3_lPKT2_lT1_lS9_lSA_lS6_lPT4_lSA_li
		.amdhsa_group_segment_fixed_size 512
		.amdhsa_private_segment_fixed_size 0
		.amdhsa_kernarg_size 156
		.amdhsa_user_sgpr_count 2
		.amdhsa_user_sgpr_dispatch_ptr 0
		.amdhsa_user_sgpr_queue_ptr 0
		.amdhsa_user_sgpr_kernarg_segment_ptr 1
		.amdhsa_user_sgpr_dispatch_id 0
		.amdhsa_user_sgpr_private_segment_size 0
		.amdhsa_wavefront_size32 1
		.amdhsa_uses_dynamic_stack 0
		.amdhsa_enable_private_segment 0
		.amdhsa_system_sgpr_workgroup_id_x 1
		.amdhsa_system_sgpr_workgroup_id_y 0
		.amdhsa_system_sgpr_workgroup_id_z 1
		.amdhsa_system_sgpr_workgroup_info 0
		.amdhsa_system_vgpr_workitem_id 0
		.amdhsa_next_free_vgpr 37
		.amdhsa_next_free_sgpr 44
		.amdhsa_reserve_vcc 1
		.amdhsa_float_round_mode_32 0
		.amdhsa_float_round_mode_16_64 0
		.amdhsa_float_denorm_mode_32 3
		.amdhsa_float_denorm_mode_16_64 3
		.amdhsa_fp16_overflow 0
		.amdhsa_workgroup_processor_mode 1
		.amdhsa_memory_ordered 1
		.amdhsa_forward_progress 1
		.amdhsa_inst_pref_size 18
		.amdhsa_round_robin_scheduling 0
		.amdhsa_exception_fp_ieee_invalid_op 0
		.amdhsa_exception_fp_denorm_src 0
		.amdhsa_exception_fp_ieee_div_zero 0
		.amdhsa_exception_fp_ieee_overflow 0
		.amdhsa_exception_fp_ieee_underflow 0
		.amdhsa_exception_fp_ieee_inexact 0
		.amdhsa_exception_int_div_zero 0
	.end_amdhsa_kernel
	.section	.text._ZL32rocblas_gemvt_warp_reduce_kernelILb0ELi1024EiPK19rocblas_complex_numIdES1_KPS1_EviiT3_lPKT2_lT1_lS9_lSA_lS6_lPT4_lSA_li,"axG",@progbits,_ZL32rocblas_gemvt_warp_reduce_kernelILb0ELi1024EiPK19rocblas_complex_numIdES1_KPS1_EviiT3_lPKT2_lT1_lS9_lSA_lS6_lPT4_lSA_li,comdat
.Lfunc_end366:
	.size	_ZL32rocblas_gemvt_warp_reduce_kernelILb0ELi1024EiPK19rocblas_complex_numIdES1_KPS1_EviiT3_lPKT2_lT1_lS9_lSA_lS6_lPT4_lSA_li, .Lfunc_end366-_ZL32rocblas_gemvt_warp_reduce_kernelILb0ELi1024EiPK19rocblas_complex_numIdES1_KPS1_EviiT3_lPKT2_lT1_lS9_lSA_lS6_lPT4_lSA_li
                                        ; -- End function
	.set _ZL32rocblas_gemvt_warp_reduce_kernelILb0ELi1024EiPK19rocblas_complex_numIdES1_KPS1_EviiT3_lPKT2_lT1_lS9_lSA_lS6_lPT4_lSA_li.num_vgpr, 37
	.set _ZL32rocblas_gemvt_warp_reduce_kernelILb0ELi1024EiPK19rocblas_complex_numIdES1_KPS1_EviiT3_lPKT2_lT1_lS9_lSA_lS6_lPT4_lSA_li.num_agpr, 0
	.set _ZL32rocblas_gemvt_warp_reduce_kernelILb0ELi1024EiPK19rocblas_complex_numIdES1_KPS1_EviiT3_lPKT2_lT1_lS9_lSA_lS6_lPT4_lSA_li.numbered_sgpr, 44
	.set _ZL32rocblas_gemvt_warp_reduce_kernelILb0ELi1024EiPK19rocblas_complex_numIdES1_KPS1_EviiT3_lPKT2_lT1_lS9_lSA_lS6_lPT4_lSA_li.num_named_barrier, 0
	.set _ZL32rocblas_gemvt_warp_reduce_kernelILb0ELi1024EiPK19rocblas_complex_numIdES1_KPS1_EviiT3_lPKT2_lT1_lS9_lSA_lS6_lPT4_lSA_li.private_seg_size, 0
	.set _ZL32rocblas_gemvt_warp_reduce_kernelILb0ELi1024EiPK19rocblas_complex_numIdES1_KPS1_EviiT3_lPKT2_lT1_lS9_lSA_lS6_lPT4_lSA_li.uses_vcc, 1
	.set _ZL32rocblas_gemvt_warp_reduce_kernelILb0ELi1024EiPK19rocblas_complex_numIdES1_KPS1_EviiT3_lPKT2_lT1_lS9_lSA_lS6_lPT4_lSA_li.uses_flat_scratch, 0
	.set _ZL32rocblas_gemvt_warp_reduce_kernelILb0ELi1024EiPK19rocblas_complex_numIdES1_KPS1_EviiT3_lPKT2_lT1_lS9_lSA_lS6_lPT4_lSA_li.has_dyn_sized_stack, 0
	.set _ZL32rocblas_gemvt_warp_reduce_kernelILb0ELi1024EiPK19rocblas_complex_numIdES1_KPS1_EviiT3_lPKT2_lT1_lS9_lSA_lS6_lPT4_lSA_li.has_recursion, 0
	.set _ZL32rocblas_gemvt_warp_reduce_kernelILb0ELi1024EiPK19rocblas_complex_numIdES1_KPS1_EviiT3_lPKT2_lT1_lS9_lSA_lS6_lPT4_lSA_li.has_indirect_call, 0
	.section	.AMDGPU.csdata,"",@progbits
; Kernel info:
; codeLenInByte = 2276
; TotalNumSgprs: 46
; NumVgprs: 37
; ScratchSize: 0
; MemoryBound: 0
; FloatMode: 240
; IeeeMode: 1
; LDSByteSize: 512 bytes/workgroup (compile time only)
; SGPRBlocks: 0
; VGPRBlocks: 4
; NumSGPRsForWavesPerEU: 46
; NumVGPRsForWavesPerEU: 37
; Occupancy: 16
; WaveLimiterHint : 1
; COMPUTE_PGM_RSRC2:SCRATCH_EN: 0
; COMPUTE_PGM_RSRC2:USER_SGPR: 2
; COMPUTE_PGM_RSRC2:TRAP_HANDLER: 0
; COMPUTE_PGM_RSRC2:TGID_X_EN: 1
; COMPUTE_PGM_RSRC2:TGID_Y_EN: 0
; COMPUTE_PGM_RSRC2:TGID_Z_EN: 1
; COMPUTE_PGM_RSRC2:TIDIG_COMP_CNT: 0
	.section	.text._ZL32rocblas_gemvt_warp_reduce_kernelILb0ELi1024ElPK19rocblas_complex_numIdES1_KPS1_EviiT3_lPKT2_lT1_lS9_lSA_lS6_lPT4_lSA_li,"axG",@progbits,_ZL32rocblas_gemvt_warp_reduce_kernelILb0ELi1024ElPK19rocblas_complex_numIdES1_KPS1_EviiT3_lPKT2_lT1_lS9_lSA_lS6_lPT4_lSA_li,comdat
	.globl	_ZL32rocblas_gemvt_warp_reduce_kernelILb0ELi1024ElPK19rocblas_complex_numIdES1_KPS1_EviiT3_lPKT2_lT1_lS9_lSA_lS6_lPT4_lSA_li ; -- Begin function _ZL32rocblas_gemvt_warp_reduce_kernelILb0ELi1024ElPK19rocblas_complex_numIdES1_KPS1_EviiT3_lPKT2_lT1_lS9_lSA_lS6_lPT4_lSA_li
	.p2align	8
	.type	_ZL32rocblas_gemvt_warp_reduce_kernelILb0ELi1024ElPK19rocblas_complex_numIdES1_KPS1_EviiT3_lPKT2_lT1_lS9_lSA_lS6_lPT4_lSA_li,@function
_ZL32rocblas_gemvt_warp_reduce_kernelILb0ELi1024ElPK19rocblas_complex_numIdES1_KPS1_EviiT3_lPKT2_lT1_lS9_lSA_lS6_lPT4_lSA_li: ; @_ZL32rocblas_gemvt_warp_reduce_kernelILb0ELi1024ElPK19rocblas_complex_numIdES1_KPS1_EviiT3_lPKT2_lT1_lS9_lSA_lS6_lPT4_lSA_li
; %bb.0:
	s_load_b32 s33, s[0:1], 0x98
	s_lshr_b32 s6, ttmp7, 16
	s_wait_kmcnt 0x0
	s_cmp_ge_u32 s6, s33
	s_cbranch_scc1 .LBB367_40
; %bb.1:
	s_clause 0x8
	s_load_b128 s[8:11], s[0:1], 0x8
	s_load_b128 s[12:15], s[0:1], 0x60
	s_load_b32 s38, s[0:1], 0x0
	s_load_b128 s[16:19], s[0:1], 0x78
	s_load_b64 s[36:37], s[0:1], 0x50
	s_load_b64 s[28:29], s[0:1], 0x88
	s_load_b128 s[20:23], s[0:1], 0x20
	s_load_b64 s[30:31], s[0:1], 0x30
	s_load_b128 s[24:27], s[0:1], 0x40
	v_dual_mov_b32 v1, 0 :: v_dual_and_b32 v2, 31, v0
	v_lshrrev_b32_e32 v3, 1, v0
	s_mov_b32 s4, ttmp9
	s_ashr_i32 s5, ttmp9, 31
	s_delay_alu instid0(VALU_DEP_2)
	v_lshlrev_b32_e32 v18, 4, v2
	v_cmp_eq_u32_e64 s2, 0, v2
	v_cmp_eq_u32_e64 s0, 0, v0
	v_cmp_gt_u32_e64 s1, 32, v0
	v_mbcnt_lo_u32_b32 v24, -1, 0
	s_mov_b32 s7, 0
	s_wait_kmcnt 0x0
	v_cmp_neq_f64_e64 s39, s[8:9], 0
	v_cmp_neq_f64_e64 s44, s[10:11], 0
	v_cmp_neq_f64_e64 s40, s[12:13], 1.0
	v_cmp_neq_f64_e64 s41, s[14:15], 0
	v_cmp_neq_f64_e64 s45, s[12:13], 0
	s_ashr_i32 s3, s38, 31
	v_cmp_gt_i32_e32 vcc_lo, s38, v0
	s_lshr_b32 s3, s3, 22
	v_and_b32_e32 v19, 0x1f0, v3
	v_mad_co_u64_u32 v[2:3], null, s36, v0, 0
	s_add_co_i32 s3, s38, s3
	s_mul_u64 s[42:43], s[28:29], s[4:5]
	s_mul_u64 s[4:5], s[30:31], s[4:5]
	s_and_b32 s30, s3, 0xfffffc00
	v_cndmask_b32_e32 v6, 0, v0, vcc_lo
	v_or_b32_e32 v7, s30, v0
	v_mad_co_u64_u32 v[3:4], null, s37, v0, v[3:4]
	s_ashr_i32 s31, s30, 31
	v_lshlrev_b32_e32 v8, 4, v6
	v_mul_lo_u32 v9, s37, v7
	v_mad_co_u64_u32 v[4:5], null, s36, v7, 0
	s_lshl_b64 s[34:35], s[4:5], 4
	s_wait_alu 0xfffe
	s_mul_i32 s5, s36, s31
	v_lshlrev_b64_e32 v[10:11], 4, v[2:3]
	v_add_co_u32 v8, s4, s34, v8
	v_cmp_gt_i32_e64 s3, s30, v0
	v_add3_u32 v5, v5, s5, v9
	v_add_co_ci_u32_e64 v20, null, s35, 0, s4
	v_cmp_gt_i32_e64 s4, s38, v7
	v_or_b32_e32 v21, 8, v8
	s_delay_alu instid0(VALU_DEP_4)
	v_lshlrev_b64_e32 v[12:13], 4, v[4:5]
	v_or_b32_e32 v10, 8, v10
	v_lshlrev_b32_e32 v23, 4, v6
	s_lshl_b64 s[28:29], s[36:37], 14
	s_or_b32 s5, s39, s44
	s_lshl_b64 s[22:23], s[22:23], 4
	s_wait_alu 0xfffe
	v_cndmask_b32_e64 v22, 0, 1, s5
	s_or_b32 s38, s40, s41
	s_xor_b32 s39, s5, -1
	s_or_b32 s40, s45, s41
	s_lshl_b64 s[26:27], s[26:27], 4
	s_lshl_b64 s[18:19], s[18:19], 4
	;; [unrolled: 1-line block ×3, first 2 shown]
	s_branch .LBB367_4
.LBB367_2:                              ;   in Loop: Header=BB367_4 Depth=1
	s_wait_alu 0xfffe
	s_or_b32 exec_lo, exec_lo, s5
.LBB367_3:                              ;   in Loop: Header=BB367_4 Depth=1
	s_add_co_i32 s6, s6, 0x10000
	s_delay_alu instid0(SALU_CYCLE_1)
	s_cmp_lt_u32 s6, s33
	s_cbranch_scc0 .LBB367_40
.LBB367_4:                              ; =>This Loop Header: Depth=1
                                        ;     Child Loop BB367_29 Depth 2
	s_wait_alu 0xfffe
	s_and_not1_b32 vcc_lo, exec_lo, s39
	s_mov_b32 s5, s7
	s_mov_b32 s41, -1
	s_wait_alu 0xfffe
	s_cbranch_vccnz .LBB367_7
; %bb.5:                                ;   in Loop: Header=BB367_4 Depth=1
	s_mov_b32 s41, 0
	s_and_b32 vcc_lo, exec_lo, s38
	s_mov_b32 s5, 0
	s_wait_alu 0xfffe
	s_cbranch_vccz .LBB367_7
; %bb.6:                                ;   in Loop: Header=BB367_4 Depth=1
	s_mov_b32 s5, -1
.LBB367_7:                              ;   in Loop: Header=BB367_4 Depth=1
	s_wait_dscnt 0x0
	v_mov_b32_e32 v6, 0
	v_mov_b32_e32 v7, 0
	s_and_b32 vcc_lo, exec_lo, s41
	s_wait_alu 0xfffe
	s_cbranch_vccnz .LBB367_9
; %bb.8:                                ;   in Loop: Header=BB367_4 Depth=1
	s_and_not1_b32 vcc_lo, exec_lo, s5
	s_wait_alu 0xfffe
	s_cbranch_vccnz .LBB367_3
	s_branch .LBB367_10
.LBB367_9:                              ;   in Loop: Header=BB367_4 Depth=1
	s_lshl_b64 s[42:43], s[6:7], 3
	s_wait_alu 0xfffe
	s_add_nc_u64 s[42:43], s[20:21], s[42:43]
	global_load_b64 v[2:3], v1, s[42:43]
	s_wait_loadcnt 0x0
	v_add_co_u32 v6, vcc_lo, v2, s22
	s_wait_alu 0xfffd
	v_add_co_ci_u32_e64 v7, null, s23, v3, vcc_lo
.LBB367_10:                             ;   in Loop: Header=BB367_4 Depth=1
	v_cmp_ne_u32_e32 vcc_lo, 1, v22
	v_mov_b32_e32 v8, 0
	v_mov_b32_e32 v9, 0
	s_cbranch_vccnz .LBB367_12
; %bb.11:                               ;   in Loop: Header=BB367_4 Depth=1
	s_lshl_b64 s[42:43], s[6:7], 3
	s_wait_alu 0xfffe
	s_add_nc_u64 s[42:43], s[24:25], s[42:43]
	global_load_b64 v[2:3], v1, s[42:43]
	s_wait_loadcnt 0x0
	v_add_co_u32 v8, vcc_lo, v2, s26
	s_wait_alu 0xfffd
	v_add_co_ci_u32_e64 v9, null, s27, v3, vcc_lo
.LBB367_12:                             ;   in Loop: Header=BB367_4 Depth=1
	s_lshl_b64 s[42:43], s[6:7], 3
	s_wait_alu 0xfffe
	s_add_nc_u64 s[42:43], s[16:17], s[42:43]
	global_load_b64 v[2:3], v1, s[42:43]
	s_wait_loadcnt 0x0
	v_add_co_u32 v25, vcc_lo, v2, s18
	s_wait_alu 0xfffd
	v_add_co_ci_u32_e64 v26, null, s19, v3, vcc_lo
	s_and_not1_b32 vcc_lo, exec_lo, s39
	s_wait_alu 0xfffe
	s_cbranch_vccnz .LBB367_17
; %bb.13:                               ;   in Loop: Header=BB367_4 Depth=1
	s_mov_b32 s5, 0
	s_mov_b32 s41, 0
                                        ; implicit-def: $vgpr4_vgpr5
	s_and_saveexec_b32 s42, s0
	s_cbranch_execz .LBB367_18
; %bb.14:                               ;   in Loop: Header=BB367_4 Depth=1
	v_mov_b32_e32 v4, 0
	v_dual_mov_b32 v5, 0 :: v_dual_mov_b32 v2, 0
	v_mov_b32_e32 v3, 0
	s_and_not1_b32 vcc_lo, exec_lo, s40
	s_wait_alu 0xfffe
	s_cbranch_vccnz .LBB367_16
; %bb.15:                               ;   in Loop: Header=BB367_4 Depth=1
	v_add_co_u32 v2, vcc_lo, v25, s36
	s_wait_alu 0xfffd
	v_add_co_ci_u32_e64 v3, null, s37, v26, vcc_lo
	flat_load_b128 v[14:17], v[2:3]
	s_wait_loadcnt_dscnt 0x0
	v_mul_f64_e32 v[2:3], s[14:15], v[16:17]
	v_mul_f64_e32 v[4:5], s[12:13], v[16:17]
	s_delay_alu instid0(VALU_DEP_2) | instskip(NEXT) | instid1(VALU_DEP_2)
	v_fma_f64 v[2:3], s[12:13], v[14:15], -v[2:3]
	v_fma_f64 v[4:5], s[14:15], v[14:15], v[4:5]
.LBB367_16:                             ;   in Loop: Header=BB367_4 Depth=1
	s_mov_b32 s41, exec_lo
	s_or_b32 exec_lo, exec_lo, s42
	s_delay_alu instid0(SALU_CYCLE_1)
	s_and_b32 vcc_lo, exec_lo, s5
	s_wait_alu 0xfffe
	s_cbranch_vccnz .LBB367_19
	s_branch .LBB367_38
.LBB367_17:                             ;   in Loop: Header=BB367_4 Depth=1
	s_mov_b32 s41, 0
                                        ; implicit-def: $vgpr4_vgpr5
	s_cbranch_execnz .LBB367_19
	s_branch .LBB367_38
.LBB367_18:                             ;   in Loop: Header=BB367_4 Depth=1
	s_wait_alu 0xfffe
	s_or_b32 exec_lo, exec_lo, s42
	s_delay_alu instid0(SALU_CYCLE_1)
	s_and_b32 vcc_lo, exec_lo, s5
	s_wait_alu 0xfffe
	s_cbranch_vccz .LBB367_38
.LBB367_19:                             ;   in Loop: Header=BB367_4 Depth=1
	v_mov_b32_e32 v14, 0
	v_dual_mov_b32 v15, 0 :: v_dual_mov_b32 v16, 0
	v_mov_b32_e32 v17, 0
	s_and_saveexec_b32 s42, s3
	s_cbranch_execnz .LBB367_28
; %bb.20:                               ;   in Loop: Header=BB367_4 Depth=1
	s_wait_alu 0xfffe
	s_or_b32 exec_lo, exec_lo, s42
	s_and_saveexec_b32 s5, s4
	s_cbranch_execnz .LBB367_31
.LBB367_21:                             ;   in Loop: Header=BB367_4 Depth=1
	s_wait_alu 0xfffe
	s_or_b32 exec_lo, exec_lo, s5
	s_and_saveexec_b32 s5, s1
.LBB367_22:                             ;   in Loop: Header=BB367_4 Depth=1
	v_dual_mov_b32 v2, v1 :: v_dual_mov_b32 v3, v1
	v_mov_b32_e32 v4, v1
	ds_store_b128 v18, v[1:4]
.LBB367_23:                             ;   in Loop: Header=BB367_4 Depth=1
	s_wait_alu 0xfffe
	s_or_b32 exec_lo, exec_lo, s5
	v_lshl_or_b32 v27, v24, 2, 64
	v_cmp_gt_u32_e32 vcc_lo, 24, v24
	s_wait_dscnt 0x0
	s_barrier_signal -1
	s_barrier_wait -1
	ds_bpermute_b32 v2, v27, v16
	ds_bpermute_b32 v3, v27, v17
	;; [unrolled: 1-line block ×4, first 2 shown]
	s_wait_alu 0xfffd
	v_cndmask_b32_e64 v6, 0, 8, vcc_lo
	v_cmp_gt_u32_e32 vcc_lo, 28, v24
	s_wait_dscnt 0x0
	global_inv scope:SCOPE_SE
	v_add_f64_e32 v[2:3], v[16:17], v[2:3]
	v_add_f64_e32 v[4:5], v[14:15], v[4:5]
	v_add_lshl_u32 v14, v6, v24, 2
	ds_bpermute_b32 v6, v14, v2
	ds_bpermute_b32 v7, v14, v3
	;; [unrolled: 1-line block ×4, first 2 shown]
	s_wait_dscnt 0x2
	v_add_f64_e32 v[2:3], v[2:3], v[6:7]
	s_wait_alu 0xfffd
	v_cndmask_b32_e64 v6, 0, 4, vcc_lo
	s_wait_dscnt 0x0
	v_add_f64_e32 v[4:5], v[4:5], v[8:9]
	v_cmp_gt_u32_e32 vcc_lo, 30, v24
	s_delay_alu instid0(VALU_DEP_3)
	v_add_lshl_u32 v15, v6, v24, 2
	ds_bpermute_b32 v6, v15, v2
	ds_bpermute_b32 v7, v15, v3
	;; [unrolled: 1-line block ×4, first 2 shown]
	s_wait_dscnt 0x2
	v_add_f64_e32 v[2:3], v[2:3], v[6:7]
	s_wait_alu 0xfffd
	v_cndmask_b32_e64 v6, 0, 2, vcc_lo
	s_wait_dscnt 0x0
	v_add_f64_e32 v[4:5], v[4:5], v[8:9]
	v_cmp_ne_u32_e32 vcc_lo, 31, v24
	s_delay_alu instid0(VALU_DEP_3)
	v_add_lshl_u32 v16, v6, v24, 2
	ds_bpermute_b32 v6, v16, v2
	ds_bpermute_b32 v7, v16, v3
	;; [unrolled: 1-line block ×4, first 2 shown]
	s_wait_dscnt 0x2
	v_add_f64_e32 v[2:3], v[2:3], v[6:7]
	s_wait_alu 0xfffd
	v_add_co_ci_u32_e64 v6, null, 0, v24, vcc_lo
	s_wait_dscnt 0x0
	v_add_f64_e32 v[4:5], v[4:5], v[8:9]
	s_delay_alu instid0(VALU_DEP_2)
	v_lshlrev_b32_e32 v17, 2, v6
	ds_bpermute_b32 v6, v17, v2
	ds_bpermute_b32 v7, v17, v3
	;; [unrolled: 1-line block ×4, first 2 shown]
	s_and_saveexec_b32 s5, s2
	s_cbranch_execz .LBB367_25
; %bb.24:                               ;   in Loop: Header=BB367_4 Depth=1
	s_wait_dscnt 0x0
	v_add_f64_e32 v[4:5], v[4:5], v[8:9]
	v_add_f64_e32 v[2:3], v[2:3], v[6:7]
	ds_store_b128 v19, v[2:5]
.LBB367_25:                             ;   in Loop: Header=BB367_4 Depth=1
	s_wait_alu 0xfffe
	s_or_b32 exec_lo, exec_lo, s5
	s_wait_dscnt 0x0
	v_mov_b32_e32 v8, 0
	v_dual_mov_b32 v9, 0 :: v_dual_mov_b32 v6, 0
	v_mov_b32_e32 v7, 0
	s_wait_loadcnt 0x0
	s_barrier_signal -1
	s_barrier_wait -1
	global_inv scope:SCOPE_SE
	s_and_saveexec_b32 s5, s1
	s_cbranch_execnz .LBB367_32
; %bb.26:                               ;   in Loop: Header=BB367_4 Depth=1
	s_wait_alu 0xfffe
	s_or_b32 exec_lo, exec_lo, s5
	s_and_saveexec_b32 s5, s1
	s_cbranch_execnz .LBB367_33
.LBB367_27:                             ;   in Loop: Header=BB367_4 Depth=1
	s_wait_alu 0xfffe
	s_or_b32 exec_lo, exec_lo, s5
                                        ; implicit-def: $vgpr4_vgpr5
	s_and_saveexec_b32 s5, s0
	s_cbranch_execnz .LBB367_34
	s_branch .LBB367_37
.LBB367_28:                             ;   in Loop: Header=BB367_4 Depth=1
	v_add_co_u32 v2, vcc_lo, v6, v21
	s_wait_alu 0xfffd
	v_add_co_ci_u32_e64 v3, null, v7, v20, vcc_lo
	v_add_co_u32 v4, vcc_lo, v8, v10
	v_mov_b32_e32 v14, 0
	v_dual_mov_b32 v15, 0 :: v_dual_mov_b32 v16, 0
	s_wait_alu 0xfffd
	v_add_co_ci_u32_e64 v5, null, v9, v11, vcc_lo
	v_mov_b32_e32 v17, 0
	v_mov_b32_e32 v27, v0
	s_mov_b32 s43, 0
.LBB367_29:                             ;   Parent Loop BB367_4 Depth=1
                                        ; =>  This Inner Loop Header: Depth=2
	flat_load_b128 v[28:31], v[2:3] offset:-8
	flat_load_b128 v[32:35], v[4:5] offset:-8
	v_add_nc_u32_e32 v27, 0x400, v27
	v_add_co_u32 v2, vcc_lo, 0x4000, v2
	s_wait_alu 0xfffd
	v_add_co_ci_u32_e64 v3, null, 0, v3, vcc_lo
	s_delay_alu instid0(VALU_DEP_3)
	v_cmp_le_i32_e32 vcc_lo, s30, v27
	v_add_co_u32 v4, s5, v4, s28
	s_wait_alu 0xf1ff
	v_add_co_ci_u32_e64 v5, null, s29, v5, s5
	s_wait_alu 0xfffe
	s_or_b32 s43, vcc_lo, s43
	s_wait_loadcnt_dscnt 0x0
	v_mul_f64_e32 v[36:37], v[30:31], v[34:35]
	v_mul_f64_e32 v[34:35], v[28:29], v[34:35]
	s_delay_alu instid0(VALU_DEP_2) | instskip(NEXT) | instid1(VALU_DEP_2)
	v_fma_f64 v[28:29], v[28:29], v[32:33], -v[36:37]
	v_fma_f64 v[30:31], v[30:31], v[32:33], v[34:35]
	s_delay_alu instid0(VALU_DEP_2) | instskip(NEXT) | instid1(VALU_DEP_2)
	v_add_f64_e32 v[16:17], v[16:17], v[28:29]
	v_add_f64_e32 v[14:15], v[14:15], v[30:31]
	s_wait_alu 0xfffe
	s_and_not1_b32 exec_lo, exec_lo, s43
	s_cbranch_execnz .LBB367_29
; %bb.30:                               ;   in Loop: Header=BB367_4 Depth=1
	s_or_b32 exec_lo, exec_lo, s43
	s_delay_alu instid0(SALU_CYCLE_1)
	s_or_b32 exec_lo, exec_lo, s42
	s_and_saveexec_b32 s5, s4
	s_cbranch_execz .LBB367_21
.LBB367_31:                             ;   in Loop: Header=BB367_4 Depth=1
	v_add_co_u32 v2, vcc_lo, v6, v23
	s_wait_alu 0xfffd
	v_add_co_ci_u32_e64 v3, null, 0, v7, vcc_lo
	s_lshl_b64 s[42:43], s[30:31], 4
	v_add_co_u32 v4, vcc_lo, v2, s34
	s_wait_alu 0xfffd
	v_add_co_ci_u32_e64 v5, null, s35, v3, vcc_lo
	v_add_co_u32 v2, vcc_lo, v8, v12
	s_wait_alu 0xfffd
	v_add_co_ci_u32_e64 v3, null, v9, v13, vcc_lo
	s_wait_alu 0xfffe
	v_add_co_u32 v6, vcc_lo, v4, s42
	s_wait_alu 0xfffd
	v_add_co_ci_u32_e64 v7, null, s43, v5, vcc_lo
	flat_load_b128 v[2:5], v[2:3]
	flat_load_b128 v[6:9], v[6:7]
	s_wait_loadcnt_dscnt 0x0
	v_mul_f64_e32 v[27:28], v[8:9], v[4:5]
	v_mul_f64_e32 v[4:5], v[6:7], v[4:5]
	s_delay_alu instid0(VALU_DEP_2) | instskip(NEXT) | instid1(VALU_DEP_2)
	v_fma_f64 v[6:7], v[6:7], v[2:3], -v[27:28]
	v_fma_f64 v[2:3], v[8:9], v[2:3], v[4:5]
	s_delay_alu instid0(VALU_DEP_2) | instskip(NEXT) | instid1(VALU_DEP_2)
	v_add_f64_e32 v[16:17], v[16:17], v[6:7]
	v_add_f64_e32 v[14:15], v[14:15], v[2:3]
	s_or_b32 exec_lo, exec_lo, s5
	s_and_saveexec_b32 s5, s1
	s_cbranch_execnz .LBB367_22
	s_branch .LBB367_23
.LBB367_32:                             ;   in Loop: Header=BB367_4 Depth=1
	ds_load_b128 v[6:9], v18
	s_wait_alu 0xfffe
	s_or_b32 exec_lo, exec_lo, s5
	s_and_saveexec_b32 s5, s1
	s_cbranch_execz .LBB367_27
.LBB367_33:                             ;   in Loop: Header=BB367_4 Depth=1
	s_wait_dscnt 0x0
	ds_bpermute_b32 v2, v27, v6
	ds_bpermute_b32 v3, v27, v7
	ds_bpermute_b32 v4, v27, v8
	ds_bpermute_b32 v5, v27, v9
	s_wait_dscnt 0x2
	v_add_f64_e32 v[2:3], v[6:7], v[2:3]
	s_wait_dscnt 0x0
	v_add_f64_e32 v[4:5], v[8:9], v[4:5]
	ds_bpermute_b32 v6, v14, v2
	ds_bpermute_b32 v7, v14, v3
	ds_bpermute_b32 v8, v14, v4
	ds_bpermute_b32 v9, v14, v5
	s_wait_dscnt 0x2
	v_add_f64_e32 v[2:3], v[2:3], v[6:7]
	s_wait_dscnt 0x0
	v_add_f64_e32 v[4:5], v[4:5], v[8:9]
	;; [unrolled: 8-line block ×5, first 2 shown]
	s_wait_alu 0xfffe
	s_or_b32 exec_lo, exec_lo, s5
                                        ; implicit-def: $vgpr4_vgpr5
	s_and_saveexec_b32 s5, s0
	s_cbranch_execz .LBB367_37
.LBB367_34:                             ;   in Loop: Header=BB367_4 Depth=1
	s_wait_dscnt 0x0
	s_delay_alu instid0(VALU_DEP_1) | instskip(SKIP_2) | instid1(VALU_DEP_2)
	v_mul_f64_e32 v[2:3], s[10:11], v[8:9]
	v_mul_f64_e32 v[4:5], s[8:9], v[8:9]
	s_and_not1_b32 vcc_lo, exec_lo, s40
	v_fma_f64 v[2:3], s[8:9], v[6:7], -v[2:3]
	s_delay_alu instid0(VALU_DEP_2)
	v_fma_f64 v[4:5], s[10:11], v[6:7], v[4:5]
	s_wait_alu 0xfffe
	s_cbranch_vccnz .LBB367_36
; %bb.35:                               ;   in Loop: Header=BB367_4 Depth=1
	v_add_co_u32 v6, vcc_lo, v25, s36
	s_wait_alu 0xfffd
	v_add_co_ci_u32_e64 v7, null, s37, v26, vcc_lo
	flat_load_b128 v[6:9], v[6:7]
	s_wait_loadcnt_dscnt 0x0
	v_mul_f64_e32 v[14:15], s[14:15], v[8:9]
	v_mul_f64_e32 v[8:9], s[12:13], v[8:9]
	s_delay_alu instid0(VALU_DEP_2) | instskip(NEXT) | instid1(VALU_DEP_2)
	v_fma_f64 v[14:15], s[12:13], v[6:7], -v[14:15]
	v_fma_f64 v[6:7], s[14:15], v[6:7], v[8:9]
	s_delay_alu instid0(VALU_DEP_2) | instskip(NEXT) | instid1(VALU_DEP_2)
	v_add_f64_e32 v[2:3], v[2:3], v[14:15]
	v_add_f64_e32 v[4:5], v[4:5], v[6:7]
.LBB367_36:                             ;   in Loop: Header=BB367_4 Depth=1
	s_or_b32 s41, s41, exec_lo
.LBB367_37:                             ;   in Loop: Header=BB367_4 Depth=1
	s_wait_alu 0xfffe
	s_or_b32 exec_lo, exec_lo, s5
.LBB367_38:                             ;   in Loop: Header=BB367_4 Depth=1
	s_and_saveexec_b32 s5, s41
	s_cbranch_execz .LBB367_2
; %bb.39:                               ;   in Loop: Header=BB367_4 Depth=1
	s_wait_dscnt 0x0
	v_add_co_u32 v6, vcc_lo, v25, s36
	s_wait_alu 0xfffd
	v_add_co_ci_u32_e64 v7, null, s37, v26, vcc_lo
	flat_store_b128 v[6:7], v[2:5]
	s_branch .LBB367_2
.LBB367_40:
	s_endpgm
	.section	.rodata,"a",@progbits
	.p2align	6, 0x0
	.amdhsa_kernel _ZL32rocblas_gemvt_warp_reduce_kernelILb0ELi1024ElPK19rocblas_complex_numIdES1_KPS1_EviiT3_lPKT2_lT1_lS9_lSA_lS6_lPT4_lSA_li
		.amdhsa_group_segment_fixed_size 512
		.amdhsa_private_segment_fixed_size 0
		.amdhsa_kernarg_size 156
		.amdhsa_user_sgpr_count 2
		.amdhsa_user_sgpr_dispatch_ptr 0
		.amdhsa_user_sgpr_queue_ptr 0
		.amdhsa_user_sgpr_kernarg_segment_ptr 1
		.amdhsa_user_sgpr_dispatch_id 0
		.amdhsa_user_sgpr_private_segment_size 0
		.amdhsa_wavefront_size32 1
		.amdhsa_uses_dynamic_stack 0
		.amdhsa_enable_private_segment 0
		.amdhsa_system_sgpr_workgroup_id_x 1
		.amdhsa_system_sgpr_workgroup_id_y 0
		.amdhsa_system_sgpr_workgroup_id_z 1
		.amdhsa_system_sgpr_workgroup_info 0
		.amdhsa_system_vgpr_workitem_id 0
		.amdhsa_next_free_vgpr 38
		.amdhsa_next_free_sgpr 46
		.amdhsa_reserve_vcc 1
		.amdhsa_float_round_mode_32 0
		.amdhsa_float_round_mode_16_64 0
		.amdhsa_float_denorm_mode_32 3
		.amdhsa_float_denorm_mode_16_64 3
		.amdhsa_fp16_overflow 0
		.amdhsa_workgroup_processor_mode 1
		.amdhsa_memory_ordered 1
		.amdhsa_forward_progress 1
		.amdhsa_inst_pref_size 19
		.amdhsa_round_robin_scheduling 0
		.amdhsa_exception_fp_ieee_invalid_op 0
		.amdhsa_exception_fp_denorm_src 0
		.amdhsa_exception_fp_ieee_div_zero 0
		.amdhsa_exception_fp_ieee_overflow 0
		.amdhsa_exception_fp_ieee_underflow 0
		.amdhsa_exception_fp_ieee_inexact 0
		.amdhsa_exception_int_div_zero 0
	.end_amdhsa_kernel
	.section	.text._ZL32rocblas_gemvt_warp_reduce_kernelILb0ELi1024ElPK19rocblas_complex_numIdES1_KPS1_EviiT3_lPKT2_lT1_lS9_lSA_lS6_lPT4_lSA_li,"axG",@progbits,_ZL32rocblas_gemvt_warp_reduce_kernelILb0ELi1024ElPK19rocblas_complex_numIdES1_KPS1_EviiT3_lPKT2_lT1_lS9_lSA_lS6_lPT4_lSA_li,comdat
.Lfunc_end367:
	.size	_ZL32rocblas_gemvt_warp_reduce_kernelILb0ELi1024ElPK19rocblas_complex_numIdES1_KPS1_EviiT3_lPKT2_lT1_lS9_lSA_lS6_lPT4_lSA_li, .Lfunc_end367-_ZL32rocblas_gemvt_warp_reduce_kernelILb0ELi1024ElPK19rocblas_complex_numIdES1_KPS1_EviiT3_lPKT2_lT1_lS9_lSA_lS6_lPT4_lSA_li
                                        ; -- End function
	.set _ZL32rocblas_gemvt_warp_reduce_kernelILb0ELi1024ElPK19rocblas_complex_numIdES1_KPS1_EviiT3_lPKT2_lT1_lS9_lSA_lS6_lPT4_lSA_li.num_vgpr, 38
	.set _ZL32rocblas_gemvt_warp_reduce_kernelILb0ELi1024ElPK19rocblas_complex_numIdES1_KPS1_EviiT3_lPKT2_lT1_lS9_lSA_lS6_lPT4_lSA_li.num_agpr, 0
	.set _ZL32rocblas_gemvt_warp_reduce_kernelILb0ELi1024ElPK19rocblas_complex_numIdES1_KPS1_EviiT3_lPKT2_lT1_lS9_lSA_lS6_lPT4_lSA_li.numbered_sgpr, 46
	.set _ZL32rocblas_gemvt_warp_reduce_kernelILb0ELi1024ElPK19rocblas_complex_numIdES1_KPS1_EviiT3_lPKT2_lT1_lS9_lSA_lS6_lPT4_lSA_li.num_named_barrier, 0
	.set _ZL32rocblas_gemvt_warp_reduce_kernelILb0ELi1024ElPK19rocblas_complex_numIdES1_KPS1_EviiT3_lPKT2_lT1_lS9_lSA_lS6_lPT4_lSA_li.private_seg_size, 0
	.set _ZL32rocblas_gemvt_warp_reduce_kernelILb0ELi1024ElPK19rocblas_complex_numIdES1_KPS1_EviiT3_lPKT2_lT1_lS9_lSA_lS6_lPT4_lSA_li.uses_vcc, 1
	.set _ZL32rocblas_gemvt_warp_reduce_kernelILb0ELi1024ElPK19rocblas_complex_numIdES1_KPS1_EviiT3_lPKT2_lT1_lS9_lSA_lS6_lPT4_lSA_li.uses_flat_scratch, 0
	.set _ZL32rocblas_gemvt_warp_reduce_kernelILb0ELi1024ElPK19rocblas_complex_numIdES1_KPS1_EviiT3_lPKT2_lT1_lS9_lSA_lS6_lPT4_lSA_li.has_dyn_sized_stack, 0
	.set _ZL32rocblas_gemvt_warp_reduce_kernelILb0ELi1024ElPK19rocblas_complex_numIdES1_KPS1_EviiT3_lPKT2_lT1_lS9_lSA_lS6_lPT4_lSA_li.has_recursion, 0
	.set _ZL32rocblas_gemvt_warp_reduce_kernelILb0ELi1024ElPK19rocblas_complex_numIdES1_KPS1_EviiT3_lPKT2_lT1_lS9_lSA_lS6_lPT4_lSA_li.has_indirect_call, 0
	.section	.AMDGPU.csdata,"",@progbits
; Kernel info:
; codeLenInByte = 2320
; TotalNumSgprs: 48
; NumVgprs: 38
; ScratchSize: 0
; MemoryBound: 0
; FloatMode: 240
; IeeeMode: 1
; LDSByteSize: 512 bytes/workgroup (compile time only)
; SGPRBlocks: 0
; VGPRBlocks: 4
; NumSGPRsForWavesPerEU: 48
; NumVGPRsForWavesPerEU: 38
; Occupancy: 16
; WaveLimiterHint : 1
; COMPUTE_PGM_RSRC2:SCRATCH_EN: 0
; COMPUTE_PGM_RSRC2:USER_SGPR: 2
; COMPUTE_PGM_RSRC2:TRAP_HANDLER: 0
; COMPUTE_PGM_RSRC2:TGID_X_EN: 1
; COMPUTE_PGM_RSRC2:TGID_Y_EN: 0
; COMPUTE_PGM_RSRC2:TGID_Z_EN: 1
; COMPUTE_PGM_RSRC2:TIDIG_COMP_CNT: 0
	.section	.text._ZL22rocblas_gemvtsm_kernelILb1ELi256EPK19rocblas_complex_numIdES3_KPS1_EviiT2_lPKT1_lilS9_lilS6_lPT3_lil,"axG",@progbits,_ZL22rocblas_gemvtsm_kernelILb1ELi256EPK19rocblas_complex_numIdES3_KPS1_EviiT2_lPKT1_lilS9_lilS6_lPT3_lil,comdat
	.globl	_ZL22rocblas_gemvtsm_kernelILb1ELi256EPK19rocblas_complex_numIdES3_KPS1_EviiT2_lPKT1_lilS9_lilS6_lPT3_lil ; -- Begin function _ZL22rocblas_gemvtsm_kernelILb1ELi256EPK19rocblas_complex_numIdES3_KPS1_EviiT2_lPKT1_lilS9_lilS6_lPT3_lil
	.p2align	8
	.type	_ZL22rocblas_gemvtsm_kernelILb1ELi256EPK19rocblas_complex_numIdES3_KPS1_EviiT2_lPKT1_lilS9_lilS6_lPT3_lil,@function
_ZL22rocblas_gemvtsm_kernelILb1ELi256EPK19rocblas_complex_numIdES3_KPS1_EviiT2_lPKT1_lilS9_lilS6_lPT3_lil: ; @_ZL22rocblas_gemvtsm_kernelILb1ELi256EPK19rocblas_complex_numIdES3_KPS1_EviiT2_lPKT1_lilS9_lilS6_lPT3_lil
; %bb.0:
	s_load_b256 s[8:15], s[0:1], 0x8
	s_mov_b32 s2, ttmp9
	s_mov_b32 s3, 0
	s_mov_b64 s[20:21], 0
	s_mov_b32 s24, -1
	s_wait_kmcnt 0x0
	s_mul_u64 s[4:5], s[10:11], s[2:3]
	s_delay_alu instid0(SALU_CYCLE_1) | instskip(NEXT) | instid1(SALU_CYCLE_1)
	s_lshl_b64 s[4:5], s[4:5], 4
	s_add_nc_u64 s[4:5], s[8:9], s[4:5]
	s_load_b128 s[16:19], s[4:5], 0x0
	s_load_b256 s[4:11], s[0:1], 0x58
	s_wait_kmcnt 0x0
	v_cmp_neq_f64_e64 s22, s[16:17], 0
	v_cmp_neq_f64_e64 s23, s[18:19], 0
	s_mul_u64 s[6:7], s[6:7], s[2:3]
	s_delay_alu instid0(SALU_CYCLE_1) | instskip(NEXT) | instid1(SALU_CYCLE_1)
	s_lshl_b64 s[6:7], s[6:7], 4
	s_add_nc_u64 s[4:5], s[4:5], s[6:7]
	s_load_b128 s[4:7], s[4:5], 0x0
	s_or_b32 s22, s22, s23
	s_mov_b32 s23, s3
	s_and_b32 vcc_lo, exec_lo, s22
	s_cbranch_vccz .LBB368_3
; %bb.1:
	s_and_not1_b32 vcc_lo, exec_lo, s24
	s_cbranch_vccz .LBB368_4
.LBB368_2:
	s_and_not1_b32 vcc_lo, exec_lo, s23
	s_cbranch_vccz .LBB368_5
	s_branch .LBB368_40
.LBB368_3:
	s_wait_kmcnt 0x0
	v_cmp_neq_f64_e64 s23, s[4:5], 1.0
	v_cmp_neq_f64_e64 s24, s[6:7], 0
	s_or_b32 s23, s23, s24
	s_cbranch_execnz .LBB368_2
.LBB368_4:
	s_lshl_b64 s[20:21], s[2:3], 3
	s_lshl_b64 s[14:15], s[14:15], 4
	s_add_nc_u64 s[12:13], s[12:13], s[20:21]
	s_load_b64 s[12:13], s[12:13], 0x0
	s_wait_kmcnt 0x0
	s_add_nc_u64 s[20:21], s[12:13], s[14:15]
.LBB368_5:
	v_cndmask_b32_e64 v1, 0, 1, s22
	s_xor_b32 s22, s22, -1
	s_mov_b64 s[14:15], 0
	s_delay_alu instid0(VALU_DEP_1)
	v_cmp_ne_u32_e32 vcc_lo, 1, v1
	s_cbranch_vccnz .LBB368_7
; %bb.6:
	s_load_b128 s[12:15], s[0:1], 0x38
	s_lshl_b64 s[24:25], s[2:3], 3
	s_wait_kmcnt 0x0
	s_add_nc_u64 s[12:13], s[12:13], s[24:25]
	s_lshl_b64 s[14:15], s[14:15], 4
	s_load_b64 s[12:13], s[12:13], 0x0
	s_wait_kmcnt 0x0
	s_add_nc_u64 s[14:15], s[12:13], s[14:15]
.LBB368_7:
	s_lshl_b64 s[2:3], s[2:3], 3
	s_wait_alu 0xfffe
	s_and_not1_b32 vcc_lo, exec_lo, s22
	s_add_nc_u64 s[12:13], s[8:9], s[2:3]
	s_clause 0x1
	s_load_b64 s[2:3], s[0:1], 0x0
	s_load_b32 s8, s[0:1], 0x78
	s_load_b64 s[12:13], s[12:13], 0x0
	s_mov_b32 s9, -1
	s_cbranch_vccnz .LBB368_22
; %bb.8:
	s_wait_kmcnt 0x0
	v_cmp_neq_f64_e64 s9, s[4:5], 0
	v_cmp_neq_f64_e64 s22, s[6:7], 0
	s_or_b32 s9, s9, s22
	s_cmp_gt_i32 s3, 0
	s_cselect_b32 s24, -1, 0
	s_and_b32 vcc_lo, exec_lo, s9
	s_mov_b32 s9, -1
	s_cbranch_vccnz .LBB368_15
; %bb.9:
	s_and_not1_b32 vcc_lo, exec_lo, s24
	s_cbranch_vccnz .LBB368_14
; %bb.10:
	v_mad_co_i64_i32 v[1:2], null, s8, v0, 0
	s_lshl_b64 s[22:23], s[10:11], 4
	s_ashr_i32 s9, s8, 31
	s_wait_alu 0xfffe
	s_add_nc_u64 s[22:23], s[12:13], s[22:23]
	v_lshlrev_b64_e32 v[1:2], 4, v[1:2]
	s_wait_alu 0xfffe
	s_delay_alu instid0(VALU_DEP_1) | instskip(NEXT) | instid1(VALU_DEP_1)
	v_add_co_u32 v1, vcc_lo, s22, v1
	v_add_co_ci_u32_e64 v2, null, s23, v2, vcc_lo
	s_lshl_b64 s[22:23], s[8:9], 12
	v_add_co_u32 v5, vcc_lo, v1, 8
	s_wait_alu 0xfffd
	v_add_co_ci_u32_e64 v6, null, 0, v2, vcc_lo
	v_mov_b32_e32 v1, 0
	s_mov_b32 s9, 0
	s_branch .LBB368_12
.LBB368_11:                             ;   in Loop: Header=BB368_12 Depth=1
	s_or_b32 exec_lo, exec_lo, s25
	v_add_co_u32 v5, vcc_lo, v5, s22
	s_wait_alu 0xfffd
	v_add_co_ci_u32_e64 v6, null, s23, v6, vcc_lo
	s_addk_co_i32 s9, 0x100
	s_wait_alu 0xfffe
	s_cmp_ge_i32 s9, s3
	s_cbranch_scc1 .LBB368_14
.LBB368_12:                             ; =>This Inner Loop Header: Depth=1
	s_wait_alu 0xfffe
	v_add_nc_u32_e32 v2, s9, v0
	s_mov_b32 s25, exec_lo
	s_delay_alu instid0(VALU_DEP_1)
	v_cmpx_gt_i32_e64 s3, v2
	s_cbranch_execz .LBB368_11
; %bb.13:                               ;   in Loop: Header=BB368_12 Depth=1
	v_dual_mov_b32 v2, v1 :: v_dual_mov_b32 v3, v1
	v_mov_b32_e32 v4, v1
	flat_store_b128 v[5:6], v[1:4] offset:-8
	s_branch .LBB368_11
.LBB368_14:
	s_mov_b32 s9, 0
.LBB368_15:
	s_wait_alu 0xfffe
	s_and_not1_b32 vcc_lo, exec_lo, s9
	s_wait_alu 0xfffe
	s_cbranch_vccnz .LBB368_21
; %bb.16:
	s_and_not1_b32 vcc_lo, exec_lo, s24
	s_wait_alu 0xfffe
	s_cbranch_vccnz .LBB368_21
; %bb.17:
	v_mad_co_i64_i32 v[1:2], null, s8, v0, 0
	s_lshl_b64 s[22:23], s[10:11], 4
	s_ashr_i32 s9, s8, 31
	s_wait_alu 0xfffe
	s_add_nc_u64 s[22:23], s[12:13], s[22:23]
	v_lshlrev_b64_e32 v[1:2], 4, v[1:2]
	s_wait_alu 0xfffe
	s_delay_alu instid0(VALU_DEP_1) | instskip(SKIP_1) | instid1(VALU_DEP_2)
	v_add_co_u32 v1, vcc_lo, s22, v1
	s_wait_alu 0xfffd
	v_add_co_ci_u32_e64 v2, null, s23, v2, vcc_lo
	s_lshl_b64 s[22:23], s[8:9], 12
	v_add_co_u32 v1, vcc_lo, v1, 8
	s_wait_alu 0xfffd
	v_add_co_ci_u32_e64 v2, null, 0, v2, vcc_lo
	s_mov_b32 s9, 0
	s_branch .LBB368_19
.LBB368_18:                             ;   in Loop: Header=BB368_19 Depth=1
	s_or_b32 exec_lo, exec_lo, s24
	v_add_co_u32 v1, vcc_lo, v1, s22
	s_wait_alu 0xfffd
	v_add_co_ci_u32_e64 v2, null, s23, v2, vcc_lo
	s_addk_co_i32 s9, 0x100
	s_wait_alu 0xfffe
	s_cmp_ge_i32 s9, s3
	s_cbranch_scc1 .LBB368_21
.LBB368_19:                             ; =>This Inner Loop Header: Depth=1
	s_wait_alu 0xfffe
	v_add_nc_u32_e32 v3, s9, v0
	s_mov_b32 s24, exec_lo
	s_delay_alu instid0(VALU_DEP_1)
	v_cmpx_gt_i32_e64 s3, v3
	s_cbranch_execz .LBB368_18
; %bb.20:                               ;   in Loop: Header=BB368_19 Depth=1
	flat_load_b128 v[3:6], v[1:2] offset:-8
	s_wait_loadcnt_dscnt 0x0
	v_mul_f64_e32 v[7:8], s[6:7], v[5:6]
	v_mul_f64_e32 v[9:10], s[4:5], v[5:6]
	s_delay_alu instid0(VALU_DEP_2) | instskip(NEXT) | instid1(VALU_DEP_2)
	v_fma_f64 v[5:6], s[4:5], v[3:4], -v[7:8]
	v_fma_f64 v[7:8], s[6:7], v[3:4], v[9:10]
	flat_store_b128 v[1:2], v[5:8] offset:-8
	s_branch .LBB368_18
.LBB368_21:
	s_mov_b32 s9, 0
.LBB368_22:
	s_wait_alu 0xfffe
	s_and_not1_b32 vcc_lo, exec_lo, s9
	s_wait_alu 0xfffe
	s_cbranch_vccnz .LBB368_40
; %bb.23:
	s_mov_b32 s9, exec_lo
	s_wait_kmcnt 0x0
	v_cmpx_gt_i32_e64 s2, v0
	s_cbranch_execz .LBB368_25
; %bb.24:
	s_load_b32 s22, s[0:1], 0x48
	s_wait_kmcnt 0x0
	v_mad_co_i64_i32 v[1:2], null, s22, v0, 0
	s_delay_alu instid0(VALU_DEP_1) | instskip(NEXT) | instid1(VALU_DEP_1)
	v_lshlrev_b64_e32 v[1:2], 4, v[1:2]
	v_add_co_u32 v1, vcc_lo, s14, v1
	s_wait_alu 0xfffd
	s_delay_alu instid0(VALU_DEP_2) | instskip(SKIP_4) | instid1(VALU_DEP_2)
	v_add_co_ci_u32_e64 v2, null, s15, v2, vcc_lo
	flat_load_b128 v[1:4], v[1:2]
	s_wait_loadcnt_dscnt 0x0
	v_mul_f64_e32 v[5:6], s[18:19], v[3:4]
	v_mul_f64_e32 v[7:8], s[16:17], v[3:4]
	v_fma_f64 v[3:4], s[16:17], v[1:2], -v[5:6]
	s_delay_alu instid0(VALU_DEP_2)
	v_fma_f64 v[5:6], s[18:19], v[1:2], v[7:8]
	v_lshlrev_b32_e32 v1, 4, v0
	ds_store_b128 v1, v[3:6]
.LBB368_25:
	s_wait_alu 0xfffe
	s_or_b32 exec_lo, exec_lo, s9
	s_cmp_lt_i32 s3, 1
	s_wait_storecnt_dscnt 0x0
	s_barrier_signal -1
	s_barrier_wait -1
	global_inv scope:SCOPE_SE
	s_cbranch_scc1 .LBB368_40
; %bb.26:
	v_cmp_neq_f64_e64 s16, s[4:5], 0
	v_cmp_neq_f64_e64 s17, s[6:7], 0
	s_load_b32 s14, s[0:1], 0x28
	s_lshl_b64 s[10:11], s[10:11], 4
	s_ashr_i32 s9, s8, 31
	s_mov_b32 s1, 0
	s_add_nc_u64 s[10:11], s[12:13], s[10:11]
	s_wait_kmcnt 0x0
	v_mad_co_i64_i32 v[1:2], null, s14, v0, 0
	s_ashr_i32 s15, s14, 31
	v_lshlrev_b64_e32 v[1:2], 4, v[1:2]
	s_delay_alu instid0(VALU_DEP_1) | instskip(SKIP_1) | instid1(VALU_DEP_2)
	v_add_co_u32 v11, vcc_lo, s20, v1
	s_wait_alu 0xfffd
	v_add_co_ci_u32_e64 v12, null, s21, v2, vcc_lo
	s_or_b32 s16, s16, s17
	s_cmp_gt_i32 s2, 0
	v_add_co_u32 v5, vcc_lo, 0x78, v11
	s_cselect_b32 s17, -1, 0
	s_and_b32 s0, s2, 7
	s_cmp_gt_u32 s2, 7
	s_wait_alu 0xfffd
	v_add_co_ci_u32_e64 v6, null, 0, v12, vcc_lo
	s_cselect_b32 s18, -1, 0
	s_and_b32 s2, s2, 0x7ffffff8
	s_cmp_lg_u32 s0, 0
	s_mov_b32 s21, 0
	s_cselect_b32 s19, -1, 0
	s_wait_alu 0xfffe
	s_lshl_b64 s[12:13], s[14:15], 12
	s_lshl_b32 s20, s0, 4
	s_branch .LBB368_29
.LBB368_27:                             ;   in Loop: Header=BB368_29 Depth=1
	v_add_co_u32 v7, vcc_lo, s10, v7
	s_wait_alu 0xfffd
	v_add_co_ci_u32_e64 v8, null, s11, v8, vcc_lo
	flat_store_b128 v[7:8], v[1:4]
.LBB368_28:                             ;   in Loop: Header=BB368_29 Depth=1
	s_wait_alu 0xfffe
	s_or_b32 exec_lo, exec_lo, s22
	v_add_co_u32 v5, vcc_lo, v5, s12
	s_wait_alu 0xfffd
	v_add_co_ci_u32_e64 v6, null, s13, v6, vcc_lo
	v_add_co_u32 v11, vcc_lo, v11, s12
	s_wait_alu 0xfffd
	v_add_co_ci_u32_e64 v12, null, s13, v12, vcc_lo
	s_addk_co_i32 s21, 0x100
	s_wait_alu 0xfffe
	s_cmp_ge_i32 s21, s3
	s_cbranch_scc1 .LBB368_40
.LBB368_29:                             ; =>This Loop Header: Depth=1
                                        ;     Child Loop BB368_35 Depth 2
                                        ;     Child Loop BB368_39 Depth 2
	v_add_nc_u32_e32 v1, s21, v0
	s_mov_b32 s22, exec_lo
	s_delay_alu instid0(VALU_DEP_1)
	v_cmpx_gt_i32_e64 s3, v1
	s_cbranch_execz .LBB368_28
; %bb.30:                               ;   in Loop: Header=BB368_29 Depth=1
	v_mad_co_u64_u32 v[3:4], null, v1, s8, 0
	s_and_not1_b32 vcc_lo, exec_lo, s16
	v_mov_b32_e32 v2, v4
	s_delay_alu instid0(VALU_DEP_1) | instskip(NEXT) | instid1(VALU_DEP_1)
	v_mad_co_u64_u32 v[1:2], null, v1, s9, v[2:3]
	v_dual_mov_b32 v4, v1 :: v_dual_mov_b32 v1, 0
	v_mov_b32_e32 v2, 0
	s_delay_alu instid0(VALU_DEP_2)
	v_lshlrev_b64_e32 v[7:8], 4, v[3:4]
	v_mov_b32_e32 v3, 0
	v_mov_b32_e32 v4, 0
	s_wait_alu 0xfffe
	s_cbranch_vccnz .LBB368_32
; %bb.31:                               ;   in Loop: Header=BB368_29 Depth=1
	s_delay_alu instid0(VALU_DEP_3)
	v_add_co_u32 v1, vcc_lo, s10, v7
	s_wait_alu 0xfffd
	v_add_co_ci_u32_e64 v2, null, s11, v8, vcc_lo
	flat_load_b128 v[13:16], v[1:2]
	s_wait_loadcnt_dscnt 0x0
	v_mul_f64_e32 v[1:2], s[6:7], v[15:16]
	v_mul_f64_e32 v[3:4], s[4:5], v[15:16]
	s_delay_alu instid0(VALU_DEP_2) | instskip(NEXT) | instid1(VALU_DEP_2)
	v_fma_f64 v[1:2], s[4:5], v[13:14], -v[1:2]
	v_fma_f64 v[3:4], s[6:7], v[13:14], v[3:4]
.LBB368_32:                             ;   in Loop: Header=BB368_29 Depth=1
	s_and_not1_b32 vcc_lo, exec_lo, s17
	s_wait_alu 0xfffe
	s_cbranch_vccnz .LBB368_27
; %bb.33:                               ;   in Loop: Header=BB368_29 Depth=1
	s_and_not1_b32 vcc_lo, exec_lo, s18
	s_mov_b32 s0, 0
	s_wait_alu 0xfffe
	s_cbranch_vccnz .LBB368_37
; %bb.34:                               ;   in Loop: Header=BB368_29 Depth=1
	v_dual_mov_b32 v10, v6 :: v_dual_mov_b32 v9, v5
	s_mov_b32 s14, 0
.LBB368_35:                             ;   Parent Loop BB368_29 Depth=1
                                        ; =>  This Inner Loop Header: Depth=2
	s_clause 0x7
	flat_load_b128 v[13:16], v[9:10] offset:-120
	flat_load_b128 v[17:20], v[9:10] offset:-104
	;; [unrolled: 1-line block ×8, first 2 shown]
	v_mov_b32_e32 v61, s0
	v_add_co_u32 v9, vcc_lo, 0x80, v9
	s_wait_alu 0xfffd
	v_add_co_ci_u32_e64 v10, null, 0, v10, vcc_lo
	ds_load_b128 v[45:48], v61
	ds_load_b128 v[49:52], v61 offset:16
	s_wait_alu 0xfffe
	s_add_co_i32 s14, s14, 8
	s_addk_co_i32 s0, 0x80
	s_wait_alu 0xfffe
	s_cmp_eq_u32 s2, s14
	s_wait_loadcnt_dscnt 0x701
	v_mul_f64_e32 v[53:54], v[15:16], v[47:48]
	v_mul_f64_e32 v[15:16], v[15:16], v[45:46]
	s_wait_loadcnt_dscnt 0x600
	v_mul_f64_e32 v[55:56], v[19:20], v[51:52]
	v_mul_f64_e32 v[19:20], v[19:20], v[49:50]
	s_delay_alu instid0(VALU_DEP_4) | instskip(NEXT) | instid1(VALU_DEP_4)
	v_fma_f64 v[53:54], v[13:14], v[45:46], v[53:54]
	v_fma_f64 v[57:58], v[13:14], v[47:48], -v[15:16]
	ds_load_b128 v[13:16], v61 offset:32
	ds_load_b128 v[45:48], v61 offset:48
	v_fma_f64 v[49:50], v[17:18], v[49:50], v[55:56]
	v_fma_f64 v[17:18], v[17:18], v[51:52], -v[19:20]
	s_wait_loadcnt_dscnt 0x501
	v_mul_f64_e32 v[59:60], v[23:24], v[15:16]
	v_mul_f64_e32 v[23:24], v[23:24], v[13:14]
	s_wait_loadcnt_dscnt 0x400
	v_mul_f64_e32 v[19:20], v[27:28], v[47:48]
	v_mul_f64_e32 v[27:28], v[27:28], v[45:46]
	v_add_f64_e32 v[1:2], v[1:2], v[53:54]
	v_add_f64_e32 v[3:4], v[3:4], v[57:58]
	v_fma_f64 v[51:52], v[21:22], v[13:14], v[59:60]
	v_fma_f64 v[21:22], v[21:22], v[15:16], -v[23:24]
	v_fma_f64 v[19:20], v[25:26], v[45:46], v[19:20]
	v_fma_f64 v[25:26], v[25:26], v[47:48], -v[27:28]
	v_add_f64_e32 v[23:24], v[1:2], v[49:50]
	v_add_f64_e32 v[17:18], v[3:4], v[17:18]
	ds_load_b128 v[1:4], v61 offset:64
	ds_load_b128 v[13:16], v61 offset:80
	s_wait_loadcnt_dscnt 0x301
	v_mul_f64_e32 v[49:50], v[31:32], v[3:4]
	v_mul_f64_e32 v[31:32], v[31:32], v[1:2]
	s_wait_loadcnt_dscnt 0x200
	v_mul_f64_e32 v[27:28], v[35:36], v[13:14]
	v_add_f64_e32 v[23:24], v[23:24], v[51:52]
	v_add_f64_e32 v[17:18], v[17:18], v[21:22]
	v_mul_f64_e32 v[21:22], v[35:36], v[15:16]
	v_fma_f64 v[35:36], v[29:30], v[1:2], v[49:50]
	v_fma_f64 v[29:30], v[29:30], v[3:4], -v[31:32]
	v_fma_f64 v[15:16], v[33:34], v[15:16], -v[27:28]
	v_add_f64_e32 v[23:24], v[23:24], v[19:20]
	v_add_f64_e32 v[25:26], v[17:18], v[25:26]
	ds_load_b128 v[1:4], v61 offset:96
	ds_load_b128 v[17:20], v61 offset:112
	v_fma_f64 v[13:14], v[33:34], v[13:14], v[21:22]
	s_wait_loadcnt_dscnt 0x101
	v_mul_f64_e32 v[31:32], v[39:40], v[3:4]
	v_mul_f64_e32 v[39:40], v[39:40], v[1:2]
	s_wait_loadcnt_dscnt 0x0
	v_mul_f64_e32 v[27:28], v[43:44], v[17:18]
	v_add_f64_e32 v[21:22], v[23:24], v[35:36]
	v_add_f64_e32 v[23:24], v[25:26], v[29:30]
	v_mul_f64_e32 v[25:26], v[43:44], v[19:20]
	v_fma_f64 v[1:2], v[37:38], v[1:2], v[31:32]
	v_fma_f64 v[3:4], v[37:38], v[3:4], -v[39:40]
	v_fma_f64 v[19:20], v[41:42], v[19:20], -v[27:28]
	v_add_f64_e32 v[13:14], v[21:22], v[13:14]
	v_add_f64_e32 v[15:16], v[23:24], v[15:16]
	v_fma_f64 v[17:18], v[41:42], v[17:18], v[25:26]
	s_delay_alu instid0(VALU_DEP_3) | instskip(NEXT) | instid1(VALU_DEP_3)
	v_add_f64_e32 v[1:2], v[13:14], v[1:2]
	v_add_f64_e32 v[3:4], v[15:16], v[3:4]
	s_delay_alu instid0(VALU_DEP_2) | instskip(NEXT) | instid1(VALU_DEP_2)
	v_add_f64_e32 v[1:2], v[1:2], v[17:18]
	v_add_f64_e32 v[3:4], v[3:4], v[19:20]
	s_cbranch_scc0 .LBB368_35
; %bb.36:                               ;   in Loop: Header=BB368_29 Depth=1
	s_mov_b32 s0, s2
.LBB368_37:                             ;   in Loop: Header=BB368_29 Depth=1
	s_and_not1_b32 vcc_lo, exec_lo, s19
	s_wait_alu 0xfffe
	s_cbranch_vccnz .LBB368_27
; %bb.38:                               ;   in Loop: Header=BB368_29 Depth=1
	s_lshl_b64 s[14:15], s[0:1], 4
	s_lshl_b32 s0, s0, 4
	s_wait_alu 0xfffe
	v_add_co_u32 v9, vcc_lo, v11, s14
	s_wait_alu 0xfffd
	v_add_co_ci_u32_e64 v10, null, s15, v12, vcc_lo
	s_mov_b64 s[14:15], 0
.LBB368_39:                             ;   Parent Loop BB368_29 Depth=1
                                        ; =>  This Inner Loop Header: Depth=2
	s_wait_alu 0xfffe
	v_add_co_u32 v13, vcc_lo, v9, s14
	s_wait_alu 0xfffd
	v_add_co_ci_u32_e64 v14, null, s15, v10, vcc_lo
	v_mov_b32_e32 v17, s0
	s_add_nc_u64 s[14:15], s[14:15], 16
	s_add_co_i32 s0, s0, 16
	flat_load_b128 v[13:16], v[13:14]
	s_wait_alu 0xfffe
	s_cmp_lg_u32 s20, s14
	ds_load_b128 v[17:20], v17
	s_wait_loadcnt_dscnt 0x0
	v_mul_f64_e32 v[21:22], v[15:16], v[19:20]
	v_mul_f64_e32 v[15:16], v[15:16], v[17:18]
	s_delay_alu instid0(VALU_DEP_2) | instskip(NEXT) | instid1(VALU_DEP_2)
	v_fma_f64 v[17:18], v[13:14], v[17:18], v[21:22]
	v_fma_f64 v[13:14], v[13:14], v[19:20], -v[15:16]
	s_delay_alu instid0(VALU_DEP_2) | instskip(NEXT) | instid1(VALU_DEP_2)
	v_add_f64_e32 v[1:2], v[1:2], v[17:18]
	v_add_f64_e32 v[3:4], v[3:4], v[13:14]
	s_cbranch_scc1 .LBB368_39
	s_branch .LBB368_27
.LBB368_40:
	s_endpgm
	.section	.rodata,"a",@progbits
	.p2align	6, 0x0
	.amdhsa_kernel _ZL22rocblas_gemvtsm_kernelILb1ELi256EPK19rocblas_complex_numIdES3_KPS1_EviiT2_lPKT1_lilS9_lilS6_lPT3_lil
		.amdhsa_group_segment_fixed_size 1024
		.amdhsa_private_segment_fixed_size 0
		.amdhsa_kernarg_size 136
		.amdhsa_user_sgpr_count 2
		.amdhsa_user_sgpr_dispatch_ptr 0
		.amdhsa_user_sgpr_queue_ptr 0
		.amdhsa_user_sgpr_kernarg_segment_ptr 1
		.amdhsa_user_sgpr_dispatch_id 0
		.amdhsa_user_sgpr_private_segment_size 0
		.amdhsa_wavefront_size32 1
		.amdhsa_uses_dynamic_stack 0
		.amdhsa_enable_private_segment 0
		.amdhsa_system_sgpr_workgroup_id_x 1
		.amdhsa_system_sgpr_workgroup_id_y 0
		.amdhsa_system_sgpr_workgroup_id_z 0
		.amdhsa_system_sgpr_workgroup_info 0
		.amdhsa_system_vgpr_workitem_id 0
		.amdhsa_next_free_vgpr 62
		.amdhsa_next_free_sgpr 26
		.amdhsa_reserve_vcc 1
		.amdhsa_float_round_mode_32 0
		.amdhsa_float_round_mode_16_64 0
		.amdhsa_float_denorm_mode_32 3
		.amdhsa_float_denorm_mode_16_64 3
		.amdhsa_fp16_overflow 0
		.amdhsa_workgroup_processor_mode 1
		.amdhsa_memory_ordered 1
		.amdhsa_forward_progress 1
		.amdhsa_inst_pref_size 17
		.amdhsa_round_robin_scheduling 0
		.amdhsa_exception_fp_ieee_invalid_op 0
		.amdhsa_exception_fp_denorm_src 0
		.amdhsa_exception_fp_ieee_div_zero 0
		.amdhsa_exception_fp_ieee_overflow 0
		.amdhsa_exception_fp_ieee_underflow 0
		.amdhsa_exception_fp_ieee_inexact 0
		.amdhsa_exception_int_div_zero 0
	.end_amdhsa_kernel
	.section	.text._ZL22rocblas_gemvtsm_kernelILb1ELi256EPK19rocblas_complex_numIdES3_KPS1_EviiT2_lPKT1_lilS9_lilS6_lPT3_lil,"axG",@progbits,_ZL22rocblas_gemvtsm_kernelILb1ELi256EPK19rocblas_complex_numIdES3_KPS1_EviiT2_lPKT1_lilS9_lilS6_lPT3_lil,comdat
.Lfunc_end368:
	.size	_ZL22rocblas_gemvtsm_kernelILb1ELi256EPK19rocblas_complex_numIdES3_KPS1_EviiT2_lPKT1_lilS9_lilS6_lPT3_lil, .Lfunc_end368-_ZL22rocblas_gemvtsm_kernelILb1ELi256EPK19rocblas_complex_numIdES3_KPS1_EviiT2_lPKT1_lilS9_lilS6_lPT3_lil
                                        ; -- End function
	.set _ZL22rocblas_gemvtsm_kernelILb1ELi256EPK19rocblas_complex_numIdES3_KPS1_EviiT2_lPKT1_lilS9_lilS6_lPT3_lil.num_vgpr, 62
	.set _ZL22rocblas_gemvtsm_kernelILb1ELi256EPK19rocblas_complex_numIdES3_KPS1_EviiT2_lPKT1_lilS9_lilS6_lPT3_lil.num_agpr, 0
	.set _ZL22rocblas_gemvtsm_kernelILb1ELi256EPK19rocblas_complex_numIdES3_KPS1_EviiT2_lPKT1_lilS9_lilS6_lPT3_lil.numbered_sgpr, 26
	.set _ZL22rocblas_gemvtsm_kernelILb1ELi256EPK19rocblas_complex_numIdES3_KPS1_EviiT2_lPKT1_lilS9_lilS6_lPT3_lil.num_named_barrier, 0
	.set _ZL22rocblas_gemvtsm_kernelILb1ELi256EPK19rocblas_complex_numIdES3_KPS1_EviiT2_lPKT1_lilS9_lilS6_lPT3_lil.private_seg_size, 0
	.set _ZL22rocblas_gemvtsm_kernelILb1ELi256EPK19rocblas_complex_numIdES3_KPS1_EviiT2_lPKT1_lilS9_lilS6_lPT3_lil.uses_vcc, 1
	.set _ZL22rocblas_gemvtsm_kernelILb1ELi256EPK19rocblas_complex_numIdES3_KPS1_EviiT2_lPKT1_lilS9_lilS6_lPT3_lil.uses_flat_scratch, 1
	.set _ZL22rocblas_gemvtsm_kernelILb1ELi256EPK19rocblas_complex_numIdES3_KPS1_EviiT2_lPKT1_lilS9_lilS6_lPT3_lil.has_dyn_sized_stack, 0
	.set _ZL22rocblas_gemvtsm_kernelILb1ELi256EPK19rocblas_complex_numIdES3_KPS1_EviiT2_lPKT1_lilS9_lilS6_lPT3_lil.has_recursion, 0
	.set _ZL22rocblas_gemvtsm_kernelILb1ELi256EPK19rocblas_complex_numIdES3_KPS1_EviiT2_lPKT1_lilS9_lilS6_lPT3_lil.has_indirect_call, 0
	.section	.AMDGPU.csdata,"",@progbits
; Kernel info:
; codeLenInByte = 2136
; TotalNumSgprs: 28
; NumVgprs: 62
; ScratchSize: 0
; MemoryBound: 0
; FloatMode: 240
; IeeeMode: 1
; LDSByteSize: 1024 bytes/workgroup (compile time only)
; SGPRBlocks: 0
; VGPRBlocks: 7
; NumSGPRsForWavesPerEU: 28
; NumVGPRsForWavesPerEU: 62
; Occupancy: 16
; WaveLimiterHint : 1
; COMPUTE_PGM_RSRC2:SCRATCH_EN: 0
; COMPUTE_PGM_RSRC2:USER_SGPR: 2
; COMPUTE_PGM_RSRC2:TRAP_HANDLER: 0
; COMPUTE_PGM_RSRC2:TGID_X_EN: 1
; COMPUTE_PGM_RSRC2:TGID_Y_EN: 0
; COMPUTE_PGM_RSRC2:TGID_Z_EN: 0
; COMPUTE_PGM_RSRC2:TIDIG_COMP_CNT: 0
	.section	.text._ZL22rocblas_gemvtsm_kernelILb1ELi256EPK19rocblas_complex_numIdES1_KPS1_EviiT2_lPKT1_lilS9_lilS6_lPT3_lil,"axG",@progbits,_ZL22rocblas_gemvtsm_kernelILb1ELi256EPK19rocblas_complex_numIdES1_KPS1_EviiT2_lPKT1_lilS9_lilS6_lPT3_lil,comdat
	.globl	_ZL22rocblas_gemvtsm_kernelILb1ELi256EPK19rocblas_complex_numIdES1_KPS1_EviiT2_lPKT1_lilS9_lilS6_lPT3_lil ; -- Begin function _ZL22rocblas_gemvtsm_kernelILb1ELi256EPK19rocblas_complex_numIdES1_KPS1_EviiT2_lPKT1_lilS9_lilS6_lPT3_lil
	.p2align	8
	.type	_ZL22rocblas_gemvtsm_kernelILb1ELi256EPK19rocblas_complex_numIdES1_KPS1_EviiT2_lPKT1_lilS9_lilS6_lPT3_lil,@function
_ZL22rocblas_gemvtsm_kernelILb1ELi256EPK19rocblas_complex_numIdES1_KPS1_EviiT2_lPKT1_lilS9_lilS6_lPT3_lil: ; @_ZL22rocblas_gemvtsm_kernelILb1ELi256EPK19rocblas_complex_numIdES1_KPS1_EviiT2_lPKT1_lilS9_lilS6_lPT3_lil
; %bb.0:
	s_clause 0x1
	s_load_b128 s[8:11], s[0:1], 0x8
	s_load_b128 s[4:7], s[0:1], 0x60
	s_wait_kmcnt 0x0
	v_cmp_neq_f64_e64 s2, s[8:9], 0
	v_cmp_neq_f64_e64 s3, s[10:11], 0
	s_or_b32 s12, s2, s3
	s_mov_b32 s2, -1
	s_and_b32 vcc_lo, exec_lo, s12
	s_cbranch_vccnz .LBB369_2
; %bb.1:
	v_cmp_neq_f64_e64 s2, s[4:5], 1.0
	v_cmp_neq_f64_e64 s3, s[6:7], 0
	s_or_b32 s2, s2, s3
.LBB369_2:
	s_delay_alu instid0(SALU_CYCLE_1)
	s_and_not1_b32 vcc_lo, exec_lo, s2
	s_cbranch_vccnz .LBB369_42
; %bb.3:
	s_xor_b32 s3, s12, -1
	s_mov_b32 s2, ttmp9
	v_cndmask_b32_e64 v1, 0, 1, s3
	s_and_not1_b32 vcc_lo, exec_lo, s3
	s_mov_b32 s3, 0
	s_cbranch_vccnz .LBB369_5
; %bb.4:
	s_wait_alu 0xfffe
	s_mov_b32 s13, s3
	s_mov_b64 s[20:21], 0
	s_and_not1_b32 vcc_lo, exec_lo, s13
	s_mov_b64 s[16:17], 0
	s_cbranch_vccz .LBB369_6
	s_branch .LBB369_7
.LBB369_5:
	s_mov_b64 s[20:21], 0
	s_mov_b64 s[16:17], 0
.LBB369_6:
	s_load_b128 s[16:19], s[0:1], 0x20
	s_lshl_b64 s[14:15], s[2:3], 3
	s_wait_kmcnt 0x0
	s_add_nc_u64 s[14:15], s[16:17], s[14:15]
	s_lshl_b64 s[16:17], s[18:19], 4
	s_load_b64 s[14:15], s[14:15], 0x0
	s_wait_kmcnt 0x0
	s_add_nc_u64 s[16:17], s[14:15], s[16:17]
.LBB369_7:
	s_and_not1_b32 vcc_lo, exec_lo, s12
	s_cbranch_vccnz .LBB369_9
; %bb.8:
	s_load_b128 s[12:15], s[0:1], 0x40
	s_lshl_b64 s[18:19], s[2:3], 3
	s_wait_kmcnt 0x0
	s_add_nc_u64 s[12:13], s[12:13], s[18:19]
	s_lshl_b64 s[14:15], s[14:15], 4
	s_load_b64 s[12:13], s[12:13], 0x0
	s_wait_kmcnt 0x0
	s_add_nc_u64 s[20:21], s[12:13], s[14:15]
.LBB369_9:
	s_load_b128 s[12:15], s[0:1], 0x78
	s_lshl_b64 s[18:19], s[2:3], 3
	s_load_b64 s[2:3], s[0:1], 0x0
	v_cmp_ne_u32_e32 vcc_lo, 1, v1
	s_and_b32 vcc_lo, exec_lo, vcc_lo
	s_wait_kmcnt 0x0
	s_add_nc_u64 s[18:19], s[12:13], s[18:19]
	s_load_b32 s12, s[0:1], 0x88
	s_load_b64 s[18:19], s[18:19], 0x0
	s_mov_b32 s13, -1
	s_cbranch_vccnz .LBB369_24
; %bb.10:
	v_cmp_neq_f64_e64 s13, s[4:5], 0
	v_cmp_neq_f64_e64 s22, s[6:7], 0
	s_or_b32 s13, s13, s22
	s_cmp_gt_i32 s3, 0
	s_cselect_b32 s24, -1, 0
	s_and_b32 vcc_lo, exec_lo, s13
	s_mov_b32 s13, -1
	s_cbranch_vccnz .LBB369_17
; %bb.11:
	s_and_not1_b32 vcc_lo, exec_lo, s24
	s_cbranch_vccnz .LBB369_16
; %bb.12:
	s_wait_kmcnt 0x0
	v_mad_co_i64_i32 v[1:2], null, s12, v0, 0
	s_lshl_b64 s[22:23], s[14:15], 4
	s_ashr_i32 s13, s12, 31
	s_add_nc_u64 s[22:23], s[18:19], s[22:23]
	v_lshlrev_b64_e32 v[1:2], 4, v[1:2]
	s_delay_alu instid0(VALU_DEP_1) | instskip(NEXT) | instid1(VALU_DEP_1)
	v_add_co_u32 v1, vcc_lo, s22, v1
	v_add_co_ci_u32_e64 v2, null, s23, v2, vcc_lo
	s_wait_alu 0xfffe
	s_lshl_b64 s[22:23], s[12:13], 12
	s_delay_alu instid0(VALU_DEP_2)
	v_add_co_u32 v5, vcc_lo, v1, 8
	s_wait_alu 0xfffd
	v_add_co_ci_u32_e64 v6, null, 0, v2, vcc_lo
	v_mov_b32_e32 v1, 0
	s_mov_b32 s13, 0
	s_branch .LBB369_14
.LBB369_13:                             ;   in Loop: Header=BB369_14 Depth=1
	s_or_b32 exec_lo, exec_lo, s25
	v_add_co_u32 v5, vcc_lo, v5, s22
	s_wait_alu 0xfffd
	v_add_co_ci_u32_e64 v6, null, s23, v6, vcc_lo
	s_addk_co_i32 s13, 0x100
	s_wait_alu 0xfffe
	s_cmp_ge_i32 s13, s3
	s_cbranch_scc1 .LBB369_16
.LBB369_14:                             ; =>This Inner Loop Header: Depth=1
	s_wait_alu 0xfffe
	v_add_nc_u32_e32 v2, s13, v0
	s_mov_b32 s25, exec_lo
	s_delay_alu instid0(VALU_DEP_1)
	v_cmpx_gt_i32_e64 s3, v2
	s_cbranch_execz .LBB369_13
; %bb.15:                               ;   in Loop: Header=BB369_14 Depth=1
	v_dual_mov_b32 v2, v1 :: v_dual_mov_b32 v3, v1
	v_mov_b32_e32 v4, v1
	flat_store_b128 v[5:6], v[1:4] offset:-8
	s_branch .LBB369_13
.LBB369_16:
	s_mov_b32 s13, 0
.LBB369_17:
	s_wait_alu 0xfffe
	s_and_not1_b32 vcc_lo, exec_lo, s13
	s_wait_alu 0xfffe
	s_cbranch_vccnz .LBB369_23
; %bb.18:
	s_and_not1_b32 vcc_lo, exec_lo, s24
	s_wait_alu 0xfffe
	s_cbranch_vccnz .LBB369_23
; %bb.19:
	s_wait_kmcnt 0x0
	v_mad_co_i64_i32 v[1:2], null, s12, v0, 0
	s_lshl_b64 s[22:23], s[14:15], 4
	s_ashr_i32 s13, s12, 31
	s_wait_alu 0xfffe
	s_add_nc_u64 s[22:23], s[18:19], s[22:23]
	v_lshlrev_b64_e32 v[1:2], 4, v[1:2]
	s_wait_alu 0xfffe
	s_delay_alu instid0(VALU_DEP_1) | instskip(SKIP_1) | instid1(VALU_DEP_2)
	v_add_co_u32 v1, vcc_lo, s22, v1
	s_wait_alu 0xfffd
	v_add_co_ci_u32_e64 v2, null, s23, v2, vcc_lo
	s_lshl_b64 s[22:23], s[12:13], 12
	v_add_co_u32 v1, vcc_lo, v1, 8
	s_wait_alu 0xfffd
	v_add_co_ci_u32_e64 v2, null, 0, v2, vcc_lo
	s_mov_b32 s13, 0
	s_branch .LBB369_21
.LBB369_20:                             ;   in Loop: Header=BB369_21 Depth=1
	s_or_b32 exec_lo, exec_lo, s24
	v_add_co_u32 v1, vcc_lo, v1, s22
	s_wait_alu 0xfffd
	v_add_co_ci_u32_e64 v2, null, s23, v2, vcc_lo
	s_addk_co_i32 s13, 0x100
	s_wait_alu 0xfffe
	s_cmp_ge_i32 s13, s3
	s_cbranch_scc1 .LBB369_23
.LBB369_21:                             ; =>This Inner Loop Header: Depth=1
	s_wait_alu 0xfffe
	v_add_nc_u32_e32 v3, s13, v0
	s_mov_b32 s24, exec_lo
	s_delay_alu instid0(VALU_DEP_1)
	v_cmpx_gt_i32_e64 s3, v3
	s_cbranch_execz .LBB369_20
; %bb.22:                               ;   in Loop: Header=BB369_21 Depth=1
	flat_load_b128 v[3:6], v[1:2] offset:-8
	s_wait_loadcnt_dscnt 0x0
	v_mul_f64_e32 v[7:8], s[6:7], v[5:6]
	v_mul_f64_e32 v[9:10], s[4:5], v[5:6]
	s_delay_alu instid0(VALU_DEP_2) | instskip(NEXT) | instid1(VALU_DEP_2)
	v_fma_f64 v[5:6], s[4:5], v[3:4], -v[7:8]
	v_fma_f64 v[7:8], s[6:7], v[3:4], v[9:10]
	flat_store_b128 v[1:2], v[5:8] offset:-8
	s_branch .LBB369_20
.LBB369_23:
	s_mov_b32 s13, 0
.LBB369_24:
	s_wait_alu 0xfffe
	s_and_not1_b32 vcc_lo, exec_lo, s13
	s_wait_alu 0xfffe
	s_cbranch_vccnz .LBB369_42
; %bb.25:
	s_mov_b32 s13, exec_lo
	v_cmpx_gt_i32_e64 s2, v0
	s_cbranch_execz .LBB369_27
; %bb.26:
	s_load_b32 s22, s[0:1], 0x50
	s_wait_kmcnt 0x0
	v_mad_co_i64_i32 v[1:2], null, s22, v0, 0
	s_delay_alu instid0(VALU_DEP_1) | instskip(NEXT) | instid1(VALU_DEP_1)
	v_lshlrev_b64_e32 v[1:2], 4, v[1:2]
	v_add_co_u32 v1, vcc_lo, s20, v1
	s_wait_alu 0xfffd
	s_delay_alu instid0(VALU_DEP_2) | instskip(SKIP_4) | instid1(VALU_DEP_2)
	v_add_co_ci_u32_e64 v2, null, s21, v2, vcc_lo
	flat_load_b128 v[1:4], v[1:2]
	s_wait_loadcnt_dscnt 0x0
	v_mul_f64_e32 v[5:6], s[10:11], v[3:4]
	v_mul_f64_e32 v[7:8], s[8:9], v[3:4]
	v_fma_f64 v[3:4], s[8:9], v[1:2], -v[5:6]
	s_delay_alu instid0(VALU_DEP_2)
	v_fma_f64 v[5:6], s[10:11], v[1:2], v[7:8]
	v_lshlrev_b32_e32 v1, 4, v0
	ds_store_b128 v1, v[3:6]
.LBB369_27:
	s_wait_alu 0xfffe
	s_or_b32 exec_lo, exec_lo, s13
	s_cmp_lt_i32 s3, 1
	s_wait_storecnt_dscnt 0x0
	s_barrier_signal -1
	s_barrier_wait -1
	global_inv scope:SCOPE_SE
	s_cbranch_scc1 .LBB369_42
; %bb.28:
	v_cmp_neq_f64_e64 s20, s[4:5], 0
	v_cmp_neq_f64_e64 s21, s[6:7], 0
	s_load_b32 s10, s[0:1], 0x30
	s_lshl_b64 s[8:9], s[14:15], 4
	s_wait_kmcnt 0x0
	s_ashr_i32 s13, s12, 31
	s_wait_alu 0xfffe
	s_add_nc_u64 s[8:9], s[18:19], s[8:9]
	s_mov_b32 s1, 0
	v_mad_co_i64_i32 v[1:2], null, s10, v0, 0
	s_ashr_i32 s11, s10, 31
	v_lshlrev_b64_e32 v[1:2], 4, v[1:2]
	s_delay_alu instid0(VALU_DEP_1) | instskip(SKIP_1) | instid1(VALU_DEP_2)
	v_add_co_u32 v11, vcc_lo, s16, v1
	s_wait_alu 0xfffd
	v_add_co_ci_u32_e64 v12, null, s17, v2, vcc_lo
	s_or_b32 s16, s20, s21
	s_cmp_gt_i32 s2, 0
	v_add_co_u32 v5, vcc_lo, 0x78, v11
	s_cselect_b32 s17, -1, 0
	s_and_b32 s0, s2, 7
	s_cmp_gt_u32 s2, 7
	s_wait_alu 0xfffd
	v_add_co_ci_u32_e64 v6, null, 0, v12, vcc_lo
	s_cselect_b32 s18, -1, 0
	s_and_b32 s2, s2, 0x7ffffff8
	s_cmp_lg_u32 s0, 0
	s_mov_b32 s21, 0
	s_cselect_b32 s19, -1, 0
	s_wait_alu 0xfffe
	s_lshl_b64 s[10:11], s[10:11], 12
	s_lshl_b32 s20, s0, 4
	s_branch .LBB369_31
.LBB369_29:                             ;   in Loop: Header=BB369_31 Depth=1
	v_add_co_u32 v7, vcc_lo, s8, v7
	s_wait_alu 0xfffd
	v_add_co_ci_u32_e64 v8, null, s9, v8, vcc_lo
	flat_store_b128 v[7:8], v[1:4]
.LBB369_30:                             ;   in Loop: Header=BB369_31 Depth=1
	s_wait_alu 0xfffe
	s_or_b32 exec_lo, exec_lo, s22
	v_add_co_u32 v5, vcc_lo, v5, s10
	s_wait_alu 0xfffd
	v_add_co_ci_u32_e64 v6, null, s11, v6, vcc_lo
	v_add_co_u32 v11, vcc_lo, v11, s10
	s_wait_alu 0xfffd
	v_add_co_ci_u32_e64 v12, null, s11, v12, vcc_lo
	s_addk_co_i32 s21, 0x100
	s_wait_alu 0xfffe
	s_cmp_ge_i32 s21, s3
	s_cbranch_scc1 .LBB369_42
.LBB369_31:                             ; =>This Loop Header: Depth=1
                                        ;     Child Loop BB369_37 Depth 2
                                        ;     Child Loop BB369_41 Depth 2
	v_add_nc_u32_e32 v1, s21, v0
	s_mov_b32 s22, exec_lo
	s_delay_alu instid0(VALU_DEP_1)
	v_cmpx_gt_i32_e64 s3, v1
	s_cbranch_execz .LBB369_30
; %bb.32:                               ;   in Loop: Header=BB369_31 Depth=1
	v_mad_co_u64_u32 v[3:4], null, v1, s12, 0
	s_and_not1_b32 vcc_lo, exec_lo, s16
	v_mov_b32_e32 v2, v4
	s_delay_alu instid0(VALU_DEP_1) | instskip(NEXT) | instid1(VALU_DEP_1)
	v_mad_co_u64_u32 v[1:2], null, v1, s13, v[2:3]
	v_dual_mov_b32 v4, v1 :: v_dual_mov_b32 v1, 0
	v_mov_b32_e32 v2, 0
	s_delay_alu instid0(VALU_DEP_2)
	v_lshlrev_b64_e32 v[7:8], 4, v[3:4]
	v_mov_b32_e32 v3, 0
	v_mov_b32_e32 v4, 0
	s_wait_alu 0xfffe
	s_cbranch_vccnz .LBB369_34
; %bb.33:                               ;   in Loop: Header=BB369_31 Depth=1
	s_delay_alu instid0(VALU_DEP_3)
	v_add_co_u32 v1, vcc_lo, s8, v7
	s_wait_alu 0xfffd
	v_add_co_ci_u32_e64 v2, null, s9, v8, vcc_lo
	flat_load_b128 v[13:16], v[1:2]
	s_wait_loadcnt_dscnt 0x0
	v_mul_f64_e32 v[1:2], s[6:7], v[15:16]
	v_mul_f64_e32 v[3:4], s[4:5], v[15:16]
	s_delay_alu instid0(VALU_DEP_2) | instskip(NEXT) | instid1(VALU_DEP_2)
	v_fma_f64 v[1:2], s[4:5], v[13:14], -v[1:2]
	v_fma_f64 v[3:4], s[6:7], v[13:14], v[3:4]
.LBB369_34:                             ;   in Loop: Header=BB369_31 Depth=1
	s_and_not1_b32 vcc_lo, exec_lo, s17
	s_wait_alu 0xfffe
	s_cbranch_vccnz .LBB369_29
; %bb.35:                               ;   in Loop: Header=BB369_31 Depth=1
	s_and_not1_b32 vcc_lo, exec_lo, s18
	s_mov_b32 s0, 0
	s_wait_alu 0xfffe
	s_cbranch_vccnz .LBB369_39
; %bb.36:                               ;   in Loop: Header=BB369_31 Depth=1
	v_dual_mov_b32 v10, v6 :: v_dual_mov_b32 v9, v5
	s_mov_b32 s14, 0
.LBB369_37:                             ;   Parent Loop BB369_31 Depth=1
                                        ; =>  This Inner Loop Header: Depth=2
	s_clause 0x7
	flat_load_b128 v[13:16], v[9:10] offset:-120
	flat_load_b128 v[17:20], v[9:10] offset:-104
	;; [unrolled: 1-line block ×8, first 2 shown]
	s_wait_alu 0xfffe
	v_mov_b32_e32 v61, s0
	v_add_co_u32 v9, vcc_lo, 0x80, v9
	s_wait_alu 0xfffd
	v_add_co_ci_u32_e64 v10, null, 0, v10, vcc_lo
	ds_load_b128 v[45:48], v61
	ds_load_b128 v[49:52], v61 offset:16
	s_add_co_i32 s14, s14, 8
	s_addk_co_i32 s0, 0x80
	s_wait_alu 0xfffe
	s_cmp_eq_u32 s2, s14
	s_wait_loadcnt_dscnt 0x701
	v_mul_f64_e32 v[53:54], v[15:16], v[47:48]
	v_mul_f64_e32 v[15:16], v[15:16], v[45:46]
	s_wait_loadcnt_dscnt 0x600
	v_mul_f64_e32 v[55:56], v[19:20], v[51:52]
	v_mul_f64_e32 v[19:20], v[19:20], v[49:50]
	s_delay_alu instid0(VALU_DEP_4) | instskip(NEXT) | instid1(VALU_DEP_4)
	v_fma_f64 v[53:54], v[13:14], v[45:46], v[53:54]
	v_fma_f64 v[57:58], v[13:14], v[47:48], -v[15:16]
	ds_load_b128 v[13:16], v61 offset:32
	ds_load_b128 v[45:48], v61 offset:48
	v_fma_f64 v[49:50], v[17:18], v[49:50], v[55:56]
	v_fma_f64 v[17:18], v[17:18], v[51:52], -v[19:20]
	s_wait_loadcnt_dscnt 0x501
	v_mul_f64_e32 v[59:60], v[23:24], v[15:16]
	v_mul_f64_e32 v[23:24], v[23:24], v[13:14]
	s_wait_loadcnt_dscnt 0x400
	v_mul_f64_e32 v[19:20], v[27:28], v[47:48]
	v_mul_f64_e32 v[27:28], v[27:28], v[45:46]
	v_add_f64_e32 v[1:2], v[1:2], v[53:54]
	v_add_f64_e32 v[3:4], v[3:4], v[57:58]
	v_fma_f64 v[51:52], v[21:22], v[13:14], v[59:60]
	v_fma_f64 v[21:22], v[21:22], v[15:16], -v[23:24]
	v_fma_f64 v[19:20], v[25:26], v[45:46], v[19:20]
	v_fma_f64 v[25:26], v[25:26], v[47:48], -v[27:28]
	v_add_f64_e32 v[23:24], v[1:2], v[49:50]
	v_add_f64_e32 v[17:18], v[3:4], v[17:18]
	ds_load_b128 v[1:4], v61 offset:64
	ds_load_b128 v[13:16], v61 offset:80
	s_wait_loadcnt_dscnt 0x301
	v_mul_f64_e32 v[49:50], v[31:32], v[3:4]
	v_mul_f64_e32 v[31:32], v[31:32], v[1:2]
	s_wait_loadcnt_dscnt 0x200
	v_mul_f64_e32 v[27:28], v[35:36], v[13:14]
	v_add_f64_e32 v[23:24], v[23:24], v[51:52]
	v_add_f64_e32 v[17:18], v[17:18], v[21:22]
	v_mul_f64_e32 v[21:22], v[35:36], v[15:16]
	v_fma_f64 v[35:36], v[29:30], v[1:2], v[49:50]
	v_fma_f64 v[29:30], v[29:30], v[3:4], -v[31:32]
	v_fma_f64 v[15:16], v[33:34], v[15:16], -v[27:28]
	v_add_f64_e32 v[23:24], v[23:24], v[19:20]
	v_add_f64_e32 v[25:26], v[17:18], v[25:26]
	ds_load_b128 v[1:4], v61 offset:96
	ds_load_b128 v[17:20], v61 offset:112
	v_fma_f64 v[13:14], v[33:34], v[13:14], v[21:22]
	s_wait_loadcnt_dscnt 0x101
	v_mul_f64_e32 v[31:32], v[39:40], v[3:4]
	v_mul_f64_e32 v[39:40], v[39:40], v[1:2]
	s_wait_loadcnt_dscnt 0x0
	v_mul_f64_e32 v[27:28], v[43:44], v[17:18]
	v_add_f64_e32 v[21:22], v[23:24], v[35:36]
	v_add_f64_e32 v[23:24], v[25:26], v[29:30]
	v_mul_f64_e32 v[25:26], v[43:44], v[19:20]
	v_fma_f64 v[1:2], v[37:38], v[1:2], v[31:32]
	v_fma_f64 v[3:4], v[37:38], v[3:4], -v[39:40]
	v_fma_f64 v[19:20], v[41:42], v[19:20], -v[27:28]
	v_add_f64_e32 v[13:14], v[21:22], v[13:14]
	v_add_f64_e32 v[15:16], v[23:24], v[15:16]
	v_fma_f64 v[17:18], v[41:42], v[17:18], v[25:26]
	s_delay_alu instid0(VALU_DEP_3) | instskip(NEXT) | instid1(VALU_DEP_3)
	v_add_f64_e32 v[1:2], v[13:14], v[1:2]
	v_add_f64_e32 v[3:4], v[15:16], v[3:4]
	s_delay_alu instid0(VALU_DEP_2) | instskip(NEXT) | instid1(VALU_DEP_2)
	v_add_f64_e32 v[1:2], v[1:2], v[17:18]
	v_add_f64_e32 v[3:4], v[3:4], v[19:20]
	s_cbranch_scc0 .LBB369_37
; %bb.38:                               ;   in Loop: Header=BB369_31 Depth=1
	s_mov_b32 s0, s2
.LBB369_39:                             ;   in Loop: Header=BB369_31 Depth=1
	s_and_not1_b32 vcc_lo, exec_lo, s19
	s_wait_alu 0xfffe
	s_cbranch_vccnz .LBB369_29
; %bb.40:                               ;   in Loop: Header=BB369_31 Depth=1
	s_lshl_b64 s[14:15], s[0:1], 4
	s_lshl_b32 s0, s0, 4
	s_wait_alu 0xfffe
	v_add_co_u32 v9, vcc_lo, v11, s14
	s_wait_alu 0xfffd
	v_add_co_ci_u32_e64 v10, null, s15, v12, vcc_lo
	s_mov_b64 s[14:15], 0
.LBB369_41:                             ;   Parent Loop BB369_31 Depth=1
                                        ; =>  This Inner Loop Header: Depth=2
	s_wait_alu 0xfffe
	v_add_co_u32 v13, vcc_lo, v9, s14
	s_wait_alu 0xfffd
	v_add_co_ci_u32_e64 v14, null, s15, v10, vcc_lo
	v_mov_b32_e32 v17, s0
	s_add_nc_u64 s[14:15], s[14:15], 16
	s_add_co_i32 s0, s0, 16
	flat_load_b128 v[13:16], v[13:14]
	s_wait_alu 0xfffe
	s_cmp_lg_u32 s20, s14
	ds_load_b128 v[17:20], v17
	s_wait_loadcnt_dscnt 0x0
	v_mul_f64_e32 v[21:22], v[15:16], v[19:20]
	v_mul_f64_e32 v[15:16], v[15:16], v[17:18]
	s_delay_alu instid0(VALU_DEP_2) | instskip(NEXT) | instid1(VALU_DEP_2)
	v_fma_f64 v[17:18], v[13:14], v[17:18], v[21:22]
	v_fma_f64 v[13:14], v[13:14], v[19:20], -v[15:16]
	s_delay_alu instid0(VALU_DEP_2) | instskip(NEXT) | instid1(VALU_DEP_2)
	v_add_f64_e32 v[1:2], v[1:2], v[17:18]
	v_add_f64_e32 v[3:4], v[3:4], v[13:14]
	s_cbranch_scc1 .LBB369_41
	s_branch .LBB369_29
.LBB369_42:
	s_endpgm
	.section	.rodata,"a",@progbits
	.p2align	6, 0x0
	.amdhsa_kernel _ZL22rocblas_gemvtsm_kernelILb1ELi256EPK19rocblas_complex_numIdES1_KPS1_EviiT2_lPKT1_lilS9_lilS6_lPT3_lil
		.amdhsa_group_segment_fixed_size 1024
		.amdhsa_private_segment_fixed_size 0
		.amdhsa_kernarg_size 152
		.amdhsa_user_sgpr_count 2
		.amdhsa_user_sgpr_dispatch_ptr 0
		.amdhsa_user_sgpr_queue_ptr 0
		.amdhsa_user_sgpr_kernarg_segment_ptr 1
		.amdhsa_user_sgpr_dispatch_id 0
		.amdhsa_user_sgpr_private_segment_size 0
		.amdhsa_wavefront_size32 1
		.amdhsa_uses_dynamic_stack 0
		.amdhsa_enable_private_segment 0
		.amdhsa_system_sgpr_workgroup_id_x 1
		.amdhsa_system_sgpr_workgroup_id_y 0
		.amdhsa_system_sgpr_workgroup_id_z 0
		.amdhsa_system_sgpr_workgroup_info 0
		.amdhsa_system_vgpr_workitem_id 0
		.amdhsa_next_free_vgpr 62
		.amdhsa_next_free_sgpr 26
		.amdhsa_reserve_vcc 1
		.amdhsa_float_round_mode_32 0
		.amdhsa_float_round_mode_16_64 0
		.amdhsa_float_denorm_mode_32 3
		.amdhsa_float_denorm_mode_16_64 3
		.amdhsa_fp16_overflow 0
		.amdhsa_workgroup_processor_mode 1
		.amdhsa_memory_ordered 1
		.amdhsa_forward_progress 1
		.amdhsa_inst_pref_size 17
		.amdhsa_round_robin_scheduling 0
		.amdhsa_exception_fp_ieee_invalid_op 0
		.amdhsa_exception_fp_denorm_src 0
		.amdhsa_exception_fp_ieee_div_zero 0
		.amdhsa_exception_fp_ieee_overflow 0
		.amdhsa_exception_fp_ieee_underflow 0
		.amdhsa_exception_fp_ieee_inexact 0
		.amdhsa_exception_int_div_zero 0
	.end_amdhsa_kernel
	.section	.text._ZL22rocblas_gemvtsm_kernelILb1ELi256EPK19rocblas_complex_numIdES1_KPS1_EviiT2_lPKT1_lilS9_lilS6_lPT3_lil,"axG",@progbits,_ZL22rocblas_gemvtsm_kernelILb1ELi256EPK19rocblas_complex_numIdES1_KPS1_EviiT2_lPKT1_lilS9_lilS6_lPT3_lil,comdat
.Lfunc_end369:
	.size	_ZL22rocblas_gemvtsm_kernelILb1ELi256EPK19rocblas_complex_numIdES1_KPS1_EviiT2_lPKT1_lilS9_lilS6_lPT3_lil, .Lfunc_end369-_ZL22rocblas_gemvtsm_kernelILb1ELi256EPK19rocblas_complex_numIdES1_KPS1_EviiT2_lPKT1_lilS9_lilS6_lPT3_lil
                                        ; -- End function
	.set _ZL22rocblas_gemvtsm_kernelILb1ELi256EPK19rocblas_complex_numIdES1_KPS1_EviiT2_lPKT1_lilS9_lilS6_lPT3_lil.num_vgpr, 62
	.set _ZL22rocblas_gemvtsm_kernelILb1ELi256EPK19rocblas_complex_numIdES1_KPS1_EviiT2_lPKT1_lilS9_lilS6_lPT3_lil.num_agpr, 0
	.set _ZL22rocblas_gemvtsm_kernelILb1ELi256EPK19rocblas_complex_numIdES1_KPS1_EviiT2_lPKT1_lilS9_lilS6_lPT3_lil.numbered_sgpr, 26
	.set _ZL22rocblas_gemvtsm_kernelILb1ELi256EPK19rocblas_complex_numIdES1_KPS1_EviiT2_lPKT1_lilS9_lilS6_lPT3_lil.num_named_barrier, 0
	.set _ZL22rocblas_gemvtsm_kernelILb1ELi256EPK19rocblas_complex_numIdES1_KPS1_EviiT2_lPKT1_lilS9_lilS6_lPT3_lil.private_seg_size, 0
	.set _ZL22rocblas_gemvtsm_kernelILb1ELi256EPK19rocblas_complex_numIdES1_KPS1_EviiT2_lPKT1_lilS9_lilS6_lPT3_lil.uses_vcc, 1
	.set _ZL22rocblas_gemvtsm_kernelILb1ELi256EPK19rocblas_complex_numIdES1_KPS1_EviiT2_lPKT1_lilS9_lilS6_lPT3_lil.uses_flat_scratch, 1
	.set _ZL22rocblas_gemvtsm_kernelILb1ELi256EPK19rocblas_complex_numIdES1_KPS1_EviiT2_lPKT1_lilS9_lilS6_lPT3_lil.has_dyn_sized_stack, 0
	.set _ZL22rocblas_gemvtsm_kernelILb1ELi256EPK19rocblas_complex_numIdES1_KPS1_EviiT2_lPKT1_lilS9_lilS6_lPT3_lil.has_recursion, 0
	.set _ZL22rocblas_gemvtsm_kernelILb1ELi256EPK19rocblas_complex_numIdES1_KPS1_EviiT2_lPKT1_lilS9_lilS6_lPT3_lil.has_indirect_call, 0
	.section	.AMDGPU.csdata,"",@progbits
; Kernel info:
; codeLenInByte = 2124
; TotalNumSgprs: 28
; NumVgprs: 62
; ScratchSize: 0
; MemoryBound: 0
; FloatMode: 240
; IeeeMode: 1
; LDSByteSize: 1024 bytes/workgroup (compile time only)
; SGPRBlocks: 0
; VGPRBlocks: 7
; NumSGPRsForWavesPerEU: 28
; NumVGPRsForWavesPerEU: 62
; Occupancy: 16
; WaveLimiterHint : 1
; COMPUTE_PGM_RSRC2:SCRATCH_EN: 0
; COMPUTE_PGM_RSRC2:USER_SGPR: 2
; COMPUTE_PGM_RSRC2:TRAP_HANDLER: 0
; COMPUTE_PGM_RSRC2:TGID_X_EN: 1
; COMPUTE_PGM_RSRC2:TGID_Y_EN: 0
; COMPUTE_PGM_RSRC2:TGID_Z_EN: 0
; COMPUTE_PGM_RSRC2:TIDIG_COMP_CNT: 0
	.section	.text._ZL23rocblas_gemvt_sn_kernelILb1ELi256ELi4EiPK19rocblas_complex_numIdES3_S1_EviiT4_lPKT3_lilS7_lilPT5_i,"axG",@progbits,_ZL23rocblas_gemvt_sn_kernelILb1ELi256ELi4EiPK19rocblas_complex_numIdES3_S1_EviiT4_lPKT3_lilS7_lilPT5_i,comdat
	.globl	_ZL23rocblas_gemvt_sn_kernelILb1ELi256ELi4EiPK19rocblas_complex_numIdES3_S1_EviiT4_lPKT3_lilS7_lilPT5_i ; -- Begin function _ZL23rocblas_gemvt_sn_kernelILb1ELi256ELi4EiPK19rocblas_complex_numIdES3_S1_EviiT4_lPKT3_lilS7_lilPT5_i
	.p2align	8
	.type	_ZL23rocblas_gemvt_sn_kernelILb1ELi256ELi4EiPK19rocblas_complex_numIdES3_S1_EviiT4_lPKT3_lilS7_lilPT5_i,@function
_ZL23rocblas_gemvt_sn_kernelILb1ELi256ELi4EiPK19rocblas_complex_numIdES3_S1_EviiT4_lPKT3_lilS7_lilPT5_i: ; @_ZL23rocblas_gemvt_sn_kernelILb1ELi256ELi4EiPK19rocblas_complex_numIdES3_S1_EviiT4_lPKT3_lilS7_lilPT5_i
; %bb.0:
	s_load_b32 s33, s[0:1], 0x60
	s_lshr_b32 s10, ttmp7, 16
	s_wait_kmcnt 0x0
	s_cmp_ge_u32 s10, s33
	s_cbranch_scc1 .LBB370_84
; %bb.1:
	s_clause 0x6
	s_load_b64 s[26:27], s[0:1], 0x0
	s_load_b256 s[12:19], s[0:1], 0x8
	s_load_b32 s28, s[0:1], 0x68
	s_load_b32 s52, s[0:1], 0x28
	s_load_b128 s[20:23], s[0:1], 0x38
	s_load_b32 s53, s[0:1], 0x48
	s_load_b64 s[30:31], s[0:1], 0x58
	v_cmp_eq_u32_e64 s0, 0, v0
	v_and_b32_e32 v1, 31, v0
	v_cmp_gt_u32_e64 s1, 32, v0
	v_cmp_gt_u32_e64 s2, 8, v0
	v_lshrrev_b32_e32 v2, 1, v0
	s_mov_b32 s35, 0
	v_cmp_eq_u32_e64 s3, 0, v1
	s_mov_b32 s29, s35
	v_lshlrev_b32_e32 v50, 4, v1
	v_and_b32_e32 v51, 0x70, v2
	v_mbcnt_lo_u32_b32 v54, -1, 0
	s_mov_b32 s24, ttmp9
	s_mov_b32 s25, s35
	s_wait_kmcnt 0x0
	s_ashr_i32 s5, s27, 31
	s_cmp_gt_i32 s27, 0
	s_mov_b32 s4, s27
	s_cselect_b32 s6, -1, 0
	s_lshl_b32 s7, ttmp9, 10
	s_mul_u64 s[36:37], s[4:5], s[28:29]
	v_lshl_or_b32 v0, v0, 2, s7
	s_lshr_b32 s4, s5, 30
	s_ashr_i32 s5, s26, 31
	s_add_co_i32 s4, s27, s4
	s_lshr_b32 s5, s5, 30
	v_mul_lo_u32 v24, s53, v0
	s_add_co_i32 s5, s26, s5
	s_and_b32 s55, s4, -4
	s_and_b32 s4, s5, -4
	v_ashrrev_i32_e32 v1, 31, v0
	s_sub_co_i32 s56, s26, s4
	v_add_nc_u32_e32 v3, 4, v0
	v_add_nc_u32_e32 v5, s56, v0
	;; [unrolled: 1-line block ×3, first 2 shown]
	s_and_b32 s54, s0, s6
	v_ashrrev_i32_e32 v25, 31, v24
	v_cmp_ge_i32_e64 s4, s26, v3
	v_cmp_ge_i32_e64 s5, s26, v5
	v_add_nc_u32_e32 v4, s53, v2
	v_ashrrev_i32_e32 v3, 31, v2
	v_lshlrev_b64_e32 v[26:27], 4, v[0:1]
	s_cmp_gt_i32 s55, 0
	v_lshlrev_b64_e32 v[28:29], 4, v[24:25]
	v_add_nc_u32_e32 v6, s53, v4
	v_ashrrev_i32_e32 v5, 31, v4
	s_cselect_b32 s57, -1, 0
	s_cmp_gt_i32 s56, 0
	v_lshlrev_b64_e32 v[30:31], 4, v[2:3]
	v_ashrrev_i32_e32 v7, 31, v6
	s_cselect_b32 s58, -1, 0
	s_lshl_b64 s[38:39], s[24:25], 4
	v_lshlrev_b64_e32 v[32:33], 4, v[4:5]
	v_or_b32_e32 v52, 8, v26
	v_lshlrev_b64_e32 v[34:35], 4, v[6:7]
	v_dual_mov_b32 v53, v27 :: v_dual_mov_b32 v0, 0
	v_lshl_or_b32 v25, v54, 2, 64
	s_add_nc_u64 s[6:7], s[30:31], s[38:39]
	s_mov_b32 s59, 16
	s_mov_b32 s60, 32
	;; [unrolled: 1-line block ×3, first 2 shown]
	s_or_b32 s61, 0, 8
	s_and_b32 s25, s58, s5
	s_wait_alu 0xfffe
	s_add_nc_u64 s[40:41], s[6:7], 8
	s_lshl_b64 s[42:43], s[36:37], 4
	s_lshl_b64 s[44:45], s[28:29], 4
	s_lshl_b32 s62, s52, 2
	s_lshl_b32 s63, s52, 1
	s_mul_i32 s64, s52, 3
	s_lshl_b64 s[18:19], s[18:19], 4
	s_lshl_b64 s[22:23], s[22:23], 4
	s_branch .LBB370_3
.LBB370_2:                              ;   in Loop: Header=BB370_3 Depth=1
	s_add_co_i32 s10, s10, 0x10000
	s_delay_alu instid0(SALU_CYCLE_1)
	s_cmp_lt_u32 s10, s33
	s_cbranch_scc0 .LBB370_84
.LBB370_3:                              ; =>This Loop Header: Depth=1
                                        ;     Child Loop BB370_11 Depth 2
                                        ;     Child Loop BB370_16 Depth 2
                                        ;       Child Loop BB370_47 Depth 3
                                        ;       Child Loop BB370_49 Depth 3
                                        ;     Child Loop BB370_65 Depth 2
                                        ;       Child Loop BB370_77 Depth 3
                                        ;       Child Loop BB370_79 Depth 3
	s_mov_b32 s11, s35
	v_mov_b32_e32 v36, 0
	s_mul_u64 s[6:7], s[14:15], s[10:11]
	v_dual_mov_b32 v37, 0 :: v_dual_mov_b32 v38, 0
	s_wait_alu 0xfffe
	s_lshl_b64 s[6:7], s[6:7], 4
	v_mov_b32_e32 v39, 0
	s_wait_alu 0xfffe
	s_add_nc_u64 s[6:7], s[12:13], s[6:7]
	global_load_b128 v[4:7], v0, s[6:7]
	s_wait_loadcnt 0x0
	v_cmp_neq_f64_e32 vcc_lo, 0, v[4:5]
	v_cmp_neq_f64_e64 s6, 0, v[6:7]
	s_wait_alu 0xfffe
	s_or_b32 s7, vcc_lo, s6
	s_wait_alu 0xfffe
	s_xor_b32 s6, s7, -1
	s_wait_alu 0xfffe
	s_and_b32 vcc_lo, exec_lo, s6
	s_wait_alu 0xfffe
	s_cbranch_vccz .LBB370_7
; %bb.4:                                ;   in Loop: Header=BB370_3 Depth=1
	s_and_not1_b32 vcc_lo, exec_lo, s7
	s_wait_alu 0xfffe
	s_cbranch_vccz .LBB370_8
.LBB370_5:                              ;   in Loop: Header=BB370_3 Depth=1
	s_and_not1_b32 vcc_lo, exec_lo, s6
	s_mov_b32 s6, -1
	s_wait_alu 0xfffe
	s_cbranch_vccz .LBB370_9
.LBB370_6:                              ;   in Loop: Header=BB370_3 Depth=1
	s_wait_alu 0xfffe
	s_and_not1_b32 vcc_lo, exec_lo, s6
	s_wait_alu 0xfffe
	s_cbranch_vccnz .LBB370_2
	s_branch .LBB370_13
.LBB370_7:                              ;   in Loop: Header=BB370_3 Depth=1
	s_lshl_b64 s[8:9], s[10:11], 3
	s_wait_alu 0xfffe
	s_add_nc_u64 s[8:9], s[16:17], s[8:9]
	global_load_b64 v[1:2], v0, s[8:9]
	s_wait_loadcnt 0x0
	v_add_co_u32 v38, vcc_lo, v1, s18
	s_wait_alu 0xfffd
	v_add_co_ci_u32_e64 v39, null, s19, v2, vcc_lo
	s_and_not1_b32 vcc_lo, exec_lo, s7
	s_wait_alu 0xfffe
	s_cbranch_vccnz .LBB370_5
.LBB370_8:                              ;   in Loop: Header=BB370_3 Depth=1
	s_lshl_b64 s[8:9], s[10:11], 3
	s_wait_alu 0xfffe
	s_add_nc_u64 s[8:9], s[20:21], s[8:9]
	global_load_b64 v[1:2], v0, s[8:9]
	s_wait_loadcnt 0x0
	v_add_co_u32 v36, vcc_lo, v1, s22
	s_wait_alu 0xfffd
	v_add_co_ci_u32_e64 v37, null, s23, v2, vcc_lo
	s_and_not1_b32 vcc_lo, exec_lo, s6
	s_mov_b32 s6, -1
	s_wait_alu 0xfffe
	s_cbranch_vccnz .LBB370_6
.LBB370_9:                              ;   in Loop: Header=BB370_3 Depth=1
	s_and_saveexec_b32 s8, s54
	s_cbranch_execz .LBB370_12
; %bb.10:                               ;   in Loop: Header=BB370_3 Depth=1
	s_mul_u64 s[6:7], s[42:43], s[10:11]
	s_mov_b32 s9, s27
	s_wait_alu 0xfffe
	s_add_nc_u64 s[6:7], s[40:41], s[6:7]
.LBB370_11:                             ;   Parent Loop BB370_3 Depth=1
                                        ; =>  This Inner Loop Header: Depth=2
	v_dual_mov_b32 v1, v0 :: v_dual_mov_b32 v2, v0
	v_mov_b32_e32 v3, v0
	s_add_co_i32 s9, s9, -1
	s_wait_alu 0xfffe
	s_cmp_eq_u32 s9, 0
	global_store_b128 v0, v[0:3], s[6:7] offset:-8
	s_add_nc_u64 s[6:7], s[6:7], s[44:45]
	s_cbranch_scc0 .LBB370_11
.LBB370_12:                             ;   in Loop: Header=BB370_3 Depth=1
	s_wait_alu 0xfffe
	s_or_b32 exec_lo, exec_lo, s8
	s_cbranch_execnz .LBB370_2
.LBB370_13:                             ;   in Loop: Header=BB370_3 Depth=1
	v_add_co_u32 v55, vcc_lo, v38, v26
	s_mul_u64 s[46:47], s[36:37], s[10:11]
	s_wait_alu 0xfffd
	v_add_co_ci_u32_e64 v56, null, v39, v27, vcc_lo
	v_cmp_gt_u32_e64 s9, 24, v54
	v_cmp_gt_u32_e64 s8, 28, v54
	v_cmp_gt_u32_e64 s7, 30, v54
	v_cmp_ne_u32_e64 s6, 31, v54
	s_wait_alu 0xfffe
	s_lshl_b64 s[46:47], s[46:47], 4
	s_and_not1_b32 vcc_lo, exec_lo, s57
	s_wait_alu 0xfffe
	s_add_nc_u64 s[46:47], s[30:31], s[46:47]
	s_cbranch_vccnz .LBB370_61
; %bb.14:                               ;   in Loop: Header=BB370_3 Depth=1
	v_add_co_u32 v40, vcc_lo, v36, v28
	s_wait_alu 0xfffd
	v_add_co_ci_u32_e64 v41, null, v37, v29, vcc_lo
	v_add_co_u32 v42, vcc_lo, v36, v30
	s_wait_alu 0xfffd
	v_add_co_ci_u32_e64 v43, null, v37, v31, vcc_lo
	v_add_co_u32 v44, vcc_lo, v36, v32
	v_cndmask_b32_e64 v1, 0, 8, s9
	v_cndmask_b32_e64 v2, 0, 4, s8
	v_cndmask_b32_e64 v3, 0, 2, s7
	s_wait_dscnt 0x0
	v_add_co_ci_u32_e64 v8, null, 0, v54, s6
	s_wait_alu 0xfffd
	v_add_co_ci_u32_e64 v45, null, v37, v33, vcc_lo
	v_add_co_u32 v46, vcc_lo, v36, v34
	s_wait_alu 0xfffd
	v_add_co_ci_u32_e64 v47, null, v37, v35, vcc_lo
	v_add_co_u32 v61, vcc_lo, v38, v52
	v_add_lshl_u32 v57, v1, v54, 2
	v_add_lshl_u32 v58, v2, v54, 2
	;; [unrolled: 1-line block ×3, first 2 shown]
	v_lshlrev_b32_e32 v60, 2, v8
	s_wait_alu 0xfffd
	v_add_co_ci_u32_e64 v62, null, v39, v53, vcc_lo
	s_mov_b32 s6, 0
	s_mov_b32 s65, s64
	;; [unrolled: 1-line block ×5, first 2 shown]
	s_branch .LBB370_16
.LBB370_15:                             ;   in Loop: Header=BB370_16 Depth=2
	s_wait_alu 0xfffe
	s_or_b32 exec_lo, exec_lo, s7
	s_add_co_i32 s11, s11, 4
	s_add_co_i32 s67, s67, s62
	;; [unrolled: 1-line block ×5, first 2 shown]
	s_cmp_ge_i32 s11, s55
	s_cbranch_scc1 .LBB370_62
.LBB370_16:                             ;   Parent Loop BB370_3 Depth=1
                                        ; =>  This Loop Header: Depth=2
                                        ;       Child Loop BB370_47 Depth 3
                                        ;       Child Loop BB370_49 Depth 3
                                        ; implicit-def: $vgpr20_vgpr21
                                        ; implicit-def: $vgpr22_vgpr23
                                        ; implicit-def: $vgpr16_vgpr17
                                        ; implicit-def: $vgpr18_vgpr19
                                        ; implicit-def: $vgpr12_vgpr13
                                        ; implicit-def: $vgpr14_vgpr15
                                        ; implicit-def: $vgpr10_vgpr11
                                        ; implicit-def: $vgpr8_vgpr9
	s_and_saveexec_b32 s7, s4
	s_wait_alu 0xfffe
	s_xor_b32 s7, exec_lo, s7
	s_cbranch_execnz .LBB370_43
; %bb.17:                               ;   in Loop: Header=BB370_16 Depth=2
	s_wait_alu 0xfffe
	s_and_not1_saveexec_b32 s34, s7
	s_cbranch_execnz .LBB370_44
.LBB370_18:                             ;   in Loop: Header=BB370_16 Depth=2
	s_or_b32 exec_lo, exec_lo, s34
	s_and_saveexec_b32 s7, s1
.LBB370_19:                             ;   in Loop: Header=BB370_16 Depth=2
	v_dual_mov_b32 v1, v0 :: v_dual_mov_b32 v2, v0
	v_mov_b32_e32 v3, v0
	ds_store_b128 v50, v[0:3]
.LBB370_20:                             ;   in Loop: Header=BB370_16 Depth=2
	s_wait_alu 0xfffe
	s_or_b32 exec_lo, exec_lo, s7
	ds_bpermute_b32 v1, v25, v10
	ds_bpermute_b32 v2, v25, v11
	;; [unrolled: 1-line block ×4, first 2 shown]
	s_wait_storecnt_dscnt 0x0
	s_barrier_signal -1
	s_barrier_wait -1
	global_inv scope:SCOPE_SE
	v_add_f64_e32 v[1:2], v[10:11], v[1:2]
	v_add_f64_e32 v[8:9], v[8:9], v[48:49]
	ds_bpermute_b32 v10, v57, v1
	ds_bpermute_b32 v11, v57, v2
	ds_bpermute_b32 v48, v57, v8
	ds_bpermute_b32 v49, v57, v9
	s_wait_dscnt 0x2
	v_add_f64_e32 v[1:2], v[1:2], v[10:11]
	s_wait_dscnt 0x0
	v_add_f64_e32 v[8:9], v[8:9], v[48:49]
	ds_bpermute_b32 v10, v58, v1
	ds_bpermute_b32 v11, v58, v2
	ds_bpermute_b32 v48, v58, v8
	ds_bpermute_b32 v49, v58, v9
	s_wait_dscnt 0x2
	v_add_f64_e32 v[1:2], v[1:2], v[10:11]
	s_wait_dscnt 0x0
	;; [unrolled: 8-line block ×3, first 2 shown]
	v_add_f64_e32 v[10:11], v[8:9], v[48:49]
	ds_bpermute_b32 v8, v60, v1
	ds_bpermute_b32 v9, v60, v2
	;; [unrolled: 1-line block ×4, first 2 shown]
	s_and_saveexec_b32 s7, s3
	s_cbranch_execz .LBB370_22
; %bb.21:                               ;   in Loop: Header=BB370_16 Depth=2
	s_wait_dscnt 0x0
	v_add_f64_e32 v[10:11], v[10:11], v[48:49]
	v_add_f64_e32 v[8:9], v[1:2], v[8:9]
	ds_store_b128 v51, v[8:11]
.LBB370_22:                             ;   in Loop: Header=BB370_16 Depth=2
	s_wait_alu 0xfffe
	s_or_b32 exec_lo, exec_lo, s7
	v_mov_b32_e32 v10, 0
	s_wait_dscnt 0x2
	v_dual_mov_b32 v11, 0 :: v_dual_mov_b32 v8, 0
	v_mov_b32_e32 v9, 0
	s_wait_loadcnt_dscnt 0x0
	s_barrier_signal -1
	s_barrier_wait -1
	global_inv scope:SCOPE_SE
	s_and_saveexec_b32 s7, s2
	s_cbranch_execnz .LBB370_50
; %bb.23:                               ;   in Loop: Header=BB370_16 Depth=2
	s_wait_alu 0xfffe
	s_or_b32 exec_lo, exec_lo, s7
	s_and_saveexec_b32 s7, s1
	s_cbranch_execnz .LBB370_51
.LBB370_24:                             ;   in Loop: Header=BB370_16 Depth=2
	s_wait_alu 0xfffe
	s_or_b32 exec_lo, exec_lo, s7
	s_and_saveexec_b32 s7, s1
.LBB370_25:                             ;   in Loop: Header=BB370_16 Depth=2
	v_dual_mov_b32 v1, v0 :: v_dual_mov_b32 v2, v0
	v_mov_b32_e32 v3, v0
	ds_store_b128 v50, v[0:3]
.LBB370_26:                             ;   in Loop: Header=BB370_16 Depth=2
	s_wait_alu 0xfffe
	s_or_b32 exec_lo, exec_lo, s7
	ds_bpermute_b32 v1, v25, v12
	ds_bpermute_b32 v2, v25, v13
	ds_bpermute_b32 v48, v25, v14
	ds_bpermute_b32 v49, v25, v15
	s_wait_loadcnt_dscnt 0x0
	s_barrier_signal -1
	s_barrier_wait -1
	global_inv scope:SCOPE_SE
	v_add_f64_e32 v[1:2], v[12:13], v[1:2]
	v_add_f64_e32 v[12:13], v[14:15], v[48:49]
	ds_bpermute_b32 v14, v57, v1
	ds_bpermute_b32 v15, v57, v2
	ds_bpermute_b32 v48, v57, v12
	ds_bpermute_b32 v49, v57, v13
	s_wait_dscnt 0x2
	v_add_f64_e32 v[1:2], v[1:2], v[14:15]
	s_wait_dscnt 0x0
	v_add_f64_e32 v[12:13], v[12:13], v[48:49]
	ds_bpermute_b32 v14, v58, v1
	ds_bpermute_b32 v15, v58, v2
	ds_bpermute_b32 v48, v58, v12
	ds_bpermute_b32 v49, v58, v13
	s_wait_dscnt 0x2
	v_add_f64_e32 v[1:2], v[1:2], v[14:15]
	s_wait_dscnt 0x0
	;; [unrolled: 8-line block ×3, first 2 shown]
	v_add_f64_e32 v[14:15], v[12:13], v[48:49]
	ds_bpermute_b32 v12, v60, v1
	ds_bpermute_b32 v13, v60, v2
	;; [unrolled: 1-line block ×4, first 2 shown]
	s_and_saveexec_b32 s7, s3
	s_cbranch_execz .LBB370_28
; %bb.27:                               ;   in Loop: Header=BB370_16 Depth=2
	s_wait_dscnt 0x0
	v_add_f64_e32 v[14:15], v[14:15], v[48:49]
	v_add_f64_e32 v[12:13], v[1:2], v[12:13]
	ds_store_b128 v51, v[12:15]
.LBB370_28:                             ;   in Loop: Header=BB370_16 Depth=2
	s_wait_alu 0xfffe
	s_or_b32 exec_lo, exec_lo, s7
	v_mov_b32_e32 v14, 0
	s_wait_dscnt 0x2
	v_dual_mov_b32 v15, 0 :: v_dual_mov_b32 v12, 0
	v_mov_b32_e32 v13, 0
	s_wait_loadcnt_dscnt 0x0
	s_barrier_signal -1
	s_barrier_wait -1
	global_inv scope:SCOPE_SE
	s_and_saveexec_b32 s7, s2
	s_cbranch_execnz .LBB370_52
; %bb.29:                               ;   in Loop: Header=BB370_16 Depth=2
	s_wait_alu 0xfffe
	s_or_b32 exec_lo, exec_lo, s7
	s_and_saveexec_b32 s7, s1
	s_cbranch_execnz .LBB370_53
.LBB370_30:                             ;   in Loop: Header=BB370_16 Depth=2
	s_wait_alu 0xfffe
	s_or_b32 exec_lo, exec_lo, s7
	s_and_saveexec_b32 s7, s1
.LBB370_31:                             ;   in Loop: Header=BB370_16 Depth=2
	v_dual_mov_b32 v1, v0 :: v_dual_mov_b32 v2, v0
	v_mov_b32_e32 v3, v0
	ds_store_b128 v50, v[0:3]
.LBB370_32:                             ;   in Loop: Header=BB370_16 Depth=2
	s_wait_alu 0xfffe
	s_or_b32 exec_lo, exec_lo, s7
	ds_bpermute_b32 v1, v25, v16
	ds_bpermute_b32 v2, v25, v17
	;; [unrolled: 1-line block ×4, first 2 shown]
	s_wait_loadcnt_dscnt 0x0
	s_barrier_signal -1
	s_barrier_wait -1
	global_inv scope:SCOPE_SE
	v_add_f64_e32 v[1:2], v[16:17], v[1:2]
	v_add_f64_e32 v[16:17], v[18:19], v[48:49]
	ds_bpermute_b32 v18, v57, v1
	ds_bpermute_b32 v19, v57, v2
	ds_bpermute_b32 v48, v57, v16
	ds_bpermute_b32 v49, v57, v17
	s_wait_dscnt 0x2
	v_add_f64_e32 v[1:2], v[1:2], v[18:19]
	s_wait_dscnt 0x0
	v_add_f64_e32 v[16:17], v[16:17], v[48:49]
	ds_bpermute_b32 v18, v58, v1
	ds_bpermute_b32 v19, v58, v2
	ds_bpermute_b32 v48, v58, v16
	ds_bpermute_b32 v49, v58, v17
	s_wait_dscnt 0x2
	v_add_f64_e32 v[1:2], v[1:2], v[18:19]
	s_wait_dscnt 0x0
	;; [unrolled: 8-line block ×3, first 2 shown]
	v_add_f64_e32 v[18:19], v[16:17], v[48:49]
	ds_bpermute_b32 v16, v60, v1
	ds_bpermute_b32 v17, v60, v2
	;; [unrolled: 1-line block ×4, first 2 shown]
	s_and_saveexec_b32 s7, s3
	s_cbranch_execz .LBB370_34
; %bb.33:                               ;   in Loop: Header=BB370_16 Depth=2
	s_wait_dscnt 0x0
	v_add_f64_e32 v[18:19], v[18:19], v[48:49]
	v_add_f64_e32 v[16:17], v[1:2], v[16:17]
	ds_store_b128 v51, v[16:19]
.LBB370_34:                             ;   in Loop: Header=BB370_16 Depth=2
	s_wait_alu 0xfffe
	s_or_b32 exec_lo, exec_lo, s7
	v_mov_b32_e32 v18, 0
	s_wait_dscnt 0x2
	v_dual_mov_b32 v19, 0 :: v_dual_mov_b32 v16, 0
	v_mov_b32_e32 v17, 0
	s_wait_loadcnt_dscnt 0x0
	s_barrier_signal -1
	s_barrier_wait -1
	global_inv scope:SCOPE_SE
	s_and_saveexec_b32 s7, s2
	s_cbranch_execnz .LBB370_54
; %bb.35:                               ;   in Loop: Header=BB370_16 Depth=2
	s_wait_alu 0xfffe
	s_or_b32 exec_lo, exec_lo, s7
	s_and_saveexec_b32 s7, s1
	s_cbranch_execnz .LBB370_55
.LBB370_36:                             ;   in Loop: Header=BB370_16 Depth=2
	s_wait_alu 0xfffe
	s_or_b32 exec_lo, exec_lo, s7
	s_and_saveexec_b32 s7, s1
.LBB370_37:                             ;   in Loop: Header=BB370_16 Depth=2
	v_dual_mov_b32 v1, v0 :: v_dual_mov_b32 v2, v0
	v_mov_b32_e32 v3, v0
	ds_store_b128 v50, v[0:3]
.LBB370_38:                             ;   in Loop: Header=BB370_16 Depth=2
	s_wait_alu 0xfffe
	s_or_b32 exec_lo, exec_lo, s7
	ds_bpermute_b32 v1, v25, v20
	ds_bpermute_b32 v2, v25, v21
	;; [unrolled: 1-line block ×4, first 2 shown]
	s_wait_loadcnt_dscnt 0x0
	s_barrier_signal -1
	s_barrier_wait -1
	global_inv scope:SCOPE_SE
	v_add_f64_e32 v[1:2], v[20:21], v[1:2]
	v_add_f64_e32 v[20:21], v[22:23], v[48:49]
	ds_bpermute_b32 v22, v57, v1
	ds_bpermute_b32 v23, v57, v2
	ds_bpermute_b32 v48, v57, v20
	ds_bpermute_b32 v49, v57, v21
	s_wait_dscnt 0x2
	v_add_f64_e32 v[1:2], v[1:2], v[22:23]
	s_wait_dscnt 0x0
	v_add_f64_e32 v[20:21], v[20:21], v[48:49]
	ds_bpermute_b32 v22, v58, v1
	ds_bpermute_b32 v23, v58, v2
	ds_bpermute_b32 v48, v58, v20
	ds_bpermute_b32 v49, v58, v21
	s_wait_dscnt 0x2
	v_add_f64_e32 v[1:2], v[1:2], v[22:23]
	s_wait_dscnt 0x0
	;; [unrolled: 8-line block ×3, first 2 shown]
	v_add_f64_e32 v[22:23], v[20:21], v[48:49]
	ds_bpermute_b32 v20, v60, v1
	ds_bpermute_b32 v21, v60, v2
	;; [unrolled: 1-line block ×4, first 2 shown]
	s_and_saveexec_b32 s7, s3
	s_cbranch_execz .LBB370_40
; %bb.39:                               ;   in Loop: Header=BB370_16 Depth=2
	s_wait_dscnt 0x0
	v_add_f64_e32 v[22:23], v[22:23], v[48:49]
	v_add_f64_e32 v[20:21], v[1:2], v[20:21]
	ds_store_b128 v51, v[20:23]
.LBB370_40:                             ;   in Loop: Header=BB370_16 Depth=2
	s_wait_alu 0xfffe
	s_or_b32 exec_lo, exec_lo, s7
	v_mov_b32_e32 v22, 0
	s_wait_dscnt 0x2
	v_dual_mov_b32 v23, 0 :: v_dual_mov_b32 v20, 0
	v_mov_b32_e32 v21, 0
	s_wait_loadcnt_dscnt 0x0
	s_barrier_signal -1
	s_barrier_wait -1
	global_inv scope:SCOPE_SE
	s_and_saveexec_b32 s7, s2
	s_cbranch_execnz .LBB370_56
; %bb.41:                               ;   in Loop: Header=BB370_16 Depth=2
	s_wait_alu 0xfffe
	s_or_b32 exec_lo, exec_lo, s7
	s_and_saveexec_b32 s7, s1
	s_cbranch_execnz .LBB370_57
.LBB370_42:                             ;   in Loop: Header=BB370_16 Depth=2
	s_wait_alu 0xfffe
	s_or_b32 exec_lo, exec_lo, s7
	s_and_saveexec_b32 s7, s0
	s_cbranch_execz .LBB370_15
	s_branch .LBB370_58
.LBB370_43:                             ;   in Loop: Header=BB370_16 Depth=2
	s_clause 0x1
	flat_load_b128 v[8:11], v[40:41]
	flat_load_b128 v[12:15], v[42:43]
	s_mul_i32 s8, s11, s52
	s_wait_alu 0xfffe
	s_ashr_i32 s9, s8, 31
	s_wait_alu 0xfffe
	s_lshl_b64 s[48:49], s[8:9], 4
	s_add_co_i32 s8, s8, s52
	s_wait_alu 0xfffe
	v_add_co_u32 v1, vcc_lo, v55, s48
	s_wait_alu 0xfffd
	v_add_co_ci_u32_e64 v2, null, s49, v56, vcc_lo
	s_ashr_i32 s9, s8, 31
	s_wait_alu 0xfffe
	s_lshl_b64 s[48:49], s[8:9], 4
	s_add_co_i32 s8, s8, s52
	s_wait_alu 0xfffe
	v_add_co_u32 v48, vcc_lo, v55, s48
	s_wait_alu 0xfffd
	v_add_co_ci_u32_e64 v49, null, s49, v56, vcc_lo
	;; [unrolled: 8-line block ×3, first 2 shown]
	s_ashr_i32 s9, s8, 31
	s_wait_alu 0xfffe
	s_lshl_b64 s[8:9], s[8:9], 4
	s_wait_alu 0xfffe
	v_add_co_u32 v69, vcc_lo, v55, s8
	s_wait_alu 0xfffd
	v_add_co_ci_u32_e64 v70, null, s9, v56, vcc_lo
	s_wait_loadcnt_dscnt 0x101
	scratch_store_b128 off, v[8:11], off
	s_wait_loadcnt_dscnt 0x0
	scratch_store_b128 off, v[12:15], s59
	flat_load_b128 v[12:15], v[44:45]
	s_wait_loadcnt_dscnt 0x0
	scratch_store_b128 off, v[12:15], s60
	flat_load_b128 v[12:15], v[46:47]
	;; [unrolled: 3-line block ×3, first 2 shown]
	s_wait_loadcnt_dscnt 0x0
	v_mul_f64_e32 v[16:17], v[10:11], v[14:15]
	v_mul_f64_e32 v[14:15], v[8:9], v[14:15]
	s_delay_alu instid0(VALU_DEP_2) | instskip(NEXT) | instid1(VALU_DEP_2)
	v_fma_f64 v[16:17], v[8:9], v[12:13], v[16:17]
	v_fma_f64 v[12:13], v[10:11], v[12:13], -v[14:15]
	s_delay_alu instid0(VALU_DEP_2) | instskip(NEXT) | instid1(VALU_DEP_2)
	v_add_f64_e32 v[16:17], 0, v[16:17]
	v_add_f64_e32 v[18:19], 0, v[12:13]
	flat_load_b128 v[12:15], v[48:49]
	s_wait_loadcnt_dscnt 0x0
	v_mul_f64_e32 v[20:21], v[10:11], v[14:15]
	v_mul_f64_e32 v[14:15], v[8:9], v[14:15]
	s_delay_alu instid0(VALU_DEP_2) | instskip(NEXT) | instid1(VALU_DEP_2)
	v_fma_f64 v[20:21], v[8:9], v[12:13], v[20:21]
	v_fma_f64 v[12:13], v[10:11], v[12:13], -v[14:15]
	s_delay_alu instid0(VALU_DEP_2) | instskip(NEXT) | instid1(VALU_DEP_2)
	v_add_f64_e32 v[20:21], 0, v[20:21]
	v_add_f64_e32 v[22:23], 0, v[12:13]
	flat_load_b128 v[12:15], v[63:64]
	;; [unrolled: 10-line block ×3, first 2 shown]
	s_wait_loadcnt_dscnt 0x0
	v_mul_f64_e32 v[71:72], v[10:11], v[14:15]
	s_delay_alu instid0(VALU_DEP_1) | instskip(SKIP_1) | instid1(VALU_DEP_2)
	v_fma_f64 v[71:72], v[8:9], v[12:13], v[71:72]
	v_mul_f64_e32 v[8:9], v[8:9], v[14:15]
	v_add_f64_e32 v[71:72], 0, v[71:72]
	s_delay_alu instid0(VALU_DEP_2) | instskip(NEXT) | instid1(VALU_DEP_1)
	v_fma_f64 v[8:9], v[10:11], v[12:13], -v[8:9]
	v_add_f64_e32 v[73:74], 0, v[8:9]
	scratch_load_b128 v[8:11], off, off offset:16
	flat_load_b128 v[12:15], v[1:2] offset:16
	s_wait_loadcnt_dscnt 0x0
	v_mul_f64_e32 v[75:76], v[10:11], v[14:15]
	v_mul_f64_e32 v[14:15], v[8:9], v[14:15]
	s_delay_alu instid0(VALU_DEP_2) | instskip(NEXT) | instid1(VALU_DEP_2)
	v_fma_f64 v[75:76], v[8:9], v[12:13], v[75:76]
	v_fma_f64 v[12:13], v[10:11], v[12:13], -v[14:15]
	s_delay_alu instid0(VALU_DEP_2) | instskip(NEXT) | instid1(VALU_DEP_2)
	v_add_f64_e32 v[16:17], v[16:17], v[75:76]
	v_add_f64_e32 v[18:19], v[18:19], v[12:13]
	flat_load_b128 v[12:15], v[48:49] offset:16
	s_wait_loadcnt_dscnt 0x0
	v_mul_f64_e32 v[75:76], v[10:11], v[14:15]
	v_mul_f64_e32 v[14:15], v[8:9], v[14:15]
	s_delay_alu instid0(VALU_DEP_2) | instskip(NEXT) | instid1(VALU_DEP_2)
	v_fma_f64 v[75:76], v[8:9], v[12:13], v[75:76]
	v_fma_f64 v[12:13], v[10:11], v[12:13], -v[14:15]
	s_delay_alu instid0(VALU_DEP_2) | instskip(NEXT) | instid1(VALU_DEP_2)
	v_add_f64_e32 v[20:21], v[20:21], v[75:76]
	v_add_f64_e32 v[22:23], v[22:23], v[12:13]
	;; [unrolled: 10-line block ×3, first 2 shown]
	flat_load_b128 v[12:15], v[69:70] offset:16
	s_wait_loadcnt_dscnt 0x0
	v_mul_f64_e32 v[75:76], v[10:11], v[14:15]
	s_delay_alu instid0(VALU_DEP_1) | instskip(SKIP_1) | instid1(VALU_DEP_2)
	v_fma_f64 v[75:76], v[8:9], v[12:13], v[75:76]
	v_mul_f64_e32 v[8:9], v[8:9], v[14:15]
	v_add_f64_e32 v[71:72], v[71:72], v[75:76]
	s_delay_alu instid0(VALU_DEP_2) | instskip(NEXT) | instid1(VALU_DEP_1)
	v_fma_f64 v[8:9], v[10:11], v[12:13], -v[8:9]
	v_add_f64_e32 v[73:74], v[73:74], v[8:9]
	scratch_load_b128 v[8:11], off, off offset:32
	flat_load_b128 v[12:15], v[1:2] offset:32
	s_wait_loadcnt_dscnt 0x0
	v_mul_f64_e32 v[75:76], v[10:11], v[14:15]
	v_mul_f64_e32 v[14:15], v[8:9], v[14:15]
	s_delay_alu instid0(VALU_DEP_2) | instskip(NEXT) | instid1(VALU_DEP_2)
	v_fma_f64 v[75:76], v[8:9], v[12:13], v[75:76]
	v_fma_f64 v[12:13], v[10:11], v[12:13], -v[14:15]
	s_delay_alu instid0(VALU_DEP_2) | instskip(NEXT) | instid1(VALU_DEP_2)
	v_add_f64_e32 v[16:17], v[16:17], v[75:76]
	v_add_f64_e32 v[18:19], v[18:19], v[12:13]
	flat_load_b128 v[12:15], v[48:49] offset:32
	s_wait_loadcnt_dscnt 0x0
	v_mul_f64_e32 v[75:76], v[10:11], v[14:15]
	v_mul_f64_e32 v[14:15], v[8:9], v[14:15]
	s_delay_alu instid0(VALU_DEP_2) | instskip(NEXT) | instid1(VALU_DEP_2)
	v_fma_f64 v[75:76], v[8:9], v[12:13], v[75:76]
	v_fma_f64 v[12:13], v[10:11], v[12:13], -v[14:15]
	s_delay_alu instid0(VALU_DEP_2) | instskip(NEXT) | instid1(VALU_DEP_2)
	v_add_f64_e32 v[75:76], v[20:21], v[75:76]
	v_add_f64_e32 v[77:78], v[22:23], v[12:13]
	;; [unrolled: 10-line block ×3, first 2 shown]
	flat_load_b128 v[12:15], v[69:70] offset:32
	s_wait_loadcnt_dscnt 0x0
	v_mul_f64_e32 v[20:21], v[10:11], v[14:15]
	s_delay_alu instid0(VALU_DEP_1) | instskip(SKIP_1) | instid1(VALU_DEP_2)
	v_fma_f64 v[20:21], v[8:9], v[12:13], v[20:21]
	v_mul_f64_e32 v[8:9], v[8:9], v[14:15]
	v_add_f64_e32 v[71:72], v[71:72], v[20:21]
	s_delay_alu instid0(VALU_DEP_2) | instskip(NEXT) | instid1(VALU_DEP_1)
	v_fma_f64 v[8:9], v[10:11], v[12:13], -v[8:9]
	v_add_f64_e32 v[73:74], v[73:74], v[8:9]
	scratch_load_b128 v[20:23], off, off offset:48
	s_clause 0x1
	flat_load_b128 v[8:11], v[1:2] offset:48
	flat_load_b128 v[12:15], v[48:49] offset:48
	s_wait_loadcnt_dscnt 0x101
	v_mul_f64_e32 v[1:2], v[22:23], v[10:11]
	v_mul_f64_e32 v[10:11], v[20:21], v[10:11]
	s_delay_alu instid0(VALU_DEP_2) | instskip(NEXT) | instid1(VALU_DEP_2)
	v_fma_f64 v[1:2], v[20:21], v[8:9], v[1:2]
	v_fma_f64 v[8:9], v[22:23], v[8:9], -v[10:11]
	s_delay_alu instid0(VALU_DEP_2) | instskip(NEXT) | instid1(VALU_DEP_2)
	v_add_f64_e32 v[10:11], v[16:17], v[1:2]
	v_add_f64_e32 v[8:9], v[18:19], v[8:9]
	flat_load_b128 v[16:19], v[63:64] offset:48
	s_wait_loadcnt_dscnt 0x101
	v_mul_f64_e32 v[1:2], v[22:23], v[14:15]
	v_mul_f64_e32 v[14:15], v[20:21], v[14:15]
	s_delay_alu instid0(VALU_DEP_2) | instskip(NEXT) | instid1(VALU_DEP_2)
	v_fma_f64 v[1:2], v[20:21], v[12:13], v[1:2]
	v_fma_f64 v[14:15], v[22:23], v[12:13], -v[14:15]
	s_delay_alu instid0(VALU_DEP_2) | instskip(NEXT) | instid1(VALU_DEP_2)
	v_add_f64_e32 v[12:13], v[75:76], v[1:2]
	v_add_f64_e32 v[14:15], v[77:78], v[14:15]
	s_wait_loadcnt_dscnt 0x0
	v_mul_f64_e32 v[1:2], v[22:23], v[18:19]
	v_mul_f64_e32 v[18:19], v[20:21], v[18:19]
	s_delay_alu instid0(VALU_DEP_2) | instskip(NEXT) | instid1(VALU_DEP_2)
	v_fma_f64 v[1:2], v[20:21], v[16:17], v[1:2]
	v_fma_f64 v[18:19], v[22:23], v[16:17], -v[18:19]
	s_delay_alu instid0(VALU_DEP_2) | instskip(SKIP_4) | instid1(VALU_DEP_1)
	v_add_f64_e32 v[16:17], v[65:66], v[1:2]
	flat_load_b128 v[63:66], v[69:70] offset:48
	v_add_f64_e32 v[18:19], v[67:68], v[18:19]
	s_wait_loadcnt_dscnt 0x0
	v_mul_f64_e32 v[1:2], v[22:23], v[65:66]
	v_fma_f64 v[1:2], v[20:21], v[63:64], v[1:2]
	v_mul_f64_e32 v[20:21], v[20:21], v[65:66]
	s_delay_alu instid0(VALU_DEP_1) | instskip(NEXT) | instid1(VALU_DEP_3)
	v_fma_f64 v[22:23], v[22:23], v[63:64], -v[20:21]
	v_add_f64_e32 v[20:21], v[71:72], v[1:2]
	s_delay_alu instid0(VALU_DEP_2)
	v_add_f64_e32 v[22:23], v[73:74], v[22:23]
	s_and_not1_saveexec_b32 s34, s7
	s_cbranch_execz .LBB370_18
.LBB370_44:                             ;   in Loop: Header=BB370_16 Depth=2
	s_wait_dscnt 0x0
	v_mov_b32_e32 v20, 0
	v_mov_b32_e32 v16, 0
	;; [unrolled: 1-line block ×3, first 2 shown]
	v_dual_mov_b32 v10, 0 :: v_dual_mov_b32 v21, 0
	v_dual_mov_b32 v22, 0 :: v_dual_mov_b32 v17, 0
	;; [unrolled: 1-line block ×5, first 2 shown]
	v_mov_b32_e32 v19, 0
	v_mov_b32_e32 v15, 0
	;; [unrolled: 1-line block ×3, first 2 shown]
	s_and_saveexec_b32 s68, s5
	s_cbranch_execz .LBB370_60
; %bb.45:                               ;   in Loop: Header=BB370_16 Depth=2
	s_and_not1_b32 vcc_lo, exec_lo, s58
	s_wait_alu 0xfffe
	s_cbranch_vccnz .LBB370_59
; %bb.46:                               ;   in Loop: Header=BB370_16 Depth=2
	v_mov_b32_e32 v1, v24
	s_mov_b32 s7, 0
	s_mov_b32 s8, s56
.LBB370_47:                             ;   Parent Loop BB370_3 Depth=1
                                        ;     Parent Loop BB370_16 Depth=2
                                        ; =>    This Inner Loop Header: Depth=3
	s_delay_alu instid0(VALU_DEP_1) | instskip(SKIP_2) | instid1(VALU_DEP_1)
	v_ashrrev_i32_e32 v2, 31, v1
	s_wait_alu 0xfffe
	s_add_co_i32 s8, s8, -1
	v_lshlrev_b64_e32 v[2:3], 4, v[1:2]
	v_add_nc_u32_e32 v1, s53, v1
	s_delay_alu instid0(VALU_DEP_2) | instskip(SKIP_1) | instid1(VALU_DEP_3)
	v_add_co_u32 v2, vcc_lo, v36, v2
	s_wait_alu 0xfffd
	v_add_co_ci_u32_e64 v3, null, v37, v3, vcc_lo
	flat_load_b128 v[8:11], v[2:3]
	s_wait_loadcnt_dscnt 0x0
	scratch_store_b128 off, v[8:11], s7
	s_add_co_i32 s7, s7, 16
	s_wait_alu 0xfffe
	s_cmp_eq_u32 s8, 0
	s_cbranch_scc0 .LBB370_47
; %bb.48:                               ;   in Loop: Header=BB370_16 Depth=2
	s_ashr_i32 s7, s6, 31
	v_mov_b32_e32 v8, 0
	s_wait_alu 0xfffe
	s_lshl_b64 s[8:9], s[6:7], 4
	v_mov_b32_e32 v14, 0
	s_wait_alu 0xfffe
	v_add_co_u32 v1, vcc_lo, v61, s8
	v_mov_b32_e32 v18, 0
	v_dual_mov_b32 v22, 0 :: v_dual_mov_b32 v9, 0
	v_dual_mov_b32 v10, 0 :: v_dual_mov_b32 v15, 0
	;; [unrolled: 1-line block ×4, first 2 shown]
	v_mov_b32_e32 v20, 0
	s_wait_alu 0xfffd
	v_add_co_ci_u32_e64 v2, null, s9, v62, vcc_lo
	v_mov_b32_e32 v11, 0
	v_mov_b32_e32 v13, 0
	;; [unrolled: 1-line block ×4, first 2 shown]
	s_mov_b32 s7, s61
	s_mov_b32 s8, s65
	;; [unrolled: 1-line block ×5, first 2 shown]
.LBB370_49:                             ;   Parent Loop BB370_3 Depth=1
                                        ;     Parent Loop BB370_16 Depth=2
                                        ; =>    This Inner Loop Header: Depth=3
	s_ashr_i32 s51, s50, 31
	s_wait_alu 0xfffe
	s_ashr_i32 s49, s48, 31
	s_lshl_b64 s[70:71], s[50:51], 4
	s_ashr_i32 s9, s8, 31
	s_wait_alu 0xfffe
	s_lshl_b64 s[72:73], s[48:49], 4
	v_add_co_u32 v48, vcc_lo, v55, s70
	s_lshl_b64 s[74:75], s[8:9], 4
	s_wait_alu 0xfffd
	v_add_co_ci_u32_e64 v49, null, s71, v56, vcc_lo
	s_wait_alu 0xfffe
	v_add_co_u32 v75, vcc_lo, v55, s72
	s_wait_alu 0xfffd
	v_add_co_ci_u32_e64 v76, null, s73, v56, vcc_lo
	v_add_co_u32 v79, vcc_lo, v55, s74
	s_wait_alu 0xfffd
	v_add_co_ci_u32_e64 v80, null, s75, v56, vcc_lo
	scratch_load_b128 v[63:66], off, s7 offset:-8
	flat_load_b128 v[67:70], v[1:2] offset:-8
	s_clause 0x2
	flat_load_b128 v[71:74], v[48:49]
	flat_load_b128 v[75:78], v[75:76]
	;; [unrolled: 1-line block ×3, first 2 shown]
	v_add_co_u32 v1, vcc_lo, v1, 16
	s_wait_alu 0xfffd
	v_add_co_ci_u32_e64 v2, null, 0, v2, vcc_lo
	s_add_co_i32 s69, s69, -1
	s_add_co_i32 s7, s7, 16
	s_add_co_i32 s50, s50, 1
	;; [unrolled: 1-line block ×4, first 2 shown]
	s_cmp_lg_u32 s69, 0
	s_wait_loadcnt_dscnt 0x202
	v_mul_f64_e32 v[83:84], v[65:66], v[73:74]
	v_mul_f64_e32 v[48:49], v[65:66], v[69:70]
	;; [unrolled: 1-line block ×4, first 2 shown]
	s_wait_loadcnt_dscnt 0x101
	v_mul_f64_e32 v[85:86], v[65:66], v[77:78]
	v_mul_f64_e32 v[77:78], v[63:64], v[77:78]
	s_wait_loadcnt_dscnt 0x0
	v_mul_f64_e32 v[87:88], v[65:66], v[81:82]
	v_mul_f64_e32 v[81:82], v[63:64], v[81:82]
	v_fma_f64 v[48:49], v[63:64], v[67:68], v[48:49]
	v_fma_f64 v[67:68], v[65:66], v[67:68], -v[69:70]
	v_fma_f64 v[69:70], v[63:64], v[71:72], v[83:84]
	v_fma_f64 v[71:72], v[65:66], v[71:72], -v[73:74]
	;; [unrolled: 2-line block ×4, first 2 shown]
	v_add_f64_e32 v[10:11], v[10:11], v[48:49]
	v_add_f64_e32 v[8:9], v[8:9], v[67:68]
	v_add_f64_e32 v[12:13], v[12:13], v[69:70]
	v_add_f64_e32 v[14:15], v[14:15], v[71:72]
	v_add_f64_e32 v[16:17], v[16:17], v[73:74]
	v_add_f64_e32 v[18:19], v[18:19], v[75:76]
	v_add_f64_e32 v[20:21], v[20:21], v[63:64]
	v_add_f64_e32 v[22:23], v[22:23], v[65:66]
	s_cbranch_scc1 .LBB370_49
	s_branch .LBB370_60
.LBB370_50:                             ;   in Loop: Header=BB370_16 Depth=2
	ds_load_b128 v[8:11], v50
	s_wait_alu 0xfffe
	s_or_b32 exec_lo, exec_lo, s7
	s_and_saveexec_b32 s7, s1
	s_cbranch_execz .LBB370_24
.LBB370_51:                             ;   in Loop: Header=BB370_16 Depth=2
	s_wait_dscnt 0x0
	ds_bpermute_b32 v1, v58, v8
	ds_bpermute_b32 v2, v58, v9
	ds_bpermute_b32 v48, v58, v10
	ds_bpermute_b32 v49, v58, v11
	s_wait_dscnt 0x2
	v_add_f64_e32 v[1:2], v[8:9], v[1:2]
	s_wait_dscnt 0x0
	v_add_f64_e32 v[8:9], v[10:11], v[48:49]
	ds_bpermute_b32 v10, v59, v1
	ds_bpermute_b32 v11, v59, v2
	ds_bpermute_b32 v48, v59, v8
	ds_bpermute_b32 v49, v59, v9
	s_wait_dscnt 0x2
	v_add_f64_e32 v[1:2], v[1:2], v[10:11]
	s_wait_dscnt 0x0
	v_add_f64_e32 v[10:11], v[8:9], v[48:49]
	;; [unrolled: 8-line block ×3, first 2 shown]
	s_wait_alu 0xfffe
	s_or_b32 exec_lo, exec_lo, s7
	s_and_saveexec_b32 s7, s1
	s_cbranch_execnz .LBB370_25
	s_branch .LBB370_26
.LBB370_52:                             ;   in Loop: Header=BB370_16 Depth=2
	ds_load_b128 v[12:15], v50
	s_wait_alu 0xfffe
	s_or_b32 exec_lo, exec_lo, s7
	s_and_saveexec_b32 s7, s1
	s_cbranch_execz .LBB370_30
.LBB370_53:                             ;   in Loop: Header=BB370_16 Depth=2
	s_wait_dscnt 0x0
	ds_bpermute_b32 v1, v58, v12
	ds_bpermute_b32 v2, v58, v13
	ds_bpermute_b32 v48, v58, v14
	ds_bpermute_b32 v49, v58, v15
	s_wait_dscnt 0x2
	v_add_f64_e32 v[1:2], v[12:13], v[1:2]
	s_wait_dscnt 0x0
	v_add_f64_e32 v[12:13], v[14:15], v[48:49]
	ds_bpermute_b32 v14, v59, v1
	ds_bpermute_b32 v15, v59, v2
	ds_bpermute_b32 v48, v59, v12
	ds_bpermute_b32 v49, v59, v13
	s_wait_dscnt 0x2
	v_add_f64_e32 v[1:2], v[1:2], v[14:15]
	s_wait_dscnt 0x0
	v_add_f64_e32 v[14:15], v[12:13], v[48:49]
	;; [unrolled: 8-line block ×3, first 2 shown]
	s_wait_alu 0xfffe
	s_or_b32 exec_lo, exec_lo, s7
	s_and_saveexec_b32 s7, s1
	s_cbranch_execnz .LBB370_31
	s_branch .LBB370_32
.LBB370_54:                             ;   in Loop: Header=BB370_16 Depth=2
	ds_load_b128 v[16:19], v50
	s_wait_alu 0xfffe
	s_or_b32 exec_lo, exec_lo, s7
	s_and_saveexec_b32 s7, s1
	s_cbranch_execz .LBB370_36
.LBB370_55:                             ;   in Loop: Header=BB370_16 Depth=2
	s_wait_dscnt 0x0
	ds_bpermute_b32 v1, v58, v16
	ds_bpermute_b32 v2, v58, v17
	ds_bpermute_b32 v48, v58, v18
	ds_bpermute_b32 v49, v58, v19
	s_wait_dscnt 0x2
	v_add_f64_e32 v[1:2], v[16:17], v[1:2]
	s_wait_dscnt 0x0
	v_add_f64_e32 v[16:17], v[18:19], v[48:49]
	ds_bpermute_b32 v18, v59, v1
	ds_bpermute_b32 v19, v59, v2
	ds_bpermute_b32 v48, v59, v16
	ds_bpermute_b32 v49, v59, v17
	s_wait_dscnt 0x2
	v_add_f64_e32 v[1:2], v[1:2], v[18:19]
	s_wait_dscnt 0x0
	v_add_f64_e32 v[18:19], v[16:17], v[48:49]
	;; [unrolled: 8-line block ×3, first 2 shown]
	s_wait_alu 0xfffe
	s_or_b32 exec_lo, exec_lo, s7
	s_and_saveexec_b32 s7, s1
	s_cbranch_execnz .LBB370_37
	s_branch .LBB370_38
.LBB370_56:                             ;   in Loop: Header=BB370_16 Depth=2
	ds_load_b128 v[20:23], v50
	s_wait_alu 0xfffe
	s_or_b32 exec_lo, exec_lo, s7
	s_and_saveexec_b32 s7, s1
	s_cbranch_execz .LBB370_42
.LBB370_57:                             ;   in Loop: Header=BB370_16 Depth=2
	s_wait_dscnt 0x0
	ds_bpermute_b32 v1, v58, v20
	ds_bpermute_b32 v2, v58, v21
	ds_bpermute_b32 v48, v58, v22
	ds_bpermute_b32 v49, v58, v23
	s_wait_dscnt 0x2
	v_add_f64_e32 v[1:2], v[20:21], v[1:2]
	s_wait_dscnt 0x0
	v_add_f64_e32 v[20:21], v[22:23], v[48:49]
	ds_bpermute_b32 v22, v59, v1
	ds_bpermute_b32 v23, v59, v2
	ds_bpermute_b32 v48, v59, v20
	ds_bpermute_b32 v49, v59, v21
	s_wait_dscnt 0x2
	v_add_f64_e32 v[1:2], v[1:2], v[22:23]
	s_wait_dscnt 0x0
	v_add_f64_e32 v[22:23], v[20:21], v[48:49]
	;; [unrolled: 8-line block ×3, first 2 shown]
	s_wait_alu 0xfffe
	s_or_b32 exec_lo, exec_lo, s7
	s_and_saveexec_b32 s7, s0
	s_cbranch_execz .LBB370_15
.LBB370_58:                             ;   in Loop: Header=BB370_16 Depth=2
	v_mul_f64_e32 v[1:2], v[6:7], v[10:11]
	v_mul_f64_e32 v[10:11], v[4:5], v[10:11]
	v_mul_f64_e32 v[48:49], v[6:7], v[14:15]
	v_mul_f64_e32 v[14:15], v[4:5], v[14:15]
	v_mul_f64_e32 v[67:68], v[6:7], v[18:19]
	v_mul_f64_e32 v[18:19], v[4:5], v[18:19]
	s_wait_dscnt 0x0
	v_mul_f64_e32 v[69:70], v[6:7], v[22:23]
	v_mul_f64_e32 v[22:23], v[4:5], v[22:23]
	s_mul_i32 s8, s11, s28
	s_wait_alu 0xfffe
	s_add_co_i32 s34, s8, s24
	s_delay_alu instid0(SALU_CYCLE_1)
	s_lshl_b64 s[8:9], s[34:35], 4
	s_add_co_i32 s34, s34, s28
	s_wait_alu 0xfffe
	s_add_nc_u64 s[8:9], s[46:47], s[8:9]
	s_lshl_b64 s[48:49], s[34:35], 4
	s_add_co_i32 s34, s34, s28
	s_wait_alu 0xfffe
	s_add_nc_u64 s[48:49], s[46:47], s[48:49]
	s_lshl_b64 s[50:51], s[34:35], 4
	s_add_co_i32 s34, s34, s28
	s_add_nc_u64 s[50:51], s[46:47], s[50:51]
	s_lshl_b64 s[68:69], s[34:35], 4
	s_delay_alu instid0(SALU_CYCLE_1)
	s_add_nc_u64 s[68:69], s[46:47], s[68:69]
	v_fma_f64 v[63:64], v[4:5], v[8:9], -v[1:2]
	v_fma_f64 v[65:66], v[6:7], v[8:9], v[10:11]
	v_fma_f64 v[8:9], v[4:5], v[12:13], -v[48:49]
	v_fma_f64 v[10:11], v[6:7], v[12:13], v[14:15]
	;; [unrolled: 2-line block ×4, first 2 shown]
	s_clause 0x3
	global_store_b128 v0, v[63:66], s[8:9]
	global_store_b128 v0, v[8:11], s[48:49]
	;; [unrolled: 1-line block ×4, first 2 shown]
	s_branch .LBB370_15
.LBB370_59:                             ;   in Loop: Header=BB370_16 Depth=2
	v_mov_b32_e32 v20, 0
	v_mov_b32_e32 v16, 0
	;; [unrolled: 1-line block ×3, first 2 shown]
	v_dual_mov_b32 v10, 0 :: v_dual_mov_b32 v21, 0
	v_dual_mov_b32 v22, 0 :: v_dual_mov_b32 v17, 0
	;; [unrolled: 1-line block ×5, first 2 shown]
	v_mov_b32_e32 v19, 0
	v_mov_b32_e32 v15, 0
	;; [unrolled: 1-line block ×3, first 2 shown]
.LBB370_60:                             ;   in Loop: Header=BB370_16 Depth=2
	s_or_b32 exec_lo, exec_lo, s68
	s_delay_alu instid0(SALU_CYCLE_1)
	s_or_b32 exec_lo, exec_lo, s34
	s_and_saveexec_b32 s7, s1
	s_cbranch_execnz .LBB370_19
	s_branch .LBB370_20
.LBB370_61:                             ;   in Loop: Header=BB370_3 Depth=1
	s_mov_b32 s11, 0
.LBB370_62:                             ;   in Loop: Header=BB370_3 Depth=1
	s_delay_alu instid0(SALU_CYCLE_1)
	s_cmp_ge_i32 s11, s27
	s_cbranch_scc1 .LBB370_2
; %bb.63:                               ;   in Loop: Header=BB370_3 Depth=1
	v_cmp_gt_u32_e32 vcc_lo, 24, v54
	s_wait_alu 0xfffe
	s_add_nc_u64 s[6:7], s[46:47], s[38:39]
	s_mul_i32 s8, s52, s11
	s_mov_b32 s34, s11
	s_wait_alu 0xfffd
	v_cndmask_b32_e64 v1, 0, 8, vcc_lo
	v_cmp_gt_u32_e32 vcc_lo, 28, v54
	s_wait_dscnt 0x0
	s_delay_alu instid0(VALU_DEP_2) | instskip(SKIP_3) | instid1(VALU_DEP_2)
	v_add_lshl_u32 v22, v1, v54, 2
	s_wait_alu 0xfffd
	v_cndmask_b32_e64 v2, 0, 4, vcc_lo
	v_cmp_gt_u32_e32 vcc_lo, 30, v54
	v_add_lshl_u32 v23, v2, v54, 2
	s_wait_alu 0xfffd
	v_cndmask_b32_e64 v3, 0, 2, vcc_lo
	v_cmp_ne_u32_e32 vcc_lo, 31, v54
	s_delay_alu instid0(VALU_DEP_2)
	v_add_lshl_u32 v40, v3, v54, 2
	s_wait_alu 0xfffd
	v_add_co_ci_u32_e64 v8, null, 0, v54, vcc_lo
	v_add_co_u32 v12, vcc_lo, v36, v28
	s_wait_alu 0xfffd
	v_add_co_ci_u32_e64 v13, null, v37, v29, vcc_lo
	v_add_co_u32 v14, vcc_lo, v36, v30
	;; [unrolled: 3-line block ×5, first 2 shown]
	v_lshlrev_b32_e32 v41, 2, v8
	s_wait_alu 0xfffd
	v_add_co_ci_u32_e64 v39, null, v39, v53, vcc_lo
	s_branch .LBB370_65
.LBB370_64:                             ;   in Loop: Header=BB370_65 Depth=2
	s_wait_alu 0xfffe
	s_or_b32 exec_lo, exec_lo, s9
	s_add_co_i32 s34, s34, 1
	s_add_co_i32 s8, s8, s52
	s_cmp_lt_i32 s34, s27
	s_cbranch_scc0 .LBB370_2
.LBB370_65:                             ;   Parent Loop BB370_3 Depth=1
                                        ; =>  This Loop Header: Depth=2
                                        ;       Child Loop BB370_77 Depth 3
                                        ;       Child Loop BB370_79 Depth 3
                                        ; implicit-def: $vgpr8_vgpr9
                                        ; implicit-def: $vgpr10_vgpr11
	s_and_saveexec_b32 s9, s4
	s_wait_alu 0xfffe
	s_xor_b32 s9, exec_lo, s9
	s_cbranch_execnz .LBB370_74
; %bb.66:                               ;   in Loop: Header=BB370_65 Depth=2
	s_wait_alu 0xfffe
	s_and_not1_saveexec_b32 s11, s9
	s_cbranch_execnz .LBB370_75
.LBB370_67:                             ;   in Loop: Header=BB370_65 Depth=2
	s_or_b32 exec_lo, exec_lo, s11
	s_and_saveexec_b32 s9, s1
.LBB370_68:                             ;   in Loop: Header=BB370_65 Depth=2
	v_dual_mov_b32 v1, v0 :: v_dual_mov_b32 v2, v0
	v_mov_b32_e32 v3, v0
	ds_store_b128 v50, v[0:3]
.LBB370_69:                             ;   in Loop: Header=BB370_65 Depth=2
	s_wait_alu 0xfffe
	s_or_b32 exec_lo, exec_lo, s9
	s_wait_dscnt 0x0
	ds_bpermute_b32 v1, v25, v8
	ds_bpermute_b32 v2, v25, v9
	;; [unrolled: 1-line block ×4, first 2 shown]
	s_wait_storecnt 0x0
	s_wait_loadcnt_dscnt 0x0
	s_barrier_signal -1
	s_barrier_wait -1
	global_inv scope:SCOPE_SE
	v_add_f64_e32 v[1:2], v[8:9], v[1:2]
	v_add_f64_e32 v[8:9], v[10:11], v[20:21]
	ds_bpermute_b32 v10, v22, v1
	ds_bpermute_b32 v11, v22, v2
	ds_bpermute_b32 v20, v22, v8
	ds_bpermute_b32 v21, v22, v9
	s_wait_dscnt 0x2
	v_add_f64_e32 v[1:2], v[1:2], v[10:11]
	s_wait_dscnt 0x0
	v_add_f64_e32 v[8:9], v[8:9], v[20:21]
	ds_bpermute_b32 v10, v23, v1
	ds_bpermute_b32 v11, v23, v2
	ds_bpermute_b32 v20, v23, v8
	ds_bpermute_b32 v21, v23, v9
	s_wait_dscnt 0x2
	v_add_f64_e32 v[1:2], v[1:2], v[10:11]
	s_wait_dscnt 0x0
	v_add_f64_e32 v[8:9], v[8:9], v[20:21]
	ds_bpermute_b32 v10, v40, v1
	ds_bpermute_b32 v11, v40, v2
	ds_bpermute_b32 v20, v40, v8
	ds_bpermute_b32 v21, v40, v9
	s_wait_dscnt 0x2
	v_add_f64_e32 v[1:2], v[1:2], v[10:11]
	s_wait_dscnt 0x0
	v_add_f64_e32 v[10:11], v[8:9], v[20:21]
	ds_bpermute_b32 v8, v41, v1
	ds_bpermute_b32 v9, v41, v2
	;; [unrolled: 1-line block ×4, first 2 shown]
	s_and_saveexec_b32 s9, s3
	s_cbranch_execz .LBB370_71
; %bb.70:                               ;   in Loop: Header=BB370_65 Depth=2
	s_wait_dscnt 0x0
	v_add_f64_e32 v[10:11], v[10:11], v[20:21]
	v_add_f64_e32 v[8:9], v[1:2], v[8:9]
	ds_store_b128 v51, v[8:11]
.LBB370_71:                             ;   in Loop: Header=BB370_65 Depth=2
	s_wait_alu 0xfffe
	s_or_b32 exec_lo, exec_lo, s9
	v_mov_b32_e32 v10, 0
	s_wait_dscnt 0x2
	v_dual_mov_b32 v11, 0 :: v_dual_mov_b32 v8, 0
	v_mov_b32_e32 v9, 0
	s_wait_loadcnt_dscnt 0x0
	s_barrier_signal -1
	s_barrier_wait -1
	global_inv scope:SCOPE_SE
	s_and_saveexec_b32 s9, s2
	s_cbranch_execnz .LBB370_81
; %bb.72:                               ;   in Loop: Header=BB370_65 Depth=2
	s_wait_alu 0xfffe
	s_or_b32 exec_lo, exec_lo, s9
	s_and_saveexec_b32 s9, s1
	s_cbranch_execnz .LBB370_82
.LBB370_73:                             ;   in Loop: Header=BB370_65 Depth=2
	s_wait_alu 0xfffe
	s_or_b32 exec_lo, exec_lo, s9
	s_and_saveexec_b32 s9, s0
	s_cbranch_execz .LBB370_64
	s_branch .LBB370_83
.LBB370_74:                             ;   in Loop: Header=BB370_65 Depth=2
	s_wait_dscnt 0x0
	s_clause 0x2
	flat_load_b128 v[8:11], v[14:15]
	flat_load_b128 v[42:45], v[16:17]
	;; [unrolled: 1-line block ×3, first 2 shown]
	s_mul_i32 s46, s34, s52
	s_wait_alu 0xfffe
	s_ashr_i32 s47, s46, 31
	s_wait_alu 0xfffe
	s_lshl_b64 s[46:47], s[46:47], 4
	s_wait_alu 0xfffe
	v_add_co_u32 v1, vcc_lo, v55, s46
	s_wait_alu 0xfffd
	v_add_co_ci_u32_e64 v2, null, s47, v56, vcc_lo
	flat_load_b128 v[57:60], v[12:13]
	s_clause 0x1
	flat_load_b128 v[61:64], v[1:2]
	flat_load_b128 v[65:68], v[1:2] offset:16
	s_wait_loadcnt_dscnt 0x505
	scratch_store_b128 off, v[8:11], s59
	s_wait_loadcnt_dscnt 0x404
	scratch_store_b128 off, v[42:45], s60
	s_clause 0x1
	scratch_load_b128 v[8:11], off, off offset:16
	scratch_load_b128 v[42:45], off, off offset:32
	s_clause 0x1
	flat_load_b128 v[69:72], v[1:2] offset:32
	flat_load_b128 v[73:76], v[1:2] offset:48
	s_wait_loadcnt_dscnt 0x705
	scratch_store_b128 off, v[46:49], s26
	scratch_load_b128 v[46:49], off, off offset:48
	s_wait_loadcnt_dscnt 0x704
	scratch_store_b128 off, v[57:60], off
	s_wait_loadcnt_dscnt 0x603
	v_mul_f64_e32 v[1:2], v[63:64], v[59:60]
	v_mul_f64_e32 v[20:21], v[63:64], v[57:58]
	s_delay_alu instid0(VALU_DEP_2) | instskip(NEXT) | instid1(VALU_DEP_2)
	v_fma_f64 v[1:2], v[61:62], v[57:58], v[1:2]
	v_fma_f64 v[20:21], v[61:62], v[59:60], -v[20:21]
	s_delay_alu instid0(VALU_DEP_2) | instskip(NEXT) | instid1(VALU_DEP_2)
	v_add_f64_e32 v[1:2], 0, v[1:2]
	v_add_f64_e32 v[20:21], 0, v[20:21]
	s_wait_loadcnt_dscnt 0x402
	v_mul_f64_e32 v[61:62], v[67:68], v[10:11]
	v_mul_f64_e32 v[63:64], v[67:68], v[8:9]
	s_wait_loadcnt_dscnt 0x201
	v_mul_f64_e32 v[67:68], v[71:72], v[44:45]
	v_mul_f64_e32 v[71:72], v[71:72], v[42:43]
	s_delay_alu instid0(VALU_DEP_4) | instskip(NEXT) | instid1(VALU_DEP_4)
	v_fma_f64 v[8:9], v[65:66], v[8:9], v[61:62]
	v_fma_f64 v[10:11], v[65:66], v[10:11], -v[63:64]
	s_wait_loadcnt_dscnt 0x0
	v_mul_f64_e32 v[61:62], v[75:76], v[48:49]
	v_mul_f64_e32 v[63:64], v[75:76], v[46:47]
	v_fma_f64 v[42:43], v[69:70], v[42:43], v[67:68]
	v_fma_f64 v[44:45], v[69:70], v[44:45], -v[71:72]
	v_add_f64_e32 v[1:2], v[1:2], v[8:9]
	v_add_f64_e32 v[8:9], v[20:21], v[10:11]
	v_fma_f64 v[10:11], v[73:74], v[46:47], v[61:62]
	v_fma_f64 v[20:21], v[73:74], v[48:49], -v[63:64]
	s_delay_alu instid0(VALU_DEP_4) | instskip(NEXT) | instid1(VALU_DEP_4)
	v_add_f64_e32 v[1:2], v[1:2], v[42:43]
	v_add_f64_e32 v[42:43], v[8:9], v[44:45]
	s_delay_alu instid0(VALU_DEP_2) | instskip(NEXT) | instid1(VALU_DEP_2)
	v_add_f64_e32 v[8:9], v[1:2], v[10:11]
	v_add_f64_e32 v[10:11], v[42:43], v[20:21]
	s_and_not1_saveexec_b32 s11, s9
	s_cbranch_execz .LBB370_67
.LBB370_75:                             ;   in Loop: Header=BB370_65 Depth=2
	s_wait_dscnt 0x0
	v_mov_b32_e32 v8, 0
	v_dual_mov_b32 v9, 0 :: v_dual_mov_b32 v10, 0
	v_mov_b32_e32 v11, 0
	s_and_saveexec_b32 s46, s25
	s_cbranch_execz .LBB370_80
; %bb.76:                               ;   in Loop: Header=BB370_65 Depth=2
	v_mov_b32_e32 v1, v24
	s_mov_b32 s9, 0
	s_mov_b32 s47, s56
.LBB370_77:                             ;   Parent Loop BB370_3 Depth=1
                                        ;     Parent Loop BB370_65 Depth=2
                                        ; =>    This Inner Loop Header: Depth=3
	s_delay_alu instid0(VALU_DEP_1) | instskip(SKIP_2) | instid1(VALU_DEP_1)
	v_ashrrev_i32_e32 v2, 31, v1
	s_wait_alu 0xfffe
	s_add_co_i32 s47, s47, -1
	v_lshlrev_b64_e32 v[2:3], 4, v[1:2]
	v_add_nc_u32_e32 v1, s53, v1
	s_delay_alu instid0(VALU_DEP_2) | instskip(SKIP_1) | instid1(VALU_DEP_3)
	v_add_co_u32 v2, vcc_lo, v36, v2
	s_wait_alu 0xfffd
	v_add_co_ci_u32_e64 v3, null, v37, v3, vcc_lo
	flat_load_b128 v[8:11], v[2:3]
	s_wait_loadcnt_dscnt 0x0
	scratch_store_b128 off, v[8:11], s9
	s_add_co_i32 s9, s9, 16
	s_wait_alu 0xfffe
	s_cmp_eq_u32 s47, 0
	s_cbranch_scc0 .LBB370_77
; %bb.78:                               ;   in Loop: Header=BB370_65 Depth=2
	s_ashr_i32 s9, s8, 31
	v_mov_b32_e32 v8, 0
	s_wait_alu 0xfffe
	s_lshl_b64 s[48:49], s[8:9], 4
	v_dual_mov_b32 v9, 0 :: v_dual_mov_b32 v10, 0
	s_wait_alu 0xfffe
	v_add_co_u32 v1, vcc_lo, v38, s48
	v_mov_b32_e32 v11, 0
	s_wait_alu 0xfffd
	v_add_co_ci_u32_e64 v2, null, s49, v39, vcc_lo
	s_mov_b32 s9, s61
	s_mov_b32 s47, s56
.LBB370_79:                             ;   Parent Loop BB370_3 Depth=1
                                        ;     Parent Loop BB370_65 Depth=2
                                        ; =>    This Inner Loop Header: Depth=3
	flat_load_b128 v[42:45], v[1:2] offset:-8
	scratch_load_b128 v[46:49], off, s9 offset:-8
	v_add_co_u32 v1, vcc_lo, v1, 16
	s_wait_alu 0xfffd
	v_add_co_ci_u32_e64 v2, null, 0, v2, vcc_lo
	s_wait_alu 0xfffe
	s_add_co_i32 s47, s47, -1
	s_add_co_i32 s9, s9, 16
	s_wait_alu 0xfffe
	s_cmp_lg_u32 s47, 0
	s_wait_loadcnt_dscnt 0x0
	v_mul_f64_e32 v[20:21], v[44:45], v[48:49]
	v_mul_f64_e32 v[44:45], v[44:45], v[46:47]
	s_delay_alu instid0(VALU_DEP_2) | instskip(NEXT) | instid1(VALU_DEP_2)
	v_fma_f64 v[20:21], v[42:43], v[46:47], v[20:21]
	v_fma_f64 v[42:43], v[42:43], v[48:49], -v[44:45]
	s_delay_alu instid0(VALU_DEP_2) | instskip(NEXT) | instid1(VALU_DEP_2)
	v_add_f64_e32 v[8:9], v[8:9], v[20:21]
	v_add_f64_e32 v[10:11], v[10:11], v[42:43]
	s_cbranch_scc1 .LBB370_79
.LBB370_80:                             ;   in Loop: Header=BB370_65 Depth=2
	s_wait_alu 0xfffe
	s_or_b32 exec_lo, exec_lo, s46
	s_delay_alu instid0(SALU_CYCLE_1)
	s_or_b32 exec_lo, exec_lo, s11
	s_and_saveexec_b32 s9, s1
	s_cbranch_execnz .LBB370_68
	s_branch .LBB370_69
.LBB370_81:                             ;   in Loop: Header=BB370_65 Depth=2
	ds_load_b128 v[8:11], v50
	s_wait_alu 0xfffe
	s_or_b32 exec_lo, exec_lo, s9
	s_and_saveexec_b32 s9, s1
	s_cbranch_execz .LBB370_73
.LBB370_82:                             ;   in Loop: Header=BB370_65 Depth=2
	s_wait_dscnt 0x0
	ds_bpermute_b32 v1, v23, v8
	ds_bpermute_b32 v2, v23, v9
	ds_bpermute_b32 v20, v23, v10
	ds_bpermute_b32 v21, v23, v11
	s_wait_dscnt 0x2
	v_add_f64_e32 v[1:2], v[8:9], v[1:2]
	s_wait_dscnt 0x0
	v_add_f64_e32 v[8:9], v[10:11], v[20:21]
	ds_bpermute_b32 v10, v40, v1
	ds_bpermute_b32 v11, v40, v2
	ds_bpermute_b32 v20, v40, v8
	ds_bpermute_b32 v21, v40, v9
	s_wait_dscnt 0x2
	v_add_f64_e32 v[1:2], v[1:2], v[10:11]
	s_wait_dscnt 0x0
	v_add_f64_e32 v[10:11], v[8:9], v[20:21]
	;; [unrolled: 8-line block ×3, first 2 shown]
	s_wait_alu 0xfffe
	s_or_b32 exec_lo, exec_lo, s9
	s_and_saveexec_b32 s9, s0
	s_cbranch_execz .LBB370_64
.LBB370_83:                             ;   in Loop: Header=BB370_65 Depth=2
	s_wait_dscnt 0x0
	s_delay_alu instid0(VALU_DEP_1)
	v_mul_f64_e32 v[1:2], v[6:7], v[10:11]
	v_mul_f64_e32 v[10:11], v[4:5], v[10:11]
	s_mul_u64 s[46:47], s[34:35], s[28:29]
	s_wait_alu 0xfffe
	s_lshl_b64 s[46:47], s[46:47], 4
	s_wait_alu 0xfffe
	s_add_nc_u64 s[46:47], s[6:7], s[46:47]
	s_delay_alu instid0(VALU_DEP_2) | instskip(NEXT) | instid1(VALU_DEP_2)
	v_fma_f64 v[42:43], v[4:5], v[8:9], -v[1:2]
	v_fma_f64 v[44:45], v[6:7], v[8:9], v[10:11]
	global_store_b128 v0, v[42:45], s[46:47]
	s_branch .LBB370_64
.LBB370_84:
	s_endpgm
	.section	.rodata,"a",@progbits
	.p2align	6, 0x0
	.amdhsa_kernel _ZL23rocblas_gemvt_sn_kernelILb1ELi256ELi4EiPK19rocblas_complex_numIdES3_S1_EviiT4_lPKT3_lilS7_lilPT5_i
		.amdhsa_group_segment_fixed_size 512
		.amdhsa_private_segment_fixed_size 80
		.amdhsa_kernarg_size 360
		.amdhsa_user_sgpr_count 2
		.amdhsa_user_sgpr_dispatch_ptr 0
		.amdhsa_user_sgpr_queue_ptr 0
		.amdhsa_user_sgpr_kernarg_segment_ptr 1
		.amdhsa_user_sgpr_dispatch_id 0
		.amdhsa_user_sgpr_private_segment_size 0
		.amdhsa_wavefront_size32 1
		.amdhsa_uses_dynamic_stack 0
		.amdhsa_enable_private_segment 1
		.amdhsa_system_sgpr_workgroup_id_x 1
		.amdhsa_system_sgpr_workgroup_id_y 0
		.amdhsa_system_sgpr_workgroup_id_z 1
		.amdhsa_system_sgpr_workgroup_info 0
		.amdhsa_system_vgpr_workitem_id 0
		.amdhsa_next_free_vgpr 89
		.amdhsa_next_free_sgpr 76
		.amdhsa_reserve_vcc 1
		.amdhsa_float_round_mode_32 0
		.amdhsa_float_round_mode_16_64 0
		.amdhsa_float_denorm_mode_32 3
		.amdhsa_float_denorm_mode_16_64 3
		.amdhsa_fp16_overflow 0
		.amdhsa_workgroup_processor_mode 1
		.amdhsa_memory_ordered 1
		.amdhsa_forward_progress 1
		.amdhsa_inst_pref_size 58
		.amdhsa_round_robin_scheduling 0
		.amdhsa_exception_fp_ieee_invalid_op 0
		.amdhsa_exception_fp_denorm_src 0
		.amdhsa_exception_fp_ieee_div_zero 0
		.amdhsa_exception_fp_ieee_overflow 0
		.amdhsa_exception_fp_ieee_underflow 0
		.amdhsa_exception_fp_ieee_inexact 0
		.amdhsa_exception_int_div_zero 0
	.end_amdhsa_kernel
	.section	.text._ZL23rocblas_gemvt_sn_kernelILb1ELi256ELi4EiPK19rocblas_complex_numIdES3_S1_EviiT4_lPKT3_lilS7_lilPT5_i,"axG",@progbits,_ZL23rocblas_gemvt_sn_kernelILb1ELi256ELi4EiPK19rocblas_complex_numIdES3_S1_EviiT4_lPKT3_lilS7_lilPT5_i,comdat
.Lfunc_end370:
	.size	_ZL23rocblas_gemvt_sn_kernelILb1ELi256ELi4EiPK19rocblas_complex_numIdES3_S1_EviiT4_lPKT3_lilS7_lilPT5_i, .Lfunc_end370-_ZL23rocblas_gemvt_sn_kernelILb1ELi256ELi4EiPK19rocblas_complex_numIdES3_S1_EviiT4_lPKT3_lilS7_lilPT5_i
                                        ; -- End function
	.set _ZL23rocblas_gemvt_sn_kernelILb1ELi256ELi4EiPK19rocblas_complex_numIdES3_S1_EviiT4_lPKT3_lilS7_lilPT5_i.num_vgpr, 89
	.set _ZL23rocblas_gemvt_sn_kernelILb1ELi256ELi4EiPK19rocblas_complex_numIdES3_S1_EviiT4_lPKT3_lilS7_lilPT5_i.num_agpr, 0
	.set _ZL23rocblas_gemvt_sn_kernelILb1ELi256ELi4EiPK19rocblas_complex_numIdES3_S1_EviiT4_lPKT3_lilS7_lilPT5_i.numbered_sgpr, 76
	.set _ZL23rocblas_gemvt_sn_kernelILb1ELi256ELi4EiPK19rocblas_complex_numIdES3_S1_EviiT4_lPKT3_lilS7_lilPT5_i.num_named_barrier, 0
	.set _ZL23rocblas_gemvt_sn_kernelILb1ELi256ELi4EiPK19rocblas_complex_numIdES3_S1_EviiT4_lPKT3_lilS7_lilPT5_i.private_seg_size, 80
	.set _ZL23rocblas_gemvt_sn_kernelILb1ELi256ELi4EiPK19rocblas_complex_numIdES3_S1_EviiT4_lPKT3_lilS7_lilPT5_i.uses_vcc, 1
	.set _ZL23rocblas_gemvt_sn_kernelILb1ELi256ELi4EiPK19rocblas_complex_numIdES3_S1_EviiT4_lPKT3_lilS7_lilPT5_i.uses_flat_scratch, 1
	.set _ZL23rocblas_gemvt_sn_kernelILb1ELi256ELi4EiPK19rocblas_complex_numIdES3_S1_EviiT4_lPKT3_lilS7_lilPT5_i.has_dyn_sized_stack, 0
	.set _ZL23rocblas_gemvt_sn_kernelILb1ELi256ELi4EiPK19rocblas_complex_numIdES3_S1_EviiT4_lPKT3_lilS7_lilPT5_i.has_recursion, 0
	.set _ZL23rocblas_gemvt_sn_kernelILb1ELi256ELi4EiPK19rocblas_complex_numIdES3_S1_EviiT4_lPKT3_lilS7_lilPT5_i.has_indirect_call, 0
	.section	.AMDGPU.csdata,"",@progbits
; Kernel info:
; codeLenInByte = 7372
; TotalNumSgprs: 78
; NumVgprs: 89
; ScratchSize: 80
; MemoryBound: 0
; FloatMode: 240
; IeeeMode: 1
; LDSByteSize: 512 bytes/workgroup (compile time only)
; SGPRBlocks: 0
; VGPRBlocks: 11
; NumSGPRsForWavesPerEU: 78
; NumVGPRsForWavesPerEU: 89
; Occupancy: 16
; WaveLimiterHint : 0
; COMPUTE_PGM_RSRC2:SCRATCH_EN: 1
; COMPUTE_PGM_RSRC2:USER_SGPR: 2
; COMPUTE_PGM_RSRC2:TRAP_HANDLER: 0
; COMPUTE_PGM_RSRC2:TGID_X_EN: 1
; COMPUTE_PGM_RSRC2:TGID_Y_EN: 0
; COMPUTE_PGM_RSRC2:TGID_Z_EN: 1
; COMPUTE_PGM_RSRC2:TIDIG_COMP_CNT: 0
	.section	.text._ZL23rocblas_gemvt_sn_kernelILb1ELi256ELi4ElPK19rocblas_complex_numIdES3_S1_EviiT4_lPKT3_lilS7_lilPT5_i,"axG",@progbits,_ZL23rocblas_gemvt_sn_kernelILb1ELi256ELi4ElPK19rocblas_complex_numIdES3_S1_EviiT4_lPKT3_lilS7_lilPT5_i,comdat
	.globl	_ZL23rocblas_gemvt_sn_kernelILb1ELi256ELi4ElPK19rocblas_complex_numIdES3_S1_EviiT4_lPKT3_lilS7_lilPT5_i ; -- Begin function _ZL23rocblas_gemvt_sn_kernelILb1ELi256ELi4ElPK19rocblas_complex_numIdES3_S1_EviiT4_lPKT3_lilS7_lilPT5_i
	.p2align	8
	.type	_ZL23rocblas_gemvt_sn_kernelILb1ELi256ELi4ElPK19rocblas_complex_numIdES3_S1_EviiT4_lPKT3_lilS7_lilPT5_i,@function
_ZL23rocblas_gemvt_sn_kernelILb1ELi256ELi4ElPK19rocblas_complex_numIdES3_S1_EviiT4_lPKT3_lilS7_lilPT5_i: ; @_ZL23rocblas_gemvt_sn_kernelILb1ELi256ELi4ElPK19rocblas_complex_numIdES3_S1_EviiT4_lPKT3_lilS7_lilPT5_i
; %bb.0:
	s_load_b32 s33, s[0:1], 0x60
	s_lshr_b32 s10, ttmp7, 16
	s_wait_kmcnt 0x0
	s_cmp_ge_u32 s10, s33
	s_cbranch_scc1 .LBB371_84
; %bb.1:
	s_clause 0x6
	s_load_b32 s26, s[0:1], 0x28
	s_load_b32 s6, s[0:1], 0x48
	s_load_b64 s[28:29], s[0:1], 0x0
	s_load_b32 s30, s[0:1], 0x68
	s_load_b256 s[12:19], s[0:1], 0x8
	s_load_b128 s[20:23], s[0:1], 0x38
	s_load_b64 s[34:35], s[0:1], 0x58
	s_mov_b32 s25, 0
	v_cmp_eq_u32_e64 s0, 0, v0
	s_mov_b32 s31, s25
	v_and_b32_e32 v3, 31, v0
	v_cmp_gt_u32_e64 s5, 8, v0
	v_mbcnt_lo_u32_b32 v56, -1, 0
	s_mov_b32 s24, ttmp9
	s_mov_b32 s59, 32
	s_mov_b32 s60, 48
	s_delay_alu instid0(VALU_DEP_1)
	v_lshl_or_b32 v57, v56, 2, 64
	s_wait_kmcnt 0x0
	s_ashr_i32 s27, s26, 31
	s_ashr_i32 s7, s6, 31
	;; [unrolled: 1-line block ×3, first 2 shown]
	s_mov_b32 s2, s29
	s_cmp_gt_i32 s29, 0
	s_mul_u64 s[36:37], s[2:3], s[30:31]
	s_cselect_b32 s1, -1, 0
	s_lshl_b32 s2, ttmp9, 10
	s_ashr_i32 s4, s28, 31
	v_lshl_or_b32 v1, v0, 2, s2
	s_and_b32 s54, s0, s1
	s_lshr_b32 s1, s4, 30
	s_lshr_b32 s3, s3, 30
	s_add_co_i32 s1, s28, s1
	v_ashrrev_i32_e32 v2, 31, v1
	s_and_b32 s1, s1, -4
	s_wait_alu 0xfffe
	s_add_co_i32 s2, s29, s3
	s_sub_co_i32 s56, s28, s1
	v_cmp_gt_u32_e64 s3, 32, v0
	v_lshlrev_b64_e32 v[24:25], 4, v[1:2]
	v_add_nc_u32_e32 v4, 4, v1
	v_add_nc_u32_e32 v5, s56, v1
	s_wait_alu 0xfffe
	s_and_b32 s55, s2, -4
	v_or_b32_e32 v7, 2, v1
	s_cmp_gt_i32 s55, 0
	v_mov_b32_e32 v55, v25
	v_cmp_ge_i32_e64 s1, s28, v4
	v_lshrrev_b32_e32 v4, 1, v0
	v_or_b32_e32 v0, 1, v1
	v_cmp_ge_i32_e64 s2, s28, v5
	v_mad_co_i64_i32 v[7:8], null, s6, v7, 0
	s_delay_alu instid0(VALU_DEP_4) | instskip(NEXT) | instid1(VALU_DEP_4)
	v_and_b32_e32 v53, 0x70, v4
	v_mad_co_i64_i32 v[5:6], null, s6, v0, 0
	v_or_b32_e32 v0, 3, v1
	s_cselect_b32 s57, -1, 0
	s_cmp_gt_i32 s56, 0
	s_delay_alu instid0(VALU_DEP_4)
	v_lshlrev_b64_e32 v[30:31], 4, v[7:8]
	s_cselect_b32 s58, -1, 0
	v_mad_co_i64_i32 v[9:10], null, s6, v0, 0
	v_mov_b32_e32 v0, 0
	v_cmp_eq_u32_e64 s4, 0, v3
	v_lshlrev_b32_e32 v52, 4, v3
	v_mad_co_i64_i32 v[3:4], null, s6, v1, 0
	s_lshl_b64 s[38:39], s[24:25], 4
	v_lshlrev_b64_e32 v[28:29], 4, v[5:6]
	v_lshlrev_b64_e32 v[32:33], 4, v[9:10]
	v_or_b32_e32 v54, 8, v24
	s_add_nc_u64 s[8:9], s[34:35], s[38:39]
	s_mov_b32 s28, 16
	v_lshlrev_b64_e32 v[26:27], 4, v[3:4]
	s_or_b32 s61, 0, 8
	s_and_b32 s62, s58, s2
	s_add_nc_u64 s[40:41], s[8:9], 8
	s_lshl_b64 s[42:43], s[36:37], 4
	s_lshl_b64 s[44:45], s[30:31], 4
	;; [unrolled: 1-line block ×7, first 2 shown]
	s_branch .LBB371_3
.LBB371_2:                              ;   in Loop: Header=BB371_3 Depth=1
	s_add_co_i32 s10, s10, 0x10000
	s_delay_alu instid0(SALU_CYCLE_1)
	s_cmp_lt_u32 s10, s33
	s_cbranch_scc0 .LBB371_84
.LBB371_3:                              ; =>This Loop Header: Depth=1
                                        ;     Child Loop BB371_11 Depth 2
                                        ;     Child Loop BB371_16 Depth 2
                                        ;       Child Loop BB371_47 Depth 3
                                        ;       Child Loop BB371_49 Depth 3
                                        ;     Child Loop BB371_65 Depth 2
                                        ;       Child Loop BB371_77 Depth 3
                                        ;       Child Loop BB371_79 Depth 3
	s_mov_b32 s11, s25
	v_mov_b32_e32 v36, 0
	s_mul_u64 s[6:7], s[14:15], s[10:11]
	v_dual_mov_b32 v37, 0 :: v_dual_mov_b32 v38, 0
	s_wait_alu 0xfffe
	s_lshl_b64 s[6:7], s[6:7], 4
	v_mov_b32_e32 v39, 0
	s_wait_alu 0xfffe
	s_add_nc_u64 s[6:7], s[12:13], s[6:7]
	global_load_b128 v[4:7], v0, s[6:7]
	s_wait_loadcnt 0x0
	v_cmp_neq_f64_e32 vcc_lo, 0, v[4:5]
	v_cmp_neq_f64_e64 s6, 0, v[6:7]
	s_wait_alu 0xfffe
	s_or_b32 s7, vcc_lo, s6
	s_wait_alu 0xfffe
	s_xor_b32 s6, s7, -1
	s_wait_alu 0xfffe
	s_and_b32 vcc_lo, exec_lo, s6
	s_wait_alu 0xfffe
	s_cbranch_vccz .LBB371_7
; %bb.4:                                ;   in Loop: Header=BB371_3 Depth=1
	s_and_not1_b32 vcc_lo, exec_lo, s7
	s_wait_alu 0xfffe
	s_cbranch_vccz .LBB371_8
.LBB371_5:                              ;   in Loop: Header=BB371_3 Depth=1
	s_and_not1_b32 vcc_lo, exec_lo, s6
	s_mov_b32 s6, -1
	s_wait_alu 0xfffe
	s_cbranch_vccz .LBB371_9
.LBB371_6:                              ;   in Loop: Header=BB371_3 Depth=1
	s_wait_alu 0xfffe
	s_and_not1_b32 vcc_lo, exec_lo, s6
	s_wait_alu 0xfffe
	s_cbranch_vccnz .LBB371_2
	s_branch .LBB371_13
.LBB371_7:                              ;   in Loop: Header=BB371_3 Depth=1
	s_lshl_b64 s[8:9], s[10:11], 3
	s_wait_alu 0xfffe
	s_add_nc_u64 s[8:9], s[16:17], s[8:9]
	global_load_b64 v[1:2], v0, s[8:9]
	s_wait_loadcnt 0x0
	v_add_co_u32 v38, vcc_lo, v1, s18
	s_wait_alu 0xfffd
	v_add_co_ci_u32_e64 v39, null, s19, v2, vcc_lo
	s_and_not1_b32 vcc_lo, exec_lo, s7
	s_wait_alu 0xfffe
	s_cbranch_vccnz .LBB371_5
.LBB371_8:                              ;   in Loop: Header=BB371_3 Depth=1
	s_lshl_b64 s[8:9], s[10:11], 3
	s_wait_alu 0xfffe
	s_add_nc_u64 s[8:9], s[20:21], s[8:9]
	global_load_b64 v[1:2], v0, s[8:9]
	s_wait_loadcnt 0x0
	v_add_co_u32 v36, vcc_lo, v1, s22
	s_wait_alu 0xfffd
	v_add_co_ci_u32_e64 v37, null, s23, v2, vcc_lo
	s_and_not1_b32 vcc_lo, exec_lo, s6
	s_mov_b32 s6, -1
	s_wait_alu 0xfffe
	s_cbranch_vccnz .LBB371_6
.LBB371_9:                              ;   in Loop: Header=BB371_3 Depth=1
	s_and_saveexec_b32 s8, s54
	s_cbranch_execz .LBB371_12
; %bb.10:                               ;   in Loop: Header=BB371_3 Depth=1
	s_mul_u64 s[6:7], s[42:43], s[10:11]
	s_mov_b32 s9, s29
	s_wait_alu 0xfffe
	s_add_nc_u64 s[6:7], s[40:41], s[6:7]
.LBB371_11:                             ;   Parent Loop BB371_3 Depth=1
                                        ; =>  This Inner Loop Header: Depth=2
	v_dual_mov_b32 v1, v0 :: v_dual_mov_b32 v2, v0
	v_mov_b32_e32 v3, v0
	s_add_co_i32 s9, s9, -1
	s_wait_alu 0xfffe
	s_cmp_eq_u32 s9, 0
	global_store_b128 v0, v[0:3], s[6:7] offset:-8
	s_add_nc_u64 s[6:7], s[6:7], s[44:45]
	s_cbranch_scc0 .LBB371_11
.LBB371_12:                             ;   in Loop: Header=BB371_3 Depth=1
	s_wait_alu 0xfffe
	s_or_b32 exec_lo, exec_lo, s8
	s_cbranch_execnz .LBB371_2
.LBB371_13:                             ;   in Loop: Header=BB371_3 Depth=1
	s_mul_u64 s[6:7], s[36:37], s[10:11]
	v_add_co_u32 v34, vcc_lo, v38, v24
	s_wait_alu 0xfffe
	s_lshl_b64 s[52:53], s[6:7], 4
	s_wait_alu 0xfffd
	v_add_co_ci_u32_e64 v35, null, v39, v25, vcc_lo
	v_cmp_gt_u32_e64 s9, 24, v56
	v_cmp_gt_u32_e64 s8, 28, v56
	;; [unrolled: 1-line block ×3, first 2 shown]
	v_cmp_ne_u32_e64 s6, 31, v56
	s_add_nc_u64 s[52:53], s[34:35], s[52:53]
	s_and_not1_b32 vcc_lo, exec_lo, s57
	s_add_nc_u64 s[52:53], s[52:53], s[38:39]
	s_wait_alu 0xfffe
	s_cbranch_vccnz .LBB371_61
; %bb.14:                               ;   in Loop: Header=BB371_3 Depth=1
	v_add_co_u32 v40, vcc_lo, v36, v26
	s_wait_alu 0xfffd
	v_add_co_ci_u32_e64 v41, null, v37, v27, vcc_lo
	v_add_co_u32 v42, vcc_lo, v36, v28
	v_cndmask_b32_e64 v1, 0, 8, s9
	v_cndmask_b32_e64 v2, 0, 4, s8
	;; [unrolled: 1-line block ×3, first 2 shown]
	s_wait_dscnt 0x0
	v_add_co_ci_u32_e64 v8, null, 0, v56, s6
	s_wait_alu 0xfffd
	v_add_co_ci_u32_e64 v43, null, v37, v29, vcc_lo
	v_add_co_u32 v44, vcc_lo, v36, v30
	s_wait_alu 0xfffd
	v_add_co_ci_u32_e64 v45, null, v37, v31, vcc_lo
	v_add_co_u32 v46, vcc_lo, v36, v32
	v_mov_b32_e32 v49, v35
	v_add_lshl_u32 v58, v1, v56, 2
	v_add_lshl_u32 v59, v2, v56, 2
	;; [unrolled: 1-line block ×3, first 2 shown]
	v_dual_mov_b32 v48, v34 :: v_dual_lshlrev_b32 v61, 2, v8
	s_wait_alu 0xfffd
	v_add_co_ci_u32_e64 v47, null, v37, v33, vcc_lo
	s_mov_b32 s24, 0
	s_branch .LBB371_16
.LBB371_15:                             ;   in Loop: Header=BB371_16 Depth=2
	s_wait_alu 0xfffe
	s_or_b32 exec_lo, exec_lo, s6
	v_add_co_u32 v48, vcc_lo, v48, s48
	s_wait_alu 0xfffd
	v_add_co_ci_u32_e64 v49, null, s49, v49, vcc_lo
	s_add_co_i32 s24, s24, 4
	s_wait_alu 0xfffe
	s_cmp_ge_i32 s24, s55
	s_cbranch_scc1 .LBB371_62
.LBB371_16:                             ;   Parent Loop BB371_3 Depth=1
                                        ; =>  This Loop Header: Depth=2
                                        ;       Child Loop BB371_47 Depth 3
                                        ;       Child Loop BB371_49 Depth 3
                                        ; implicit-def: $vgpr20_vgpr21
                                        ; implicit-def: $vgpr22_vgpr23
                                        ; implicit-def: $vgpr16_vgpr17
                                        ; implicit-def: $vgpr18_vgpr19
                                        ; implicit-def: $vgpr12_vgpr13
                                        ; implicit-def: $vgpr14_vgpr15
                                        ; implicit-def: $vgpr10_vgpr11
                                        ; implicit-def: $vgpr8_vgpr9
	s_and_saveexec_b32 s6, s1
	s_wait_alu 0xfffe
	s_xor_b32 s6, exec_lo, s6
	s_cbranch_execnz .LBB371_43
; %bb.17:                               ;   in Loop: Header=BB371_16 Depth=2
	s_wait_alu 0xfffe
	s_and_not1_saveexec_b32 s6, s6
	s_cbranch_execnz .LBB371_44
.LBB371_18:                             ;   in Loop: Header=BB371_16 Depth=2
	s_wait_alu 0xfffe
	s_or_b32 exec_lo, exec_lo, s6
	s_and_saveexec_b32 s6, s3
.LBB371_19:                             ;   in Loop: Header=BB371_16 Depth=2
	v_dual_mov_b32 v1, v0 :: v_dual_mov_b32 v2, v0
	v_mov_b32_e32 v3, v0
	ds_store_b128 v52, v[0:3]
.LBB371_20:                             ;   in Loop: Header=BB371_16 Depth=2
	s_wait_alu 0xfffe
	s_or_b32 exec_lo, exec_lo, s6
	ds_bpermute_b32 v1, v57, v10
	ds_bpermute_b32 v2, v57, v11
	;; [unrolled: 1-line block ×4, first 2 shown]
	s_wait_storecnt_dscnt 0x0
	s_barrier_signal -1
	s_barrier_wait -1
	global_inv scope:SCOPE_SE
	v_add_f64_e32 v[1:2], v[10:11], v[1:2]
	v_add_f64_e32 v[8:9], v[8:9], v[50:51]
	ds_bpermute_b32 v10, v58, v1
	ds_bpermute_b32 v11, v58, v2
	ds_bpermute_b32 v50, v58, v8
	ds_bpermute_b32 v51, v58, v9
	s_wait_dscnt 0x2
	v_add_f64_e32 v[1:2], v[1:2], v[10:11]
	s_wait_dscnt 0x0
	v_add_f64_e32 v[8:9], v[8:9], v[50:51]
	ds_bpermute_b32 v10, v59, v1
	ds_bpermute_b32 v11, v59, v2
	ds_bpermute_b32 v50, v59, v8
	ds_bpermute_b32 v51, v59, v9
	s_wait_dscnt 0x2
	v_add_f64_e32 v[1:2], v[1:2], v[10:11]
	s_wait_dscnt 0x0
	;; [unrolled: 8-line block ×3, first 2 shown]
	v_add_f64_e32 v[10:11], v[8:9], v[50:51]
	ds_bpermute_b32 v8, v61, v1
	ds_bpermute_b32 v9, v61, v2
	;; [unrolled: 1-line block ×4, first 2 shown]
	s_and_saveexec_b32 s6, s4
	s_cbranch_execz .LBB371_22
; %bb.21:                               ;   in Loop: Header=BB371_16 Depth=2
	s_wait_dscnt 0x0
	v_add_f64_e32 v[10:11], v[10:11], v[50:51]
	v_add_f64_e32 v[8:9], v[1:2], v[8:9]
	ds_store_b128 v53, v[8:11]
.LBB371_22:                             ;   in Loop: Header=BB371_16 Depth=2
	s_wait_alu 0xfffe
	s_or_b32 exec_lo, exec_lo, s6
	v_mov_b32_e32 v10, 0
	s_wait_dscnt 0x2
	v_dual_mov_b32 v11, 0 :: v_dual_mov_b32 v8, 0
	v_mov_b32_e32 v9, 0
	s_wait_loadcnt_dscnt 0x0
	s_barrier_signal -1
	s_barrier_wait -1
	global_inv scope:SCOPE_SE
	s_and_saveexec_b32 s6, s5
	s_cbranch_execnz .LBB371_50
; %bb.23:                               ;   in Loop: Header=BB371_16 Depth=2
	s_wait_alu 0xfffe
	s_or_b32 exec_lo, exec_lo, s6
	s_and_saveexec_b32 s6, s3
	s_cbranch_execnz .LBB371_51
.LBB371_24:                             ;   in Loop: Header=BB371_16 Depth=2
	s_wait_alu 0xfffe
	s_or_b32 exec_lo, exec_lo, s6
	s_and_saveexec_b32 s6, s3
.LBB371_25:                             ;   in Loop: Header=BB371_16 Depth=2
	v_dual_mov_b32 v1, v0 :: v_dual_mov_b32 v2, v0
	v_mov_b32_e32 v3, v0
	ds_store_b128 v52, v[0:3]
.LBB371_26:                             ;   in Loop: Header=BB371_16 Depth=2
	s_wait_alu 0xfffe
	s_or_b32 exec_lo, exec_lo, s6
	ds_bpermute_b32 v1, v57, v12
	ds_bpermute_b32 v2, v57, v13
	;; [unrolled: 1-line block ×4, first 2 shown]
	s_wait_loadcnt_dscnt 0x0
	s_barrier_signal -1
	s_barrier_wait -1
	global_inv scope:SCOPE_SE
	v_add_f64_e32 v[1:2], v[12:13], v[1:2]
	v_add_f64_e32 v[12:13], v[14:15], v[50:51]
	ds_bpermute_b32 v14, v58, v1
	ds_bpermute_b32 v15, v58, v2
	ds_bpermute_b32 v50, v58, v12
	ds_bpermute_b32 v51, v58, v13
	s_wait_dscnt 0x2
	v_add_f64_e32 v[1:2], v[1:2], v[14:15]
	s_wait_dscnt 0x0
	v_add_f64_e32 v[12:13], v[12:13], v[50:51]
	ds_bpermute_b32 v14, v59, v1
	ds_bpermute_b32 v15, v59, v2
	ds_bpermute_b32 v50, v59, v12
	ds_bpermute_b32 v51, v59, v13
	s_wait_dscnt 0x2
	v_add_f64_e32 v[1:2], v[1:2], v[14:15]
	s_wait_dscnt 0x0
	v_add_f64_e32 v[12:13], v[12:13], v[50:51]
	ds_bpermute_b32 v14, v60, v1
	ds_bpermute_b32 v15, v60, v2
	ds_bpermute_b32 v50, v60, v12
	ds_bpermute_b32 v51, v60, v13
	s_wait_dscnt 0x2
	v_add_f64_e32 v[1:2], v[1:2], v[14:15]
	s_wait_dscnt 0x0
	v_add_f64_e32 v[14:15], v[12:13], v[50:51]
	ds_bpermute_b32 v12, v61, v1
	ds_bpermute_b32 v13, v61, v2
	ds_bpermute_b32 v50, v61, v14
	ds_bpermute_b32 v51, v61, v15
	s_and_saveexec_b32 s6, s4
	s_cbranch_execz .LBB371_28
; %bb.27:                               ;   in Loop: Header=BB371_16 Depth=2
	s_wait_dscnt 0x0
	v_add_f64_e32 v[14:15], v[14:15], v[50:51]
	v_add_f64_e32 v[12:13], v[1:2], v[12:13]
	ds_store_b128 v53, v[12:15]
.LBB371_28:                             ;   in Loop: Header=BB371_16 Depth=2
	s_wait_alu 0xfffe
	s_or_b32 exec_lo, exec_lo, s6
	v_mov_b32_e32 v14, 0
	s_wait_dscnt 0x2
	v_dual_mov_b32 v15, 0 :: v_dual_mov_b32 v12, 0
	v_mov_b32_e32 v13, 0
	s_wait_loadcnt_dscnt 0x0
	s_barrier_signal -1
	s_barrier_wait -1
	global_inv scope:SCOPE_SE
	s_and_saveexec_b32 s6, s5
	s_cbranch_execnz .LBB371_52
; %bb.29:                               ;   in Loop: Header=BB371_16 Depth=2
	s_wait_alu 0xfffe
	s_or_b32 exec_lo, exec_lo, s6
	s_and_saveexec_b32 s6, s3
	s_cbranch_execnz .LBB371_53
.LBB371_30:                             ;   in Loop: Header=BB371_16 Depth=2
	s_wait_alu 0xfffe
	s_or_b32 exec_lo, exec_lo, s6
	s_and_saveexec_b32 s6, s3
.LBB371_31:                             ;   in Loop: Header=BB371_16 Depth=2
	v_dual_mov_b32 v1, v0 :: v_dual_mov_b32 v2, v0
	v_mov_b32_e32 v3, v0
	ds_store_b128 v52, v[0:3]
.LBB371_32:                             ;   in Loop: Header=BB371_16 Depth=2
	s_wait_alu 0xfffe
	s_or_b32 exec_lo, exec_lo, s6
	ds_bpermute_b32 v1, v57, v16
	ds_bpermute_b32 v2, v57, v17
	;; [unrolled: 1-line block ×4, first 2 shown]
	s_wait_loadcnt_dscnt 0x0
	s_barrier_signal -1
	s_barrier_wait -1
	global_inv scope:SCOPE_SE
	v_add_f64_e32 v[1:2], v[16:17], v[1:2]
	v_add_f64_e32 v[16:17], v[18:19], v[50:51]
	ds_bpermute_b32 v18, v58, v1
	ds_bpermute_b32 v19, v58, v2
	ds_bpermute_b32 v50, v58, v16
	ds_bpermute_b32 v51, v58, v17
	s_wait_dscnt 0x2
	v_add_f64_e32 v[1:2], v[1:2], v[18:19]
	s_wait_dscnt 0x0
	v_add_f64_e32 v[16:17], v[16:17], v[50:51]
	ds_bpermute_b32 v18, v59, v1
	ds_bpermute_b32 v19, v59, v2
	ds_bpermute_b32 v50, v59, v16
	ds_bpermute_b32 v51, v59, v17
	s_wait_dscnt 0x2
	v_add_f64_e32 v[1:2], v[1:2], v[18:19]
	s_wait_dscnt 0x0
	;; [unrolled: 8-line block ×3, first 2 shown]
	v_add_f64_e32 v[18:19], v[16:17], v[50:51]
	ds_bpermute_b32 v16, v61, v1
	ds_bpermute_b32 v17, v61, v2
	;; [unrolled: 1-line block ×4, first 2 shown]
	s_and_saveexec_b32 s6, s4
	s_cbranch_execz .LBB371_34
; %bb.33:                               ;   in Loop: Header=BB371_16 Depth=2
	s_wait_dscnt 0x0
	v_add_f64_e32 v[18:19], v[18:19], v[50:51]
	v_add_f64_e32 v[16:17], v[1:2], v[16:17]
	ds_store_b128 v53, v[16:19]
.LBB371_34:                             ;   in Loop: Header=BB371_16 Depth=2
	s_wait_alu 0xfffe
	s_or_b32 exec_lo, exec_lo, s6
	v_mov_b32_e32 v18, 0
	s_wait_dscnt 0x2
	v_dual_mov_b32 v19, 0 :: v_dual_mov_b32 v16, 0
	v_mov_b32_e32 v17, 0
	s_wait_loadcnt_dscnt 0x0
	s_barrier_signal -1
	s_barrier_wait -1
	global_inv scope:SCOPE_SE
	s_and_saveexec_b32 s6, s5
	s_cbranch_execnz .LBB371_54
; %bb.35:                               ;   in Loop: Header=BB371_16 Depth=2
	s_wait_alu 0xfffe
	s_or_b32 exec_lo, exec_lo, s6
	s_and_saveexec_b32 s6, s3
	s_cbranch_execnz .LBB371_55
.LBB371_36:                             ;   in Loop: Header=BB371_16 Depth=2
	s_wait_alu 0xfffe
	s_or_b32 exec_lo, exec_lo, s6
	s_and_saveexec_b32 s6, s3
.LBB371_37:                             ;   in Loop: Header=BB371_16 Depth=2
	v_dual_mov_b32 v1, v0 :: v_dual_mov_b32 v2, v0
	v_mov_b32_e32 v3, v0
	ds_store_b128 v52, v[0:3]
.LBB371_38:                             ;   in Loop: Header=BB371_16 Depth=2
	s_wait_alu 0xfffe
	s_or_b32 exec_lo, exec_lo, s6
	ds_bpermute_b32 v1, v57, v20
	ds_bpermute_b32 v2, v57, v21
	;; [unrolled: 1-line block ×4, first 2 shown]
	s_wait_loadcnt_dscnt 0x0
	s_barrier_signal -1
	s_barrier_wait -1
	global_inv scope:SCOPE_SE
	v_add_f64_e32 v[1:2], v[20:21], v[1:2]
	v_add_f64_e32 v[20:21], v[22:23], v[50:51]
	ds_bpermute_b32 v22, v58, v1
	ds_bpermute_b32 v23, v58, v2
	ds_bpermute_b32 v50, v58, v20
	ds_bpermute_b32 v51, v58, v21
	s_wait_dscnt 0x2
	v_add_f64_e32 v[1:2], v[1:2], v[22:23]
	s_wait_dscnt 0x0
	v_add_f64_e32 v[20:21], v[20:21], v[50:51]
	ds_bpermute_b32 v22, v59, v1
	ds_bpermute_b32 v23, v59, v2
	ds_bpermute_b32 v50, v59, v20
	ds_bpermute_b32 v51, v59, v21
	s_wait_dscnt 0x2
	v_add_f64_e32 v[1:2], v[1:2], v[22:23]
	s_wait_dscnt 0x0
	v_add_f64_e32 v[20:21], v[20:21], v[50:51]
	ds_bpermute_b32 v22, v60, v1
	ds_bpermute_b32 v23, v60, v2
	ds_bpermute_b32 v50, v60, v20
	ds_bpermute_b32 v51, v60, v21
	s_wait_dscnt 0x2
	v_add_f64_e32 v[1:2], v[1:2], v[22:23]
	s_wait_dscnt 0x0
	v_add_f64_e32 v[22:23], v[20:21], v[50:51]
	ds_bpermute_b32 v20, v61, v1
	ds_bpermute_b32 v21, v61, v2
	;; [unrolled: 1-line block ×4, first 2 shown]
	s_and_saveexec_b32 s6, s4
	s_cbranch_execz .LBB371_40
; %bb.39:                               ;   in Loop: Header=BB371_16 Depth=2
	s_wait_dscnt 0x0
	v_add_f64_e32 v[22:23], v[22:23], v[50:51]
	v_add_f64_e32 v[20:21], v[1:2], v[20:21]
	ds_store_b128 v53, v[20:23]
.LBB371_40:                             ;   in Loop: Header=BB371_16 Depth=2
	s_wait_alu 0xfffe
	s_or_b32 exec_lo, exec_lo, s6
	v_mov_b32_e32 v22, 0
	s_wait_dscnt 0x2
	v_dual_mov_b32 v23, 0 :: v_dual_mov_b32 v20, 0
	v_mov_b32_e32 v21, 0
	s_wait_loadcnt_dscnt 0x0
	s_barrier_signal -1
	s_barrier_wait -1
	global_inv scope:SCOPE_SE
	s_and_saveexec_b32 s6, s5
	s_cbranch_execnz .LBB371_56
; %bb.41:                               ;   in Loop: Header=BB371_16 Depth=2
	s_wait_alu 0xfffe
	s_or_b32 exec_lo, exec_lo, s6
	s_and_saveexec_b32 s6, s3
	s_cbranch_execnz .LBB371_57
.LBB371_42:                             ;   in Loop: Header=BB371_16 Depth=2
	s_wait_alu 0xfffe
	s_or_b32 exec_lo, exec_lo, s6
	s_and_saveexec_b32 s6, s0
	s_cbranch_execz .LBB371_15
	s_branch .LBB371_58
.LBB371_43:                             ;   in Loop: Header=BB371_16 Depth=2
	s_clause 0x1
	flat_load_b128 v[8:11], v[40:41]
	flat_load_b128 v[12:15], v[42:43]
	s_mul_u64 s[8:9], s[24:25], s[26:27]
	s_wait_alu 0xfffe
	s_lshl_b64 s[8:9], s[8:9], 4
	s_wait_alu 0xfffe
	v_add_co_u32 v1, vcc_lo, v34, s8
	s_wait_alu 0xfffd
	v_add_co_ci_u32_e64 v2, null, s9, v35, vcc_lo
	s_or_b32 s8, s24, 1
	s_mov_b32 s9, s25
	s_wait_alu 0xfffe
	s_mul_u64 s[8:9], s[8:9], s[26:27]
	s_wait_alu 0xfffe
	s_lshl_b64 s[8:9], s[8:9], 4
	s_wait_alu 0xfffe
	v_add_co_u32 v50, vcc_lo, v34, s8
	s_wait_alu 0xfffd
	v_add_co_ci_u32_e64 v51, null, s9, v35, vcc_lo
	s_or_b32 s8, s24, 2
	s_mov_b32 s9, s25
	s_wait_alu 0xfffe
	;; [unrolled: 10-line block ×3, first 2 shown]
	s_mul_u64 s[8:9], s[8:9], s[26:27]
	s_wait_alu 0xfffe
	s_lshl_b64 s[8:9], s[8:9], 4
	s_wait_alu 0xfffe
	v_add_co_u32 v68, vcc_lo, v34, s8
	s_wait_alu 0xfffd
	v_add_co_ci_u32_e64 v69, null, s9, v35, vcc_lo
	s_wait_loadcnt_dscnt 0x101
	scratch_store_b128 off, v[8:11], off
	s_wait_loadcnt_dscnt 0x0
	scratch_store_b128 off, v[12:15], s28
	flat_load_b128 v[12:15], v[44:45]
	s_wait_loadcnt_dscnt 0x0
	scratch_store_b128 off, v[12:15], s59
	flat_load_b128 v[12:15], v[46:47]
	;; [unrolled: 3-line block ×3, first 2 shown]
	s_wait_loadcnt_dscnt 0x0
	v_mul_f64_e32 v[16:17], v[10:11], v[14:15]
	v_mul_f64_e32 v[14:15], v[8:9], v[14:15]
	s_delay_alu instid0(VALU_DEP_2) | instskip(NEXT) | instid1(VALU_DEP_2)
	v_fma_f64 v[16:17], v[8:9], v[12:13], v[16:17]
	v_fma_f64 v[12:13], v[10:11], v[12:13], -v[14:15]
	s_delay_alu instid0(VALU_DEP_2) | instskip(NEXT) | instid1(VALU_DEP_2)
	v_add_f64_e32 v[16:17], 0, v[16:17]
	v_add_f64_e32 v[18:19], 0, v[12:13]
	flat_load_b128 v[12:15], v[50:51]
	s_wait_loadcnt_dscnt 0x0
	v_mul_f64_e32 v[20:21], v[10:11], v[14:15]
	v_mul_f64_e32 v[14:15], v[8:9], v[14:15]
	s_delay_alu instid0(VALU_DEP_2) | instskip(NEXT) | instid1(VALU_DEP_2)
	v_fma_f64 v[20:21], v[8:9], v[12:13], v[20:21]
	v_fma_f64 v[12:13], v[10:11], v[12:13], -v[14:15]
	s_delay_alu instid0(VALU_DEP_2) | instskip(NEXT) | instid1(VALU_DEP_2)
	v_add_f64_e32 v[20:21], 0, v[20:21]
	v_add_f64_e32 v[22:23], 0, v[12:13]
	flat_load_b128 v[12:15], v[62:63]
	;; [unrolled: 10-line block ×3, first 2 shown]
	s_wait_loadcnt_dscnt 0x0
	v_mul_f64_e32 v[70:71], v[10:11], v[14:15]
	s_delay_alu instid0(VALU_DEP_1) | instskip(SKIP_1) | instid1(VALU_DEP_2)
	v_fma_f64 v[70:71], v[8:9], v[12:13], v[70:71]
	v_mul_f64_e32 v[8:9], v[8:9], v[14:15]
	v_add_f64_e32 v[70:71], 0, v[70:71]
	s_delay_alu instid0(VALU_DEP_2) | instskip(NEXT) | instid1(VALU_DEP_1)
	v_fma_f64 v[8:9], v[10:11], v[12:13], -v[8:9]
	v_add_f64_e32 v[72:73], 0, v[8:9]
	scratch_load_b128 v[8:11], off, off offset:16
	flat_load_b128 v[12:15], v[1:2] offset:16
	s_wait_loadcnt_dscnt 0x0
	v_mul_f64_e32 v[74:75], v[10:11], v[14:15]
	v_mul_f64_e32 v[14:15], v[8:9], v[14:15]
	s_delay_alu instid0(VALU_DEP_2) | instskip(NEXT) | instid1(VALU_DEP_2)
	v_fma_f64 v[74:75], v[8:9], v[12:13], v[74:75]
	v_fma_f64 v[12:13], v[10:11], v[12:13], -v[14:15]
	s_delay_alu instid0(VALU_DEP_2) | instskip(NEXT) | instid1(VALU_DEP_2)
	v_add_f64_e32 v[16:17], v[16:17], v[74:75]
	v_add_f64_e32 v[18:19], v[18:19], v[12:13]
	flat_load_b128 v[12:15], v[50:51] offset:16
	s_wait_loadcnt_dscnt 0x0
	v_mul_f64_e32 v[74:75], v[10:11], v[14:15]
	v_mul_f64_e32 v[14:15], v[8:9], v[14:15]
	s_delay_alu instid0(VALU_DEP_2) | instskip(NEXT) | instid1(VALU_DEP_2)
	v_fma_f64 v[74:75], v[8:9], v[12:13], v[74:75]
	v_fma_f64 v[12:13], v[10:11], v[12:13], -v[14:15]
	s_delay_alu instid0(VALU_DEP_2) | instskip(NEXT) | instid1(VALU_DEP_2)
	v_add_f64_e32 v[20:21], v[20:21], v[74:75]
	v_add_f64_e32 v[22:23], v[22:23], v[12:13]
	;; [unrolled: 10-line block ×3, first 2 shown]
	flat_load_b128 v[12:15], v[68:69] offset:16
	s_wait_loadcnt_dscnt 0x0
	v_mul_f64_e32 v[74:75], v[10:11], v[14:15]
	s_delay_alu instid0(VALU_DEP_1) | instskip(SKIP_1) | instid1(VALU_DEP_2)
	v_fma_f64 v[74:75], v[8:9], v[12:13], v[74:75]
	v_mul_f64_e32 v[8:9], v[8:9], v[14:15]
	v_add_f64_e32 v[70:71], v[70:71], v[74:75]
	s_delay_alu instid0(VALU_DEP_2) | instskip(NEXT) | instid1(VALU_DEP_1)
	v_fma_f64 v[8:9], v[10:11], v[12:13], -v[8:9]
	v_add_f64_e32 v[72:73], v[72:73], v[8:9]
	scratch_load_b128 v[8:11], off, off offset:32
	flat_load_b128 v[12:15], v[1:2] offset:32
	s_wait_loadcnt_dscnt 0x0
	v_mul_f64_e32 v[74:75], v[10:11], v[14:15]
	v_mul_f64_e32 v[14:15], v[8:9], v[14:15]
	s_delay_alu instid0(VALU_DEP_2) | instskip(NEXT) | instid1(VALU_DEP_2)
	v_fma_f64 v[74:75], v[8:9], v[12:13], v[74:75]
	v_fma_f64 v[12:13], v[10:11], v[12:13], -v[14:15]
	s_delay_alu instid0(VALU_DEP_2) | instskip(NEXT) | instid1(VALU_DEP_2)
	v_add_f64_e32 v[16:17], v[16:17], v[74:75]
	v_add_f64_e32 v[18:19], v[18:19], v[12:13]
	flat_load_b128 v[12:15], v[50:51] offset:32
	s_wait_loadcnt_dscnt 0x0
	v_mul_f64_e32 v[74:75], v[10:11], v[14:15]
	v_mul_f64_e32 v[14:15], v[8:9], v[14:15]
	s_delay_alu instid0(VALU_DEP_2) | instskip(NEXT) | instid1(VALU_DEP_2)
	v_fma_f64 v[74:75], v[8:9], v[12:13], v[74:75]
	v_fma_f64 v[12:13], v[10:11], v[12:13], -v[14:15]
	s_delay_alu instid0(VALU_DEP_2) | instskip(NEXT) | instid1(VALU_DEP_2)
	v_add_f64_e32 v[74:75], v[20:21], v[74:75]
	v_add_f64_e32 v[76:77], v[22:23], v[12:13]
	;; [unrolled: 10-line block ×3, first 2 shown]
	flat_load_b128 v[12:15], v[68:69] offset:32
	s_wait_loadcnt_dscnt 0x0
	v_mul_f64_e32 v[20:21], v[10:11], v[14:15]
	s_delay_alu instid0(VALU_DEP_1) | instskip(SKIP_1) | instid1(VALU_DEP_2)
	v_fma_f64 v[20:21], v[8:9], v[12:13], v[20:21]
	v_mul_f64_e32 v[8:9], v[8:9], v[14:15]
	v_add_f64_e32 v[70:71], v[70:71], v[20:21]
	s_delay_alu instid0(VALU_DEP_2) | instskip(NEXT) | instid1(VALU_DEP_1)
	v_fma_f64 v[8:9], v[10:11], v[12:13], -v[8:9]
	v_add_f64_e32 v[72:73], v[72:73], v[8:9]
	scratch_load_b128 v[20:23], off, off offset:48
	s_clause 0x1
	flat_load_b128 v[8:11], v[1:2] offset:48
	flat_load_b128 v[12:15], v[50:51] offset:48
	s_wait_loadcnt_dscnt 0x101
	v_mul_f64_e32 v[1:2], v[22:23], v[10:11]
	v_mul_f64_e32 v[10:11], v[20:21], v[10:11]
	s_delay_alu instid0(VALU_DEP_2) | instskip(NEXT) | instid1(VALU_DEP_2)
	v_fma_f64 v[1:2], v[20:21], v[8:9], v[1:2]
	v_fma_f64 v[8:9], v[22:23], v[8:9], -v[10:11]
	s_delay_alu instid0(VALU_DEP_2) | instskip(NEXT) | instid1(VALU_DEP_2)
	v_add_f64_e32 v[10:11], v[16:17], v[1:2]
	v_add_f64_e32 v[8:9], v[18:19], v[8:9]
	flat_load_b128 v[16:19], v[62:63] offset:48
	s_wait_loadcnt_dscnt 0x101
	v_mul_f64_e32 v[1:2], v[22:23], v[14:15]
	v_mul_f64_e32 v[14:15], v[20:21], v[14:15]
	s_delay_alu instid0(VALU_DEP_2) | instskip(NEXT) | instid1(VALU_DEP_2)
	v_fma_f64 v[1:2], v[20:21], v[12:13], v[1:2]
	v_fma_f64 v[14:15], v[22:23], v[12:13], -v[14:15]
	s_delay_alu instid0(VALU_DEP_2) | instskip(NEXT) | instid1(VALU_DEP_2)
	v_add_f64_e32 v[12:13], v[74:75], v[1:2]
	v_add_f64_e32 v[14:15], v[76:77], v[14:15]
	s_wait_loadcnt_dscnt 0x0
	v_mul_f64_e32 v[1:2], v[22:23], v[18:19]
	v_mul_f64_e32 v[18:19], v[20:21], v[18:19]
	s_delay_alu instid0(VALU_DEP_2) | instskip(NEXT) | instid1(VALU_DEP_2)
	v_fma_f64 v[1:2], v[20:21], v[16:17], v[1:2]
	v_fma_f64 v[18:19], v[22:23], v[16:17], -v[18:19]
	s_delay_alu instid0(VALU_DEP_2) | instskip(SKIP_4) | instid1(VALU_DEP_1)
	v_add_f64_e32 v[16:17], v[64:65], v[1:2]
	flat_load_b128 v[62:65], v[68:69] offset:48
	v_add_f64_e32 v[18:19], v[66:67], v[18:19]
	s_wait_loadcnt_dscnt 0x0
	v_mul_f64_e32 v[1:2], v[22:23], v[64:65]
	v_fma_f64 v[1:2], v[20:21], v[62:63], v[1:2]
	v_mul_f64_e32 v[20:21], v[20:21], v[64:65]
	s_delay_alu instid0(VALU_DEP_1) | instskip(NEXT) | instid1(VALU_DEP_3)
	v_fma_f64 v[22:23], v[22:23], v[62:63], -v[20:21]
	v_add_f64_e32 v[20:21], v[70:71], v[1:2]
	s_delay_alu instid0(VALU_DEP_2)
	v_add_f64_e32 v[22:23], v[72:73], v[22:23]
	s_and_not1_saveexec_b32 s6, s6
	s_cbranch_execz .LBB371_18
.LBB371_44:                             ;   in Loop: Header=BB371_16 Depth=2
	s_wait_dscnt 0x0
	v_mov_b32_e32 v20, 0
	v_mov_b32_e32 v16, 0
	;; [unrolled: 1-line block ×3, first 2 shown]
	v_dual_mov_b32 v10, 0 :: v_dual_mov_b32 v21, 0
	v_dual_mov_b32 v22, 0 :: v_dual_mov_b32 v17, 0
	;; [unrolled: 1-line block ×5, first 2 shown]
	v_mov_b32_e32 v19, 0
	v_mov_b32_e32 v15, 0
	;; [unrolled: 1-line block ×3, first 2 shown]
	s_and_saveexec_b32 s7, s2
	s_cbranch_execz .LBB371_60
; %bb.45:                               ;   in Loop: Header=BB371_16 Depth=2
	s_and_not1_b32 vcc_lo, exec_lo, s58
	s_wait_alu 0xfffe
	s_cbranch_vccnz .LBB371_59
; %bb.46:                               ;   in Loop: Header=BB371_16 Depth=2
	v_dual_mov_b32 v1, v40 :: v_dual_mov_b32 v2, v41
	s_mov_b32 s8, 0
	s_mov_b32 s9, s56
.LBB371_47:                             ;   Parent Loop BB371_3 Depth=1
                                        ;     Parent Loop BB371_16 Depth=2
                                        ; =>    This Inner Loop Header: Depth=3
	flat_load_b128 v[8:11], v[1:2]
	v_add_co_u32 v1, vcc_lo, v1, s46
	s_wait_alu 0xfffd
	v_add_co_ci_u32_e64 v2, null, s47, v2, vcc_lo
	s_wait_alu 0xfffe
	s_add_co_i32 s9, s9, -1
	s_wait_loadcnt_dscnt 0x0
	scratch_store_b128 off, v[8:11], s8
	s_add_co_i32 s8, s8, 16
	s_wait_alu 0xfffe
	s_cmp_eq_u32 s9, 0
	s_cbranch_scc0 .LBB371_47
; %bb.48:                               ;   in Loop: Header=BB371_16 Depth=2
	v_mov_b32_e32 v8, 0
	v_mov_b32_e32 v14, 0
	v_mov_b32_e32 v18, 0
	v_dual_mov_b32 v22, 0 :: v_dual_mov_b32 v9, 0
	v_dual_mov_b32 v10, 0 :: v_dual_mov_b32 v15, 0
	;; [unrolled: 1-line block ×5, first 2 shown]
	v_mov_b32_e32 v13, 0
	v_mov_b32_e32 v17, 0
	;; [unrolled: 1-line block ×3, first 2 shown]
	v_dual_mov_b32 v1, v48 :: v_dual_mov_b32 v2, v49
	s_mov_b32 s8, s61
	s_mov_b32 s9, s56
.LBB371_49:                             ;   Parent Loop BB371_3 Depth=1
                                        ;     Parent Loop BB371_16 Depth=2
                                        ; =>    This Inner Loop Header: Depth=3
	s_delay_alu instid0(VALU_DEP_1)
	v_add_co_u32 v50, vcc_lo, v1, s50
	s_wait_alu 0xfffd
	v_add_co_ci_u32_e64 v51, null, s51, v2, vcc_lo
	scratch_load_b128 v[62:65], off, s8 offset:-8
	v_add_co_u32 v74, vcc_lo, v50, s50
	s_wait_alu 0xfffd
	v_add_co_ci_u32_e64 v75, null, s51, v51, vcc_lo
	flat_load_b128 v[66:69], v[1:2]
	v_add_co_u32 v78, vcc_lo, v74, s50
	s_wait_alu 0xfffd
	v_add_co_ci_u32_e64 v79, null, s51, v75, vcc_lo
	v_add_co_u32 v1, vcc_lo, v1, 16
	s_clause 0x2
	flat_load_b128 v[70:73], v[50:51]
	flat_load_b128 v[74:77], v[74:75]
	;; [unrolled: 1-line block ×3, first 2 shown]
	s_wait_alu 0xfffd
	v_add_co_ci_u32_e64 v2, null, 0, v2, vcc_lo
	s_wait_alu 0xfffe
	s_add_co_i32 s9, s9, -1
	s_add_co_i32 s8, s8, 16
	s_wait_alu 0xfffe
	s_cmp_lg_u32 s9, 0
	s_wait_loadcnt_dscnt 0x303
	v_mul_f64_e32 v[50:51], v[64:65], v[68:69]
	v_mul_f64_e32 v[68:69], v[62:63], v[68:69]
	s_wait_loadcnt_dscnt 0x202
	v_mul_f64_e32 v[82:83], v[64:65], v[72:73]
	v_mul_f64_e32 v[72:73], v[62:63], v[72:73]
	;; [unrolled: 3-line block ×4, first 2 shown]
	v_fma_f64 v[50:51], v[62:63], v[66:67], v[50:51]
	v_fma_f64 v[66:67], v[64:65], v[66:67], -v[68:69]
	v_fma_f64 v[68:69], v[62:63], v[70:71], v[82:83]
	v_fma_f64 v[70:71], v[64:65], v[70:71], -v[72:73]
	;; [unrolled: 2-line block ×4, first 2 shown]
	v_add_f64_e32 v[10:11], v[10:11], v[50:51]
	v_add_f64_e32 v[8:9], v[8:9], v[66:67]
	;; [unrolled: 1-line block ×8, first 2 shown]
	s_cbranch_scc1 .LBB371_49
	s_branch .LBB371_60
.LBB371_50:                             ;   in Loop: Header=BB371_16 Depth=2
	ds_load_b128 v[8:11], v52
	s_wait_alu 0xfffe
	s_or_b32 exec_lo, exec_lo, s6
	s_and_saveexec_b32 s6, s3
	s_cbranch_execz .LBB371_24
.LBB371_51:                             ;   in Loop: Header=BB371_16 Depth=2
	s_wait_dscnt 0x0
	ds_bpermute_b32 v1, v59, v8
	ds_bpermute_b32 v2, v59, v9
	ds_bpermute_b32 v50, v59, v10
	ds_bpermute_b32 v51, v59, v11
	s_wait_dscnt 0x2
	v_add_f64_e32 v[1:2], v[8:9], v[1:2]
	s_wait_dscnt 0x0
	v_add_f64_e32 v[8:9], v[10:11], v[50:51]
	ds_bpermute_b32 v10, v60, v1
	ds_bpermute_b32 v11, v60, v2
	ds_bpermute_b32 v50, v60, v8
	ds_bpermute_b32 v51, v60, v9
	s_wait_dscnt 0x2
	v_add_f64_e32 v[1:2], v[1:2], v[10:11]
	s_wait_dscnt 0x0
	v_add_f64_e32 v[10:11], v[8:9], v[50:51]
	ds_bpermute_b32 v8, v61, v1
	ds_bpermute_b32 v9, v61, v2
	ds_bpermute_b32 v50, v61, v10
	ds_bpermute_b32 v51, v61, v11
	s_wait_dscnt 0x2
	v_add_f64_e32 v[8:9], v[1:2], v[8:9]
	s_wait_dscnt 0x0
	v_add_f64_e32 v[10:11], v[10:11], v[50:51]
	s_wait_alu 0xfffe
	s_or_b32 exec_lo, exec_lo, s6
	s_and_saveexec_b32 s6, s3
	s_cbranch_execnz .LBB371_25
	s_branch .LBB371_26
.LBB371_52:                             ;   in Loop: Header=BB371_16 Depth=2
	ds_load_b128 v[12:15], v52
	s_wait_alu 0xfffe
	s_or_b32 exec_lo, exec_lo, s6
	s_and_saveexec_b32 s6, s3
	s_cbranch_execz .LBB371_30
.LBB371_53:                             ;   in Loop: Header=BB371_16 Depth=2
	s_wait_dscnt 0x0
	ds_bpermute_b32 v1, v59, v12
	ds_bpermute_b32 v2, v59, v13
	ds_bpermute_b32 v50, v59, v14
	ds_bpermute_b32 v51, v59, v15
	s_wait_dscnt 0x2
	v_add_f64_e32 v[1:2], v[12:13], v[1:2]
	s_wait_dscnt 0x0
	v_add_f64_e32 v[12:13], v[14:15], v[50:51]
	ds_bpermute_b32 v14, v60, v1
	ds_bpermute_b32 v15, v60, v2
	ds_bpermute_b32 v50, v60, v12
	ds_bpermute_b32 v51, v60, v13
	s_wait_dscnt 0x2
	v_add_f64_e32 v[1:2], v[1:2], v[14:15]
	s_wait_dscnt 0x0
	v_add_f64_e32 v[14:15], v[12:13], v[50:51]
	;; [unrolled: 8-line block ×3, first 2 shown]
	s_wait_alu 0xfffe
	s_or_b32 exec_lo, exec_lo, s6
	s_and_saveexec_b32 s6, s3
	s_cbranch_execnz .LBB371_31
	s_branch .LBB371_32
.LBB371_54:                             ;   in Loop: Header=BB371_16 Depth=2
	ds_load_b128 v[16:19], v52
	s_wait_alu 0xfffe
	s_or_b32 exec_lo, exec_lo, s6
	s_and_saveexec_b32 s6, s3
	s_cbranch_execz .LBB371_36
.LBB371_55:                             ;   in Loop: Header=BB371_16 Depth=2
	s_wait_dscnt 0x0
	ds_bpermute_b32 v1, v59, v16
	ds_bpermute_b32 v2, v59, v17
	ds_bpermute_b32 v50, v59, v18
	ds_bpermute_b32 v51, v59, v19
	s_wait_dscnt 0x2
	v_add_f64_e32 v[1:2], v[16:17], v[1:2]
	s_wait_dscnt 0x0
	v_add_f64_e32 v[16:17], v[18:19], v[50:51]
	ds_bpermute_b32 v18, v60, v1
	ds_bpermute_b32 v19, v60, v2
	ds_bpermute_b32 v50, v60, v16
	ds_bpermute_b32 v51, v60, v17
	s_wait_dscnt 0x2
	v_add_f64_e32 v[1:2], v[1:2], v[18:19]
	s_wait_dscnt 0x0
	v_add_f64_e32 v[18:19], v[16:17], v[50:51]
	;; [unrolled: 8-line block ×3, first 2 shown]
	s_wait_alu 0xfffe
	s_or_b32 exec_lo, exec_lo, s6
	s_and_saveexec_b32 s6, s3
	s_cbranch_execnz .LBB371_37
	s_branch .LBB371_38
.LBB371_56:                             ;   in Loop: Header=BB371_16 Depth=2
	ds_load_b128 v[20:23], v52
	s_wait_alu 0xfffe
	s_or_b32 exec_lo, exec_lo, s6
	s_and_saveexec_b32 s6, s3
	s_cbranch_execz .LBB371_42
.LBB371_57:                             ;   in Loop: Header=BB371_16 Depth=2
	s_wait_dscnt 0x0
	ds_bpermute_b32 v1, v59, v20
	ds_bpermute_b32 v2, v59, v21
	ds_bpermute_b32 v50, v59, v22
	ds_bpermute_b32 v51, v59, v23
	s_wait_dscnt 0x2
	v_add_f64_e32 v[1:2], v[20:21], v[1:2]
	s_wait_dscnt 0x0
	v_add_f64_e32 v[20:21], v[22:23], v[50:51]
	ds_bpermute_b32 v22, v60, v1
	ds_bpermute_b32 v23, v60, v2
	ds_bpermute_b32 v50, v60, v20
	ds_bpermute_b32 v51, v60, v21
	s_wait_dscnt 0x2
	v_add_f64_e32 v[1:2], v[1:2], v[22:23]
	s_wait_dscnt 0x0
	v_add_f64_e32 v[22:23], v[20:21], v[50:51]
	;; [unrolled: 8-line block ×3, first 2 shown]
	s_wait_alu 0xfffe
	s_or_b32 exec_lo, exec_lo, s6
	s_and_saveexec_b32 s6, s0
	s_cbranch_execz .LBB371_15
.LBB371_58:                             ;   in Loop: Header=BB371_16 Depth=2
	v_mul_f64_e32 v[1:2], v[6:7], v[10:11]
	v_mul_f64_e32 v[10:11], v[4:5], v[10:11]
	;; [unrolled: 1-line block ×6, first 2 shown]
	s_wait_dscnt 0x0
	v_mul_f64_e32 v[68:69], v[6:7], v[22:23]
	v_mul_f64_e32 v[22:23], v[4:5], v[22:23]
	s_or_b32 s64, s24, 1
	s_mov_b32 s65, s25
	s_mul_u64 s[8:9], s[24:25], s[30:31]
	s_or_b32 s66, s24, 2
	s_mov_b32 s67, s25
	s_or_b32 s68, s24, 3
	s_mov_b32 s69, s25
	s_mul_u64 s[64:65], s[64:65], s[30:31]
	s_mul_u64 s[66:67], s[66:67], s[30:31]
	s_mul_u64 s[68:69], s[68:69], s[30:31]
	s_wait_alu 0xfffe
	s_lshl_b64 s[8:9], s[8:9], 4
	s_lshl_b64 s[64:65], s[64:65], 4
	s_wait_alu 0xfffe
	s_add_nc_u64 s[8:9], s[52:53], s[8:9]
	s_lshl_b64 s[66:67], s[66:67], 4
	s_lshl_b64 s[68:69], s[68:69], 4
	s_add_nc_u64 s[64:65], s[52:53], s[64:65]
	s_add_nc_u64 s[66:67], s[52:53], s[66:67]
	;; [unrolled: 1-line block ×3, first 2 shown]
	v_fma_f64 v[62:63], v[4:5], v[8:9], -v[1:2]
	v_fma_f64 v[64:65], v[6:7], v[8:9], v[10:11]
	v_fma_f64 v[8:9], v[4:5], v[12:13], -v[50:51]
	v_fma_f64 v[10:11], v[6:7], v[12:13], v[14:15]
	;; [unrolled: 2-line block ×4, first 2 shown]
	s_clause 0x3
	global_store_b128 v0, v[62:65], s[8:9]
	global_store_b128 v0, v[8:11], s[64:65]
	;; [unrolled: 1-line block ×4, first 2 shown]
	s_branch .LBB371_15
.LBB371_59:                             ;   in Loop: Header=BB371_16 Depth=2
	v_mov_b32_e32 v20, 0
	v_mov_b32_e32 v16, 0
	;; [unrolled: 1-line block ×3, first 2 shown]
	v_dual_mov_b32 v10, 0 :: v_dual_mov_b32 v21, 0
	v_dual_mov_b32 v22, 0 :: v_dual_mov_b32 v17, 0
	v_dual_mov_b32 v18, 0 :: v_dual_mov_b32 v13, 0
	v_dual_mov_b32 v14, 0 :: v_dual_mov_b32 v11, 0
	v_dual_mov_b32 v8, 0 :: v_dual_mov_b32 v23, 0
	v_mov_b32_e32 v19, 0
	v_mov_b32_e32 v15, 0
	;; [unrolled: 1-line block ×3, first 2 shown]
.LBB371_60:                             ;   in Loop: Header=BB371_16 Depth=2
	s_wait_alu 0xfffe
	s_or_b32 exec_lo, exec_lo, s7
	s_delay_alu instid0(SALU_CYCLE_1)
	s_or_b32 exec_lo, exec_lo, s6
	s_and_saveexec_b32 s6, s3
	s_cbranch_execnz .LBB371_19
	s_branch .LBB371_20
.LBB371_61:                             ;   in Loop: Header=BB371_3 Depth=1
	s_mov_b32 s24, 0
.LBB371_62:                             ;   in Loop: Header=BB371_3 Depth=1
	s_wait_alu 0xfffe
	s_cmp_ge_i32 s24, s29
	s_cbranch_scc1 .LBB371_2
; %bb.63:                               ;   in Loop: Header=BB371_3 Depth=1
	v_cmp_gt_u32_e32 vcc_lo, 24, v56
	s_wait_alu 0xfffd
	v_cndmask_b32_e64 v1, 0, 8, vcc_lo
	v_cmp_gt_u32_e32 vcc_lo, 28, v56
	s_delay_alu instid0(VALU_DEP_2)
	v_add_lshl_u32 v40, v1, v56, 2
	s_wait_alu 0xfffd
	v_cndmask_b32_e64 v3, 0, 4, vcc_lo
	v_cmp_gt_u32_e32 vcc_lo, 30, v56
	s_wait_dscnt 0x0
	s_wait_alu 0xfffd
	v_cndmask_b32_e64 v8, 0, 2, vcc_lo
	v_add_co_u32 v1, vcc_lo, v38, v54
	s_wait_alu 0xfffd
	v_add_co_ci_u32_e64 v2, null, v39, v55, vcc_lo
	v_cmp_ne_u32_e32 vcc_lo, 31, v56
	v_add_lshl_u32 v38, v3, v56, 2
	v_add_lshl_u32 v39, v8, v56, 2
	s_delay_alu instid0(VALU_DEP_4)
	v_mad_co_u64_u32 v[12:13], null, s50, s24, v[1:2]
	s_wait_alu 0xfffd
	v_add_co_ci_u32_e64 v9, null, 0, v56, vcc_lo
	v_add_co_u32 v14, vcc_lo, v36, v26
	s_wait_alu 0xfffd
	v_add_co_ci_u32_e64 v15, null, v37, v27, vcc_lo
	s_delay_alu instid0(VALU_DEP_4) | instskip(SKIP_3) | instid1(VALU_DEP_3)
	v_mov_b32_e32 v1, v13
	v_add_co_u32 v16, vcc_lo, v36, v28
	s_wait_alu 0xfffd
	v_add_co_ci_u32_e64 v17, null, v37, v29, vcc_lo
	v_mad_co_u64_u32 v[1:2], null, s51, s24, v[1:2]
	v_add_co_u32 v18, vcc_lo, v36, v30
	s_wait_alu 0xfffd
	v_add_co_ci_u32_e64 v19, null, v37, v31, vcc_lo
	s_wait_dscnt 0x0
	v_add_co_u32 v20, vcc_lo, v36, v32
	v_lshlrev_b32_e32 v41, 2, v9
	s_wait_alu 0xfffd
	v_add_co_ci_u32_e64 v21, null, v37, v33, vcc_lo
	v_mov_b32_e32 v13, v1
	s_branch .LBB371_65
.LBB371_64:                             ;   in Loop: Header=BB371_65 Depth=2
	s_wait_alu 0xfffe
	s_or_b32 exec_lo, exec_lo, s6
	v_add_co_u32 v12, vcc_lo, v12, s50
	s_wait_alu 0xfffd
	v_add_co_ci_u32_e64 v13, null, s51, v13, vcc_lo
	s_add_co_i32 s24, s24, 1
	s_wait_alu 0xfffe
	s_cmp_lt_i32 s24, s29
	s_cbranch_scc0 .LBB371_2
.LBB371_65:                             ;   Parent Loop BB371_3 Depth=1
                                        ; =>  This Loop Header: Depth=2
                                        ;       Child Loop BB371_77 Depth 3
                                        ;       Child Loop BB371_79 Depth 3
                                        ; implicit-def: $vgpr8_vgpr9
                                        ; implicit-def: $vgpr10_vgpr11
	s_and_saveexec_b32 s6, s1
	s_wait_alu 0xfffe
	s_xor_b32 s6, exec_lo, s6
	s_cbranch_execnz .LBB371_74
; %bb.66:                               ;   in Loop: Header=BB371_65 Depth=2
	s_wait_alu 0xfffe
	s_and_not1_saveexec_b32 s6, s6
	s_cbranch_execnz .LBB371_75
.LBB371_67:                             ;   in Loop: Header=BB371_65 Depth=2
	s_wait_alu 0xfffe
	s_or_b32 exec_lo, exec_lo, s6
	s_and_saveexec_b32 s6, s3
.LBB371_68:                             ;   in Loop: Header=BB371_65 Depth=2
	v_dual_mov_b32 v1, v0 :: v_dual_mov_b32 v2, v0
	v_mov_b32_e32 v3, v0
	ds_store_b128 v52, v[0:3]
.LBB371_69:                             ;   in Loop: Header=BB371_65 Depth=2
	s_wait_alu 0xfffe
	s_or_b32 exec_lo, exec_lo, s6
	s_wait_dscnt 0x0
	ds_bpermute_b32 v1, v57, v8
	ds_bpermute_b32 v2, v57, v9
	;; [unrolled: 1-line block ×4, first 2 shown]
	s_wait_storecnt 0x0
	s_wait_loadcnt_dscnt 0x0
	s_barrier_signal -1
	s_barrier_wait -1
	global_inv scope:SCOPE_SE
	v_add_f64_e32 v[1:2], v[8:9], v[1:2]
	v_add_f64_e32 v[8:9], v[10:11], v[22:23]
	ds_bpermute_b32 v10, v40, v1
	ds_bpermute_b32 v11, v40, v2
	ds_bpermute_b32 v22, v40, v8
	ds_bpermute_b32 v23, v40, v9
	s_wait_dscnt 0x2
	v_add_f64_e32 v[1:2], v[1:2], v[10:11]
	s_wait_dscnt 0x0
	v_add_f64_e32 v[8:9], v[8:9], v[22:23]
	ds_bpermute_b32 v10, v38, v1
	ds_bpermute_b32 v11, v38, v2
	ds_bpermute_b32 v22, v38, v8
	ds_bpermute_b32 v23, v38, v9
	s_wait_dscnt 0x2
	v_add_f64_e32 v[1:2], v[1:2], v[10:11]
	s_wait_dscnt 0x0
	;; [unrolled: 8-line block ×3, first 2 shown]
	v_add_f64_e32 v[10:11], v[8:9], v[22:23]
	ds_bpermute_b32 v8, v41, v1
	ds_bpermute_b32 v9, v41, v2
	;; [unrolled: 1-line block ×4, first 2 shown]
	s_and_saveexec_b32 s6, s4
	s_cbranch_execz .LBB371_71
; %bb.70:                               ;   in Loop: Header=BB371_65 Depth=2
	s_wait_dscnt 0x0
	v_add_f64_e32 v[10:11], v[10:11], v[22:23]
	v_add_f64_e32 v[8:9], v[1:2], v[8:9]
	ds_store_b128 v53, v[8:11]
.LBB371_71:                             ;   in Loop: Header=BB371_65 Depth=2
	s_wait_alu 0xfffe
	s_or_b32 exec_lo, exec_lo, s6
	v_mov_b32_e32 v10, 0
	s_wait_dscnt 0x2
	v_dual_mov_b32 v11, 0 :: v_dual_mov_b32 v8, 0
	v_mov_b32_e32 v9, 0
	s_wait_loadcnt_dscnt 0x0
	s_barrier_signal -1
	s_barrier_wait -1
	global_inv scope:SCOPE_SE
	s_and_saveexec_b32 s6, s5
	s_cbranch_execnz .LBB371_81
; %bb.72:                               ;   in Loop: Header=BB371_65 Depth=2
	s_wait_alu 0xfffe
	s_or_b32 exec_lo, exec_lo, s6
	s_and_saveexec_b32 s6, s3
	s_cbranch_execnz .LBB371_82
.LBB371_73:                             ;   in Loop: Header=BB371_65 Depth=2
	s_wait_alu 0xfffe
	s_or_b32 exec_lo, exec_lo, s6
	s_and_saveexec_b32 s6, s0
	s_cbranch_execz .LBB371_64
	s_branch .LBB371_83
.LBB371_74:                             ;   in Loop: Header=BB371_65 Depth=2
	s_wait_dscnt 0x0
	s_clause 0x2
	flat_load_b128 v[8:11], v[16:17]
	flat_load_b128 v[42:45], v[18:19]
	;; [unrolled: 1-line block ×3, first 2 shown]
	s_mul_u64 s[8:9], s[24:25], s[26:27]
	s_wait_alu 0xfffe
	s_lshl_b64 s[8:9], s[8:9], 4
	s_wait_alu 0xfffe
	v_add_co_u32 v1, vcc_lo, v34, s8
	s_wait_alu 0xfffd
	v_add_co_ci_u32_e64 v2, null, s9, v35, vcc_lo
	flat_load_b128 v[58:61], v[14:15]
	s_clause 0x1
	flat_load_b128 v[62:65], v[1:2]
	flat_load_b128 v[66:69], v[1:2] offset:16
	s_wait_loadcnt_dscnt 0x505
	scratch_store_b128 off, v[8:11], s28
	s_wait_loadcnt_dscnt 0x404
	scratch_store_b128 off, v[42:45], s59
	s_clause 0x1
	scratch_load_b128 v[8:11], off, off offset:16
	scratch_load_b128 v[42:45], off, off offset:32
	s_clause 0x1
	flat_load_b128 v[70:73], v[1:2] offset:32
	flat_load_b128 v[74:77], v[1:2] offset:48
	s_wait_loadcnt_dscnt 0x705
	scratch_store_b128 off, v[46:49], s60
	scratch_load_b128 v[46:49], off, off offset:48
	s_wait_loadcnt_dscnt 0x704
	scratch_store_b128 off, v[58:61], off
	s_wait_loadcnt_dscnt 0x603
	v_mul_f64_e32 v[1:2], v[64:65], v[60:61]
	v_mul_f64_e32 v[22:23], v[64:65], v[58:59]
	s_delay_alu instid0(VALU_DEP_2) | instskip(NEXT) | instid1(VALU_DEP_2)
	v_fma_f64 v[1:2], v[62:63], v[58:59], v[1:2]
	v_fma_f64 v[22:23], v[62:63], v[60:61], -v[22:23]
	s_delay_alu instid0(VALU_DEP_2) | instskip(NEXT) | instid1(VALU_DEP_2)
	v_add_f64_e32 v[1:2], 0, v[1:2]
	v_add_f64_e32 v[22:23], 0, v[22:23]
	s_wait_loadcnt_dscnt 0x402
	v_mul_f64_e32 v[36:37], v[68:69], v[10:11]
	v_mul_f64_e32 v[50:51], v[68:69], v[8:9]
	s_wait_loadcnt_dscnt 0x201
	v_mul_f64_e32 v[62:63], v[72:73], v[44:45]
	v_mul_f64_e32 v[64:65], v[72:73], v[42:43]
	s_delay_alu instid0(VALU_DEP_4) | instskip(NEXT) | instid1(VALU_DEP_4)
	v_fma_f64 v[8:9], v[66:67], v[8:9], v[36:37]
	v_fma_f64 v[10:11], v[66:67], v[10:11], -v[50:51]
	s_wait_loadcnt_dscnt 0x0
	v_mul_f64_e32 v[36:37], v[76:77], v[48:49]
	v_mul_f64_e32 v[50:51], v[76:77], v[46:47]
	v_fma_f64 v[42:43], v[70:71], v[42:43], v[62:63]
	v_fma_f64 v[44:45], v[70:71], v[44:45], -v[64:65]
	v_add_f64_e32 v[1:2], v[1:2], v[8:9]
	v_add_f64_e32 v[8:9], v[22:23], v[10:11]
	v_fma_f64 v[10:11], v[74:75], v[46:47], v[36:37]
	v_fma_f64 v[22:23], v[74:75], v[48:49], -v[50:51]
	s_delay_alu instid0(VALU_DEP_4) | instskip(NEXT) | instid1(VALU_DEP_4)
	v_add_f64_e32 v[1:2], v[1:2], v[42:43]
	v_add_f64_e32 v[36:37], v[8:9], v[44:45]
	s_delay_alu instid0(VALU_DEP_2) | instskip(NEXT) | instid1(VALU_DEP_2)
	v_add_f64_e32 v[8:9], v[1:2], v[10:11]
	v_add_f64_e32 v[10:11], v[36:37], v[22:23]
	s_and_not1_saveexec_b32 s6, s6
	s_cbranch_execz .LBB371_67
.LBB371_75:                             ;   in Loop: Header=BB371_65 Depth=2
	s_wait_dscnt 0x0
	v_mov_b32_e32 v8, 0
	v_dual_mov_b32 v9, 0 :: v_dual_mov_b32 v10, 0
	v_mov_b32_e32 v11, 0
	s_and_saveexec_b32 s7, s62
	s_cbranch_execz .LBB371_80
; %bb.76:                               ;   in Loop: Header=BB371_65 Depth=2
	v_dual_mov_b32 v1, v14 :: v_dual_mov_b32 v2, v15
	s_mov_b32 s8, 0
	s_mov_b32 s9, s56
.LBB371_77:                             ;   Parent Loop BB371_3 Depth=1
                                        ;     Parent Loop BB371_65 Depth=2
                                        ; =>    This Inner Loop Header: Depth=3
	flat_load_b128 v[8:11], v[1:2]
	v_add_co_u32 v1, vcc_lo, v1, s46
	s_wait_alu 0xfffd
	v_add_co_ci_u32_e64 v2, null, s47, v2, vcc_lo
	s_wait_alu 0xfffe
	s_add_co_i32 s9, s9, -1
	s_wait_loadcnt_dscnt 0x0
	scratch_store_b128 off, v[8:11], s8
	s_add_co_i32 s8, s8, 16
	s_wait_alu 0xfffe
	s_cmp_eq_u32 s9, 0
	s_cbranch_scc0 .LBB371_77
; %bb.78:                               ;   in Loop: Header=BB371_65 Depth=2
	v_mov_b32_e32 v8, 0
	v_dual_mov_b32 v9, 0 :: v_dual_mov_b32 v10, 0
	v_mov_b32_e32 v11, 0
	v_dual_mov_b32 v1, v12 :: v_dual_mov_b32 v2, v13
	s_mov_b32 s8, s61
	s_mov_b32 s9, s56
.LBB371_79:                             ;   Parent Loop BB371_3 Depth=1
                                        ;     Parent Loop BB371_65 Depth=2
                                        ; =>    This Inner Loop Header: Depth=3
	flat_load_b128 v[42:45], v[1:2] offset:-8
	scratch_load_b128 v[46:49], off, s8 offset:-8
	v_add_co_u32 v1, vcc_lo, v1, 16
	s_wait_alu 0xfffd
	v_add_co_ci_u32_e64 v2, null, 0, v2, vcc_lo
	s_wait_alu 0xfffe
	s_add_co_i32 s9, s9, -1
	s_add_co_i32 s8, s8, 16
	s_wait_alu 0xfffe
	s_cmp_lg_u32 s9, 0
	s_wait_loadcnt_dscnt 0x0
	v_mul_f64_e32 v[22:23], v[44:45], v[48:49]
	v_mul_f64_e32 v[36:37], v[44:45], v[46:47]
	s_delay_alu instid0(VALU_DEP_2) | instskip(NEXT) | instid1(VALU_DEP_2)
	v_fma_f64 v[22:23], v[42:43], v[46:47], v[22:23]
	v_fma_f64 v[36:37], v[42:43], v[48:49], -v[36:37]
	s_delay_alu instid0(VALU_DEP_2) | instskip(NEXT) | instid1(VALU_DEP_2)
	v_add_f64_e32 v[8:9], v[8:9], v[22:23]
	v_add_f64_e32 v[10:11], v[10:11], v[36:37]
	s_cbranch_scc1 .LBB371_79
.LBB371_80:                             ;   in Loop: Header=BB371_65 Depth=2
	s_wait_alu 0xfffe
	s_or_b32 exec_lo, exec_lo, s7
	s_delay_alu instid0(SALU_CYCLE_1)
	s_or_b32 exec_lo, exec_lo, s6
	s_and_saveexec_b32 s6, s3
	s_cbranch_execnz .LBB371_68
	s_branch .LBB371_69
.LBB371_81:                             ;   in Loop: Header=BB371_65 Depth=2
	ds_load_b128 v[8:11], v52
	s_wait_alu 0xfffe
	s_or_b32 exec_lo, exec_lo, s6
	s_and_saveexec_b32 s6, s3
	s_cbranch_execz .LBB371_73
.LBB371_82:                             ;   in Loop: Header=BB371_65 Depth=2
	s_wait_dscnt 0x0
	ds_bpermute_b32 v1, v38, v8
	ds_bpermute_b32 v2, v38, v9
	ds_bpermute_b32 v22, v38, v10
	ds_bpermute_b32 v23, v38, v11
	s_wait_dscnt 0x2
	v_add_f64_e32 v[1:2], v[8:9], v[1:2]
	s_wait_dscnt 0x0
	v_add_f64_e32 v[8:9], v[10:11], v[22:23]
	ds_bpermute_b32 v10, v39, v1
	ds_bpermute_b32 v11, v39, v2
	ds_bpermute_b32 v22, v39, v8
	ds_bpermute_b32 v23, v39, v9
	s_wait_dscnt 0x2
	v_add_f64_e32 v[1:2], v[1:2], v[10:11]
	s_wait_dscnt 0x0
	v_add_f64_e32 v[10:11], v[8:9], v[22:23]
	;; [unrolled: 8-line block ×3, first 2 shown]
	s_wait_alu 0xfffe
	s_or_b32 exec_lo, exec_lo, s6
	s_and_saveexec_b32 s6, s0
	s_cbranch_execz .LBB371_64
.LBB371_83:                             ;   in Loop: Header=BB371_65 Depth=2
	s_wait_dscnt 0x0
	s_delay_alu instid0(VALU_DEP_1)
	v_mul_f64_e32 v[1:2], v[6:7], v[10:11]
	v_mul_f64_e32 v[10:11], v[4:5], v[10:11]
	s_mul_u64 s[8:9], s[24:25], s[30:31]
	s_wait_alu 0xfffe
	s_lshl_b64 s[8:9], s[8:9], 4
	s_wait_alu 0xfffe
	s_add_nc_u64 s[8:9], s[52:53], s[8:9]
	s_delay_alu instid0(VALU_DEP_2) | instskip(NEXT) | instid1(VALU_DEP_2)
	v_fma_f64 v[42:43], v[4:5], v[8:9], -v[1:2]
	v_fma_f64 v[44:45], v[6:7], v[8:9], v[10:11]
	global_store_b128 v0, v[42:45], s[8:9]
	s_branch .LBB371_64
.LBB371_84:
	s_endpgm
	.section	.rodata,"a",@progbits
	.p2align	6, 0x0
	.amdhsa_kernel _ZL23rocblas_gemvt_sn_kernelILb1ELi256ELi4ElPK19rocblas_complex_numIdES3_S1_EviiT4_lPKT3_lilS7_lilPT5_i
		.amdhsa_group_segment_fixed_size 512
		.amdhsa_private_segment_fixed_size 80
		.amdhsa_kernarg_size 360
		.amdhsa_user_sgpr_count 2
		.amdhsa_user_sgpr_dispatch_ptr 0
		.amdhsa_user_sgpr_queue_ptr 0
		.amdhsa_user_sgpr_kernarg_segment_ptr 1
		.amdhsa_user_sgpr_dispatch_id 0
		.amdhsa_user_sgpr_private_segment_size 0
		.amdhsa_wavefront_size32 1
		.amdhsa_uses_dynamic_stack 0
		.amdhsa_enable_private_segment 1
		.amdhsa_system_sgpr_workgroup_id_x 1
		.amdhsa_system_sgpr_workgroup_id_y 0
		.amdhsa_system_sgpr_workgroup_id_z 1
		.amdhsa_system_sgpr_workgroup_info 0
		.amdhsa_system_vgpr_workitem_id 0
		.amdhsa_next_free_vgpr 88
		.amdhsa_next_free_sgpr 70
		.amdhsa_reserve_vcc 1
		.amdhsa_float_round_mode_32 0
		.amdhsa_float_round_mode_16_64 0
		.amdhsa_float_denorm_mode_32 3
		.amdhsa_float_denorm_mode_16_64 3
		.amdhsa_fp16_overflow 0
		.amdhsa_workgroup_processor_mode 1
		.amdhsa_memory_ordered 1
		.amdhsa_forward_progress 1
		.amdhsa_inst_pref_size 58
		.amdhsa_round_robin_scheduling 0
		.amdhsa_exception_fp_ieee_invalid_op 0
		.amdhsa_exception_fp_denorm_src 0
		.amdhsa_exception_fp_ieee_div_zero 0
		.amdhsa_exception_fp_ieee_overflow 0
		.amdhsa_exception_fp_ieee_underflow 0
		.amdhsa_exception_fp_ieee_inexact 0
		.amdhsa_exception_int_div_zero 0
	.end_amdhsa_kernel
	.section	.text._ZL23rocblas_gemvt_sn_kernelILb1ELi256ELi4ElPK19rocblas_complex_numIdES3_S1_EviiT4_lPKT3_lilS7_lilPT5_i,"axG",@progbits,_ZL23rocblas_gemvt_sn_kernelILb1ELi256ELi4ElPK19rocblas_complex_numIdES3_S1_EviiT4_lPKT3_lilS7_lilPT5_i,comdat
.Lfunc_end371:
	.size	_ZL23rocblas_gemvt_sn_kernelILb1ELi256ELi4ElPK19rocblas_complex_numIdES3_S1_EviiT4_lPKT3_lilS7_lilPT5_i, .Lfunc_end371-_ZL23rocblas_gemvt_sn_kernelILb1ELi256ELi4ElPK19rocblas_complex_numIdES3_S1_EviiT4_lPKT3_lilS7_lilPT5_i
                                        ; -- End function
	.set _ZL23rocblas_gemvt_sn_kernelILb1ELi256ELi4ElPK19rocblas_complex_numIdES3_S1_EviiT4_lPKT3_lilS7_lilPT5_i.num_vgpr, 88
	.set _ZL23rocblas_gemvt_sn_kernelILb1ELi256ELi4ElPK19rocblas_complex_numIdES3_S1_EviiT4_lPKT3_lilS7_lilPT5_i.num_agpr, 0
	.set _ZL23rocblas_gemvt_sn_kernelILb1ELi256ELi4ElPK19rocblas_complex_numIdES3_S1_EviiT4_lPKT3_lilS7_lilPT5_i.numbered_sgpr, 70
	.set _ZL23rocblas_gemvt_sn_kernelILb1ELi256ELi4ElPK19rocblas_complex_numIdES3_S1_EviiT4_lPKT3_lilS7_lilPT5_i.num_named_barrier, 0
	.set _ZL23rocblas_gemvt_sn_kernelILb1ELi256ELi4ElPK19rocblas_complex_numIdES3_S1_EviiT4_lPKT3_lilS7_lilPT5_i.private_seg_size, 80
	.set _ZL23rocblas_gemvt_sn_kernelILb1ELi256ELi4ElPK19rocblas_complex_numIdES3_S1_EviiT4_lPKT3_lilS7_lilPT5_i.uses_vcc, 1
	.set _ZL23rocblas_gemvt_sn_kernelILb1ELi256ELi4ElPK19rocblas_complex_numIdES3_S1_EviiT4_lPKT3_lilS7_lilPT5_i.uses_flat_scratch, 1
	.set _ZL23rocblas_gemvt_sn_kernelILb1ELi256ELi4ElPK19rocblas_complex_numIdES3_S1_EviiT4_lPKT3_lilS7_lilPT5_i.has_dyn_sized_stack, 0
	.set _ZL23rocblas_gemvt_sn_kernelILb1ELi256ELi4ElPK19rocblas_complex_numIdES3_S1_EviiT4_lPKT3_lilS7_lilPT5_i.has_recursion, 0
	.set _ZL23rocblas_gemvt_sn_kernelILb1ELi256ELi4ElPK19rocblas_complex_numIdES3_S1_EviiT4_lPKT3_lilS7_lilPT5_i.has_indirect_call, 0
	.section	.AMDGPU.csdata,"",@progbits
; Kernel info:
; codeLenInByte = 7316
; TotalNumSgprs: 72
; NumVgprs: 88
; ScratchSize: 80
; MemoryBound: 0
; FloatMode: 240
; IeeeMode: 1
; LDSByteSize: 512 bytes/workgroup (compile time only)
; SGPRBlocks: 0
; VGPRBlocks: 10
; NumSGPRsForWavesPerEU: 72
; NumVGPRsForWavesPerEU: 88
; Occupancy: 16
; WaveLimiterHint : 0
; COMPUTE_PGM_RSRC2:SCRATCH_EN: 1
; COMPUTE_PGM_RSRC2:USER_SGPR: 2
; COMPUTE_PGM_RSRC2:TRAP_HANDLER: 0
; COMPUTE_PGM_RSRC2:TGID_X_EN: 1
; COMPUTE_PGM_RSRC2:TGID_Y_EN: 0
; COMPUTE_PGM_RSRC2:TGID_Z_EN: 1
; COMPUTE_PGM_RSRC2:TIDIG_COMP_CNT: 0
	.section	.text._ZL23rocblas_gemvt_sn_kernelILb1ELi256ELi4EiPK19rocblas_complex_numIdES1_S1_EviiT4_lPKT3_lilS7_lilPT5_i,"axG",@progbits,_ZL23rocblas_gemvt_sn_kernelILb1ELi256ELi4EiPK19rocblas_complex_numIdES1_S1_EviiT4_lPKT3_lilS7_lilPT5_i,comdat
	.globl	_ZL23rocblas_gemvt_sn_kernelILb1ELi256ELi4EiPK19rocblas_complex_numIdES1_S1_EviiT4_lPKT3_lilS7_lilPT5_i ; -- Begin function _ZL23rocblas_gemvt_sn_kernelILb1ELi256ELi4EiPK19rocblas_complex_numIdES1_S1_EviiT4_lPKT3_lilS7_lilPT5_i
	.p2align	8
	.type	_ZL23rocblas_gemvt_sn_kernelILb1ELi256ELi4EiPK19rocblas_complex_numIdES1_S1_EviiT4_lPKT3_lilS7_lilPT5_i,@function
_ZL23rocblas_gemvt_sn_kernelILb1ELi256ELi4EiPK19rocblas_complex_numIdES1_S1_EviiT4_lPKT3_lilS7_lilPT5_i: ; @_ZL23rocblas_gemvt_sn_kernelILb1ELi256ELi4EiPK19rocblas_complex_numIdES1_S1_EviiT4_lPKT3_lilS7_lilPT5_i
; %bb.0:
	s_load_b32 s33, s[0:1], 0x68
	s_lshr_b32 s10, ttmp7, 16
	s_wait_kmcnt 0x0
	s_cmp_ge_u32 s10, s33
	s_cbranch_scc1 .LBB372_86
; %bb.1:
	s_clause 0x7
	s_load_b128 s[12:15], s[0:1], 0x8
	s_load_b64 s[26:27], s[0:1], 0x0
	s_load_b32 s28, s[0:1], 0x70
	s_load_b64 s[30:31], s[0:1], 0x60
	s_load_b128 s[16:19], s[0:1], 0x20
	s_load_b32 s52, s[0:1], 0x30
	s_load_b128 s[20:23], s[0:1], 0x40
	s_load_b32 s53, s[0:1], 0x50
	s_mov_b32 s35, 0
	v_dual_mov_b32 v1, 0 :: v_dual_and_b32 v2, 31, v0
	s_mov_b32 s29, s35
	v_cmp_eq_u32_e64 s0, 0, v0
	v_lshrrev_b32_e32 v3, 1, v0
	s_delay_alu instid0(VALU_DEP_3)
	v_cmp_eq_u32_e64 s3, 0, v2
	v_lshlrev_b32_e32 v47, 4, v2
	v_cmp_gt_u32_e64 s1, 32, v0
	v_cmp_gt_u32_e64 s2, 8, v0
	v_and_b32_e32 v48, 0x70, v3
	v_mbcnt_lo_u32_b32 v51, -1, 0
	s_mov_b32 s24, ttmp9
	s_wait_kmcnt 0x0
	s_ashr_i32 s5, s27, 31
	s_mov_b32 s4, s27
	s_mov_b32 s25, s35
	s_mul_u64 s[36:37], s[4:5], s[28:29]
	s_mov_b32 s60, 16
	v_cmp_neq_f64_e64 s6, s[12:13], 0
	v_cmp_neq_f64_e64 s7, s[14:15], 0
	s_mov_b32 s61, 32
	s_mov_b32 s62, 48
	s_mul_i32 s65, s52, 3
	s_or_b32 s4, s6, s7
	s_delay_alu instid0(SALU_CYCLE_1)
	s_xor_b32 s54, s4, -1
	s_cmp_gt_i32 s27, 0
	v_cndmask_b32_e64 v49, 0, 1, s4
	s_cselect_b32 s4, -1, 0
	s_lshl_b32 s6, ttmp9, 10
	s_ashr_i32 s7, s26, 31
	v_lshl_or_b32 v2, v0, 2, s6
	s_wait_alu 0xfffe
	s_and_b32 s55, s0, s4
	s_lshr_b32 s4, s7, 30
	s_lshr_b32 s5, s5, 30
	s_wait_alu 0xfffe
	s_add_co_i32 s4, s26, s4
	v_mul_lo_u32 v21, s53, v2
	v_ashrrev_i32_e32 v3, 31, v2
	s_wait_alu 0xfffe
	s_and_b32 s4, s4, -4
	v_add_nc_u32_e32 v0, 4, v2
	s_wait_alu 0xfffe
	s_sub_co_i32 s57, s26, s4
	s_add_co_i32 s5, s27, s5
	v_add_nc_u32_e32 v4, s57, v2
	v_lshlrev_b64_e32 v[23:24], 4, v[2:3]
	v_add_nc_u32_e32 v2, s53, v21
	s_wait_alu 0xfffe
	s_and_b32 s56, s5, -4
	v_ashrrev_i32_e32 v22, 31, v21
	v_cmp_ge_i32_e64 s5, s26, v4
	s_wait_alu 0xfffe
	s_cmp_gt_i32 s56, 0
	v_add_nc_u32_e32 v4, s53, v2
	v_ashrrev_i32_e32 v3, 31, v2
	s_cselect_b32 s58, -1, 0
	s_cmp_gt_i32 s57, 0
	v_lshlrev_b64_e32 v[25:26], 4, v[21:22]
	v_add_nc_u32_e32 v6, s53, v4
	v_ashrrev_i32_e32 v5, 31, v4
	s_cselect_b32 s59, -1, 0
	s_lshl_b64 s[38:39], s[24:25], 4
	v_lshlrev_b64_e32 v[27:28], 4, v[2:3]
	v_ashrrev_i32_e32 v7, 31, v6
	v_lshlrev_b64_e32 v[29:30], 4, v[4:5]
	v_cmp_ge_i32_e64 s4, s26, v0
	v_or_b32_e32 v0, 8, v23
	v_mov_b32_e32 v50, v24
	v_lshlrev_b64_e32 v[31:32], 4, v[6:7]
	v_lshl_or_b32 v22, v51, 2, 64
	s_add_nc_u64 s[6:7], s[30:31], s[38:39]
	s_or_b32 s63, 0, 8
	s_lshl_b64 s[40:41], s[36:37], 4
	s_lshl_b64 s[42:43], s[28:29], 4
	s_lshl_b32 s25, s52, 2
	s_lshl_b32 s64, s52, 1
	s_wait_alu 0xfffe
	s_add_nc_u64 s[44:45], s[6:7], 8
	s_and_b32 s26, s59, s5
	s_lshl_b64 s[18:19], s[18:19], 4
	s_lshl_b64 s[22:23], s[22:23], 4
	s_branch .LBB372_3
.LBB372_2:                              ;   in Loop: Header=BB372_3 Depth=1
	s_add_co_i32 s10, s10, 0x10000
	s_delay_alu instid0(SALU_CYCLE_1)
	s_cmp_lt_u32 s10, s33
	s_cbranch_scc0 .LBB372_86
.LBB372_3:                              ; =>This Loop Header: Depth=1
                                        ;     Child Loop BB372_13 Depth 2
                                        ;     Child Loop BB372_18 Depth 2
                                        ;       Child Loop BB372_49 Depth 3
                                        ;       Child Loop BB372_51 Depth 3
                                        ;     Child Loop BB372_67 Depth 2
                                        ;       Child Loop BB372_79 Depth 3
                                        ;       Child Loop BB372_81 Depth 3
	s_mov_b32 s11, s35
	s_and_not1_b32 vcc_lo, exec_lo, s54
	s_mov_b32 s6, -1
	s_wait_alu 0xfffe
	s_cbranch_vccnz .LBB372_5
; %bb.4:                                ;   in Loop: Header=BB372_3 Depth=1
	s_mov_b32 s6, 0
.LBB372_5:                              ;   in Loop: Header=BB372_3 Depth=1
	v_mov_b32_e32 v33, 0
	v_dual_mov_b32 v34, 0 :: v_dual_mov_b32 v35, 0
	v_mov_b32_e32 v36, 0
	s_wait_alu 0xfffe
	s_and_not1_b32 vcc_lo, exec_lo, s6
	s_wait_alu 0xfffe
	s_cbranch_vccz .LBB372_9
; %bb.6:                                ;   in Loop: Header=BB372_3 Depth=1
	v_cmp_ne_u32_e32 vcc_lo, 1, v49
	s_cbranch_vccz .LBB372_10
.LBB372_7:                              ;   in Loop: Header=BB372_3 Depth=1
	s_and_not1_b32 vcc_lo, exec_lo, s54
	s_mov_b32 s6, -1
	s_wait_alu 0xfffe
	s_cbranch_vccz .LBB372_11
.LBB372_8:                              ;   in Loop: Header=BB372_3 Depth=1
	s_wait_alu 0xfffe
	s_and_not1_b32 vcc_lo, exec_lo, s6
	s_wait_alu 0xfffe
	s_cbranch_vccnz .LBB372_2
	s_branch .LBB372_15
.LBB372_9:                              ;   in Loop: Header=BB372_3 Depth=1
	s_lshl_b64 s[6:7], s[10:11], 3
	s_wait_alu 0xfffe
	s_add_nc_u64 s[6:7], s[16:17], s[6:7]
	s_wait_dscnt 0x0
	global_load_b64 v[2:3], v1, s[6:7]
	s_wait_loadcnt 0x0
	v_add_co_u32 v35, vcc_lo, v2, s18
	s_wait_alu 0xfffd
	v_add_co_ci_u32_e64 v36, null, s19, v3, vcc_lo
	v_cmp_ne_u32_e32 vcc_lo, 1, v49
	s_cbranch_vccnz .LBB372_7
.LBB372_10:                             ;   in Loop: Header=BB372_3 Depth=1
	s_lshl_b64 s[6:7], s[10:11], 3
	s_wait_alu 0xfffe
	s_add_nc_u64 s[6:7], s[20:21], s[6:7]
	s_wait_dscnt 0x0
	global_load_b64 v[2:3], v1, s[6:7]
	s_wait_loadcnt 0x0
	v_add_co_u32 v33, vcc_lo, v2, s22
	s_wait_alu 0xfffd
	v_add_co_ci_u32_e64 v34, null, s23, v3, vcc_lo
	s_and_not1_b32 vcc_lo, exec_lo, s54
	s_mov_b32 s6, -1
	s_wait_alu 0xfffe
	s_cbranch_vccnz .LBB372_8
.LBB372_11:                             ;   in Loop: Header=BB372_3 Depth=1
	s_and_saveexec_b32 s8, s55
	s_cbranch_execz .LBB372_14
; %bb.12:                               ;   in Loop: Header=BB372_3 Depth=1
	s_mul_u64 s[6:7], s[40:41], s[10:11]
	s_mov_b32 s9, s27
	s_wait_alu 0xfffe
	s_add_nc_u64 s[6:7], s[44:45], s[6:7]
.LBB372_13:                             ;   Parent Loop BB372_3 Depth=1
                                        ; =>  This Inner Loop Header: Depth=2
	s_wait_dscnt 0x0
	v_dual_mov_b32 v2, v1 :: v_dual_mov_b32 v3, v1
	v_mov_b32_e32 v4, v1
	s_add_co_i32 s9, s9, -1
	s_wait_alu 0xfffe
	s_cmp_eq_u32 s9, 0
	global_store_b128 v1, v[1:4], s[6:7] offset:-8
	s_add_nc_u64 s[6:7], s[6:7], s[42:43]
	s_cbranch_scc0 .LBB372_13
.LBB372_14:                             ;   in Loop: Header=BB372_3 Depth=1
	s_wait_alu 0xfffe
	s_or_b32 exec_lo, exec_lo, s8
	s_cbranch_execnz .LBB372_2
.LBB372_15:                             ;   in Loop: Header=BB372_3 Depth=1
	v_add_co_u32 v52, vcc_lo, v35, v23
	s_mul_u64 s[46:47], s[36:37], s[10:11]
	s_wait_alu 0xfffd
	v_add_co_ci_u32_e64 v53, null, v36, v24, vcc_lo
	v_cmp_gt_u32_e64 s9, 24, v51
	v_cmp_gt_u32_e64 s8, 28, v51
	;; [unrolled: 1-line block ×3, first 2 shown]
	v_cmp_ne_u32_e64 s6, 31, v51
	s_wait_alu 0xfffe
	s_lshl_b64 s[46:47], s[46:47], 4
	s_and_not1_b32 vcc_lo, exec_lo, s58
	s_wait_alu 0xfffe
	s_add_nc_u64 s[46:47], s[30:31], s[46:47]
	s_cbranch_vccnz .LBB372_63
; %bb.16:                               ;   in Loop: Header=BB372_3 Depth=1
	v_add_co_u32 v37, vcc_lo, v33, v25
	s_wait_alu 0xfffd
	v_add_co_ci_u32_e64 v38, null, v34, v26, vcc_lo
	v_add_co_u32 v39, vcc_lo, v33, v27
	s_wait_alu 0xfffd
	v_add_co_ci_u32_e64 v40, null, v34, v28, vcc_lo
	v_add_co_u32 v41, vcc_lo, v33, v29
	s_wait_dscnt 0x0
	v_cndmask_b32_e64 v2, 0, 8, s9
	v_cndmask_b32_e64 v3, 0, 4, s8
	;; [unrolled: 1-line block ×3, first 2 shown]
	v_add_co_ci_u32_e64 v5, null, 0, v51, s6
	s_wait_alu 0xfffd
	v_add_co_ci_u32_e64 v42, null, v34, v30, vcc_lo
	v_add_co_u32 v43, vcc_lo, v33, v31
	s_wait_alu 0xfffd
	v_add_co_ci_u32_e64 v44, null, v34, v32, vcc_lo
	v_add_co_u32 v58, vcc_lo, v35, v0
	v_add_lshl_u32 v54, v2, v51, 2
	v_add_lshl_u32 v55, v3, v51, 2
	;; [unrolled: 1-line block ×3, first 2 shown]
	v_lshlrev_b32_e32 v57, 2, v5
	s_wait_alu 0xfffd
	v_add_co_ci_u32_e64 v59, null, v36, v50, vcc_lo
	s_mov_b32 s6, 0
	s_mov_b32 s66, s65
	;; [unrolled: 1-line block ×5, first 2 shown]
	s_branch .LBB372_18
.LBB372_17:                             ;   in Loop: Header=BB372_18 Depth=2
	s_wait_alu 0xfffe
	s_or_b32 exec_lo, exec_lo, s7
	s_add_co_i32 s11, s11, 4
	s_add_co_i32 s68, s68, s25
	;; [unrolled: 1-line block ×5, first 2 shown]
	s_cmp_ge_i32 s11, s56
	s_cbranch_scc1 .LBB372_64
.LBB372_18:                             ;   Parent Loop BB372_3 Depth=1
                                        ; =>  This Loop Header: Depth=2
                                        ;       Child Loop BB372_49 Depth 3
                                        ;       Child Loop BB372_51 Depth 3
                                        ; implicit-def: $vgpr17_vgpr18
                                        ; implicit-def: $vgpr19_vgpr20
                                        ; implicit-def: $vgpr13_vgpr14
                                        ; implicit-def: $vgpr15_vgpr16
                                        ; implicit-def: $vgpr9_vgpr10
                                        ; implicit-def: $vgpr11_vgpr12
                                        ; implicit-def: $vgpr7_vgpr8
                                        ; implicit-def: $vgpr5_vgpr6
	s_and_saveexec_b32 s7, s4
	s_wait_alu 0xfffe
	s_xor_b32 s7, exec_lo, s7
	s_cbranch_execnz .LBB372_45
; %bb.19:                               ;   in Loop: Header=BB372_18 Depth=2
	s_wait_alu 0xfffe
	s_and_not1_saveexec_b32 s34, s7
	s_cbranch_execnz .LBB372_46
.LBB372_20:                             ;   in Loop: Header=BB372_18 Depth=2
	s_or_b32 exec_lo, exec_lo, s34
	s_and_saveexec_b32 s7, s1
.LBB372_21:                             ;   in Loop: Header=BB372_18 Depth=2
	v_dual_mov_b32 v2, v1 :: v_dual_mov_b32 v3, v1
	v_mov_b32_e32 v4, v1
	ds_store_b128 v47, v[1:4]
.LBB372_22:                             ;   in Loop: Header=BB372_18 Depth=2
	s_wait_alu 0xfffe
	s_or_b32 exec_lo, exec_lo, s7
	ds_bpermute_b32 v2, v22, v7
	ds_bpermute_b32 v3, v22, v8
	;; [unrolled: 1-line block ×4, first 2 shown]
	s_wait_storecnt_dscnt 0x0
	s_barrier_signal -1
	s_barrier_wait -1
	global_inv scope:SCOPE_SE
	v_add_f64_e32 v[2:3], v[7:8], v[2:3]
	v_add_f64_e32 v[4:5], v[5:6], v[45:46]
	ds_bpermute_b32 v6, v54, v2
	ds_bpermute_b32 v7, v54, v3
	ds_bpermute_b32 v45, v54, v4
	ds_bpermute_b32 v46, v54, v5
	s_wait_dscnt 0x2
	v_add_f64_e32 v[2:3], v[2:3], v[6:7]
	s_wait_dscnt 0x0
	v_add_f64_e32 v[4:5], v[4:5], v[45:46]
	ds_bpermute_b32 v6, v55, v2
	ds_bpermute_b32 v7, v55, v3
	ds_bpermute_b32 v45, v55, v4
	ds_bpermute_b32 v46, v55, v5
	s_wait_dscnt 0x2
	v_add_f64_e32 v[2:3], v[2:3], v[6:7]
	s_wait_dscnt 0x0
	;; [unrolled: 8-line block ×3, first 2 shown]
	v_add_f64_e32 v[6:7], v[4:5], v[45:46]
	ds_bpermute_b32 v4, v57, v2
	ds_bpermute_b32 v5, v57, v3
	;; [unrolled: 1-line block ×4, first 2 shown]
	s_and_saveexec_b32 s7, s3
	s_cbranch_execz .LBB372_24
; %bb.23:                               ;   in Loop: Header=BB372_18 Depth=2
	s_wait_dscnt 0x0
	v_add_f64_e32 v[6:7], v[6:7], v[45:46]
	v_add_f64_e32 v[4:5], v[2:3], v[4:5]
	ds_store_b128 v48, v[4:7]
.LBB372_24:                             ;   in Loop: Header=BB372_18 Depth=2
	s_wait_alu 0xfffe
	s_or_b32 exec_lo, exec_lo, s7
	v_mov_b32_e32 v7, 0
	s_wait_dscnt 0x2
	v_dual_mov_b32 v8, 0 :: v_dual_mov_b32 v5, 0
	v_mov_b32_e32 v6, 0
	s_wait_loadcnt_dscnt 0x0
	s_barrier_signal -1
	s_barrier_wait -1
	global_inv scope:SCOPE_SE
	s_and_saveexec_b32 s7, s2
	s_cbranch_execnz .LBB372_52
; %bb.25:                               ;   in Loop: Header=BB372_18 Depth=2
	s_wait_alu 0xfffe
	s_or_b32 exec_lo, exec_lo, s7
	s_and_saveexec_b32 s7, s1
	s_cbranch_execnz .LBB372_53
.LBB372_26:                             ;   in Loop: Header=BB372_18 Depth=2
	s_wait_alu 0xfffe
	s_or_b32 exec_lo, exec_lo, s7
	s_and_saveexec_b32 s7, s1
.LBB372_27:                             ;   in Loop: Header=BB372_18 Depth=2
	v_dual_mov_b32 v2, v1 :: v_dual_mov_b32 v3, v1
	v_mov_b32_e32 v4, v1
	ds_store_b128 v47, v[1:4]
.LBB372_28:                             ;   in Loop: Header=BB372_18 Depth=2
	s_wait_alu 0xfffe
	s_or_b32 exec_lo, exec_lo, s7
	ds_bpermute_b32 v2, v22, v9
	ds_bpermute_b32 v3, v22, v10
	;; [unrolled: 1-line block ×4, first 2 shown]
	s_wait_loadcnt_dscnt 0x0
	s_barrier_signal -1
	s_barrier_wait -1
	global_inv scope:SCOPE_SE
	v_add_f64_e32 v[2:3], v[9:10], v[2:3]
	v_add_f64_e32 v[9:10], v[11:12], v[45:46]
	ds_bpermute_b32 v11, v54, v2
	ds_bpermute_b32 v12, v54, v3
	ds_bpermute_b32 v45, v54, v9
	ds_bpermute_b32 v46, v54, v10
	s_wait_dscnt 0x2
	v_add_f64_e32 v[2:3], v[2:3], v[11:12]
	s_wait_dscnt 0x0
	v_add_f64_e32 v[9:10], v[9:10], v[45:46]
	ds_bpermute_b32 v11, v55, v2
	ds_bpermute_b32 v12, v55, v3
	ds_bpermute_b32 v45, v55, v9
	ds_bpermute_b32 v46, v55, v10
	s_wait_dscnt 0x2
	v_add_f64_e32 v[2:3], v[2:3], v[11:12]
	s_wait_dscnt 0x0
	;; [unrolled: 8-line block ×3, first 2 shown]
	v_add_f64_e32 v[11:12], v[9:10], v[45:46]
	ds_bpermute_b32 v9, v57, v2
	ds_bpermute_b32 v10, v57, v3
	;; [unrolled: 1-line block ×4, first 2 shown]
	s_and_saveexec_b32 s7, s3
	s_cbranch_execz .LBB372_30
; %bb.29:                               ;   in Loop: Header=BB372_18 Depth=2
	s_wait_dscnt 0x0
	v_add_f64_e32 v[11:12], v[11:12], v[45:46]
	v_add_f64_e32 v[9:10], v[2:3], v[9:10]
	ds_store_b128 v48, v[9:12]
.LBB372_30:                             ;   in Loop: Header=BB372_18 Depth=2
	s_wait_alu 0xfffe
	s_or_b32 exec_lo, exec_lo, s7
	v_mov_b32_e32 v11, 0
	s_wait_dscnt 0x2
	v_dual_mov_b32 v12, 0 :: v_dual_mov_b32 v9, 0
	v_mov_b32_e32 v10, 0
	s_wait_loadcnt_dscnt 0x0
	s_barrier_signal -1
	s_barrier_wait -1
	global_inv scope:SCOPE_SE
	s_and_saveexec_b32 s7, s2
	s_cbranch_execnz .LBB372_54
; %bb.31:                               ;   in Loop: Header=BB372_18 Depth=2
	s_wait_alu 0xfffe
	s_or_b32 exec_lo, exec_lo, s7
	s_and_saveexec_b32 s7, s1
	s_cbranch_execnz .LBB372_55
.LBB372_32:                             ;   in Loop: Header=BB372_18 Depth=2
	s_wait_alu 0xfffe
	s_or_b32 exec_lo, exec_lo, s7
	s_and_saveexec_b32 s7, s1
.LBB372_33:                             ;   in Loop: Header=BB372_18 Depth=2
	v_dual_mov_b32 v2, v1 :: v_dual_mov_b32 v3, v1
	v_mov_b32_e32 v4, v1
	ds_store_b128 v47, v[1:4]
.LBB372_34:                             ;   in Loop: Header=BB372_18 Depth=2
	s_wait_alu 0xfffe
	s_or_b32 exec_lo, exec_lo, s7
	ds_bpermute_b32 v2, v22, v13
	ds_bpermute_b32 v3, v22, v14
	;; [unrolled: 1-line block ×4, first 2 shown]
	s_wait_loadcnt_dscnt 0x0
	s_barrier_signal -1
	s_barrier_wait -1
	global_inv scope:SCOPE_SE
	v_add_f64_e32 v[2:3], v[13:14], v[2:3]
	v_add_f64_e32 v[13:14], v[15:16], v[45:46]
	ds_bpermute_b32 v15, v54, v2
	ds_bpermute_b32 v16, v54, v3
	ds_bpermute_b32 v45, v54, v13
	ds_bpermute_b32 v46, v54, v14
	s_wait_dscnt 0x2
	v_add_f64_e32 v[2:3], v[2:3], v[15:16]
	s_wait_dscnt 0x0
	v_add_f64_e32 v[13:14], v[13:14], v[45:46]
	ds_bpermute_b32 v15, v55, v2
	ds_bpermute_b32 v16, v55, v3
	ds_bpermute_b32 v45, v55, v13
	ds_bpermute_b32 v46, v55, v14
	s_wait_dscnt 0x2
	v_add_f64_e32 v[2:3], v[2:3], v[15:16]
	s_wait_dscnt 0x0
	;; [unrolled: 8-line block ×3, first 2 shown]
	v_add_f64_e32 v[15:16], v[13:14], v[45:46]
	ds_bpermute_b32 v13, v57, v2
	ds_bpermute_b32 v14, v57, v3
	;; [unrolled: 1-line block ×4, first 2 shown]
	s_and_saveexec_b32 s7, s3
	s_cbranch_execz .LBB372_36
; %bb.35:                               ;   in Loop: Header=BB372_18 Depth=2
	s_wait_dscnt 0x0
	v_add_f64_e32 v[15:16], v[15:16], v[45:46]
	v_add_f64_e32 v[13:14], v[2:3], v[13:14]
	ds_store_b128 v48, v[13:16]
.LBB372_36:                             ;   in Loop: Header=BB372_18 Depth=2
	s_wait_alu 0xfffe
	s_or_b32 exec_lo, exec_lo, s7
	v_mov_b32_e32 v15, 0
	s_wait_dscnt 0x2
	v_dual_mov_b32 v16, 0 :: v_dual_mov_b32 v13, 0
	v_mov_b32_e32 v14, 0
	s_wait_loadcnt_dscnt 0x0
	s_barrier_signal -1
	s_barrier_wait -1
	global_inv scope:SCOPE_SE
	s_and_saveexec_b32 s7, s2
	s_cbranch_execnz .LBB372_56
; %bb.37:                               ;   in Loop: Header=BB372_18 Depth=2
	s_wait_alu 0xfffe
	s_or_b32 exec_lo, exec_lo, s7
	s_and_saveexec_b32 s7, s1
	s_cbranch_execnz .LBB372_57
.LBB372_38:                             ;   in Loop: Header=BB372_18 Depth=2
	s_wait_alu 0xfffe
	s_or_b32 exec_lo, exec_lo, s7
	s_and_saveexec_b32 s7, s1
.LBB372_39:                             ;   in Loop: Header=BB372_18 Depth=2
	v_dual_mov_b32 v2, v1 :: v_dual_mov_b32 v3, v1
	v_mov_b32_e32 v4, v1
	ds_store_b128 v47, v[1:4]
.LBB372_40:                             ;   in Loop: Header=BB372_18 Depth=2
	s_wait_alu 0xfffe
	s_or_b32 exec_lo, exec_lo, s7
	ds_bpermute_b32 v2, v22, v17
	ds_bpermute_b32 v3, v22, v18
	;; [unrolled: 1-line block ×4, first 2 shown]
	s_wait_loadcnt_dscnt 0x0
	s_barrier_signal -1
	s_barrier_wait -1
	global_inv scope:SCOPE_SE
	v_add_f64_e32 v[2:3], v[17:18], v[2:3]
	v_add_f64_e32 v[17:18], v[19:20], v[45:46]
	ds_bpermute_b32 v19, v54, v2
	ds_bpermute_b32 v20, v54, v3
	ds_bpermute_b32 v45, v54, v17
	ds_bpermute_b32 v46, v54, v18
	s_wait_dscnt 0x2
	v_add_f64_e32 v[2:3], v[2:3], v[19:20]
	s_wait_dscnt 0x0
	v_add_f64_e32 v[17:18], v[17:18], v[45:46]
	ds_bpermute_b32 v19, v55, v2
	ds_bpermute_b32 v20, v55, v3
	ds_bpermute_b32 v45, v55, v17
	ds_bpermute_b32 v46, v55, v18
	s_wait_dscnt 0x2
	v_add_f64_e32 v[2:3], v[2:3], v[19:20]
	s_wait_dscnt 0x0
	;; [unrolled: 8-line block ×3, first 2 shown]
	v_add_f64_e32 v[19:20], v[17:18], v[45:46]
	ds_bpermute_b32 v17, v57, v2
	ds_bpermute_b32 v18, v57, v3
	;; [unrolled: 1-line block ×4, first 2 shown]
	s_and_saveexec_b32 s7, s3
	s_cbranch_execz .LBB372_42
; %bb.41:                               ;   in Loop: Header=BB372_18 Depth=2
	s_wait_dscnt 0x0
	v_add_f64_e32 v[19:20], v[19:20], v[45:46]
	v_add_f64_e32 v[17:18], v[2:3], v[17:18]
	ds_store_b128 v48, v[17:20]
.LBB372_42:                             ;   in Loop: Header=BB372_18 Depth=2
	s_wait_alu 0xfffe
	s_or_b32 exec_lo, exec_lo, s7
	v_mov_b32_e32 v19, 0
	s_wait_dscnt 0x2
	v_dual_mov_b32 v20, 0 :: v_dual_mov_b32 v17, 0
	v_mov_b32_e32 v18, 0
	s_wait_loadcnt_dscnt 0x0
	s_barrier_signal -1
	s_barrier_wait -1
	global_inv scope:SCOPE_SE
	s_and_saveexec_b32 s7, s2
	s_cbranch_execnz .LBB372_58
; %bb.43:                               ;   in Loop: Header=BB372_18 Depth=2
	s_wait_alu 0xfffe
	s_or_b32 exec_lo, exec_lo, s7
	s_and_saveexec_b32 s7, s1
	s_cbranch_execnz .LBB372_59
.LBB372_44:                             ;   in Loop: Header=BB372_18 Depth=2
	s_wait_alu 0xfffe
	s_or_b32 exec_lo, exec_lo, s7
	s_and_saveexec_b32 s7, s0
	s_cbranch_execz .LBB372_17
	s_branch .LBB372_60
.LBB372_45:                             ;   in Loop: Header=BB372_18 Depth=2
	s_clause 0x2
	flat_load_b128 v[2:5], v[39:40]
	flat_load_b128 v[6:9], v[41:42]
	;; [unrolled: 1-line block ×3, first 2 shown]
	s_mul_i32 s8, s11, s52
	flat_load_b128 v[60:63], v[37:38]
	s_wait_alu 0xfffe
	s_ashr_i32 s9, s8, 31
	s_add_co_i32 s48, s8, s52
	s_wait_alu 0xfffe
	s_lshl_b64 s[8:9], s[8:9], 4
	s_ashr_i32 s49, s48, 31
	s_add_co_i32 s50, s48, s52
	s_wait_alu 0xfffe
	s_lshl_b64 s[48:49], s[48:49], 4
	s_ashr_i32 s51, s50, 31
	s_add_co_i32 s70, s50, s52
	s_wait_dscnt 0x4
	v_add_co_u32 v18, vcc_lo, v52, s8
	s_wait_alu 0xfffd
	v_add_co_ci_u32_e64 v19, null, s9, v53, vcc_lo
	s_lshl_b64 s[8:9], s[50:51], 4
	s_ashr_i32 s71, s70, 31
	s_wait_alu 0xfffe
	v_add_co_u32 v45, vcc_lo, v52, s48
	s_wait_alu 0xfffd
	v_add_co_ci_u32_e64 v46, null, s49, v53, vcc_lo
	s_lshl_b64 s[48:49], s[70:71], 4
	v_add_co_u32 v116, vcc_lo, v52, s8
	s_wait_alu 0xfffd
	v_add_co_ci_u32_e64 v117, null, s9, v53, vcc_lo
	s_wait_alu 0xfffe
	v_add_co_u32 v120, vcc_lo, v52, s48
	s_wait_alu 0xfffd
	v_add_co_ci_u32_e64 v121, null, s49, v53, vcc_lo
	s_clause 0x4
	flat_load_b128 v[14:17], v[18:19]
	flat_load_b128 v[64:67], v[45:46]
	;; [unrolled: 1-line block ×4, first 2 shown]
	flat_load_b128 v[76:79], v[18:19] offset:16
	s_wait_loadcnt_dscnt 0x808
	scratch_store_b128 off, v[2:5], s60
	scratch_load_b128 v[2:5], off, off offset:16
	s_clause 0x3
	flat_load_b128 v[80:83], v[45:46] offset:16
	flat_load_b128 v[84:87], v[116:117] offset:16
	flat_load_b128 v[88:91], v[120:121] offset:16
	flat_load_b128 v[92:95], v[18:19] offset:32
	s_wait_loadcnt_dscnt 0xc0b
	scratch_store_b128 off, v[6:9], s61
	scratch_load_b128 v[6:9], off, off offset:32
	s_clause 0x3
	flat_load_b128 v[96:99], v[45:46] offset:32
	flat_load_b128 v[100:103], v[116:117] offset:32
	flat_load_b128 v[104:107], v[120:121] offset:32
	;; [unrolled: 8-line block ×3, first 2 shown]
	s_wait_loadcnt_dscnt 0x1310
	scratch_store_b128 off, v[60:63], off
	s_wait_loadcnt_dscnt 0x110e
	v_mul_f64_e32 v[45:46], v[62:63], v[66:67]
	v_mul_f64_e32 v[66:67], v[60:61], v[66:67]
	;; [unrolled: 1-line block ×4, first 2 shown]
	s_wait_loadcnt_dscnt 0x100d
	v_mul_f64_e32 v[124:125], v[62:63], v[70:71]
	v_mul_f64_e32 v[70:71], v[60:61], v[70:71]
	s_wait_loadcnt_dscnt 0xf0c
	v_mul_f64_e32 v[126:127], v[62:63], v[74:75]
	v_mul_f64_e32 v[74:75], v[60:61], v[74:75]
	v_fma_f64 v[18:19], v[60:61], v[14:15], v[18:19]
	v_fma_f64 v[14:15], v[62:63], v[14:15], -v[16:17]
	v_fma_f64 v[16:17], v[60:61], v[64:65], v[45:46]
	v_fma_f64 v[45:46], v[62:63], v[64:65], -v[66:67]
	;; [unrolled: 2-line block ×4, first 2 shown]
	v_add_f64_e32 v[18:19], 0, v[18:19]
	v_add_f64_e32 v[14:15], 0, v[14:15]
	;; [unrolled: 1-line block ×8, first 2 shown]
	s_wait_loadcnt_dscnt 0xd0b
	v_mul_f64_e32 v[72:73], v[4:5], v[78:79]
	v_mul_f64_e32 v[74:75], v[2:3], v[78:79]
	s_wait_loadcnt_dscnt 0xc0a
	v_mul_f64_e32 v[78:79], v[4:5], v[82:83]
	v_mul_f64_e32 v[82:83], v[2:3], v[82:83]
	;; [unrolled: 3-line block ×8, first 2 shown]
	v_fma_f64 v[72:73], v[2:3], v[76:77], v[72:73]
	v_fma_f64 v[74:75], v[4:5], v[76:77], -v[74:75]
	v_fma_f64 v[76:77], v[2:3], v[80:81], v[78:79]
	v_fma_f64 v[78:79], v[4:5], v[80:81], -v[82:83]
	;; [unrolled: 2-line block ×4, first 2 shown]
	s_wait_loadcnt_dscnt 0x303
	v_mul_f64_e32 v[84:85], v[12:13], v[110:111]
	v_mul_f64_e32 v[86:87], v[10:11], v[110:111]
	s_wait_loadcnt_dscnt 0x202
	v_mul_f64_e32 v[88:89], v[12:13], v[114:115]
	v_mul_f64_e32 v[90:91], v[10:11], v[114:115]
	s_wait_loadcnt_dscnt 0x101
	v_mul_f64_e32 v[110:111], v[12:13], v[118:119]
	v_mul_f64_e32 v[114:115], v[10:11], v[118:119]
	s_wait_loadcnt_dscnt 0x0
	v_mul_f64_e32 v[118:119], v[12:13], v[122:123]
	v_mul_f64_e32 v[122:123], v[10:11], v[122:123]
	v_fma_f64 v[124:125], v[6:7], v[92:93], v[128:129]
	v_fma_f64 v[92:93], v[8:9], v[92:93], -v[94:95]
	v_fma_f64 v[94:95], v[6:7], v[96:97], v[130:131]
	v_fma_f64 v[96:97], v[8:9], v[96:97], -v[98:99]
	;; [unrolled: 2-line block ×4, first 2 shown]
	v_add_f64_e32 v[18:19], v[18:19], v[72:73]
	v_add_f64_e32 v[14:15], v[14:15], v[74:75]
	;; [unrolled: 1-line block ×8, first 2 shown]
	v_fma_f64 v[68:69], v[10:11], v[108:109], v[84:85]
	v_fma_f64 v[70:71], v[12:13], v[108:109], -v[86:87]
	v_fma_f64 v[72:73], v[10:11], v[112:113], v[88:89]
	v_fma_f64 v[74:75], v[12:13], v[112:113], -v[90:91]
	;; [unrolled: 2-line block ×4, first 2 shown]
	v_add_f64_e32 v[10:11], v[18:19], v[124:125]
	v_add_f64_e32 v[12:13], v[14:15], v[92:93]
	;; [unrolled: 1-line block ×16, first 2 shown]
	s_and_not1_saveexec_b32 s34, s7
	s_cbranch_execz .LBB372_20
.LBB372_46:                             ;   in Loop: Header=BB372_18 Depth=2
	s_wait_dscnt 0x0
	v_mov_b32_e32 v17, 0
	v_mov_b32_e32 v13, 0
	;; [unrolled: 1-line block ×3, first 2 shown]
	v_dual_mov_b32 v7, 0 :: v_dual_mov_b32 v18, 0
	v_dual_mov_b32 v19, 0 :: v_dual_mov_b32 v14, 0
	;; [unrolled: 1-line block ×5, first 2 shown]
	v_mov_b32_e32 v16, 0
	v_mov_b32_e32 v12, 0
	;; [unrolled: 1-line block ×3, first 2 shown]
	s_and_saveexec_b32 s69, s5
	s_cbranch_execz .LBB372_62
; %bb.47:                               ;   in Loop: Header=BB372_18 Depth=2
	s_and_not1_b32 vcc_lo, exec_lo, s59
	s_wait_alu 0xfffe
	s_cbranch_vccnz .LBB372_61
; %bb.48:                               ;   in Loop: Header=BB372_18 Depth=2
	v_mov_b32_e32 v2, v21
	s_mov_b32 s7, 0
	s_mov_b32 s8, s57
.LBB372_49:                             ;   Parent Loop BB372_3 Depth=1
                                        ;     Parent Loop BB372_18 Depth=2
                                        ; =>    This Inner Loop Header: Depth=3
	s_delay_alu instid0(VALU_DEP_1) | instskip(SKIP_2) | instid1(VALU_DEP_1)
	v_ashrrev_i32_e32 v3, 31, v2
	s_wait_alu 0xfffe
	s_add_co_i32 s8, s8, -1
	v_lshlrev_b64_e32 v[3:4], 4, v[2:3]
	v_add_nc_u32_e32 v2, s53, v2
	s_delay_alu instid0(VALU_DEP_2) | instskip(SKIP_1) | instid1(VALU_DEP_3)
	v_add_co_u32 v3, vcc_lo, v33, v3
	s_wait_alu 0xfffd
	v_add_co_ci_u32_e64 v4, null, v34, v4, vcc_lo
	flat_load_b128 v[3:6], v[3:4]
	s_wait_loadcnt_dscnt 0x0
	scratch_store_b128 off, v[3:6], s7
	s_add_co_i32 s7, s7, 16
	s_wait_alu 0xfffe
	s_cmp_eq_u32 s8, 0
	s_cbranch_scc0 .LBB372_49
; %bb.50:                               ;   in Loop: Header=BB372_18 Depth=2
	s_ashr_i32 s7, s6, 31
	v_mov_b32_e32 v5, 0
	s_wait_alu 0xfffe
	s_lshl_b64 s[8:9], s[6:7], 4
	v_mov_b32_e32 v11, 0
	s_wait_alu 0xfffe
	v_add_co_u32 v2, vcc_lo, v58, s8
	v_mov_b32_e32 v15, 0
	v_dual_mov_b32 v19, 0 :: v_dual_mov_b32 v6, 0
	v_dual_mov_b32 v7, 0 :: v_dual_mov_b32 v12, 0
	v_dual_mov_b32 v9, 0 :: v_dual_mov_b32 v16, 0
	v_dual_mov_b32 v13, 0 :: v_dual_mov_b32 v20, 0
	v_mov_b32_e32 v17, 0
	s_wait_alu 0xfffd
	v_add_co_ci_u32_e64 v3, null, s9, v59, vcc_lo
	v_mov_b32_e32 v8, 0
	v_mov_b32_e32 v10, 0
	;; [unrolled: 1-line block ×4, first 2 shown]
	s_mov_b32 s7, s63
	s_mov_b32 s8, s66
	;; [unrolled: 1-line block ×5, first 2 shown]
.LBB372_51:                             ;   Parent Loop BB372_3 Depth=1
                                        ;     Parent Loop BB372_18 Depth=2
                                        ; =>    This Inner Loop Header: Depth=3
	s_ashr_i32 s51, s50, 31
	s_wait_alu 0xfffe
	s_ashr_i32 s49, s48, 31
	s_lshl_b64 s[72:73], s[50:51], 4
	s_ashr_i32 s9, s8, 31
	s_wait_alu 0xfffe
	s_lshl_b64 s[74:75], s[48:49], 4
	v_add_co_u32 v45, vcc_lo, v52, s72
	s_lshl_b64 s[76:77], s[8:9], 4
	s_wait_alu 0xfffd
	v_add_co_ci_u32_e64 v46, null, s73, v53, vcc_lo
	s_wait_alu 0xfffe
	v_add_co_u32 v72, vcc_lo, v52, s74
	s_wait_alu 0xfffd
	v_add_co_ci_u32_e64 v73, null, s75, v53, vcc_lo
	v_add_co_u32 v76, vcc_lo, v52, s76
	s_wait_alu 0xfffd
	v_add_co_ci_u32_e64 v77, null, s77, v53, vcc_lo
	scratch_load_b128 v[60:63], off, s7 offset:-8
	flat_load_b128 v[64:67], v[2:3] offset:-8
	s_clause 0x2
	flat_load_b128 v[68:71], v[45:46]
	flat_load_b128 v[72:75], v[72:73]
	;; [unrolled: 1-line block ×3, first 2 shown]
	v_add_co_u32 v2, vcc_lo, v2, 16
	s_wait_alu 0xfffd
	v_add_co_ci_u32_e64 v3, null, 0, v3, vcc_lo
	s_add_co_i32 s70, s70, -1
	s_add_co_i32 s7, s7, 16
	s_add_co_i32 s50, s50, 1
	;; [unrolled: 1-line block ×4, first 2 shown]
	s_cmp_lg_u32 s70, 0
	s_wait_loadcnt_dscnt 0x202
	v_mul_f64_e32 v[80:81], v[62:63], v[70:71]
	v_mul_f64_e32 v[45:46], v[62:63], v[66:67]
	;; [unrolled: 1-line block ×4, first 2 shown]
	s_wait_loadcnt_dscnt 0x101
	v_mul_f64_e32 v[82:83], v[62:63], v[74:75]
	v_mul_f64_e32 v[74:75], v[60:61], v[74:75]
	s_wait_loadcnt_dscnt 0x0
	v_mul_f64_e32 v[84:85], v[62:63], v[78:79]
	v_mul_f64_e32 v[78:79], v[60:61], v[78:79]
	v_fma_f64 v[45:46], v[60:61], v[64:65], v[45:46]
	v_fma_f64 v[64:65], v[62:63], v[64:65], -v[66:67]
	v_fma_f64 v[66:67], v[60:61], v[68:69], v[80:81]
	v_fma_f64 v[68:69], v[62:63], v[68:69], -v[70:71]
	;; [unrolled: 2-line block ×4, first 2 shown]
	v_add_f64_e32 v[7:8], v[7:8], v[45:46]
	v_add_f64_e32 v[5:6], v[5:6], v[64:65]
	;; [unrolled: 1-line block ×8, first 2 shown]
	s_cbranch_scc1 .LBB372_51
	s_branch .LBB372_62
.LBB372_52:                             ;   in Loop: Header=BB372_18 Depth=2
	ds_load_b128 v[5:8], v47
	s_wait_alu 0xfffe
	s_or_b32 exec_lo, exec_lo, s7
	s_and_saveexec_b32 s7, s1
	s_cbranch_execz .LBB372_26
.LBB372_53:                             ;   in Loop: Header=BB372_18 Depth=2
	s_wait_dscnt 0x0
	ds_bpermute_b32 v2, v55, v5
	ds_bpermute_b32 v3, v55, v6
	ds_bpermute_b32 v45, v55, v7
	ds_bpermute_b32 v46, v55, v8
	s_wait_dscnt 0x2
	v_add_f64_e32 v[2:3], v[5:6], v[2:3]
	s_wait_dscnt 0x0
	v_add_f64_e32 v[4:5], v[7:8], v[45:46]
	ds_bpermute_b32 v6, v56, v2
	ds_bpermute_b32 v7, v56, v3
	ds_bpermute_b32 v45, v56, v4
	ds_bpermute_b32 v46, v56, v5
	s_wait_dscnt 0x2
	v_add_f64_e32 v[2:3], v[2:3], v[6:7]
	s_wait_dscnt 0x0
	v_add_f64_e32 v[7:8], v[4:5], v[45:46]
	;; [unrolled: 8-line block ×3, first 2 shown]
	s_wait_alu 0xfffe
	s_or_b32 exec_lo, exec_lo, s7
	s_and_saveexec_b32 s7, s1
	s_cbranch_execnz .LBB372_27
	s_branch .LBB372_28
.LBB372_54:                             ;   in Loop: Header=BB372_18 Depth=2
	ds_load_b128 v[9:12], v47
	s_wait_alu 0xfffe
	s_or_b32 exec_lo, exec_lo, s7
	s_and_saveexec_b32 s7, s1
	s_cbranch_execz .LBB372_32
.LBB372_55:                             ;   in Loop: Header=BB372_18 Depth=2
	s_wait_dscnt 0x0
	ds_bpermute_b32 v2, v55, v9
	ds_bpermute_b32 v3, v55, v10
	ds_bpermute_b32 v45, v55, v11
	ds_bpermute_b32 v46, v55, v12
	s_wait_dscnt 0x2
	v_add_f64_e32 v[2:3], v[9:10], v[2:3]
	s_wait_dscnt 0x0
	v_add_f64_e32 v[9:10], v[11:12], v[45:46]
	ds_bpermute_b32 v11, v56, v2
	ds_bpermute_b32 v12, v56, v3
	ds_bpermute_b32 v45, v56, v9
	ds_bpermute_b32 v46, v56, v10
	s_wait_dscnt 0x2
	v_add_f64_e32 v[2:3], v[2:3], v[11:12]
	s_wait_dscnt 0x0
	v_add_f64_e32 v[11:12], v[9:10], v[45:46]
	;; [unrolled: 8-line block ×3, first 2 shown]
	s_wait_alu 0xfffe
	s_or_b32 exec_lo, exec_lo, s7
	s_and_saveexec_b32 s7, s1
	s_cbranch_execnz .LBB372_33
	s_branch .LBB372_34
.LBB372_56:                             ;   in Loop: Header=BB372_18 Depth=2
	ds_load_b128 v[13:16], v47
	s_wait_alu 0xfffe
	s_or_b32 exec_lo, exec_lo, s7
	s_and_saveexec_b32 s7, s1
	s_cbranch_execz .LBB372_38
.LBB372_57:                             ;   in Loop: Header=BB372_18 Depth=2
	s_wait_dscnt 0x0
	ds_bpermute_b32 v2, v55, v13
	ds_bpermute_b32 v3, v55, v14
	ds_bpermute_b32 v45, v55, v15
	ds_bpermute_b32 v46, v55, v16
	s_wait_dscnt 0x2
	v_add_f64_e32 v[2:3], v[13:14], v[2:3]
	s_wait_dscnt 0x0
	v_add_f64_e32 v[13:14], v[15:16], v[45:46]
	ds_bpermute_b32 v15, v56, v2
	ds_bpermute_b32 v16, v56, v3
	ds_bpermute_b32 v45, v56, v13
	ds_bpermute_b32 v46, v56, v14
	s_wait_dscnt 0x2
	v_add_f64_e32 v[2:3], v[2:3], v[15:16]
	s_wait_dscnt 0x0
	v_add_f64_e32 v[15:16], v[13:14], v[45:46]
	;; [unrolled: 8-line block ×3, first 2 shown]
	s_wait_alu 0xfffe
	s_or_b32 exec_lo, exec_lo, s7
	s_and_saveexec_b32 s7, s1
	s_cbranch_execnz .LBB372_39
	s_branch .LBB372_40
.LBB372_58:                             ;   in Loop: Header=BB372_18 Depth=2
	ds_load_b128 v[17:20], v47
	s_wait_alu 0xfffe
	s_or_b32 exec_lo, exec_lo, s7
	s_and_saveexec_b32 s7, s1
	s_cbranch_execz .LBB372_44
.LBB372_59:                             ;   in Loop: Header=BB372_18 Depth=2
	s_wait_dscnt 0x0
	ds_bpermute_b32 v2, v55, v17
	ds_bpermute_b32 v3, v55, v18
	ds_bpermute_b32 v45, v55, v19
	ds_bpermute_b32 v46, v55, v20
	s_wait_dscnt 0x2
	v_add_f64_e32 v[2:3], v[17:18], v[2:3]
	s_wait_dscnt 0x0
	v_add_f64_e32 v[17:18], v[19:20], v[45:46]
	ds_bpermute_b32 v19, v56, v2
	ds_bpermute_b32 v20, v56, v3
	ds_bpermute_b32 v45, v56, v17
	ds_bpermute_b32 v46, v56, v18
	s_wait_dscnt 0x2
	v_add_f64_e32 v[2:3], v[2:3], v[19:20]
	s_wait_dscnt 0x0
	v_add_f64_e32 v[19:20], v[17:18], v[45:46]
	ds_bpermute_b32 v17, v57, v2
	ds_bpermute_b32 v18, v57, v3
	ds_bpermute_b32 v45, v57, v19
	ds_bpermute_b32 v46, v57, v20
	s_wait_dscnt 0x2
	v_add_f64_e32 v[17:18], v[2:3], v[17:18]
	s_wait_dscnt 0x0
	v_add_f64_e32 v[19:20], v[19:20], v[45:46]
	s_wait_alu 0xfffe
	s_or_b32 exec_lo, exec_lo, s7
	s_and_saveexec_b32 s7, s0
	s_cbranch_execz .LBB372_17
.LBB372_60:                             ;   in Loop: Header=BB372_18 Depth=2
	v_mul_f64_e32 v[2:3], s[14:15], v[7:8]
	v_mul_f64_e32 v[7:8], s[12:13], v[7:8]
	;; [unrolled: 1-line block ×6, first 2 shown]
	s_wait_dscnt 0x0
	v_mul_f64_e32 v[62:63], s[14:15], v[19:20]
	v_mul_f64_e32 v[19:20], s[12:13], v[19:20]
	s_mul_i32 s8, s11, s28
	s_wait_alu 0xfffe
	s_add_co_i32 s34, s8, s24
	s_delay_alu instid0(SALU_CYCLE_1)
	s_lshl_b64 s[8:9], s[34:35], 4
	s_add_co_i32 s34, s34, s28
	s_wait_alu 0xfffe
	s_add_nc_u64 s[8:9], s[46:47], s[8:9]
	s_lshl_b64 s[48:49], s[34:35], 4
	s_add_co_i32 s34, s34, s28
	s_wait_alu 0xfffe
	s_add_nc_u64 s[48:49], s[46:47], s[48:49]
	s_lshl_b64 s[50:51], s[34:35], 4
	s_add_co_i32 s34, s34, s28
	s_add_nc_u64 s[50:51], s[46:47], s[50:51]
	s_lshl_b64 s[70:71], s[34:35], 4
	s_delay_alu instid0(SALU_CYCLE_1)
	s_add_nc_u64 s[70:71], s[46:47], s[70:71]
	v_fma_f64 v[2:3], s[12:13], v[5:6], -v[2:3]
	v_fma_f64 v[4:5], s[14:15], v[5:6], v[7:8]
	v_fma_f64 v[6:7], s[12:13], v[9:10], -v[45:46]
	v_fma_f64 v[8:9], s[14:15], v[9:10], v[11:12]
	;; [unrolled: 2-line block ×4, first 2 shown]
	s_clause 0x3
	global_store_b128 v1, v[2:5], s[8:9]
	global_store_b128 v1, v[6:9], s[48:49]
	;; [unrolled: 1-line block ×4, first 2 shown]
	s_branch .LBB372_17
.LBB372_61:                             ;   in Loop: Header=BB372_18 Depth=2
	v_mov_b32_e32 v17, 0
	v_mov_b32_e32 v13, 0
	;; [unrolled: 1-line block ×3, first 2 shown]
	v_dual_mov_b32 v7, 0 :: v_dual_mov_b32 v18, 0
	v_dual_mov_b32 v19, 0 :: v_dual_mov_b32 v14, 0
	;; [unrolled: 1-line block ×5, first 2 shown]
	v_mov_b32_e32 v16, 0
	v_mov_b32_e32 v12, 0
	;; [unrolled: 1-line block ×3, first 2 shown]
.LBB372_62:                             ;   in Loop: Header=BB372_18 Depth=2
	s_or_b32 exec_lo, exec_lo, s69
	s_delay_alu instid0(SALU_CYCLE_1)
	s_or_b32 exec_lo, exec_lo, s34
	s_and_saveexec_b32 s7, s1
	s_cbranch_execnz .LBB372_21
	s_branch .LBB372_22
.LBB372_63:                             ;   in Loop: Header=BB372_3 Depth=1
	s_mov_b32 s11, 0
.LBB372_64:                             ;   in Loop: Header=BB372_3 Depth=1
	s_delay_alu instid0(SALU_CYCLE_1)
	s_cmp_ge_i32 s11, s27
	s_cbranch_scc1 .LBB372_2
; %bb.65:                               ;   in Loop: Header=BB372_3 Depth=1
	v_cmp_gt_u32_e32 vcc_lo, 24, v51
	s_wait_alu 0xfffe
	s_add_nc_u64 s[6:7], s[46:47], s[38:39]
	s_mul_i32 s8, s52, s11
	s_mov_b32 s34, s11
	s_wait_dscnt 0x0
	s_wait_alu 0xfffd
	v_cndmask_b32_e64 v2, 0, 8, vcc_lo
	v_cmp_gt_u32_e32 vcc_lo, 28, v51
	s_wait_dscnt 0x0
	s_delay_alu instid0(VALU_DEP_2) | instskip(SKIP_3) | instid1(VALU_DEP_2)
	v_add_lshl_u32 v18, v2, v51, 2
	s_wait_alu 0xfffd
	v_cndmask_b32_e64 v3, 0, 4, vcc_lo
	v_cmp_gt_u32_e32 vcc_lo, 30, v51
	v_add_lshl_u32 v19, v3, v51, 2
	s_wait_alu 0xfffd
	v_cndmask_b32_e64 v4, 0, 2, vcc_lo
	v_cmp_ne_u32_e32 vcc_lo, 31, v51
	s_delay_alu instid0(VALU_DEP_2)
	v_add_lshl_u32 v20, v4, v51, 2
	s_wait_alu 0xfffd
	v_add_co_ci_u32_e64 v5, null, 0, v51, vcc_lo
	v_add_co_u32 v6, vcc_lo, v33, v25
	s_wait_alu 0xfffd
	v_add_co_ci_u32_e64 v7, null, v34, v26, vcc_lo
	v_add_co_u32 v8, vcc_lo, v33, v27
	;; [unrolled: 3-line block ×5, first 2 shown]
	v_lshlrev_b32_e32 v37, 2, v5
	s_wait_alu 0xfffd
	v_add_co_ci_u32_e64 v36, null, v36, v50, vcc_lo
	s_branch .LBB372_67
.LBB372_66:                             ;   in Loop: Header=BB372_67 Depth=2
	s_wait_alu 0xfffe
	s_or_b32 exec_lo, exec_lo, s9
	s_add_co_i32 s34, s34, 1
	s_add_co_i32 s8, s8, s52
	s_cmp_lt_i32 s34, s27
	s_cbranch_scc0 .LBB372_2
.LBB372_67:                             ;   Parent Loop BB372_3 Depth=1
                                        ; =>  This Loop Header: Depth=2
                                        ;       Child Loop BB372_79 Depth 3
                                        ;       Child Loop BB372_81 Depth 3
                                        ; implicit-def: $vgpr14_vgpr15
                                        ; implicit-def: $vgpr16_vgpr17
	s_and_saveexec_b32 s9, s4
	s_wait_alu 0xfffe
	s_xor_b32 s9, exec_lo, s9
	s_cbranch_execnz .LBB372_76
; %bb.68:                               ;   in Loop: Header=BB372_67 Depth=2
	s_wait_alu 0xfffe
	s_and_not1_saveexec_b32 s11, s9
	s_cbranch_execnz .LBB372_77
.LBB372_69:                             ;   in Loop: Header=BB372_67 Depth=2
	s_or_b32 exec_lo, exec_lo, s11
	s_and_saveexec_b32 s9, s1
	s_cbranch_execz .LBB372_71
.LBB372_70:                             ;   in Loop: Header=BB372_67 Depth=2
	s_wait_dscnt 0x0
	v_dual_mov_b32 v2, v1 :: v_dual_mov_b32 v3, v1
	v_mov_b32_e32 v4, v1
	ds_store_b128 v47, v[1:4]
.LBB372_71:                             ;   in Loop: Header=BB372_67 Depth=2
	s_wait_alu 0xfffe
	s_or_b32 exec_lo, exec_lo, s9
	s_wait_dscnt 0x0
	ds_bpermute_b32 v2, v22, v14
	ds_bpermute_b32 v3, v22, v15
	;; [unrolled: 1-line block ×4, first 2 shown]
	s_wait_storecnt 0x0
	s_wait_loadcnt_dscnt 0x0
	s_barrier_signal -1
	s_barrier_wait -1
	global_inv scope:SCOPE_SE
	v_add_f64_e32 v[2:3], v[14:15], v[2:3]
	v_add_f64_e32 v[4:5], v[16:17], v[4:5]
	ds_bpermute_b32 v14, v18, v2
	ds_bpermute_b32 v15, v18, v3
	ds_bpermute_b32 v16, v18, v4
	ds_bpermute_b32 v17, v18, v5
	s_wait_dscnt 0x2
	v_add_f64_e32 v[2:3], v[2:3], v[14:15]
	s_wait_dscnt 0x0
	v_add_f64_e32 v[4:5], v[4:5], v[16:17]
	ds_bpermute_b32 v14, v19, v2
	ds_bpermute_b32 v15, v19, v3
	ds_bpermute_b32 v16, v19, v4
	ds_bpermute_b32 v17, v19, v5
	s_wait_dscnt 0x2
	v_add_f64_e32 v[2:3], v[2:3], v[14:15]
	s_wait_dscnt 0x0
	v_add_f64_e32 v[4:5], v[4:5], v[16:17]
	ds_bpermute_b32 v14, v20, v2
	ds_bpermute_b32 v15, v20, v3
	ds_bpermute_b32 v16, v20, v4
	ds_bpermute_b32 v17, v20, v5
	s_wait_dscnt 0x2
	v_add_f64_e32 v[2:3], v[2:3], v[14:15]
	s_wait_dscnt 0x0
	v_add_f64_e32 v[14:15], v[4:5], v[16:17]
	ds_bpermute_b32 v4, v37, v2
	ds_bpermute_b32 v5, v37, v3
	;; [unrolled: 1-line block ×4, first 2 shown]
	s_and_saveexec_b32 s9, s3
	s_cbranch_execz .LBB372_73
; %bb.72:                               ;   in Loop: Header=BB372_67 Depth=2
	s_wait_dscnt 0x0
	v_add_f64_e32 v[16:17], v[14:15], v[16:17]
	v_add_f64_e32 v[14:15], v[2:3], v[4:5]
	ds_store_b128 v48, v[14:17]
.LBB372_73:                             ;   in Loop: Header=BB372_67 Depth=2
	s_wait_alu 0xfffe
	s_or_b32 exec_lo, exec_lo, s9
	s_wait_dscnt 0x2
	v_mov_b32_e32 v4, 0
	v_dual_mov_b32 v5, 0 :: v_dual_mov_b32 v2, 0
	v_mov_b32_e32 v3, 0
	s_wait_loadcnt_dscnt 0x0
	s_barrier_signal -1
	s_barrier_wait -1
	global_inv scope:SCOPE_SE
	s_and_saveexec_b32 s9, s2
	s_cbranch_execnz .LBB372_83
; %bb.74:                               ;   in Loop: Header=BB372_67 Depth=2
	s_wait_alu 0xfffe
	s_or_b32 exec_lo, exec_lo, s9
	s_and_saveexec_b32 s9, s1
	s_cbranch_execnz .LBB372_84
.LBB372_75:                             ;   in Loop: Header=BB372_67 Depth=2
	s_wait_alu 0xfffe
	s_or_b32 exec_lo, exec_lo, s9
	s_and_saveexec_b32 s9, s0
	s_cbranch_execz .LBB372_66
	s_branch .LBB372_85
.LBB372_76:                             ;   in Loop: Header=BB372_67 Depth=2
	s_wait_dscnt 0x0
	s_clause 0x2
	flat_load_b128 v[2:5], v[8:9]
	flat_load_b128 v[14:17], v[10:11]
	;; [unrolled: 1-line block ×3, first 2 shown]
	s_mul_i32 s46, s34, s52
	s_wait_alu 0xfffe
	s_ashr_i32 s47, s46, 31
	s_wait_alu 0xfffe
	s_lshl_b64 s[46:47], s[46:47], 4
	s_wait_alu 0xfffe
	v_add_co_u32 v66, vcc_lo, v52, s46
	s_wait_alu 0xfffd
	v_add_co_ci_u32_e64 v67, null, s47, v53, vcc_lo
	flat_load_b128 v[42:45], v[6:7]
	s_clause 0x1
	flat_load_b128 v[54:57], v[66:67]
	flat_load_b128 v[58:61], v[66:67] offset:16
	s_wait_loadcnt_dscnt 0x505
	scratch_store_b128 off, v[2:5], s60
	s_wait_loadcnt_dscnt 0x404
	scratch_store_b128 off, v[14:17], s61
	s_clause 0x1
	scratch_load_b128 v[2:5], off, off offset:16
	scratch_load_b128 v[14:17], off, off offset:32
	s_clause 0x1
	flat_load_b128 v[62:65], v[66:67] offset:32
	flat_load_b128 v[66:69], v[66:67] offset:48
	s_wait_loadcnt_dscnt 0x705
	scratch_store_b128 off, v[38:41], s62
	scratch_load_b128 v[38:41], off, off offset:48
	s_wait_loadcnt_dscnt 0x704
	scratch_store_b128 off, v[42:45], off
	s_wait_loadcnt_dscnt 0x603
	v_mul_f64_e32 v[70:71], v[56:57], v[44:45]
	v_mul_f64_e32 v[56:57], v[56:57], v[42:43]
	s_delay_alu instid0(VALU_DEP_2) | instskip(NEXT) | instid1(VALU_DEP_2)
	v_fma_f64 v[70:71], v[54:55], v[42:43], v[70:71]
	v_fma_f64 v[54:55], v[54:55], v[44:45], -v[56:57]
	s_delay_alu instid0(VALU_DEP_2) | instskip(NEXT) | instid1(VALU_DEP_2)
	v_add_f64_e32 v[70:71], 0, v[70:71]
	v_add_f64_e32 v[54:55], 0, v[54:55]
	s_wait_loadcnt_dscnt 0x402
	v_mul_f64_e32 v[56:57], v[60:61], v[4:5]
	v_mul_f64_e32 v[60:61], v[60:61], v[2:3]
	s_wait_loadcnt_dscnt 0x201
	v_mul_f64_e32 v[72:73], v[64:65], v[16:17]
	v_mul_f64_e32 v[64:65], v[64:65], v[14:15]
	s_delay_alu instid0(VALU_DEP_4) | instskip(NEXT) | instid1(VALU_DEP_4)
	v_fma_f64 v[2:3], v[58:59], v[2:3], v[56:57]
	v_fma_f64 v[4:5], v[58:59], v[4:5], -v[60:61]
	s_wait_loadcnt_dscnt 0x0
	v_mul_f64_e32 v[56:57], v[68:69], v[40:41]
	v_mul_f64_e32 v[58:59], v[68:69], v[38:39]
	v_fma_f64 v[14:15], v[62:63], v[14:15], v[72:73]
	v_fma_f64 v[16:17], v[62:63], v[16:17], -v[64:65]
	v_add_f64_e32 v[2:3], v[70:71], v[2:3]
	v_add_f64_e32 v[4:5], v[54:55], v[4:5]
	v_fma_f64 v[38:39], v[66:67], v[38:39], v[56:57]
	v_fma_f64 v[40:41], v[66:67], v[40:41], -v[58:59]
	s_delay_alu instid0(VALU_DEP_4) | instskip(NEXT) | instid1(VALU_DEP_4)
	v_add_f64_e32 v[2:3], v[2:3], v[14:15]
	v_add_f64_e32 v[4:5], v[4:5], v[16:17]
	s_delay_alu instid0(VALU_DEP_2) | instskip(NEXT) | instid1(VALU_DEP_2)
	v_add_f64_e32 v[14:15], v[2:3], v[38:39]
	v_add_f64_e32 v[16:17], v[4:5], v[40:41]
	s_and_not1_saveexec_b32 s11, s9
	s_cbranch_execz .LBB372_69
.LBB372_77:                             ;   in Loop: Header=BB372_67 Depth=2
	v_mov_b32_e32 v14, 0
	v_dual_mov_b32 v15, 0 :: v_dual_mov_b32 v16, 0
	v_mov_b32_e32 v17, 0
	s_and_saveexec_b32 s46, s26
	s_cbranch_execz .LBB372_82
; %bb.78:                               ;   in Loop: Header=BB372_67 Depth=2
	s_wait_dscnt 0x0
	v_mov_b32_e32 v2, v21
	s_mov_b32 s9, 0
	s_mov_b32 s47, s57
.LBB372_79:                             ;   Parent Loop BB372_3 Depth=1
                                        ;     Parent Loop BB372_67 Depth=2
                                        ; =>    This Inner Loop Header: Depth=3
	s_delay_alu instid0(VALU_DEP_1) | instskip(SKIP_2) | instid1(VALU_DEP_1)
	v_ashrrev_i32_e32 v3, 31, v2
	s_wait_alu 0xfffe
	s_add_co_i32 s47, s47, -1
	v_lshlrev_b64_e32 v[3:4], 4, v[2:3]
	v_add_nc_u32_e32 v2, s53, v2
	s_delay_alu instid0(VALU_DEP_2) | instskip(SKIP_1) | instid1(VALU_DEP_3)
	v_add_co_u32 v3, vcc_lo, v33, v3
	s_wait_alu 0xfffd
	v_add_co_ci_u32_e64 v4, null, v34, v4, vcc_lo
	flat_load_b128 v[14:17], v[3:4]
	s_wait_loadcnt_dscnt 0x0
	scratch_store_b128 off, v[14:17], s9
	s_add_co_i32 s9, s9, 16
	s_wait_alu 0xfffe
	s_cmp_eq_u32 s47, 0
	s_cbranch_scc0 .LBB372_79
; %bb.80:                               ;   in Loop: Header=BB372_67 Depth=2
	s_ashr_i32 s9, s8, 31
	v_mov_b32_e32 v14, 0
	s_wait_alu 0xfffe
	s_lshl_b64 s[48:49], s[8:9], 4
	v_dual_mov_b32 v15, 0 :: v_dual_mov_b32 v16, 0
	s_wait_alu 0xfffe
	v_add_co_u32 v2, vcc_lo, v35, s48
	v_mov_b32_e32 v17, 0
	s_wait_alu 0xfffd
	v_add_co_ci_u32_e64 v3, null, s49, v36, vcc_lo
	s_mov_b32 s9, s63
	s_mov_b32 s47, s57
.LBB372_81:                             ;   Parent Loop BB372_3 Depth=1
                                        ;     Parent Loop BB372_67 Depth=2
                                        ; =>    This Inner Loop Header: Depth=3
	flat_load_b128 v[38:41], v[2:3] offset:-8
	scratch_load_b128 v[42:45], off, s9 offset:-8
	v_add_co_u32 v2, vcc_lo, v2, 16
	s_wait_alu 0xfffd
	v_add_co_ci_u32_e64 v3, null, 0, v3, vcc_lo
	s_wait_alu 0xfffe
	s_add_co_i32 s47, s47, -1
	s_add_co_i32 s9, s9, 16
	s_wait_alu 0xfffe
	s_cmp_lg_u32 s47, 0
	s_wait_loadcnt_dscnt 0x0
	v_mul_f64_e32 v[4:5], v[40:41], v[44:45]
	v_mul_f64_e32 v[40:41], v[40:41], v[42:43]
	s_delay_alu instid0(VALU_DEP_2) | instskip(NEXT) | instid1(VALU_DEP_2)
	v_fma_f64 v[4:5], v[38:39], v[42:43], v[4:5]
	v_fma_f64 v[38:39], v[38:39], v[44:45], -v[40:41]
	s_delay_alu instid0(VALU_DEP_2) | instskip(NEXT) | instid1(VALU_DEP_2)
	v_add_f64_e32 v[14:15], v[14:15], v[4:5]
	v_add_f64_e32 v[16:17], v[16:17], v[38:39]
	s_cbranch_scc1 .LBB372_81
.LBB372_82:                             ;   in Loop: Header=BB372_67 Depth=2
	s_wait_alu 0xfffe
	s_or_b32 exec_lo, exec_lo, s46
	s_delay_alu instid0(SALU_CYCLE_1)
	s_or_b32 exec_lo, exec_lo, s11
	s_and_saveexec_b32 s9, s1
	s_cbranch_execnz .LBB372_70
	s_branch .LBB372_71
.LBB372_83:                             ;   in Loop: Header=BB372_67 Depth=2
	ds_load_b128 v[2:5], v47
	s_wait_alu 0xfffe
	s_or_b32 exec_lo, exec_lo, s9
	s_and_saveexec_b32 s9, s1
	s_cbranch_execz .LBB372_75
.LBB372_84:                             ;   in Loop: Header=BB372_67 Depth=2
	s_wait_dscnt 0x0
	ds_bpermute_b32 v14, v19, v2
	ds_bpermute_b32 v15, v19, v3
	ds_bpermute_b32 v16, v19, v4
	ds_bpermute_b32 v17, v19, v5
	s_wait_dscnt 0x2
	v_add_f64_e32 v[2:3], v[2:3], v[14:15]
	s_wait_dscnt 0x0
	v_add_f64_e32 v[4:5], v[4:5], v[16:17]
	ds_bpermute_b32 v14, v20, v2
	ds_bpermute_b32 v15, v20, v3
	ds_bpermute_b32 v16, v20, v4
	ds_bpermute_b32 v17, v20, v5
	s_wait_dscnt 0x2
	v_add_f64_e32 v[2:3], v[2:3], v[14:15]
	s_wait_dscnt 0x0
	v_add_f64_e32 v[4:5], v[4:5], v[16:17]
	;; [unrolled: 8-line block ×3, first 2 shown]
	s_wait_alu 0xfffe
	s_or_b32 exec_lo, exec_lo, s9
	s_and_saveexec_b32 s9, s0
	s_cbranch_execz .LBB372_66
.LBB372_85:                             ;   in Loop: Header=BB372_67 Depth=2
	s_wait_dscnt 0x0
	s_delay_alu instid0(VALU_DEP_1)
	v_mul_f64_e32 v[14:15], s[14:15], v[4:5]
	v_mul_f64_e32 v[4:5], s[12:13], v[4:5]
	s_mul_u64 s[46:47], s[34:35], s[28:29]
	s_wait_alu 0xfffe
	s_lshl_b64 s[46:47], s[46:47], 4
	s_wait_alu 0xfffe
	s_add_nc_u64 s[46:47], s[6:7], s[46:47]
	s_delay_alu instid0(VALU_DEP_2) | instskip(NEXT) | instid1(VALU_DEP_2)
	v_fma_f64 v[14:15], s[12:13], v[2:3], -v[14:15]
	v_fma_f64 v[16:17], s[14:15], v[2:3], v[4:5]
	global_store_b128 v1, v[14:17], s[46:47]
	s_branch .LBB372_66
.LBB372_86:
	s_nop 0
	s_sendmsg sendmsg(MSG_DEALLOC_VGPRS)
	s_endpgm
	.section	.rodata,"a",@progbits
	.p2align	6, 0x0
	.amdhsa_kernel _ZL23rocblas_gemvt_sn_kernelILb1ELi256ELi4EiPK19rocblas_complex_numIdES1_S1_EviiT4_lPKT3_lilS7_lilPT5_i
		.amdhsa_group_segment_fixed_size 512
		.amdhsa_private_segment_fixed_size 80
		.amdhsa_kernarg_size 368
		.amdhsa_user_sgpr_count 2
		.amdhsa_user_sgpr_dispatch_ptr 0
		.amdhsa_user_sgpr_queue_ptr 0
		.amdhsa_user_sgpr_kernarg_segment_ptr 1
		.amdhsa_user_sgpr_dispatch_id 0
		.amdhsa_user_sgpr_private_segment_size 0
		.amdhsa_wavefront_size32 1
		.amdhsa_uses_dynamic_stack 0
		.amdhsa_enable_private_segment 1
		.amdhsa_system_sgpr_workgroup_id_x 1
		.amdhsa_system_sgpr_workgroup_id_y 0
		.amdhsa_system_sgpr_workgroup_id_z 1
		.amdhsa_system_sgpr_workgroup_info 0
		.amdhsa_system_vgpr_workitem_id 0
		.amdhsa_next_free_vgpr 136
		.amdhsa_next_free_sgpr 78
		.amdhsa_reserve_vcc 1
		.amdhsa_float_round_mode_32 0
		.amdhsa_float_round_mode_16_64 0
		.amdhsa_float_denorm_mode_32 3
		.amdhsa_float_denorm_mode_16_64 3
		.amdhsa_fp16_overflow 0
		.amdhsa_workgroup_processor_mode 1
		.amdhsa_memory_ordered 1
		.amdhsa_forward_progress 1
		.amdhsa_inst_pref_size 57
		.amdhsa_round_robin_scheduling 0
		.amdhsa_exception_fp_ieee_invalid_op 0
		.amdhsa_exception_fp_denorm_src 0
		.amdhsa_exception_fp_ieee_div_zero 0
		.amdhsa_exception_fp_ieee_overflow 0
		.amdhsa_exception_fp_ieee_underflow 0
		.amdhsa_exception_fp_ieee_inexact 0
		.amdhsa_exception_int_div_zero 0
	.end_amdhsa_kernel
	.section	.text._ZL23rocblas_gemvt_sn_kernelILb1ELi256ELi4EiPK19rocblas_complex_numIdES1_S1_EviiT4_lPKT3_lilS7_lilPT5_i,"axG",@progbits,_ZL23rocblas_gemvt_sn_kernelILb1ELi256ELi4EiPK19rocblas_complex_numIdES1_S1_EviiT4_lPKT3_lilS7_lilPT5_i,comdat
.Lfunc_end372:
	.size	_ZL23rocblas_gemvt_sn_kernelILb1ELi256ELi4EiPK19rocblas_complex_numIdES1_S1_EviiT4_lPKT3_lilS7_lilPT5_i, .Lfunc_end372-_ZL23rocblas_gemvt_sn_kernelILb1ELi256ELi4EiPK19rocblas_complex_numIdES1_S1_EviiT4_lPKT3_lilS7_lilPT5_i
                                        ; -- End function
	.set _ZL23rocblas_gemvt_sn_kernelILb1ELi256ELi4EiPK19rocblas_complex_numIdES1_S1_EviiT4_lPKT3_lilS7_lilPT5_i.num_vgpr, 136
	.set _ZL23rocblas_gemvt_sn_kernelILb1ELi256ELi4EiPK19rocblas_complex_numIdES1_S1_EviiT4_lPKT3_lilS7_lilPT5_i.num_agpr, 0
	.set _ZL23rocblas_gemvt_sn_kernelILb1ELi256ELi4EiPK19rocblas_complex_numIdES1_S1_EviiT4_lPKT3_lilS7_lilPT5_i.numbered_sgpr, 78
	.set _ZL23rocblas_gemvt_sn_kernelILb1ELi256ELi4EiPK19rocblas_complex_numIdES1_S1_EviiT4_lPKT3_lilS7_lilPT5_i.num_named_barrier, 0
	.set _ZL23rocblas_gemvt_sn_kernelILb1ELi256ELi4EiPK19rocblas_complex_numIdES1_S1_EviiT4_lPKT3_lilS7_lilPT5_i.private_seg_size, 80
	.set _ZL23rocblas_gemvt_sn_kernelILb1ELi256ELi4EiPK19rocblas_complex_numIdES1_S1_EviiT4_lPKT3_lilS7_lilPT5_i.uses_vcc, 1
	.set _ZL23rocblas_gemvt_sn_kernelILb1ELi256ELi4EiPK19rocblas_complex_numIdES1_S1_EviiT4_lPKT3_lilS7_lilPT5_i.uses_flat_scratch, 1
	.set _ZL23rocblas_gemvt_sn_kernelILb1ELi256ELi4EiPK19rocblas_complex_numIdES1_S1_EviiT4_lPKT3_lilS7_lilPT5_i.has_dyn_sized_stack, 0
	.set _ZL23rocblas_gemvt_sn_kernelILb1ELi256ELi4EiPK19rocblas_complex_numIdES1_S1_EviiT4_lPKT3_lilS7_lilPT5_i.has_recursion, 0
	.set _ZL23rocblas_gemvt_sn_kernelILb1ELi256ELi4EiPK19rocblas_complex_numIdES1_S1_EviiT4_lPKT3_lilS7_lilPT5_i.has_indirect_call, 0
	.section	.AMDGPU.csdata,"",@progbits
; Kernel info:
; codeLenInByte = 7292
; TotalNumSgprs: 80
; NumVgprs: 136
; ScratchSize: 80
; MemoryBound: 0
; FloatMode: 240
; IeeeMode: 1
; LDSByteSize: 512 bytes/workgroup (compile time only)
; SGPRBlocks: 0
; VGPRBlocks: 16
; NumSGPRsForWavesPerEU: 80
; NumVGPRsForWavesPerEU: 136
; Occupancy: 10
; WaveLimiterHint : 1
; COMPUTE_PGM_RSRC2:SCRATCH_EN: 1
; COMPUTE_PGM_RSRC2:USER_SGPR: 2
; COMPUTE_PGM_RSRC2:TRAP_HANDLER: 0
; COMPUTE_PGM_RSRC2:TGID_X_EN: 1
; COMPUTE_PGM_RSRC2:TGID_Y_EN: 0
; COMPUTE_PGM_RSRC2:TGID_Z_EN: 1
; COMPUTE_PGM_RSRC2:TIDIG_COMP_CNT: 0
	.section	.text._ZL23rocblas_gemvt_sn_kernelILb1ELi256ELi4ElPK19rocblas_complex_numIdES1_S1_EviiT4_lPKT3_lilS7_lilPT5_i,"axG",@progbits,_ZL23rocblas_gemvt_sn_kernelILb1ELi256ELi4ElPK19rocblas_complex_numIdES1_S1_EviiT4_lPKT3_lilS7_lilPT5_i,comdat
	.globl	_ZL23rocblas_gemvt_sn_kernelILb1ELi256ELi4ElPK19rocblas_complex_numIdES1_S1_EviiT4_lPKT3_lilS7_lilPT5_i ; -- Begin function _ZL23rocblas_gemvt_sn_kernelILb1ELi256ELi4ElPK19rocblas_complex_numIdES1_S1_EviiT4_lPKT3_lilS7_lilPT5_i
	.p2align	8
	.type	_ZL23rocblas_gemvt_sn_kernelILb1ELi256ELi4ElPK19rocblas_complex_numIdES1_S1_EviiT4_lPKT3_lilS7_lilPT5_i,@function
_ZL23rocblas_gemvt_sn_kernelILb1ELi256ELi4ElPK19rocblas_complex_numIdES1_S1_EviiT4_lPKT3_lilS7_lilPT5_i: ; @_ZL23rocblas_gemvt_sn_kernelILb1ELi256ELi4ElPK19rocblas_complex_numIdES1_S1_EviiT4_lPKT3_lilS7_lilPT5_i
; %bb.0:
	s_load_b32 s33, s[0:1], 0x68
	s_lshr_b32 s10, ttmp7, 16
	s_wait_kmcnt 0x0
	s_cmp_ge_u32 s10, s33
	s_cbranch_scc1 .LBB373_86
; %bb.1:
	s_clause 0x7
	s_load_b128 s[12:15], s[0:1], 0x8
	s_load_b32 s26, s[0:1], 0x30
	s_load_b64 s[28:29], s[0:1], 0x0
	s_load_b32 s6, s[0:1], 0x50
	s_load_b32 s30, s[0:1], 0x70
	s_load_b128 s[16:19], s[0:1], 0x20
	s_load_b128 s[20:23], s[0:1], 0x40
	s_load_b64 s[34:35], s[0:1], 0x60
	s_mov_b32 s25, 0
	v_dual_mov_b32 v1, 0 :: v_dual_and_b32 v2, 31, v0
	s_mov_b32 s31, s25
	v_cmp_eq_u32_e64 s0, 0, v0
	v_lshrrev_b32_e32 v3, 1, v0
	s_delay_alu instid0(VALU_DEP_3)
	v_cmp_eq_u32_e64 s3, 0, v2
	v_lshlrev_b32_e32 v50, 4, v2
	v_cmp_gt_u32_e64 s1, 32, v0
	v_cmp_gt_u32_e64 s2, 8, v0
	v_and_b32_e32 v51, 0x70, v3
	v_mbcnt_lo_u32_b32 v49, -1, 0
	s_mov_b32 s24, ttmp9
	s_wait_kmcnt 0x0
	s_ashr_i32 s27, s26, 31
	s_ashr_i32 s5, s29, 31
	s_mov_b32 s4, s29
	s_ashr_i32 s7, s6, 31
	s_mul_u64 s[36:37], s[4:5], s[30:31]
	v_cmp_neq_f64_e64 s8, s[12:13], 0
	v_cmp_neq_f64_e64 s9, s[14:15], 0
	v_lshl_or_b32 v54, v49, 2, 64
	s_mov_b32 s60, 16
	s_mov_b32 s61, 32
	;; [unrolled: 1-line block ×3, first 2 shown]
	s_or_b32 s4, s8, s9
	s_delay_alu instid0(SALU_CYCLE_1)
	s_xor_b32 s54, s4, -1
	s_cmp_gt_i32 s29, 0
	v_cndmask_b32_e64 v52, 0, 1, s4
	s_cselect_b32 s4, -1, 0
	s_lshl_b32 s8, ttmp9, 10
	s_ashr_i32 s9, s28, 31
	v_lshl_or_b32 v2, v0, 2, s8
	s_wait_alu 0xfffe
	s_and_b32 s55, s0, s4
	s_lshr_b32 s4, s9, 30
	s_lshr_b32 s5, s5, 30
	s_wait_alu 0xfffe
	s_add_co_i32 s4, s28, s4
	v_or_b32_e32 v6, 1, v2
	v_or_b32_e32 v8, 2, v2
	;; [unrolled: 1-line block ×3, first 2 shown]
	s_wait_alu 0xfffe
	s_and_b32 s4, s4, -4
	v_ashrrev_i32_e32 v3, 31, v2
	s_add_co_i32 s5, s29, s5
	v_mad_co_i64_i32 v[4:5], null, s6, v2, 0
	s_wait_alu 0xfffe
	s_sub_co_i32 s57, s28, s4
	v_mad_co_i64_i32 v[6:7], null, s6, v6, 0
	v_mad_co_i64_i32 v[8:9], null, s6, v8, 0
	;; [unrolled: 1-line block ×3, first 2 shown]
	s_and_b32 s56, s5, -4
	v_add_nc_u32_e32 v12, s57, v2
	v_lshlrev_b64_e32 v[21:22], 4, v[2:3]
	v_add_nc_u32_e32 v0, 4, v2
	s_cmp_gt_i32 s56, 0
	v_lshlrev_b64_e32 v[23:24], 4, v[4:5]
	s_cselect_b32 s58, -1, 0
	s_cmp_gt_i32 s57, 0
	v_cmp_ge_i32_e64 s5, s28, v12
	s_cselect_b32 s59, -1, 0
	s_lshl_b64 s[38:39], s[24:25], 4
	v_lshlrev_b64_e32 v[25:26], 4, v[6:7]
	v_lshlrev_b64_e32 v[27:28], 4, v[8:9]
	;; [unrolled: 1-line block ×3, first 2 shown]
	v_cmp_ge_i32_e64 s4, s28, v0
	v_or_b32_e32 v0, 8, v21
	v_mov_b32_e32 v53, v22
	s_lshl_b64 s[44:45], s[6:7], 4
	s_add_nc_u64 s[6:7], s[34:35], s[38:39]
	s_or_b32 s63, 0, 8
	s_lshl_b64 s[40:41], s[36:37], 4
	s_lshl_b64 s[42:43], s[30:31], 4
	s_lshl_b64 s[46:47], s[26:27], 6
	s_wait_alu 0xfffe
	s_add_nc_u64 s[48:49], s[6:7], 8
	s_and_b32 s28, s59, s5
	s_lshl_b64 s[50:51], s[26:27], 4
	s_lshl_b64 s[18:19], s[18:19], 4
	;; [unrolled: 1-line block ×3, first 2 shown]
	s_branch .LBB373_3
.LBB373_2:                              ;   in Loop: Header=BB373_3 Depth=1
	s_add_co_i32 s10, s10, 0x10000
	s_delay_alu instid0(SALU_CYCLE_1)
	s_cmp_lt_u32 s10, s33
	s_cbranch_scc0 .LBB373_86
.LBB373_3:                              ; =>This Loop Header: Depth=1
                                        ;     Child Loop BB373_13 Depth 2
                                        ;     Child Loop BB373_18 Depth 2
                                        ;       Child Loop BB373_49 Depth 3
                                        ;       Child Loop BB373_51 Depth 3
                                        ;     Child Loop BB373_67 Depth 2
                                        ;       Child Loop BB373_79 Depth 3
                                        ;       Child Loop BB373_81 Depth 3
	s_mov_b32 s11, s25
	s_and_not1_b32 vcc_lo, exec_lo, s54
	s_mov_b32 s6, -1
	s_wait_alu 0xfffe
	s_cbranch_vccnz .LBB373_5
; %bb.4:                                ;   in Loop: Header=BB373_3 Depth=1
	s_mov_b32 s6, 0
.LBB373_5:                              ;   in Loop: Header=BB373_3 Depth=1
	v_mov_b32_e32 v33, 0
	v_dual_mov_b32 v34, 0 :: v_dual_mov_b32 v35, 0
	v_mov_b32_e32 v36, 0
	s_wait_alu 0xfffe
	s_and_not1_b32 vcc_lo, exec_lo, s6
	s_wait_alu 0xfffe
	s_cbranch_vccz .LBB373_9
; %bb.6:                                ;   in Loop: Header=BB373_3 Depth=1
	v_cmp_ne_u32_e32 vcc_lo, 1, v52
	s_cbranch_vccz .LBB373_10
.LBB373_7:                              ;   in Loop: Header=BB373_3 Depth=1
	s_and_not1_b32 vcc_lo, exec_lo, s54
	s_mov_b32 s6, -1
	s_wait_alu 0xfffe
	s_cbranch_vccz .LBB373_11
.LBB373_8:                              ;   in Loop: Header=BB373_3 Depth=1
	s_wait_alu 0xfffe
	s_and_not1_b32 vcc_lo, exec_lo, s6
	s_wait_alu 0xfffe
	s_cbranch_vccnz .LBB373_2
	s_branch .LBB373_15
.LBB373_9:                              ;   in Loop: Header=BB373_3 Depth=1
	s_lshl_b64 s[6:7], s[10:11], 3
	s_wait_alu 0xfffe
	s_add_nc_u64 s[6:7], s[16:17], s[6:7]
	s_wait_dscnt 0x0
	global_load_b64 v[2:3], v1, s[6:7]
	s_wait_loadcnt 0x0
	v_add_co_u32 v35, vcc_lo, v2, s18
	s_wait_alu 0xfffd
	v_add_co_ci_u32_e64 v36, null, s19, v3, vcc_lo
	v_cmp_ne_u32_e32 vcc_lo, 1, v52
	s_cbranch_vccnz .LBB373_7
.LBB373_10:                             ;   in Loop: Header=BB373_3 Depth=1
	s_lshl_b64 s[6:7], s[10:11], 3
	s_wait_alu 0xfffe
	s_add_nc_u64 s[6:7], s[20:21], s[6:7]
	s_wait_dscnt 0x0
	global_load_b64 v[2:3], v1, s[6:7]
	s_wait_loadcnt 0x0
	v_add_co_u32 v33, vcc_lo, v2, s22
	s_wait_alu 0xfffd
	v_add_co_ci_u32_e64 v34, null, s23, v3, vcc_lo
	s_and_not1_b32 vcc_lo, exec_lo, s54
	s_mov_b32 s6, -1
	s_wait_alu 0xfffe
	s_cbranch_vccnz .LBB373_8
.LBB373_11:                             ;   in Loop: Header=BB373_3 Depth=1
	s_and_saveexec_b32 s8, s55
	s_cbranch_execz .LBB373_14
; %bb.12:                               ;   in Loop: Header=BB373_3 Depth=1
	s_mul_u64 s[6:7], s[40:41], s[10:11]
	s_mov_b32 s9, s29
	s_wait_alu 0xfffe
	s_add_nc_u64 s[6:7], s[48:49], s[6:7]
.LBB373_13:                             ;   Parent Loop BB373_3 Depth=1
                                        ; =>  This Inner Loop Header: Depth=2
	s_wait_dscnt 0x0
	v_dual_mov_b32 v2, v1 :: v_dual_mov_b32 v3, v1
	v_mov_b32_e32 v4, v1
	s_add_co_i32 s9, s9, -1
	s_wait_alu 0xfffe
	s_cmp_eq_u32 s9, 0
	global_store_b128 v1, v[1:4], s[6:7] offset:-8
	s_add_nc_u64 s[6:7], s[6:7], s[42:43]
	s_cbranch_scc0 .LBB373_13
.LBB373_14:                             ;   in Loop: Header=BB373_3 Depth=1
	s_wait_alu 0xfffe
	s_or_b32 exec_lo, exec_lo, s8
	s_cbranch_execnz .LBB373_2
.LBB373_15:                             ;   in Loop: Header=BB373_3 Depth=1
	s_mul_u64 s[6:7], s[36:37], s[10:11]
	v_add_co_u32 v31, vcc_lo, v35, v21
	s_wait_alu 0xfffe
	s_lshl_b64 s[52:53], s[6:7], 4
	s_wait_alu 0xfffd
	v_add_co_ci_u32_e64 v32, null, v36, v22, vcc_lo
	v_cmp_gt_u32_e64 s9, 24, v49
	v_cmp_gt_u32_e64 s8, 28, v49
	;; [unrolled: 1-line block ×3, first 2 shown]
	v_cmp_ne_u32_e64 s6, 31, v49
	s_add_nc_u64 s[52:53], s[34:35], s[52:53]
	s_and_not1_b32 vcc_lo, exec_lo, s58
	s_add_nc_u64 s[52:53], s[52:53], s[38:39]
	s_wait_alu 0xfffe
	s_cbranch_vccnz .LBB373_63
; %bb.16:                               ;   in Loop: Header=BB373_3 Depth=1
	v_add_co_u32 v37, vcc_lo, v33, v23
	s_wait_alu 0xfffd
	v_add_co_ci_u32_e64 v38, null, v34, v24, vcc_lo
	v_add_co_u32 v39, vcc_lo, v33, v25
	s_wait_dscnt 0x0
	s_wait_alu 0xf1ff
	v_cndmask_b32_e64 v2, 0, 8, s9
	v_cndmask_b32_e64 v3, 0, 4, s8
	;; [unrolled: 1-line block ×3, first 2 shown]
	v_add_co_ci_u32_e64 v5, null, 0, v49, s6
	s_wait_alu 0xfffd
	v_add_co_ci_u32_e64 v40, null, v34, v26, vcc_lo
	v_add_co_u32 v41, vcc_lo, v33, v27
	s_wait_alu 0xfffd
	v_add_co_ci_u32_e64 v42, null, v34, v28, vcc_lo
	v_add_co_u32 v43, vcc_lo, v33, v29
	v_mov_b32_e32 v46, v32
	v_add_lshl_u32 v55, v2, v49, 2
	v_add_lshl_u32 v56, v3, v49, 2
	;; [unrolled: 1-line block ×3, first 2 shown]
	v_dual_mov_b32 v45, v31 :: v_dual_lshlrev_b32 v58, 2, v5
	s_wait_alu 0xfffd
	v_add_co_ci_u32_e64 v44, null, v34, v30, vcc_lo
	s_mov_b32 s24, 0
	s_branch .LBB373_18
.LBB373_17:                             ;   in Loop: Header=BB373_18 Depth=2
	s_wait_alu 0xfffe
	s_or_b32 exec_lo, exec_lo, s6
	v_add_co_u32 v45, vcc_lo, v45, s46
	s_wait_alu 0xfffd
	v_add_co_ci_u32_e64 v46, null, s47, v46, vcc_lo
	s_add_co_i32 s24, s24, 4
	s_wait_alu 0xfffe
	s_cmp_ge_i32 s24, s56
	s_cbranch_scc1 .LBB373_64
.LBB373_18:                             ;   Parent Loop BB373_3 Depth=1
                                        ; =>  This Loop Header: Depth=2
                                        ;       Child Loop BB373_49 Depth 3
                                        ;       Child Loop BB373_51 Depth 3
                                        ; implicit-def: $vgpr17_vgpr18
                                        ; implicit-def: $vgpr19_vgpr20
                                        ; implicit-def: $vgpr13_vgpr14
                                        ; implicit-def: $vgpr15_vgpr16
                                        ; implicit-def: $vgpr9_vgpr10
                                        ; implicit-def: $vgpr11_vgpr12
                                        ; implicit-def: $vgpr7_vgpr8
                                        ; implicit-def: $vgpr5_vgpr6
	s_and_saveexec_b32 s6, s4
	s_wait_alu 0xfffe
	s_xor_b32 s8, exec_lo, s6
	s_cbranch_execnz .LBB373_45
; %bb.19:                               ;   in Loop: Header=BB373_18 Depth=2
	s_wait_alu 0xfffe
	s_and_not1_saveexec_b32 s6, s8
	s_cbranch_execnz .LBB373_46
.LBB373_20:                             ;   in Loop: Header=BB373_18 Depth=2
	s_wait_alu 0xfffe
	s_or_b32 exec_lo, exec_lo, s6
	s_and_saveexec_b32 s6, s1
.LBB373_21:                             ;   in Loop: Header=BB373_18 Depth=2
	v_dual_mov_b32 v2, v1 :: v_dual_mov_b32 v3, v1
	v_mov_b32_e32 v4, v1
	ds_store_b128 v50, v[1:4]
.LBB373_22:                             ;   in Loop: Header=BB373_18 Depth=2
	s_wait_alu 0xfffe
	s_or_b32 exec_lo, exec_lo, s6
	ds_bpermute_b32 v2, v54, v7
	ds_bpermute_b32 v3, v54, v8
	;; [unrolled: 1-line block ×4, first 2 shown]
	s_wait_storecnt_dscnt 0x0
	s_barrier_signal -1
	s_barrier_wait -1
	global_inv scope:SCOPE_SE
	v_add_f64_e32 v[2:3], v[7:8], v[2:3]
	v_add_f64_e32 v[4:5], v[5:6], v[47:48]
	ds_bpermute_b32 v6, v55, v2
	ds_bpermute_b32 v7, v55, v3
	ds_bpermute_b32 v47, v55, v4
	ds_bpermute_b32 v48, v55, v5
	s_wait_dscnt 0x2
	v_add_f64_e32 v[2:3], v[2:3], v[6:7]
	s_wait_dscnt 0x0
	v_add_f64_e32 v[4:5], v[4:5], v[47:48]
	ds_bpermute_b32 v6, v56, v2
	ds_bpermute_b32 v7, v56, v3
	ds_bpermute_b32 v47, v56, v4
	ds_bpermute_b32 v48, v56, v5
	s_wait_dscnt 0x2
	v_add_f64_e32 v[2:3], v[2:3], v[6:7]
	s_wait_dscnt 0x0
	;; [unrolled: 8-line block ×3, first 2 shown]
	v_add_f64_e32 v[6:7], v[4:5], v[47:48]
	ds_bpermute_b32 v4, v58, v2
	ds_bpermute_b32 v5, v58, v3
	;; [unrolled: 1-line block ×4, first 2 shown]
	s_and_saveexec_b32 s6, s3
	s_cbranch_execz .LBB373_24
; %bb.23:                               ;   in Loop: Header=BB373_18 Depth=2
	s_wait_dscnt 0x0
	v_add_f64_e32 v[6:7], v[6:7], v[47:48]
	v_add_f64_e32 v[4:5], v[2:3], v[4:5]
	ds_store_b128 v51, v[4:7]
.LBB373_24:                             ;   in Loop: Header=BB373_18 Depth=2
	s_wait_alu 0xfffe
	s_or_b32 exec_lo, exec_lo, s6
	v_mov_b32_e32 v7, 0
	s_wait_dscnt 0x2
	v_dual_mov_b32 v8, 0 :: v_dual_mov_b32 v5, 0
	v_mov_b32_e32 v6, 0
	s_wait_loadcnt_dscnt 0x0
	s_barrier_signal -1
	s_barrier_wait -1
	global_inv scope:SCOPE_SE
	s_and_saveexec_b32 s6, s2
	s_cbranch_execnz .LBB373_52
; %bb.25:                               ;   in Loop: Header=BB373_18 Depth=2
	s_wait_alu 0xfffe
	s_or_b32 exec_lo, exec_lo, s6
	s_and_saveexec_b32 s6, s1
	s_cbranch_execnz .LBB373_53
.LBB373_26:                             ;   in Loop: Header=BB373_18 Depth=2
	s_wait_alu 0xfffe
	s_or_b32 exec_lo, exec_lo, s6
	s_and_saveexec_b32 s6, s1
.LBB373_27:                             ;   in Loop: Header=BB373_18 Depth=2
	v_dual_mov_b32 v2, v1 :: v_dual_mov_b32 v3, v1
	v_mov_b32_e32 v4, v1
	ds_store_b128 v50, v[1:4]
.LBB373_28:                             ;   in Loop: Header=BB373_18 Depth=2
	s_wait_alu 0xfffe
	s_or_b32 exec_lo, exec_lo, s6
	ds_bpermute_b32 v2, v54, v9
	ds_bpermute_b32 v3, v54, v10
	;; [unrolled: 1-line block ×4, first 2 shown]
	s_wait_loadcnt_dscnt 0x0
	s_barrier_signal -1
	s_barrier_wait -1
	global_inv scope:SCOPE_SE
	v_add_f64_e32 v[2:3], v[9:10], v[2:3]
	v_add_f64_e32 v[9:10], v[11:12], v[47:48]
	ds_bpermute_b32 v11, v55, v2
	ds_bpermute_b32 v12, v55, v3
	ds_bpermute_b32 v47, v55, v9
	ds_bpermute_b32 v48, v55, v10
	s_wait_dscnt 0x2
	v_add_f64_e32 v[2:3], v[2:3], v[11:12]
	s_wait_dscnt 0x0
	v_add_f64_e32 v[9:10], v[9:10], v[47:48]
	ds_bpermute_b32 v11, v56, v2
	ds_bpermute_b32 v12, v56, v3
	ds_bpermute_b32 v47, v56, v9
	ds_bpermute_b32 v48, v56, v10
	s_wait_dscnt 0x2
	v_add_f64_e32 v[2:3], v[2:3], v[11:12]
	s_wait_dscnt 0x0
	;; [unrolled: 8-line block ×3, first 2 shown]
	v_add_f64_e32 v[11:12], v[9:10], v[47:48]
	ds_bpermute_b32 v9, v58, v2
	ds_bpermute_b32 v10, v58, v3
	;; [unrolled: 1-line block ×4, first 2 shown]
	s_and_saveexec_b32 s6, s3
	s_cbranch_execz .LBB373_30
; %bb.29:                               ;   in Loop: Header=BB373_18 Depth=2
	s_wait_dscnt 0x0
	v_add_f64_e32 v[11:12], v[11:12], v[47:48]
	v_add_f64_e32 v[9:10], v[2:3], v[9:10]
	ds_store_b128 v51, v[9:12]
.LBB373_30:                             ;   in Loop: Header=BB373_18 Depth=2
	s_wait_alu 0xfffe
	s_or_b32 exec_lo, exec_lo, s6
	v_mov_b32_e32 v11, 0
	s_wait_dscnt 0x2
	v_dual_mov_b32 v12, 0 :: v_dual_mov_b32 v9, 0
	v_mov_b32_e32 v10, 0
	s_wait_loadcnt_dscnt 0x0
	s_barrier_signal -1
	s_barrier_wait -1
	global_inv scope:SCOPE_SE
	s_and_saveexec_b32 s6, s2
	s_cbranch_execnz .LBB373_54
; %bb.31:                               ;   in Loop: Header=BB373_18 Depth=2
	s_wait_alu 0xfffe
	s_or_b32 exec_lo, exec_lo, s6
	s_and_saveexec_b32 s6, s1
	s_cbranch_execnz .LBB373_55
.LBB373_32:                             ;   in Loop: Header=BB373_18 Depth=2
	s_wait_alu 0xfffe
	s_or_b32 exec_lo, exec_lo, s6
	s_and_saveexec_b32 s6, s1
.LBB373_33:                             ;   in Loop: Header=BB373_18 Depth=2
	v_dual_mov_b32 v2, v1 :: v_dual_mov_b32 v3, v1
	v_mov_b32_e32 v4, v1
	ds_store_b128 v50, v[1:4]
.LBB373_34:                             ;   in Loop: Header=BB373_18 Depth=2
	s_wait_alu 0xfffe
	s_or_b32 exec_lo, exec_lo, s6
	ds_bpermute_b32 v2, v54, v13
	ds_bpermute_b32 v3, v54, v14
	;; [unrolled: 1-line block ×4, first 2 shown]
	s_wait_loadcnt_dscnt 0x0
	s_barrier_signal -1
	s_barrier_wait -1
	global_inv scope:SCOPE_SE
	v_add_f64_e32 v[2:3], v[13:14], v[2:3]
	v_add_f64_e32 v[13:14], v[15:16], v[47:48]
	ds_bpermute_b32 v15, v55, v2
	ds_bpermute_b32 v16, v55, v3
	ds_bpermute_b32 v47, v55, v13
	ds_bpermute_b32 v48, v55, v14
	s_wait_dscnt 0x2
	v_add_f64_e32 v[2:3], v[2:3], v[15:16]
	s_wait_dscnt 0x0
	v_add_f64_e32 v[13:14], v[13:14], v[47:48]
	ds_bpermute_b32 v15, v56, v2
	ds_bpermute_b32 v16, v56, v3
	ds_bpermute_b32 v47, v56, v13
	ds_bpermute_b32 v48, v56, v14
	s_wait_dscnt 0x2
	v_add_f64_e32 v[2:3], v[2:3], v[15:16]
	s_wait_dscnt 0x0
	;; [unrolled: 8-line block ×3, first 2 shown]
	v_add_f64_e32 v[15:16], v[13:14], v[47:48]
	ds_bpermute_b32 v13, v58, v2
	ds_bpermute_b32 v14, v58, v3
	;; [unrolled: 1-line block ×4, first 2 shown]
	s_and_saveexec_b32 s6, s3
	s_cbranch_execz .LBB373_36
; %bb.35:                               ;   in Loop: Header=BB373_18 Depth=2
	s_wait_dscnt 0x0
	v_add_f64_e32 v[15:16], v[15:16], v[47:48]
	v_add_f64_e32 v[13:14], v[2:3], v[13:14]
	ds_store_b128 v51, v[13:16]
.LBB373_36:                             ;   in Loop: Header=BB373_18 Depth=2
	s_wait_alu 0xfffe
	s_or_b32 exec_lo, exec_lo, s6
	v_mov_b32_e32 v15, 0
	s_wait_dscnt 0x2
	v_dual_mov_b32 v16, 0 :: v_dual_mov_b32 v13, 0
	v_mov_b32_e32 v14, 0
	s_wait_loadcnt_dscnt 0x0
	s_barrier_signal -1
	s_barrier_wait -1
	global_inv scope:SCOPE_SE
	s_and_saveexec_b32 s6, s2
	s_cbranch_execnz .LBB373_56
; %bb.37:                               ;   in Loop: Header=BB373_18 Depth=2
	s_wait_alu 0xfffe
	s_or_b32 exec_lo, exec_lo, s6
	s_and_saveexec_b32 s6, s1
	s_cbranch_execnz .LBB373_57
.LBB373_38:                             ;   in Loop: Header=BB373_18 Depth=2
	s_wait_alu 0xfffe
	s_or_b32 exec_lo, exec_lo, s6
	s_and_saveexec_b32 s6, s1
.LBB373_39:                             ;   in Loop: Header=BB373_18 Depth=2
	v_dual_mov_b32 v2, v1 :: v_dual_mov_b32 v3, v1
	v_mov_b32_e32 v4, v1
	ds_store_b128 v50, v[1:4]
.LBB373_40:                             ;   in Loop: Header=BB373_18 Depth=2
	s_wait_alu 0xfffe
	s_or_b32 exec_lo, exec_lo, s6
	ds_bpermute_b32 v2, v54, v17
	ds_bpermute_b32 v3, v54, v18
	;; [unrolled: 1-line block ×4, first 2 shown]
	s_wait_loadcnt_dscnt 0x0
	s_barrier_signal -1
	s_barrier_wait -1
	global_inv scope:SCOPE_SE
	v_add_f64_e32 v[2:3], v[17:18], v[2:3]
	v_add_f64_e32 v[17:18], v[19:20], v[47:48]
	ds_bpermute_b32 v19, v55, v2
	ds_bpermute_b32 v20, v55, v3
	ds_bpermute_b32 v47, v55, v17
	ds_bpermute_b32 v48, v55, v18
	s_wait_dscnt 0x2
	v_add_f64_e32 v[2:3], v[2:3], v[19:20]
	s_wait_dscnt 0x0
	v_add_f64_e32 v[17:18], v[17:18], v[47:48]
	ds_bpermute_b32 v19, v56, v2
	ds_bpermute_b32 v20, v56, v3
	ds_bpermute_b32 v47, v56, v17
	ds_bpermute_b32 v48, v56, v18
	s_wait_dscnt 0x2
	v_add_f64_e32 v[2:3], v[2:3], v[19:20]
	s_wait_dscnt 0x0
	;; [unrolled: 8-line block ×3, first 2 shown]
	v_add_f64_e32 v[19:20], v[17:18], v[47:48]
	ds_bpermute_b32 v17, v58, v2
	ds_bpermute_b32 v18, v58, v3
	ds_bpermute_b32 v47, v58, v19
	ds_bpermute_b32 v48, v58, v20
	s_and_saveexec_b32 s6, s3
	s_cbranch_execz .LBB373_42
; %bb.41:                               ;   in Loop: Header=BB373_18 Depth=2
	s_wait_dscnt 0x0
	v_add_f64_e32 v[19:20], v[19:20], v[47:48]
	v_add_f64_e32 v[17:18], v[2:3], v[17:18]
	ds_store_b128 v51, v[17:20]
.LBB373_42:                             ;   in Loop: Header=BB373_18 Depth=2
	s_wait_alu 0xfffe
	s_or_b32 exec_lo, exec_lo, s6
	v_mov_b32_e32 v19, 0
	s_wait_dscnt 0x2
	v_dual_mov_b32 v20, 0 :: v_dual_mov_b32 v17, 0
	v_mov_b32_e32 v18, 0
	s_wait_loadcnt_dscnt 0x0
	s_barrier_signal -1
	s_barrier_wait -1
	global_inv scope:SCOPE_SE
	s_and_saveexec_b32 s6, s2
	s_cbranch_execnz .LBB373_58
; %bb.43:                               ;   in Loop: Header=BB373_18 Depth=2
	s_wait_alu 0xfffe
	s_or_b32 exec_lo, exec_lo, s6
	s_and_saveexec_b32 s6, s1
	s_cbranch_execnz .LBB373_59
.LBB373_44:                             ;   in Loop: Header=BB373_18 Depth=2
	s_wait_alu 0xfffe
	s_or_b32 exec_lo, exec_lo, s6
	s_and_saveexec_b32 s6, s0
	s_cbranch_execz .LBB373_17
	s_branch .LBB373_60
.LBB373_45:                             ;   in Loop: Header=BB373_18 Depth=2
	s_clause 0x2
	flat_load_b128 v[2:5], v[39:40]
	flat_load_b128 v[6:9], v[41:42]
	;; [unrolled: 1-line block ×3, first 2 shown]
	s_mul_u64 s[6:7], s[24:25], s[26:27]
	s_or_b32 s64, s24, 1
	s_mov_b32 s65, s25
	s_or_b32 s66, s24, 2
	s_mov_b32 s67, s25
	s_wait_alu 0xfffe
	s_lshl_b64 s[6:7], s[6:7], 4
	s_mul_u64 s[64:65], s[64:65], s[26:27]
	s_or_b32 s68, s24, 3
	s_mov_b32 s69, s25
	s_mul_u64 s[66:67], s[66:67], s[26:27]
	s_wait_alu 0xfffe
	s_lshl_b64 s[64:65], s[64:65], 4
	s_wait_dscnt 0x3
	v_add_co_u32 v18, vcc_lo, v31, s6
	s_mul_u64 s[68:69], s[68:69], s[26:27]
	s_lshl_b64 s[66:67], s[66:67], 4
	s_wait_alu 0xfffd
	v_add_co_ci_u32_e64 v19, null, s7, v32, vcc_lo
	s_wait_alu 0xfffe
	v_add_co_u32 v47, vcc_lo, v31, s64
	s_lshl_b64 s[68:69], s[68:69], 4
	s_wait_alu 0xfffd
	v_add_co_ci_u32_e64 v48, null, s65, v32, vcc_lo
	v_add_co_u32 v115, vcc_lo, v31, s66
	s_wait_alu 0xfffd
	v_add_co_ci_u32_e64 v116, null, s67, v32, vcc_lo
	s_wait_alu 0xfffe
	v_add_co_u32 v119, vcc_lo, v31, s68
	s_wait_alu 0xfffd
	v_add_co_ci_u32_e64 v120, null, s69, v32, vcc_lo
	flat_load_b128 v[59:62], v[37:38]
	s_clause 0x4
	flat_load_b128 v[14:17], v[18:19]
	flat_load_b128 v[63:66], v[47:48]
	flat_load_b128 v[67:70], v[115:116]
	flat_load_b128 v[71:74], v[119:120]
	flat_load_b128 v[75:78], v[18:19] offset:16
	s_wait_loadcnt_dscnt 0x808
	scratch_store_b128 off, v[2:5], s60
	scratch_load_b128 v[2:5], off, off offset:16
	s_clause 0x3
	flat_load_b128 v[79:82], v[47:48] offset:16
	flat_load_b128 v[83:86], v[115:116] offset:16
	flat_load_b128 v[87:90], v[119:120] offset:16
	flat_load_b128 v[91:94], v[18:19] offset:32
	s_wait_loadcnt_dscnt 0xc0b
	scratch_store_b128 off, v[6:9], s61
	scratch_load_b128 v[6:9], off, off offset:32
	s_clause 0x3
	flat_load_b128 v[95:98], v[47:48] offset:32
	flat_load_b128 v[99:102], v[115:116] offset:32
	flat_load_b128 v[103:106], v[119:120] offset:32
	;; [unrolled: 8-line block ×3, first 2 shown]
	s_wait_loadcnt_dscnt 0x1310
	scratch_store_b128 off, v[59:62], off
	s_wait_loadcnt_dscnt 0x120f
	v_mul_f64_e32 v[18:19], v[61:62], v[16:17]
	v_mul_f64_e32 v[16:17], v[59:60], v[16:17]
	s_wait_loadcnt_dscnt 0x110e
	v_mul_f64_e32 v[47:48], v[61:62], v[65:66]
	v_mul_f64_e32 v[65:66], v[59:60], v[65:66]
	;; [unrolled: 3-line block ×4, first 2 shown]
	v_fma_f64 v[18:19], v[59:60], v[14:15], v[18:19]
	v_fma_f64 v[14:15], v[61:62], v[14:15], -v[16:17]
	v_fma_f64 v[16:17], v[59:60], v[63:64], v[47:48]
	v_fma_f64 v[47:48], v[61:62], v[63:64], -v[65:66]
	;; [unrolled: 2-line block ×4, first 2 shown]
	v_add_f64_e32 v[18:19], 0, v[18:19]
	v_add_f64_e32 v[14:15], 0, v[14:15]
	v_add_f64_e32 v[16:17], 0, v[16:17]
	v_add_f64_e32 v[47:48], 0, v[47:48]
	v_add_f64_e32 v[63:64], 0, v[63:64]
	v_add_f64_e32 v[65:66], 0, v[65:66]
	v_add_f64_e32 v[67:68], 0, v[67:68]
	v_add_f64_e32 v[69:70], 0, v[69:70]
	s_wait_loadcnt_dscnt 0xd0b
	v_mul_f64_e32 v[71:72], v[4:5], v[77:78]
	v_mul_f64_e32 v[73:74], v[2:3], v[77:78]
	s_wait_loadcnt_dscnt 0xc0a
	v_mul_f64_e32 v[77:78], v[4:5], v[81:82]
	v_mul_f64_e32 v[81:82], v[2:3], v[81:82]
	s_wait_loadcnt_dscnt 0xb09
	v_mul_f64_e32 v[123:124], v[4:5], v[85:86]
	v_mul_f64_e32 v[85:86], v[2:3], v[85:86]
	s_wait_loadcnt_dscnt 0xa08
	v_mul_f64_e32 v[125:126], v[4:5], v[89:90]
	v_mul_f64_e32 v[89:90], v[2:3], v[89:90]
	s_wait_loadcnt_dscnt 0x807
	v_mul_f64_e32 v[127:128], v[8:9], v[93:94]
	v_mul_f64_e32 v[93:94], v[6:7], v[93:94]
	s_wait_loadcnt_dscnt 0x706
	v_mul_f64_e32 v[129:130], v[8:9], v[97:98]
	v_mul_f64_e32 v[97:98], v[6:7], v[97:98]
	s_wait_loadcnt_dscnt 0x605
	v_mul_f64_e32 v[131:132], v[8:9], v[101:102]
	v_mul_f64_e32 v[101:102], v[6:7], v[101:102]
	s_wait_loadcnt_dscnt 0x504
	v_mul_f64_e32 v[133:134], v[8:9], v[105:106]
	v_mul_f64_e32 v[105:106], v[6:7], v[105:106]
	v_fma_f64 v[71:72], v[2:3], v[75:76], v[71:72]
	v_fma_f64 v[73:74], v[4:5], v[75:76], -v[73:74]
	v_fma_f64 v[75:76], v[2:3], v[79:80], v[77:78]
	v_fma_f64 v[77:78], v[4:5], v[79:80], -v[81:82]
	;; [unrolled: 2-line block ×4, first 2 shown]
	s_wait_loadcnt_dscnt 0x303
	v_mul_f64_e32 v[83:84], v[12:13], v[109:110]
	v_mul_f64_e32 v[85:86], v[10:11], v[109:110]
	s_wait_loadcnt_dscnt 0x202
	v_mul_f64_e32 v[87:88], v[12:13], v[113:114]
	v_mul_f64_e32 v[89:90], v[10:11], v[113:114]
	s_wait_loadcnt_dscnt 0x101
	v_mul_f64_e32 v[109:110], v[12:13], v[117:118]
	v_mul_f64_e32 v[113:114], v[10:11], v[117:118]
	s_wait_loadcnt_dscnt 0x0
	v_mul_f64_e32 v[117:118], v[12:13], v[121:122]
	v_mul_f64_e32 v[121:122], v[10:11], v[121:122]
	v_fma_f64 v[123:124], v[6:7], v[91:92], v[127:128]
	v_fma_f64 v[91:92], v[8:9], v[91:92], -v[93:94]
	v_fma_f64 v[93:94], v[6:7], v[95:96], v[129:130]
	v_fma_f64 v[95:96], v[8:9], v[95:96], -v[97:98]
	;; [unrolled: 2-line block ×4, first 2 shown]
	v_add_f64_e32 v[18:19], v[18:19], v[71:72]
	v_add_f64_e32 v[14:15], v[14:15], v[73:74]
	;; [unrolled: 1-line block ×8, first 2 shown]
	v_fma_f64 v[67:68], v[10:11], v[107:108], v[83:84]
	v_fma_f64 v[69:70], v[12:13], v[107:108], -v[85:86]
	v_fma_f64 v[71:72], v[10:11], v[111:112], v[87:88]
	v_fma_f64 v[73:74], v[12:13], v[111:112], -v[89:90]
	;; [unrolled: 2-line block ×4, first 2 shown]
	v_add_f64_e32 v[10:11], v[18:19], v[123:124]
	v_add_f64_e32 v[12:13], v[14:15], v[91:92]
	v_add_f64_e32 v[14:15], v[16:17], v[93:94]
	v_add_f64_e32 v[16:17], v[47:48], v[95:96]
	v_add_f64_e32 v[18:19], v[63:64], v[97:98]
	v_add_f64_e32 v[47:48], v[65:66], v[99:100]
	v_add_f64_e32 v[2:3], v[2:3], v[6:7]
	v_add_f64_e32 v[63:64], v[4:5], v[8:9]
	v_add_f64_e32 v[7:8], v[10:11], v[67:68]
	v_add_f64_e32 v[5:6], v[12:13], v[69:70]
	v_add_f64_e32 v[9:10], v[14:15], v[71:72]
	v_add_f64_e32 v[11:12], v[16:17], v[73:74]
	v_add_f64_e32 v[13:14], v[18:19], v[75:76]
	v_add_f64_e32 v[15:16], v[47:48], v[77:78]
	v_add_f64_e32 v[17:18], v[2:3], v[79:80]
	v_add_f64_e32 v[19:20], v[63:64], v[81:82]
	s_and_not1_saveexec_b32 s6, s8
	s_cbranch_execz .LBB373_20
.LBB373_46:                             ;   in Loop: Header=BB373_18 Depth=2
	s_wait_dscnt 0x0
	v_mov_b32_e32 v17, 0
	v_mov_b32_e32 v13, 0
	;; [unrolled: 1-line block ×3, first 2 shown]
	v_dual_mov_b32 v7, 0 :: v_dual_mov_b32 v18, 0
	v_dual_mov_b32 v19, 0 :: v_dual_mov_b32 v14, 0
	;; [unrolled: 1-line block ×5, first 2 shown]
	v_mov_b32_e32 v16, 0
	v_mov_b32_e32 v12, 0
	;; [unrolled: 1-line block ×3, first 2 shown]
	s_and_saveexec_b32 s7, s5
	s_cbranch_execz .LBB373_62
; %bb.47:                               ;   in Loop: Header=BB373_18 Depth=2
	s_and_not1_b32 vcc_lo, exec_lo, s59
	s_wait_alu 0xfffe
	s_cbranch_vccnz .LBB373_61
; %bb.48:                               ;   in Loop: Header=BB373_18 Depth=2
	v_dual_mov_b32 v2, v37 :: v_dual_mov_b32 v3, v38
	s_mov_b32 s8, 0
	s_mov_b32 s9, s57
.LBB373_49:                             ;   Parent Loop BB373_3 Depth=1
                                        ;     Parent Loop BB373_18 Depth=2
                                        ; =>    This Inner Loop Header: Depth=3
	flat_load_b128 v[4:7], v[2:3]
	v_add_co_u32 v2, vcc_lo, v2, s44
	s_wait_alu 0xfffd
	v_add_co_ci_u32_e64 v3, null, s45, v3, vcc_lo
	s_wait_alu 0xfffe
	s_add_co_i32 s9, s9, -1
	s_wait_loadcnt_dscnt 0x0
	scratch_store_b128 off, v[4:7], s8
	s_add_co_i32 s8, s8, 16
	s_wait_alu 0xfffe
	s_cmp_eq_u32 s9, 0
	s_cbranch_scc0 .LBB373_49
; %bb.50:                               ;   in Loop: Header=BB373_18 Depth=2
	v_mov_b32_e32 v5, 0
	v_mov_b32_e32 v11, 0
	;; [unrolled: 1-line block ×3, first 2 shown]
	v_dual_mov_b32 v19, 0 :: v_dual_mov_b32 v6, 0
	v_dual_mov_b32 v7, 0 :: v_dual_mov_b32 v12, 0
	;; [unrolled: 1-line block ×5, first 2 shown]
	v_mov_b32_e32 v10, 0
	v_mov_b32_e32 v14, 0
	;; [unrolled: 1-line block ×3, first 2 shown]
	v_dual_mov_b32 v2, v45 :: v_dual_mov_b32 v3, v46
	s_mov_b32 s8, s63
	s_mov_b32 s9, s57
.LBB373_51:                             ;   Parent Loop BB373_3 Depth=1
                                        ;     Parent Loop BB373_18 Depth=2
                                        ; =>    This Inner Loop Header: Depth=3
	s_delay_alu instid0(VALU_DEP_1)
	v_add_co_u32 v47, vcc_lo, v2, s50
	s_wait_alu 0xfffd
	v_add_co_ci_u32_e64 v48, null, s51, v3, vcc_lo
	scratch_load_b128 v[59:62], off, s8 offset:-8
	v_add_co_u32 v71, vcc_lo, v47, s50
	s_wait_alu 0xfffd
	v_add_co_ci_u32_e64 v72, null, s51, v48, vcc_lo
	flat_load_b128 v[63:66], v[2:3]
	v_add_co_u32 v75, vcc_lo, v71, s50
	s_wait_alu 0xfffd
	v_add_co_ci_u32_e64 v76, null, s51, v72, vcc_lo
	v_add_co_u32 v2, vcc_lo, v2, 16
	s_clause 0x2
	flat_load_b128 v[67:70], v[47:48]
	flat_load_b128 v[71:74], v[71:72]
	;; [unrolled: 1-line block ×3, first 2 shown]
	s_wait_alu 0xfffd
	v_add_co_ci_u32_e64 v3, null, 0, v3, vcc_lo
	s_wait_alu 0xfffe
	s_add_co_i32 s9, s9, -1
	s_add_co_i32 s8, s8, 16
	s_wait_alu 0xfffe
	s_cmp_lg_u32 s9, 0
	s_wait_loadcnt_dscnt 0x303
	v_mul_f64_e32 v[47:48], v[61:62], v[65:66]
	v_mul_f64_e32 v[65:66], v[59:60], v[65:66]
	s_wait_loadcnt_dscnt 0x202
	v_mul_f64_e32 v[79:80], v[61:62], v[69:70]
	v_mul_f64_e32 v[69:70], v[59:60], v[69:70]
	;; [unrolled: 3-line block ×4, first 2 shown]
	v_fma_f64 v[47:48], v[59:60], v[63:64], v[47:48]
	v_fma_f64 v[63:64], v[61:62], v[63:64], -v[65:66]
	v_fma_f64 v[65:66], v[59:60], v[67:68], v[79:80]
	v_fma_f64 v[67:68], v[61:62], v[67:68], -v[69:70]
	;; [unrolled: 2-line block ×4, first 2 shown]
	v_add_f64_e32 v[7:8], v[7:8], v[47:48]
	v_add_f64_e32 v[5:6], v[5:6], v[63:64]
	;; [unrolled: 1-line block ×8, first 2 shown]
	s_cbranch_scc1 .LBB373_51
	s_branch .LBB373_62
.LBB373_52:                             ;   in Loop: Header=BB373_18 Depth=2
	ds_load_b128 v[5:8], v50
	s_wait_alu 0xfffe
	s_or_b32 exec_lo, exec_lo, s6
	s_and_saveexec_b32 s6, s1
	s_cbranch_execz .LBB373_26
.LBB373_53:                             ;   in Loop: Header=BB373_18 Depth=2
	s_wait_dscnt 0x0
	ds_bpermute_b32 v2, v56, v5
	ds_bpermute_b32 v3, v56, v6
	ds_bpermute_b32 v47, v56, v7
	ds_bpermute_b32 v48, v56, v8
	s_wait_dscnt 0x2
	v_add_f64_e32 v[2:3], v[5:6], v[2:3]
	s_wait_dscnt 0x0
	v_add_f64_e32 v[4:5], v[7:8], v[47:48]
	ds_bpermute_b32 v6, v57, v2
	ds_bpermute_b32 v7, v57, v3
	ds_bpermute_b32 v47, v57, v4
	ds_bpermute_b32 v48, v57, v5
	s_wait_dscnt 0x2
	v_add_f64_e32 v[2:3], v[2:3], v[6:7]
	s_wait_dscnt 0x0
	v_add_f64_e32 v[7:8], v[4:5], v[47:48]
	;; [unrolled: 8-line block ×3, first 2 shown]
	s_wait_alu 0xfffe
	s_or_b32 exec_lo, exec_lo, s6
	s_and_saveexec_b32 s6, s1
	s_cbranch_execnz .LBB373_27
	s_branch .LBB373_28
.LBB373_54:                             ;   in Loop: Header=BB373_18 Depth=2
	ds_load_b128 v[9:12], v50
	s_wait_alu 0xfffe
	s_or_b32 exec_lo, exec_lo, s6
	s_and_saveexec_b32 s6, s1
	s_cbranch_execz .LBB373_32
.LBB373_55:                             ;   in Loop: Header=BB373_18 Depth=2
	s_wait_dscnt 0x0
	ds_bpermute_b32 v2, v56, v9
	ds_bpermute_b32 v3, v56, v10
	ds_bpermute_b32 v47, v56, v11
	ds_bpermute_b32 v48, v56, v12
	s_wait_dscnt 0x2
	v_add_f64_e32 v[2:3], v[9:10], v[2:3]
	s_wait_dscnt 0x0
	v_add_f64_e32 v[9:10], v[11:12], v[47:48]
	ds_bpermute_b32 v11, v57, v2
	ds_bpermute_b32 v12, v57, v3
	ds_bpermute_b32 v47, v57, v9
	ds_bpermute_b32 v48, v57, v10
	s_wait_dscnt 0x2
	v_add_f64_e32 v[2:3], v[2:3], v[11:12]
	s_wait_dscnt 0x0
	v_add_f64_e32 v[11:12], v[9:10], v[47:48]
	;; [unrolled: 8-line block ×3, first 2 shown]
	s_wait_alu 0xfffe
	s_or_b32 exec_lo, exec_lo, s6
	s_and_saveexec_b32 s6, s1
	s_cbranch_execnz .LBB373_33
	s_branch .LBB373_34
.LBB373_56:                             ;   in Loop: Header=BB373_18 Depth=2
	ds_load_b128 v[13:16], v50
	s_wait_alu 0xfffe
	s_or_b32 exec_lo, exec_lo, s6
	s_and_saveexec_b32 s6, s1
	s_cbranch_execz .LBB373_38
.LBB373_57:                             ;   in Loop: Header=BB373_18 Depth=2
	s_wait_dscnt 0x0
	ds_bpermute_b32 v2, v56, v13
	ds_bpermute_b32 v3, v56, v14
	ds_bpermute_b32 v47, v56, v15
	ds_bpermute_b32 v48, v56, v16
	s_wait_dscnt 0x2
	v_add_f64_e32 v[2:3], v[13:14], v[2:3]
	s_wait_dscnt 0x0
	v_add_f64_e32 v[13:14], v[15:16], v[47:48]
	ds_bpermute_b32 v15, v57, v2
	ds_bpermute_b32 v16, v57, v3
	ds_bpermute_b32 v47, v57, v13
	ds_bpermute_b32 v48, v57, v14
	s_wait_dscnt 0x2
	v_add_f64_e32 v[2:3], v[2:3], v[15:16]
	s_wait_dscnt 0x0
	v_add_f64_e32 v[15:16], v[13:14], v[47:48]
	;; [unrolled: 8-line block ×3, first 2 shown]
	s_wait_alu 0xfffe
	s_or_b32 exec_lo, exec_lo, s6
	s_and_saveexec_b32 s6, s1
	s_cbranch_execnz .LBB373_39
	s_branch .LBB373_40
.LBB373_58:                             ;   in Loop: Header=BB373_18 Depth=2
	ds_load_b128 v[17:20], v50
	s_wait_alu 0xfffe
	s_or_b32 exec_lo, exec_lo, s6
	s_and_saveexec_b32 s6, s1
	s_cbranch_execz .LBB373_44
.LBB373_59:                             ;   in Loop: Header=BB373_18 Depth=2
	s_wait_dscnt 0x0
	ds_bpermute_b32 v2, v56, v17
	ds_bpermute_b32 v3, v56, v18
	ds_bpermute_b32 v47, v56, v19
	ds_bpermute_b32 v48, v56, v20
	s_wait_dscnt 0x2
	v_add_f64_e32 v[2:3], v[17:18], v[2:3]
	s_wait_dscnt 0x0
	v_add_f64_e32 v[17:18], v[19:20], v[47:48]
	ds_bpermute_b32 v19, v57, v2
	ds_bpermute_b32 v20, v57, v3
	ds_bpermute_b32 v47, v57, v17
	ds_bpermute_b32 v48, v57, v18
	s_wait_dscnt 0x2
	v_add_f64_e32 v[2:3], v[2:3], v[19:20]
	s_wait_dscnt 0x0
	v_add_f64_e32 v[19:20], v[17:18], v[47:48]
	;; [unrolled: 8-line block ×3, first 2 shown]
	s_wait_alu 0xfffe
	s_or_b32 exec_lo, exec_lo, s6
	s_and_saveexec_b32 s6, s0
	s_cbranch_execz .LBB373_17
.LBB373_60:                             ;   in Loop: Header=BB373_18 Depth=2
	v_mul_f64_e32 v[2:3], s[14:15], v[7:8]
	v_mul_f64_e32 v[7:8], s[12:13], v[7:8]
	;; [unrolled: 1-line block ×6, first 2 shown]
	s_wait_dscnt 0x0
	v_mul_f64_e32 v[61:62], s[14:15], v[19:20]
	v_mul_f64_e32 v[19:20], s[12:13], v[19:20]
	s_or_b32 s64, s24, 1
	s_mov_b32 s65, s25
	s_mul_u64 s[8:9], s[24:25], s[30:31]
	s_or_b32 s66, s24, 2
	s_mov_b32 s67, s25
	s_or_b32 s68, s24, 3
	s_mov_b32 s69, s25
	s_wait_alu 0xfffe
	s_mul_u64 s[64:65], s[64:65], s[30:31]
	s_mul_u64 s[66:67], s[66:67], s[30:31]
	;; [unrolled: 1-line block ×3, first 2 shown]
	s_lshl_b64 s[8:9], s[8:9], 4
	s_wait_alu 0xfffe
	s_lshl_b64 s[64:65], s[64:65], 4
	s_add_nc_u64 s[8:9], s[52:53], s[8:9]
	s_lshl_b64 s[66:67], s[66:67], 4
	s_lshl_b64 s[68:69], s[68:69], 4
	s_wait_alu 0xfffe
	s_add_nc_u64 s[64:65], s[52:53], s[64:65]
	s_add_nc_u64 s[66:67], s[52:53], s[66:67]
	;; [unrolled: 1-line block ×3, first 2 shown]
	v_fma_f64 v[2:3], s[12:13], v[5:6], -v[2:3]
	v_fma_f64 v[4:5], s[14:15], v[5:6], v[7:8]
	v_fma_f64 v[6:7], s[12:13], v[9:10], -v[47:48]
	v_fma_f64 v[8:9], s[14:15], v[9:10], v[11:12]
	;; [unrolled: 2-line block ×4, first 2 shown]
	s_clause 0x3
	global_store_b128 v1, v[2:5], s[8:9]
	global_store_b128 v1, v[6:9], s[64:65]
	global_store_b128 v1, v[10:13], s[66:67]
	global_store_b128 v1, v[14:17], s[68:69]
	s_branch .LBB373_17
.LBB373_61:                             ;   in Loop: Header=BB373_18 Depth=2
	v_mov_b32_e32 v17, 0
	v_mov_b32_e32 v13, 0
	;; [unrolled: 1-line block ×3, first 2 shown]
	v_dual_mov_b32 v7, 0 :: v_dual_mov_b32 v18, 0
	v_dual_mov_b32 v19, 0 :: v_dual_mov_b32 v14, 0
	;; [unrolled: 1-line block ×5, first 2 shown]
	v_mov_b32_e32 v16, 0
	v_mov_b32_e32 v12, 0
	;; [unrolled: 1-line block ×3, first 2 shown]
.LBB373_62:                             ;   in Loop: Header=BB373_18 Depth=2
	s_wait_alu 0xfffe
	s_or_b32 exec_lo, exec_lo, s7
	s_delay_alu instid0(SALU_CYCLE_1)
	s_or_b32 exec_lo, exec_lo, s6
	s_and_saveexec_b32 s6, s1
	s_cbranch_execnz .LBB373_21
	s_branch .LBB373_22
.LBB373_63:                             ;   in Loop: Header=BB373_3 Depth=1
	s_mov_b32 s24, 0
.LBB373_64:                             ;   in Loop: Header=BB373_3 Depth=1
	s_wait_alu 0xfffe
	s_cmp_ge_i32 s24, s29
	s_cbranch_scc1 .LBB373_2
; %bb.65:                               ;   in Loop: Header=BB373_3 Depth=1
	v_cmp_gt_u32_e32 vcc_lo, 24, v49
	s_wait_dscnt 0x0
	s_wait_alu 0xfffd
	v_cndmask_b32_e64 v2, 0, 8, vcc_lo
	v_cmp_gt_u32_e32 vcc_lo, 28, v49
	s_wait_dscnt 0x0
	s_delay_alu instid0(VALU_DEP_2)
	v_add_lshl_u32 v20, v2, v49, 2
	s_wait_alu 0xfffd
	v_cndmask_b32_e64 v4, 0, 4, vcc_lo
	v_cmp_gt_u32_e32 vcc_lo, 30, v49
	s_wait_alu 0xfffd
	v_cndmask_b32_e64 v5, 0, 2, vcc_lo
	v_add_co_u32 v2, vcc_lo, v35, v0
	s_wait_alu 0xfffd
	v_add_co_ci_u32_e64 v3, null, v36, v53, vcc_lo
	v_cmp_ne_u32_e32 vcc_lo, 31, v49
	v_add_lshl_u32 v35, v4, v49, 2
	v_add_lshl_u32 v36, v5, v49, 2
	s_delay_alu instid0(VALU_DEP_4) | instskip(SKIP_2) | instid1(VALU_DEP_1)
	v_mad_co_u64_u32 v[6:7], null, s50, s24, v[2:3]
	s_wait_alu 0xfffd
	v_add_co_ci_u32_e64 v8, null, 0, v49, vcc_lo
	v_dual_mov_b32 v2, v7 :: v_dual_lshlrev_b32 v37, 2, v8
	v_add_co_u32 v8, vcc_lo, v33, v23
	s_wait_alu 0xfffd
	v_add_co_ci_u32_e64 v9, null, v34, v24, vcc_lo
	s_delay_alu instid0(VALU_DEP_3)
	v_mad_co_u64_u32 v[2:3], null, s51, s24, v[2:3]
	v_add_co_u32 v10, vcc_lo, v33, v25
	s_wait_alu 0xfffd
	v_add_co_ci_u32_e64 v11, null, v34, v26, vcc_lo
	v_add_co_u32 v12, vcc_lo, v33, v27
	s_wait_alu 0xfffd
	v_add_co_ci_u32_e64 v13, null, v34, v28, vcc_lo
	;; [unrolled: 3-line block ×3, first 2 shown]
	v_mov_b32_e32 v7, v2
	s_branch .LBB373_67
.LBB373_66:                             ;   in Loop: Header=BB373_67 Depth=2
	s_wait_alu 0xfffe
	s_or_b32 exec_lo, exec_lo, s6
	v_add_co_u32 v6, vcc_lo, v6, s50
	s_wait_alu 0xfffd
	v_add_co_ci_u32_e64 v7, null, s51, v7, vcc_lo
	s_add_co_i32 s24, s24, 1
	s_wait_alu 0xfffe
	s_cmp_lt_i32 s24, s29
	s_cbranch_scc0 .LBB373_2
.LBB373_67:                             ;   Parent Loop BB373_3 Depth=1
                                        ; =>  This Loop Header: Depth=2
                                        ;       Child Loop BB373_79 Depth 3
                                        ;       Child Loop BB373_81 Depth 3
                                        ; implicit-def: $vgpr16_vgpr17
                                        ; implicit-def: $vgpr18_vgpr19
	s_and_saveexec_b32 s6, s4
	s_wait_alu 0xfffe
	s_xor_b32 s6, exec_lo, s6
	s_cbranch_execnz .LBB373_76
; %bb.68:                               ;   in Loop: Header=BB373_67 Depth=2
	s_wait_alu 0xfffe
	s_and_not1_saveexec_b32 s6, s6
	s_cbranch_execnz .LBB373_77
.LBB373_69:                             ;   in Loop: Header=BB373_67 Depth=2
	s_wait_alu 0xfffe
	s_or_b32 exec_lo, exec_lo, s6
	s_and_saveexec_b32 s6, s1
	s_cbranch_execz .LBB373_71
.LBB373_70:                             ;   in Loop: Header=BB373_67 Depth=2
	s_wait_dscnt 0x0
	v_dual_mov_b32 v2, v1 :: v_dual_mov_b32 v3, v1
	v_mov_b32_e32 v4, v1
	ds_store_b128 v50, v[1:4]
.LBB373_71:                             ;   in Loop: Header=BB373_67 Depth=2
	s_wait_alu 0xfffe
	s_or_b32 exec_lo, exec_lo, s6
	s_wait_dscnt 0x0
	ds_bpermute_b32 v2, v54, v16
	ds_bpermute_b32 v3, v54, v17
	;; [unrolled: 1-line block ×4, first 2 shown]
	s_wait_storecnt 0x0
	s_wait_loadcnt_dscnt 0x0
	s_barrier_signal -1
	s_barrier_wait -1
	global_inv scope:SCOPE_SE
	v_add_f64_e32 v[2:3], v[16:17], v[2:3]
	v_add_f64_e32 v[4:5], v[18:19], v[4:5]
	ds_bpermute_b32 v16, v20, v2
	ds_bpermute_b32 v17, v20, v3
	ds_bpermute_b32 v18, v20, v4
	ds_bpermute_b32 v19, v20, v5
	s_wait_dscnt 0x2
	v_add_f64_e32 v[2:3], v[2:3], v[16:17]
	s_wait_dscnt 0x0
	v_add_f64_e32 v[4:5], v[4:5], v[18:19]
	ds_bpermute_b32 v16, v35, v2
	ds_bpermute_b32 v17, v35, v3
	ds_bpermute_b32 v18, v35, v4
	ds_bpermute_b32 v19, v35, v5
	s_wait_dscnt 0x2
	v_add_f64_e32 v[2:3], v[2:3], v[16:17]
	s_wait_dscnt 0x0
	;; [unrolled: 8-line block ×3, first 2 shown]
	v_add_f64_e32 v[16:17], v[4:5], v[18:19]
	ds_bpermute_b32 v4, v37, v2
	ds_bpermute_b32 v5, v37, v3
	;; [unrolled: 1-line block ×4, first 2 shown]
	s_and_saveexec_b32 s6, s3
	s_cbranch_execz .LBB373_73
; %bb.72:                               ;   in Loop: Header=BB373_67 Depth=2
	s_wait_dscnt 0x0
	v_add_f64_e32 v[18:19], v[16:17], v[18:19]
	v_add_f64_e32 v[16:17], v[2:3], v[4:5]
	ds_store_b128 v51, v[16:19]
.LBB373_73:                             ;   in Loop: Header=BB373_67 Depth=2
	s_wait_alu 0xfffe
	s_or_b32 exec_lo, exec_lo, s6
	s_wait_dscnt 0x2
	v_mov_b32_e32 v4, 0
	v_dual_mov_b32 v5, 0 :: v_dual_mov_b32 v2, 0
	v_mov_b32_e32 v3, 0
	s_wait_loadcnt_dscnt 0x0
	s_barrier_signal -1
	s_barrier_wait -1
	global_inv scope:SCOPE_SE
	s_and_saveexec_b32 s6, s2
	s_cbranch_execnz .LBB373_83
; %bb.74:                               ;   in Loop: Header=BB373_67 Depth=2
	s_wait_alu 0xfffe
	s_or_b32 exec_lo, exec_lo, s6
	s_and_saveexec_b32 s6, s1
	s_cbranch_execnz .LBB373_84
.LBB373_75:                             ;   in Loop: Header=BB373_67 Depth=2
	s_wait_alu 0xfffe
	s_or_b32 exec_lo, exec_lo, s6
	s_and_saveexec_b32 s6, s0
	s_cbranch_execz .LBB373_66
	s_branch .LBB373_85
.LBB373_76:                             ;   in Loop: Header=BB373_67 Depth=2
	s_wait_dscnt 0x0
	s_clause 0x2
	flat_load_b128 v[2:5], v[10:11]
	flat_load_b128 v[16:19], v[12:13]
	;; [unrolled: 1-line block ×3, first 2 shown]
	s_mul_u64 s[8:9], s[24:25], s[26:27]
	s_wait_alu 0xfffe
	s_lshl_b64 s[8:9], s[8:9], 4
	s_wait_alu 0xfffe
	v_add_co_u32 v33, vcc_lo, v31, s8
	s_wait_alu 0xfffd
	v_add_co_ci_u32_e64 v34, null, s9, v32, vcc_lo
	flat_load_b128 v[42:45], v[8:9]
	s_clause 0x1
	flat_load_b128 v[55:58], v[33:34]
	flat_load_b128 v[59:62], v[33:34] offset:16
	s_wait_loadcnt_dscnt 0x505
	scratch_store_b128 off, v[2:5], s60
	s_wait_loadcnt_dscnt 0x404
	scratch_store_b128 off, v[16:19], s61
	s_clause 0x1
	scratch_load_b128 v[2:5], off, off offset:16
	scratch_load_b128 v[16:19], off, off offset:32
	s_clause 0x1
	flat_load_b128 v[63:66], v[33:34] offset:32
	flat_load_b128 v[67:70], v[33:34] offset:48
	s_wait_loadcnt_dscnt 0x705
	scratch_store_b128 off, v[38:41], s62
	scratch_load_b128 v[38:41], off, off offset:48
	s_wait_loadcnt_dscnt 0x704
	scratch_store_b128 off, v[42:45], off
	s_wait_loadcnt_dscnt 0x603
	v_mul_f64_e32 v[33:34], v[57:58], v[44:45]
	v_mul_f64_e32 v[46:47], v[57:58], v[42:43]
	s_delay_alu instid0(VALU_DEP_2) | instskip(NEXT) | instid1(VALU_DEP_2)
	v_fma_f64 v[33:34], v[55:56], v[42:43], v[33:34]
	v_fma_f64 v[46:47], v[55:56], v[44:45], -v[46:47]
	s_delay_alu instid0(VALU_DEP_2) | instskip(NEXT) | instid1(VALU_DEP_2)
	v_add_f64_e32 v[33:34], 0, v[33:34]
	v_add_f64_e32 v[46:47], 0, v[46:47]
	s_wait_loadcnt_dscnt 0x402
	v_mul_f64_e32 v[55:56], v[61:62], v[4:5]
	v_mul_f64_e32 v[57:58], v[61:62], v[2:3]
	s_wait_loadcnt_dscnt 0x201
	v_mul_f64_e32 v[61:62], v[65:66], v[18:19]
	v_mul_f64_e32 v[65:66], v[65:66], v[16:17]
	s_delay_alu instid0(VALU_DEP_4) | instskip(NEXT) | instid1(VALU_DEP_4)
	v_fma_f64 v[2:3], v[59:60], v[2:3], v[55:56]
	v_fma_f64 v[4:5], v[59:60], v[4:5], -v[57:58]
	s_wait_loadcnt_dscnt 0x0
	v_mul_f64_e32 v[55:56], v[69:70], v[40:41]
	v_mul_f64_e32 v[57:58], v[69:70], v[38:39]
	v_fma_f64 v[16:17], v[63:64], v[16:17], v[61:62]
	v_fma_f64 v[18:19], v[63:64], v[18:19], -v[65:66]
	v_add_f64_e32 v[2:3], v[33:34], v[2:3]
	v_add_f64_e32 v[4:5], v[46:47], v[4:5]
	v_fma_f64 v[33:34], v[67:68], v[38:39], v[55:56]
	v_fma_f64 v[38:39], v[67:68], v[40:41], -v[57:58]
	s_delay_alu instid0(VALU_DEP_4) | instskip(NEXT) | instid1(VALU_DEP_4)
	v_add_f64_e32 v[2:3], v[2:3], v[16:17]
	v_add_f64_e32 v[4:5], v[4:5], v[18:19]
	s_delay_alu instid0(VALU_DEP_2) | instskip(NEXT) | instid1(VALU_DEP_2)
	v_add_f64_e32 v[16:17], v[2:3], v[33:34]
	v_add_f64_e32 v[18:19], v[4:5], v[38:39]
	s_and_not1_saveexec_b32 s6, s6
	s_cbranch_execz .LBB373_69
.LBB373_77:                             ;   in Loop: Header=BB373_67 Depth=2
	v_mov_b32_e32 v16, 0
	v_dual_mov_b32 v17, 0 :: v_dual_mov_b32 v18, 0
	v_mov_b32_e32 v19, 0
	s_and_saveexec_b32 s7, s28
	s_cbranch_execz .LBB373_82
; %bb.78:                               ;   in Loop: Header=BB373_67 Depth=2
	s_wait_dscnt 0x0
	v_dual_mov_b32 v2, v8 :: v_dual_mov_b32 v3, v9
	s_mov_b32 s8, 0
	s_mov_b32 s9, s57
.LBB373_79:                             ;   Parent Loop BB373_3 Depth=1
                                        ;     Parent Loop BB373_67 Depth=2
                                        ; =>    This Inner Loop Header: Depth=3
	flat_load_b128 v[16:19], v[2:3]
	v_add_co_u32 v2, vcc_lo, v2, s44
	s_wait_alu 0xfffd
	v_add_co_ci_u32_e64 v3, null, s45, v3, vcc_lo
	s_wait_alu 0xfffe
	s_add_co_i32 s9, s9, -1
	s_wait_loadcnt_dscnt 0x0
	scratch_store_b128 off, v[16:19], s8
	s_add_co_i32 s8, s8, 16
	s_wait_alu 0xfffe
	s_cmp_eq_u32 s9, 0
	s_cbranch_scc0 .LBB373_79
; %bb.80:                               ;   in Loop: Header=BB373_67 Depth=2
	v_mov_b32_e32 v16, 0
	v_dual_mov_b32 v17, 0 :: v_dual_mov_b32 v18, 0
	v_dual_mov_b32 v19, 0 :: v_dual_mov_b32 v2, v6
	v_mov_b32_e32 v3, v7
	s_mov_b32 s8, s63
	s_mov_b32 s9, s57
.LBB373_81:                             ;   Parent Loop BB373_3 Depth=1
                                        ;     Parent Loop BB373_67 Depth=2
                                        ; =>    This Inner Loop Header: Depth=3
	flat_load_b128 v[38:41], v[2:3] offset:-8
	scratch_load_b128 v[42:45], off, s8 offset:-8
	v_add_co_u32 v2, vcc_lo, v2, 16
	s_wait_alu 0xfffd
	v_add_co_ci_u32_e64 v3, null, 0, v3, vcc_lo
	s_wait_alu 0xfffe
	s_add_co_i32 s9, s9, -1
	s_add_co_i32 s8, s8, 16
	s_wait_alu 0xfffe
	s_cmp_lg_u32 s9, 0
	s_wait_loadcnt_dscnt 0x0
	v_mul_f64_e32 v[4:5], v[40:41], v[44:45]
	v_mul_f64_e32 v[33:34], v[40:41], v[42:43]
	s_delay_alu instid0(VALU_DEP_2) | instskip(NEXT) | instid1(VALU_DEP_2)
	v_fma_f64 v[4:5], v[38:39], v[42:43], v[4:5]
	v_fma_f64 v[33:34], v[38:39], v[44:45], -v[33:34]
	s_delay_alu instid0(VALU_DEP_2) | instskip(NEXT) | instid1(VALU_DEP_2)
	v_add_f64_e32 v[16:17], v[16:17], v[4:5]
	v_add_f64_e32 v[18:19], v[18:19], v[33:34]
	s_cbranch_scc1 .LBB373_81
.LBB373_82:                             ;   in Loop: Header=BB373_67 Depth=2
	s_wait_alu 0xfffe
	s_or_b32 exec_lo, exec_lo, s7
	s_delay_alu instid0(SALU_CYCLE_1)
	s_or_b32 exec_lo, exec_lo, s6
	s_and_saveexec_b32 s6, s1
	s_cbranch_execnz .LBB373_70
	s_branch .LBB373_71
.LBB373_83:                             ;   in Loop: Header=BB373_67 Depth=2
	ds_load_b128 v[2:5], v50
	s_wait_alu 0xfffe
	s_or_b32 exec_lo, exec_lo, s6
	s_and_saveexec_b32 s6, s1
	s_cbranch_execz .LBB373_75
.LBB373_84:                             ;   in Loop: Header=BB373_67 Depth=2
	s_wait_dscnt 0x0
	ds_bpermute_b32 v16, v35, v2
	ds_bpermute_b32 v17, v35, v3
	ds_bpermute_b32 v18, v35, v4
	ds_bpermute_b32 v19, v35, v5
	s_wait_dscnt 0x2
	v_add_f64_e32 v[2:3], v[2:3], v[16:17]
	s_wait_dscnt 0x0
	v_add_f64_e32 v[4:5], v[4:5], v[18:19]
	ds_bpermute_b32 v16, v36, v2
	ds_bpermute_b32 v17, v36, v3
	ds_bpermute_b32 v18, v36, v4
	ds_bpermute_b32 v19, v36, v5
	s_wait_dscnt 0x2
	v_add_f64_e32 v[2:3], v[2:3], v[16:17]
	s_wait_dscnt 0x0
	v_add_f64_e32 v[4:5], v[4:5], v[18:19]
	;; [unrolled: 8-line block ×3, first 2 shown]
	s_wait_alu 0xfffe
	s_or_b32 exec_lo, exec_lo, s6
	s_and_saveexec_b32 s6, s0
	s_cbranch_execz .LBB373_66
.LBB373_85:                             ;   in Loop: Header=BB373_67 Depth=2
	s_wait_dscnt 0x0
	s_delay_alu instid0(VALU_DEP_1)
	v_mul_f64_e32 v[16:17], s[14:15], v[4:5]
	v_mul_f64_e32 v[4:5], s[12:13], v[4:5]
	s_mul_u64 s[8:9], s[24:25], s[30:31]
	s_wait_alu 0xfffe
	s_lshl_b64 s[8:9], s[8:9], 4
	s_wait_alu 0xfffe
	s_add_nc_u64 s[8:9], s[52:53], s[8:9]
	s_delay_alu instid0(VALU_DEP_2) | instskip(NEXT) | instid1(VALU_DEP_2)
	v_fma_f64 v[16:17], s[12:13], v[2:3], -v[16:17]
	v_fma_f64 v[18:19], s[14:15], v[2:3], v[4:5]
	global_store_b128 v1, v[16:19], s[8:9]
	s_branch .LBB373_66
.LBB373_86:
	s_nop 0
	s_sendmsg sendmsg(MSG_DEALLOC_VGPRS)
	s_endpgm
	.section	.rodata,"a",@progbits
	.p2align	6, 0x0
	.amdhsa_kernel _ZL23rocblas_gemvt_sn_kernelILb1ELi256ELi4ElPK19rocblas_complex_numIdES1_S1_EviiT4_lPKT3_lilS7_lilPT5_i
		.amdhsa_group_segment_fixed_size 512
		.amdhsa_private_segment_fixed_size 80
		.amdhsa_kernarg_size 368
		.amdhsa_user_sgpr_count 2
		.amdhsa_user_sgpr_dispatch_ptr 0
		.amdhsa_user_sgpr_queue_ptr 0
		.amdhsa_user_sgpr_kernarg_segment_ptr 1
		.amdhsa_user_sgpr_dispatch_id 0
		.amdhsa_user_sgpr_private_segment_size 0
		.amdhsa_wavefront_size32 1
		.amdhsa_uses_dynamic_stack 0
		.amdhsa_enable_private_segment 1
		.amdhsa_system_sgpr_workgroup_id_x 1
		.amdhsa_system_sgpr_workgroup_id_y 0
		.amdhsa_system_sgpr_workgroup_id_z 1
		.amdhsa_system_sgpr_workgroup_info 0
		.amdhsa_system_vgpr_workitem_id 0
		.amdhsa_next_free_vgpr 135
		.amdhsa_next_free_sgpr 70
		.amdhsa_reserve_vcc 1
		.amdhsa_float_round_mode_32 0
		.amdhsa_float_round_mode_16_64 0
		.amdhsa_float_denorm_mode_32 3
		.amdhsa_float_denorm_mode_16_64 3
		.amdhsa_fp16_overflow 0
		.amdhsa_workgroup_processor_mode 1
		.amdhsa_memory_ordered 1
		.amdhsa_forward_progress 1
		.amdhsa_inst_pref_size 57
		.amdhsa_round_robin_scheduling 0
		.amdhsa_exception_fp_ieee_invalid_op 0
		.amdhsa_exception_fp_denorm_src 0
		.amdhsa_exception_fp_ieee_div_zero 0
		.amdhsa_exception_fp_ieee_overflow 0
		.amdhsa_exception_fp_ieee_underflow 0
		.amdhsa_exception_fp_ieee_inexact 0
		.amdhsa_exception_int_div_zero 0
	.end_amdhsa_kernel
	.section	.text._ZL23rocblas_gemvt_sn_kernelILb1ELi256ELi4ElPK19rocblas_complex_numIdES1_S1_EviiT4_lPKT3_lilS7_lilPT5_i,"axG",@progbits,_ZL23rocblas_gemvt_sn_kernelILb1ELi256ELi4ElPK19rocblas_complex_numIdES1_S1_EviiT4_lPKT3_lilS7_lilPT5_i,comdat
.Lfunc_end373:
	.size	_ZL23rocblas_gemvt_sn_kernelILb1ELi256ELi4ElPK19rocblas_complex_numIdES1_S1_EviiT4_lPKT3_lilS7_lilPT5_i, .Lfunc_end373-_ZL23rocblas_gemvt_sn_kernelILb1ELi256ELi4ElPK19rocblas_complex_numIdES1_S1_EviiT4_lPKT3_lilS7_lilPT5_i
                                        ; -- End function
	.set _ZL23rocblas_gemvt_sn_kernelILb1ELi256ELi4ElPK19rocblas_complex_numIdES1_S1_EviiT4_lPKT3_lilS7_lilPT5_i.num_vgpr, 135
	.set _ZL23rocblas_gemvt_sn_kernelILb1ELi256ELi4ElPK19rocblas_complex_numIdES1_S1_EviiT4_lPKT3_lilS7_lilPT5_i.num_agpr, 0
	.set _ZL23rocblas_gemvt_sn_kernelILb1ELi256ELi4ElPK19rocblas_complex_numIdES1_S1_EviiT4_lPKT3_lilS7_lilPT5_i.numbered_sgpr, 70
	.set _ZL23rocblas_gemvt_sn_kernelILb1ELi256ELi4ElPK19rocblas_complex_numIdES1_S1_EviiT4_lPKT3_lilS7_lilPT5_i.num_named_barrier, 0
	.set _ZL23rocblas_gemvt_sn_kernelILb1ELi256ELi4ElPK19rocblas_complex_numIdES1_S1_EviiT4_lPKT3_lilS7_lilPT5_i.private_seg_size, 80
	.set _ZL23rocblas_gemvt_sn_kernelILb1ELi256ELi4ElPK19rocblas_complex_numIdES1_S1_EviiT4_lPKT3_lilS7_lilPT5_i.uses_vcc, 1
	.set _ZL23rocblas_gemvt_sn_kernelILb1ELi256ELi4ElPK19rocblas_complex_numIdES1_S1_EviiT4_lPKT3_lilS7_lilPT5_i.uses_flat_scratch, 1
	.set _ZL23rocblas_gemvt_sn_kernelILb1ELi256ELi4ElPK19rocblas_complex_numIdES1_S1_EviiT4_lPKT3_lilS7_lilPT5_i.has_dyn_sized_stack, 0
	.set _ZL23rocblas_gemvt_sn_kernelILb1ELi256ELi4ElPK19rocblas_complex_numIdES1_S1_EviiT4_lPKT3_lilS7_lilPT5_i.has_recursion, 0
	.set _ZL23rocblas_gemvt_sn_kernelILb1ELi256ELi4ElPK19rocblas_complex_numIdES1_S1_EviiT4_lPKT3_lilS7_lilPT5_i.has_indirect_call, 0
	.section	.AMDGPU.csdata,"",@progbits
; Kernel info:
; codeLenInByte = 7208
; TotalNumSgprs: 72
; NumVgprs: 135
; ScratchSize: 80
; MemoryBound: 0
; FloatMode: 240
; IeeeMode: 1
; LDSByteSize: 512 bytes/workgroup (compile time only)
; SGPRBlocks: 0
; VGPRBlocks: 16
; NumSGPRsForWavesPerEU: 72
; NumVGPRsForWavesPerEU: 135
; Occupancy: 10
; WaveLimiterHint : 1
; COMPUTE_PGM_RSRC2:SCRATCH_EN: 1
; COMPUTE_PGM_RSRC2:USER_SGPR: 2
; COMPUTE_PGM_RSRC2:TRAP_HANDLER: 0
; COMPUTE_PGM_RSRC2:TGID_X_EN: 1
; COMPUTE_PGM_RSRC2:TGID_Y_EN: 0
; COMPUTE_PGM_RSRC2:TGID_Z_EN: 1
; COMPUTE_PGM_RSRC2:TIDIG_COMP_CNT: 0
	.section	.text._ZL20rocblas_gemvt_kernelILb1ELi256EPK19rocblas_complex_numIdES3_KPS1_EviiT2_lPKT1_lilS9_lilS6_lPT3_lili,"axG",@progbits,_ZL20rocblas_gemvt_kernelILb1ELi256EPK19rocblas_complex_numIdES3_KPS1_EviiT2_lPKT1_lilS9_lilS6_lPT3_lili,comdat
	.globl	_ZL20rocblas_gemvt_kernelILb1ELi256EPK19rocblas_complex_numIdES3_KPS1_EviiT2_lPKT1_lilS9_lilS6_lPT3_lili ; -- Begin function _ZL20rocblas_gemvt_kernelILb1ELi256EPK19rocblas_complex_numIdES3_KPS1_EviiT2_lPKT1_lilS9_lilS6_lPT3_lili
	.p2align	8
	.type	_ZL20rocblas_gemvt_kernelILb1ELi256EPK19rocblas_complex_numIdES3_KPS1_EviiT2_lPKT1_lilS9_lilS6_lPT3_lili,@function
_ZL20rocblas_gemvt_kernelILb1ELi256EPK19rocblas_complex_numIdES3_KPS1_EviiT2_lPKT1_lilS9_lilS6_lPT3_lili: ; @_ZL20rocblas_gemvt_kernelILb1ELi256EPK19rocblas_complex_numIdES3_KPS1_EviiT2_lPKT1_lilS9_lilS6_lPT3_lili
; %bb.0:
	s_load_b32 s33, s[0:1], 0x88
	s_lshr_b32 s10, ttmp7, 16
	s_wait_kmcnt 0x0
	s_cmp_ge_u32 s10, s33
	s_cbranch_scc1 .LBB374_46
; %bb.1:
	s_clause 0x6
	s_load_b32 s4, s[0:1], 0x28
	s_load_b32 s38, s[0:1], 0x48
	;; [unrolled: 1-line block ×4, first 2 shown]
	s_load_b128 s[28:31], s[0:1], 0x38
	s_load_b256 s[12:19], s[0:1], 0x8
	s_load_b256 s[20:27], s[0:1], 0x58
	s_mov_b32 s2, ttmp9
	s_ashr_i32 s3, ttmp9, 31
	v_cmp_eq_u32_e64 s0, 0, v0
	v_dual_mov_b32 v24, 0 :: v_dual_lshlrev_b32 v25, 4, v0
	v_cmp_gt_u32_e64 s1, 0x80, v0
	s_mov_b32 s11, 0
	s_wait_kmcnt 0x0
	s_ashr_i32 s5, s4, 31
	v_mad_co_i64_i32 v[1:2], null, s38, v0, 0
	s_ashr_i32 s9, s8, 31
	v_cmp_gt_i32_e32 vcc_lo, s8, v0
	s_lshr_b32 s9, s9, 24
	s_ashr_i32 s7, s6, 31
	s_wait_alu 0xfffe
	s_add_co_i32 s9, s8, s9
	s_ashr_i32 s39, s38, 31
	s_wait_alu 0xfffe
	s_and_b32 s34, s9, 0xffffff00
	v_cndmask_b32_e32 v5, 0, v0, vcc_lo
	v_or_b32_e32 v3, s34, v0
	v_lshlrev_b64_e32 v[12:13], 4, v[1:2]
	s_mul_u64 s[40:41], s[6:7], s[2:3]
	s_cmp_gt_i32 s8, 0xff
	v_lshlrev_b32_e32 v1, 4, v5
	s_mul_u64 s[36:37], s[4:5], s[2:3]
	v_cmp_gt_i32_e64 s2, s8, v3
	v_mad_co_i64_i32 v[3:4], null, s38, v3, 0
	s_cselect_b32 s44, -1, 0
	s_lshl_b64 s[36:37], s[36:37], 4
	v_cmp_gt_u32_e64 s3, 64, v0
	v_cmp_gt_u32_e64 s4, 32, v0
	;; [unrolled: 1-line block ×6, first 2 shown]
	v_add_co_u32 v0, s9, s36, v1
	v_lshlrev_b64_e32 v[14:15], 4, v[3:4]
	v_or_b32_e32 v12, 8, v12
	s_wait_alu 0xf1ff
	v_add_co_ci_u32_e64 v26, null, s37, 0, s9
	v_or_b32_e32 v27, 8, v0
	v_lshlrev_b32_e32 v28, 4, v5
	s_ashr_i32 s35, s34, 31
	s_lshl_b64 s[38:39], s[38:39], 12
	s_lshl_b64 s[18:19], s[18:19], 4
	;; [unrolled: 1-line block ×5, first 2 shown]
	s_wait_alu 0xfffe
	s_lshl_b64 s[42:43], s[34:35], 4
	s_branch .LBB374_4
.LBB374_2:                              ;   in Loop: Header=BB374_4 Depth=1
	s_wait_alu 0xfffe
	s_or_b32 exec_lo, exec_lo, s9
.LBB374_3:                              ;   in Loop: Header=BB374_4 Depth=1
	s_add_co_i32 s10, s10, 0x10000
	s_delay_alu instid0(SALU_CYCLE_1)
	s_cmp_lt_u32 s10, s33
	s_cbranch_scc0 .LBB374_46
.LBB374_4:                              ; =>This Loop Header: Depth=1
                                        ;     Child Loop BB374_20 Depth 2
	s_mul_u64 s[46:47], s[14:15], s[10:11]
	s_mov_b32 s45, -1
	s_lshl_b64 s[46:47], s[46:47], 4
	s_delay_alu instid0(SALU_CYCLE_1) | instskip(SKIP_2) | instid1(SALU_CYCLE_1)
	s_add_nc_u64 s[46:47], s[12:13], s[46:47]
	global_load_b128 v[4:7], v24, s[46:47]
	s_mul_u64 s[46:47], s[22:23], s[10:11]
	s_lshl_b64 s[46:47], s[46:47], 4
	s_delay_alu instid0(SALU_CYCLE_1)
	s_add_nc_u64 s[46:47], s[20:21], s[46:47]
	s_wait_loadcnt 0x1
	global_load_b128 v[0:3], v24, s[46:47]
	s_wait_loadcnt 0x1
	v_cmp_neq_f64_e32 vcc_lo, 0, v[4:5]
	v_cmp_neq_f64_e64 s9, 0, v[6:7]
	s_or_b32 s35, vcc_lo, s9
	s_mov_b32 s9, s11
	s_wait_alu 0xfffe
	s_and_b32 vcc_lo, exec_lo, s35
	s_wait_alu 0xfffe
	s_cbranch_vccz .LBB374_7
; %bb.5:                                ;   in Loop: Header=BB374_4 Depth=1
	v_mov_b32_e32 v16, 0
	v_mov_b32_e32 v17, 0
	s_and_not1_b32 vcc_lo, exec_lo, s45
	s_wait_alu 0xfffe
	s_cbranch_vccz .LBB374_8
.LBB374_6:                              ;   in Loop: Header=BB374_4 Depth=1
	s_wait_alu 0xfffe
	s_and_not1_b32 vcc_lo, exec_lo, s9
	s_wait_alu 0xfffe
	s_cbranch_vccnz .LBB374_3
	s_branch .LBB374_9
.LBB374_7:                              ;   in Loop: Header=BB374_4 Depth=1
	s_wait_loadcnt 0x0
	v_cmp_neq_f64_e32 vcc_lo, 1.0, v[0:1]
	v_cmp_neq_f64_e64 s9, 0, v[2:3]
	s_or_b32 s9, vcc_lo, s9
	v_mov_b32_e32 v16, 0
	v_mov_b32_e32 v17, 0
	s_cbranch_execnz .LBB374_6
.LBB374_8:                              ;   in Loop: Header=BB374_4 Depth=1
	s_lshl_b64 s[46:47], s[10:11], 3
	s_delay_alu instid0(SALU_CYCLE_1)
	s_add_nc_u64 s[46:47], s[16:17], s[46:47]
	global_load_b64 v[8:9], v24, s[46:47]
	s_wait_loadcnt 0x0
	v_add_co_u32 v16, vcc_lo, v8, s18
	s_wait_alu 0xfffd
	v_add_co_ci_u32_e64 v17, null, s19, v9, vcc_lo
.LBB374_9:                              ;   in Loop: Header=BB374_4 Depth=1
	v_mov_b32_e32 v18, 0
	v_mov_b32_e32 v19, 0
	s_and_not1_b32 vcc_lo, exec_lo, s35
	s_wait_alu 0xfffe
	s_cbranch_vccnz .LBB374_11
; %bb.10:                               ;   in Loop: Header=BB374_4 Depth=1
	s_lshl_b64 s[46:47], s[10:11], 3
	s_delay_alu instid0(SALU_CYCLE_1)
	s_add_nc_u64 s[46:47], s[28:29], s[46:47]
	global_load_b64 v[8:9], v24, s[46:47]
	s_wait_loadcnt 0x0
	v_add_co_u32 v18, vcc_lo, v8, s30
	s_wait_alu 0xfffd
	v_add_co_ci_u32_e64 v19, null, s31, v9, vcc_lo
.LBB374_11:                             ;   in Loop: Header=BB374_4 Depth=1
	s_lshl_b64 s[46:47], s[10:11], 3
	s_xor_b32 s9, s35, -1
	s_add_nc_u64 s[46:47], s[24:25], s[46:47]
	global_load_b64 v[8:9], v24, s[46:47]
	s_wait_loadcnt 0x0
	v_add_co_u32 v29, vcc_lo, v8, s26
	s_wait_alu 0xfffd
	v_add_co_ci_u32_e64 v30, null, s27, v9, vcc_lo
	s_wait_alu 0xfffe
	s_and_not1_b32 vcc_lo, exec_lo, s9
	s_wait_alu 0xfffe
	s_cbranch_vccnz .LBB374_16
; %bb.12:                               ;   in Loop: Header=BB374_4 Depth=1
	s_mov_b32 s45, 0
	s_mov_b32 s35, 0
                                        ; implicit-def: $vgpr10_vgpr11
	s_and_saveexec_b32 s46, s0
	s_cbranch_execz .LBB374_17
; %bb.13:                               ;   in Loop: Header=BB374_4 Depth=1
	v_cmp_neq_f64_e32 vcc_lo, 0, v[0:1]
	v_cmp_neq_f64_e64 s9, 0, v[2:3]
	v_mov_b32_e32 v10, 0
	v_dual_mov_b32 v11, 0 :: v_dual_mov_b32 v8, 0
	v_mov_b32_e32 v9, 0
	s_or_b32 s9, vcc_lo, s9
	s_wait_alu 0xfffe
	s_and_not1_b32 vcc_lo, exec_lo, s9
	s_wait_alu 0xfffe
	s_cbranch_vccnz .LBB374_15
; %bb.14:                               ;   in Loop: Header=BB374_4 Depth=1
	v_add_co_u32 v8, vcc_lo, v29, s40
	s_wait_alu 0xfffd
	v_add_co_ci_u32_e64 v9, null, s41, v30, vcc_lo
	flat_load_b128 v[20:23], v[8:9]
	s_wait_loadcnt_dscnt 0x0
	v_mul_f64_e32 v[8:9], v[2:3], v[22:23]
	v_mul_f64_e32 v[10:11], v[0:1], v[22:23]
	s_delay_alu instid0(VALU_DEP_2) | instskip(NEXT) | instid1(VALU_DEP_2)
	v_fma_f64 v[8:9], v[0:1], v[20:21], -v[8:9]
	v_fma_f64 v[10:11], v[2:3], v[20:21], v[10:11]
.LBB374_15:                             ;   in Loop: Header=BB374_4 Depth=1
	s_mov_b32 s35, exec_lo
	s_or_b32 exec_lo, exec_lo, s46
	s_delay_alu instid0(SALU_CYCLE_1)
	s_and_b32 vcc_lo, exec_lo, s45
	s_wait_alu 0xfffe
	s_cbranch_vccnz .LBB374_18
	s_branch .LBB374_44
.LBB374_16:                             ;   in Loop: Header=BB374_4 Depth=1
	s_mov_b32 s35, 0
                                        ; implicit-def: $vgpr10_vgpr11
	s_cbranch_execnz .LBB374_18
	s_branch .LBB374_44
.LBB374_17:                             ;   in Loop: Header=BB374_4 Depth=1
	s_or_b32 exec_lo, exec_lo, s46
	s_delay_alu instid0(SALU_CYCLE_1)
	s_and_b32 vcc_lo, exec_lo, s45
	s_wait_alu 0xfffe
	s_cbranch_vccz .LBB374_44
.LBB374_18:                             ;   in Loop: Header=BB374_4 Depth=1
	v_mov_b32_e32 v10, 0
	v_mov_b32_e32 v11, 0
	s_delay_alu instid0(VALU_DEP_2) | instskip(SKIP_1) | instid1(VALU_DEP_2)
	v_mov_b32_e32 v8, v10
	s_and_not1_b32 vcc_lo, exec_lo, s44
	v_mov_b32_e32 v9, v11
	s_wait_alu 0xfffe
	s_cbranch_vccnz .LBB374_21
; %bb.19:                               ;   in Loop: Header=BB374_4 Depth=1
	v_mov_b32_e32 v10, 0
	v_mov_b32_e32 v11, 0
	v_add_co_u32 v20, vcc_lo, v18, v12
	s_wait_alu 0xfffd
	v_add_co_ci_u32_e64 v21, null, v19, v13, vcc_lo
	v_add_co_u32 v22, vcc_lo, v16, v27
	s_wait_alu 0xfffd
	v_add_co_ci_u32_e64 v23, null, v17, v26, vcc_lo
	v_dual_mov_b32 v8, v10 :: v_dual_mov_b32 v9, v11
	s_mov_b32 s9, 0
.LBB374_20:                             ;   Parent Loop BB374_4 Depth=1
                                        ; =>  This Inner Loop Header: Depth=2
	flat_load_b128 v[31:34], v[22:23] offset:-8
	flat_load_b128 v[35:38], v[20:21] offset:-8
	v_add_co_u32 v20, vcc_lo, v20, s38
	s_wait_alu 0xfffd
	v_add_co_ci_u32_e64 v21, null, s39, v21, vcc_lo
	v_add_co_u32 v22, vcc_lo, 0x1000, v22
	s_wait_alu 0xfffd
	v_add_co_ci_u32_e64 v23, null, 0, v23, vcc_lo
	s_wait_alu 0xfffe
	s_addk_co_i32 s9, 0x100
	s_wait_alu 0xfffe
	s_cmp_ge_i32 s9, s34
	s_wait_loadcnt_dscnt 0x0
	v_mul_f64_e32 v[39:40], v[33:34], v[37:38]
	v_mul_f64_e32 v[33:34], v[33:34], v[35:36]
	s_delay_alu instid0(VALU_DEP_2) | instskip(NEXT) | instid1(VALU_DEP_2)
	v_fma_f64 v[35:36], v[31:32], v[35:36], v[39:40]
	v_fma_f64 v[31:32], v[31:32], v[37:38], -v[33:34]
	s_delay_alu instid0(VALU_DEP_2) | instskip(NEXT) | instid1(VALU_DEP_2)
	v_add_f64_e32 v[8:9], v[8:9], v[35:36]
	v_add_f64_e32 v[10:11], v[10:11], v[31:32]
	s_cbranch_scc0 .LBB374_20
.LBB374_21:                             ;   in Loop: Header=BB374_4 Depth=1
	s_and_saveexec_b32 s9, s2
	s_cbranch_execz .LBB374_23
; %bb.22:                               ;   in Loop: Header=BB374_4 Depth=1
	v_add_co_u32 v16, vcc_lo, v16, v28
	s_wait_alu 0xfffd
	v_add_co_ci_u32_e64 v17, null, 0, v17, vcc_lo
	s_delay_alu instid0(VALU_DEP_2) | instskip(SKIP_1) | instid1(VALU_DEP_2)
	v_add_co_u32 v20, vcc_lo, v16, s36
	s_wait_alu 0xfffd
	v_add_co_ci_u32_e64 v21, null, s37, v17, vcc_lo
	v_add_co_u32 v16, vcc_lo, v18, v14
	s_wait_alu 0xfffd
	v_add_co_ci_u32_e64 v17, null, v19, v15, vcc_lo
	;; [unrolled: 3-line block ×3, first 2 shown]
	flat_load_b128 v[16:19], v[16:17]
	flat_load_b128 v[20:23], v[20:21]
	s_wait_loadcnt_dscnt 0x0
	v_mul_f64_e32 v[31:32], v[22:23], v[18:19]
	v_mul_f64_e32 v[22:23], v[22:23], v[16:17]
	s_delay_alu instid0(VALU_DEP_2) | instskip(NEXT) | instid1(VALU_DEP_2)
	v_fma_f64 v[16:17], v[20:21], v[16:17], v[31:32]
	v_fma_f64 v[18:19], v[20:21], v[18:19], -v[22:23]
	s_delay_alu instid0(VALU_DEP_2) | instskip(NEXT) | instid1(VALU_DEP_2)
	v_add_f64_e32 v[8:9], v[8:9], v[16:17]
	v_add_f64_e32 v[10:11], v[10:11], v[18:19]
.LBB374_23:                             ;   in Loop: Header=BB374_4 Depth=1
	s_wait_alu 0xfffe
	s_or_b32 exec_lo, exec_lo, s9
	ds_store_b128 v25, v[8:11]
	s_wait_dscnt 0x0
	s_barrier_signal -1
	s_barrier_wait -1
	global_inv scope:SCOPE_SE
	s_and_saveexec_b32 s9, s1
	s_cbranch_execz .LBB374_25
; %bb.24:                               ;   in Loop: Header=BB374_4 Depth=1
	ds_load_b128 v[8:11], v25 offset:2048
	ds_load_b128 v[16:19], v25
	s_wait_dscnt 0x0
	v_add_f64_e32 v[8:9], v[8:9], v[16:17]
	v_add_f64_e32 v[10:11], v[10:11], v[18:19]
	ds_store_b128 v25, v[8:11]
.LBB374_25:                             ;   in Loop: Header=BB374_4 Depth=1
	s_wait_alu 0xfffe
	s_or_b32 exec_lo, exec_lo, s9
	s_wait_loadcnt_dscnt 0x0
	s_barrier_signal -1
	s_barrier_wait -1
	global_inv scope:SCOPE_SE
	s_and_saveexec_b32 s9, s3
	s_cbranch_execz .LBB374_27
; %bb.26:                               ;   in Loop: Header=BB374_4 Depth=1
	ds_load_b128 v[8:11], v25 offset:1024
	ds_load_b128 v[16:19], v25
	s_wait_dscnt 0x0
	v_add_f64_e32 v[8:9], v[8:9], v[16:17]
	v_add_f64_e32 v[10:11], v[10:11], v[18:19]
	ds_store_b128 v25, v[8:11]
.LBB374_27:                             ;   in Loop: Header=BB374_4 Depth=1
	s_wait_alu 0xfffe
	s_or_b32 exec_lo, exec_lo, s9
	s_wait_loadcnt_dscnt 0x0
	;; [unrolled: 16-line block ×6, first 2 shown]
	s_barrier_signal -1
	s_barrier_wait -1
	global_inv scope:SCOPE_SE
	s_and_saveexec_b32 s9, s8
	s_cbranch_execz .LBB374_37
; %bb.36:                               ;   in Loop: Header=BB374_4 Depth=1
	ds_load_b128 v[8:11], v25
	ds_load_b128 v[16:19], v25 offset:32
	s_wait_dscnt 0x0
	v_add_f64_e32 v[8:9], v[16:17], v[8:9]
	v_add_f64_e32 v[10:11], v[18:19], v[10:11]
	ds_store_b128 v25, v[8:11]
.LBB374_37:                             ;   in Loop: Header=BB374_4 Depth=1
	s_wait_alu 0xfffe
	s_or_b32 exec_lo, exec_lo, s9
	s_wait_loadcnt_dscnt 0x0
	s_barrier_signal -1
	s_barrier_wait -1
	global_inv scope:SCOPE_SE
	s_and_saveexec_b32 s9, s0
	s_cbranch_execz .LBB374_39
; %bb.38:                               ;   in Loop: Header=BB374_4 Depth=1
	ds_load_b128 v[8:11], v24
	ds_load_b128 v[16:19], v24 offset:16
	s_wait_dscnt 0x0
	v_add_f64_e32 v[8:9], v[16:17], v[8:9]
	v_add_f64_e32 v[10:11], v[18:19], v[10:11]
	ds_store_b128 v24, v[8:11]
.LBB374_39:                             ;   in Loop: Header=BB374_4 Depth=1
	s_wait_alu 0xfffe
	s_or_b32 exec_lo, exec_lo, s9
	s_wait_loadcnt_dscnt 0x0
	s_barrier_signal -1
	s_barrier_wait -1
	global_inv scope:SCOPE_SE
                                        ; implicit-def: $vgpr10_vgpr11
	s_and_saveexec_b32 s45, s0
	s_cbranch_execz .LBB374_43
; %bb.40:                               ;   in Loop: Header=BB374_4 Depth=1
	ds_load_b128 v[16:19], v24
	v_cmp_neq_f64_e32 vcc_lo, 0, v[0:1]
	v_cmp_neq_f64_e64 s9, 0, v[2:3]
	s_wait_dscnt 0x0
	v_mul_f64_e32 v[8:9], v[6:7], v[18:19]
	v_mul_f64_e32 v[10:11], v[4:5], v[18:19]
	s_or_b32 s9, vcc_lo, s9
	s_wait_alu 0xfffe
	s_and_not1_b32 vcc_lo, exec_lo, s9
	s_delay_alu instid0(VALU_DEP_2) | instskip(NEXT) | instid1(VALU_DEP_2)
	v_fma_f64 v[8:9], v[4:5], v[16:17], -v[8:9]
	v_fma_f64 v[10:11], v[6:7], v[16:17], v[10:11]
	s_wait_alu 0xfffe
	s_cbranch_vccnz .LBB374_42
; %bb.41:                               ;   in Loop: Header=BB374_4 Depth=1
	v_add_co_u32 v4, vcc_lo, v29, s40
	s_wait_alu 0xfffd
	v_add_co_ci_u32_e64 v5, null, s41, v30, vcc_lo
	flat_load_b128 v[4:7], v[4:5]
	s_wait_loadcnt_dscnt 0x0
	v_mul_f64_e32 v[16:17], v[2:3], v[6:7]
	v_mul_f64_e32 v[6:7], v[0:1], v[6:7]
	s_delay_alu instid0(VALU_DEP_2) | instskip(NEXT) | instid1(VALU_DEP_2)
	v_fma_f64 v[0:1], v[0:1], v[4:5], -v[16:17]
	v_fma_f64 v[2:3], v[2:3], v[4:5], v[6:7]
	s_delay_alu instid0(VALU_DEP_2) | instskip(NEXT) | instid1(VALU_DEP_2)
	v_add_f64_e32 v[8:9], v[8:9], v[0:1]
	v_add_f64_e32 v[10:11], v[10:11], v[2:3]
.LBB374_42:                             ;   in Loop: Header=BB374_4 Depth=1
	s_or_b32 s35, s35, exec_lo
.LBB374_43:                             ;   in Loop: Header=BB374_4 Depth=1
	s_or_b32 exec_lo, exec_lo, s45
.LBB374_44:                             ;   in Loop: Header=BB374_4 Depth=1
	s_wait_alu 0xfffe
	s_and_saveexec_b32 s9, s35
	s_cbranch_execz .LBB374_2
; %bb.45:                               ;   in Loop: Header=BB374_4 Depth=1
	v_add_co_u32 v0, vcc_lo, v29, s40
	s_wait_alu 0xfffd
	v_add_co_ci_u32_e64 v1, null, s41, v30, vcc_lo
	flat_store_b128 v[0:1], v[8:11]
	s_branch .LBB374_2
.LBB374_46:
	s_endpgm
	.section	.rodata,"a",@progbits
	.p2align	6, 0x0
	.amdhsa_kernel _ZL20rocblas_gemvt_kernelILb1ELi256EPK19rocblas_complex_numIdES3_KPS1_EviiT2_lPKT1_lilS9_lilS6_lPT3_lili
		.amdhsa_group_segment_fixed_size 4096
		.amdhsa_private_segment_fixed_size 0
		.amdhsa_kernarg_size 140
		.amdhsa_user_sgpr_count 2
		.amdhsa_user_sgpr_dispatch_ptr 0
		.amdhsa_user_sgpr_queue_ptr 0
		.amdhsa_user_sgpr_kernarg_segment_ptr 1
		.amdhsa_user_sgpr_dispatch_id 0
		.amdhsa_user_sgpr_private_segment_size 0
		.amdhsa_wavefront_size32 1
		.amdhsa_uses_dynamic_stack 0
		.amdhsa_enable_private_segment 0
		.amdhsa_system_sgpr_workgroup_id_x 1
		.amdhsa_system_sgpr_workgroup_id_y 0
		.amdhsa_system_sgpr_workgroup_id_z 1
		.amdhsa_system_sgpr_workgroup_info 0
		.amdhsa_system_vgpr_workitem_id 0
		.amdhsa_next_free_vgpr 41
		.amdhsa_next_free_sgpr 48
		.amdhsa_reserve_vcc 1
		.amdhsa_float_round_mode_32 0
		.amdhsa_float_round_mode_16_64 0
		.amdhsa_float_denorm_mode_32 3
		.amdhsa_float_denorm_mode_16_64 3
		.amdhsa_fp16_overflow 0
		.amdhsa_workgroup_processor_mode 1
		.amdhsa_memory_ordered 1
		.amdhsa_forward_progress 1
		.amdhsa_inst_pref_size 17
		.amdhsa_round_robin_scheduling 0
		.amdhsa_exception_fp_ieee_invalid_op 0
		.amdhsa_exception_fp_denorm_src 0
		.amdhsa_exception_fp_ieee_div_zero 0
		.amdhsa_exception_fp_ieee_overflow 0
		.amdhsa_exception_fp_ieee_underflow 0
		.amdhsa_exception_fp_ieee_inexact 0
		.amdhsa_exception_int_div_zero 0
	.end_amdhsa_kernel
	.section	.text._ZL20rocblas_gemvt_kernelILb1ELi256EPK19rocblas_complex_numIdES3_KPS1_EviiT2_lPKT1_lilS9_lilS6_lPT3_lili,"axG",@progbits,_ZL20rocblas_gemvt_kernelILb1ELi256EPK19rocblas_complex_numIdES3_KPS1_EviiT2_lPKT1_lilS9_lilS6_lPT3_lili,comdat
.Lfunc_end374:
	.size	_ZL20rocblas_gemvt_kernelILb1ELi256EPK19rocblas_complex_numIdES3_KPS1_EviiT2_lPKT1_lilS9_lilS6_lPT3_lili, .Lfunc_end374-_ZL20rocblas_gemvt_kernelILb1ELi256EPK19rocblas_complex_numIdES3_KPS1_EviiT2_lPKT1_lilS9_lilS6_lPT3_lili
                                        ; -- End function
	.set _ZL20rocblas_gemvt_kernelILb1ELi256EPK19rocblas_complex_numIdES3_KPS1_EviiT2_lPKT1_lilS9_lilS6_lPT3_lili.num_vgpr, 41
	.set _ZL20rocblas_gemvt_kernelILb1ELi256EPK19rocblas_complex_numIdES3_KPS1_EviiT2_lPKT1_lilS9_lilS6_lPT3_lili.num_agpr, 0
	.set _ZL20rocblas_gemvt_kernelILb1ELi256EPK19rocblas_complex_numIdES3_KPS1_EviiT2_lPKT1_lilS9_lilS6_lPT3_lili.numbered_sgpr, 48
	.set _ZL20rocblas_gemvt_kernelILb1ELi256EPK19rocblas_complex_numIdES3_KPS1_EviiT2_lPKT1_lilS9_lilS6_lPT3_lili.num_named_barrier, 0
	.set _ZL20rocblas_gemvt_kernelILb1ELi256EPK19rocblas_complex_numIdES3_KPS1_EviiT2_lPKT1_lilS9_lilS6_lPT3_lili.private_seg_size, 0
	.set _ZL20rocblas_gemvt_kernelILb1ELi256EPK19rocblas_complex_numIdES3_KPS1_EviiT2_lPKT1_lilS9_lilS6_lPT3_lili.uses_vcc, 1
	.set _ZL20rocblas_gemvt_kernelILb1ELi256EPK19rocblas_complex_numIdES3_KPS1_EviiT2_lPKT1_lilS9_lilS6_lPT3_lili.uses_flat_scratch, 0
	.set _ZL20rocblas_gemvt_kernelILb1ELi256EPK19rocblas_complex_numIdES3_KPS1_EviiT2_lPKT1_lilS9_lilS6_lPT3_lili.has_dyn_sized_stack, 0
	.set _ZL20rocblas_gemvt_kernelILb1ELi256EPK19rocblas_complex_numIdES3_KPS1_EviiT2_lPKT1_lilS9_lilS6_lPT3_lili.has_recursion, 0
	.set _ZL20rocblas_gemvt_kernelILb1ELi256EPK19rocblas_complex_numIdES3_KPS1_EviiT2_lPKT1_lilS9_lilS6_lPT3_lili.has_indirect_call, 0
	.section	.AMDGPU.csdata,"",@progbits
; Kernel info:
; codeLenInByte = 2176
; TotalNumSgprs: 50
; NumVgprs: 41
; ScratchSize: 0
; MemoryBound: 0
; FloatMode: 240
; IeeeMode: 1
; LDSByteSize: 4096 bytes/workgroup (compile time only)
; SGPRBlocks: 0
; VGPRBlocks: 5
; NumSGPRsForWavesPerEU: 50
; NumVGPRsForWavesPerEU: 41
; Occupancy: 16
; WaveLimiterHint : 1
; COMPUTE_PGM_RSRC2:SCRATCH_EN: 0
; COMPUTE_PGM_RSRC2:USER_SGPR: 2
; COMPUTE_PGM_RSRC2:TRAP_HANDLER: 0
; COMPUTE_PGM_RSRC2:TGID_X_EN: 1
; COMPUTE_PGM_RSRC2:TGID_Y_EN: 0
; COMPUTE_PGM_RSRC2:TGID_Z_EN: 1
; COMPUTE_PGM_RSRC2:TIDIG_COMP_CNT: 0
	.section	.text._ZL20rocblas_gemvt_kernelILb1ELi256EPK19rocblas_complex_numIdES1_KPS1_EviiT2_lPKT1_lilS9_lilS6_lPT3_lili,"axG",@progbits,_ZL20rocblas_gemvt_kernelILb1ELi256EPK19rocblas_complex_numIdES1_KPS1_EviiT2_lPKT1_lilS9_lilS6_lPT3_lili,comdat
	.globl	_ZL20rocblas_gemvt_kernelILb1ELi256EPK19rocblas_complex_numIdES1_KPS1_EviiT2_lPKT1_lilS9_lilS6_lPT3_lili ; -- Begin function _ZL20rocblas_gemvt_kernelILb1ELi256EPK19rocblas_complex_numIdES1_KPS1_EviiT2_lPKT1_lilS9_lilS6_lPT3_lili
	.p2align	8
	.type	_ZL20rocblas_gemvt_kernelILb1ELi256EPK19rocblas_complex_numIdES1_KPS1_EviiT2_lPKT1_lilS9_lilS6_lPT3_lili,@function
_ZL20rocblas_gemvt_kernelILb1ELi256EPK19rocblas_complex_numIdES1_KPS1_EviiT2_lPKT1_lilS9_lilS6_lPT3_lili: ; @_ZL20rocblas_gemvt_kernelILb1ELi256EPK19rocblas_complex_numIdES1_KPS1_EviiT2_lPKT1_lilS9_lilS6_lPT3_lili
; %bb.0:
	s_load_b32 s33, s[0:1], 0x98
	s_lshr_b32 s10, ttmp7, 16
	s_wait_kmcnt 0x0
	s_cmp_ge_u32 s10, s33
	s_cbranch_scc1 .LBB375_47
; %bb.1:
	s_clause 0x8
	s_load_b128 s[12:15], s[0:1], 0x8
	s_load_b128 s[16:19], s[0:1], 0x60
	s_load_b32 s35, s[0:1], 0x0
	s_load_b128 s[20:23], s[0:1], 0x78
	s_load_b128 s[24:27], s[0:1], 0x40
	s_load_b32 s36, s[0:1], 0x50
	s_load_b128 s[28:31], s[0:1], 0x20
	s_load_b32 s38, s[0:1], 0x30
	s_load_b32 s40, s[0:1], 0x88
	v_cmp_eq_u32_e64 s0, 0, v0
	v_dual_mov_b32 v16, 0 :: v_dual_lshlrev_b32 v17, 4, v0
	v_cmp_gt_u32_e64 s1, 0x80, v0
	v_cmp_gt_u32_e64 s2, 64, v0
	;; [unrolled: 1-line block ×6, first 2 shown]
	s_mov_b32 s8, ttmp9
	s_ashr_i32 s9, ttmp9, 31
	s_mov_b32 s11, 0
	s_wait_kmcnt 0x0
	v_cmp_neq_f64_e64 s42, s[12:13], 0
	v_cmp_neq_f64_e64 s43, s[14:15], 0
	v_cmp_neq_f64_e64 s44, s[16:17], 1.0
	v_cmp_neq_f64_e64 s45, s[18:19], 0
	v_cmp_neq_f64_e64 s46, s[16:17], 0
	s_ashr_i32 s7, s35, 31
	v_cmp_gt_i32_e32 vcc_lo, s35, v0
	s_lshr_b32 s34, s7, 24
	v_mad_co_i64_i32 v[1:2], null, s36, v0, 0
	s_wait_alu 0xfffe
	s_add_co_i32 s34, s35, s34
	v_cmp_gt_u32_e64 s7, 2, v0
	s_wait_alu 0xfffe
	s_and_b32 s34, s34, 0xffffff00
	s_ashr_i32 s39, s38, 31
	s_wait_alu 0xfffe
	v_or_b32_e32 v3, s34, v0
	v_cndmask_b32_e32 v0, 0, v0, vcc_lo
	s_ashr_i32 s41, s40, 31
	v_lshlrev_b64_e32 v[4:5], 4, v[1:2]
	s_ashr_i32 s37, s36, 31
	s_mul_u64 s[40:41], s[40:41], s[8:9]
	s_mul_u64 s[38:39], s[38:39], s[8:9]
	v_lshlrev_b32_e32 v1, 4, v0
	v_mad_co_i64_i32 v[6:7], null, s36, v3, 0
	v_cmp_gt_i32_e64 s8, s35, v3
	v_or_b32_e32 v4, 8, v4
	v_lshlrev_b32_e32 v21, 4, v0
	s_delay_alu instid0(VALU_DEP_4)
	v_lshlrev_b64_e32 v[6:7], 4, v[6:7]
	s_or_b32 s43, s42, s43
	s_or_b32 s9, s44, s45
	v_cndmask_b32_e64 v18, 0, 1, s43
	s_or_b32 s42, s46, s45
	s_xor_b32 s43, s43, -1
	s_cmp_gt_i32 s35, 0xff
	s_cselect_b32 s44, -1, 0
	s_lshl_b64 s[38:39], s[38:39], 4
	s_ashr_i32 s35, s34, 31
	v_add_co_u32 v1, s45, s38, v1
	s_delay_alu instid0(VALU_DEP_1) | instskip(SKIP_2) | instid1(VALU_DEP_2)
	v_add_co_ci_u32_e64 v19, null, s39, 0, s45
	s_wait_alu 0xfffe
	s_lshl_b64 s[36:37], s[36:37], 12
	v_or_b32_e32 v20, 8, v1
	s_lshl_b64 s[30:31], s[30:31], 4
	s_lshl_b64 s[26:27], s[26:27], 4
	;; [unrolled: 1-line block ×4, first 2 shown]
	s_branch .LBB375_4
.LBB375_2:                              ;   in Loop: Header=BB375_4 Depth=1
	s_or_b32 exec_lo, exec_lo, s46
.LBB375_3:                              ;   in Loop: Header=BB375_4 Depth=1
	s_add_co_i32 s10, s10, 0x10000
	s_delay_alu instid0(SALU_CYCLE_1)
	s_cmp_lt_u32 s10, s33
	s_cbranch_scc0 .LBB375_47
.LBB375_4:                              ; =>This Loop Header: Depth=1
                                        ;     Child Loop BB375_21 Depth 2
	s_and_not1_b32 vcc_lo, exec_lo, s43
	s_mov_b32 s45, s11
	s_mov_b32 s46, -1
	s_wait_alu 0xfffe
	s_cbranch_vccnz .LBB375_7
; %bb.5:                                ;   in Loop: Header=BB375_4 Depth=1
	s_mov_b32 s46, 0
	s_and_b32 vcc_lo, exec_lo, s9
	s_mov_b32 s45, 0
	s_wait_alu 0xfffe
	s_cbranch_vccz .LBB375_7
; %bb.6:                                ;   in Loop: Header=BB375_4 Depth=1
	s_mov_b32 s45, -1
.LBB375_7:                              ;   in Loop: Header=BB375_4 Depth=1
	v_mov_b32_e32 v8, 0
	v_mov_b32_e32 v9, 0
	s_and_b32 vcc_lo, exec_lo, s46
	s_wait_alu 0xfffe
	s_cbranch_vccnz .LBB375_9
; %bb.8:                                ;   in Loop: Header=BB375_4 Depth=1
	s_and_not1_b32 vcc_lo, exec_lo, s45
	s_wait_alu 0xfffe
	s_cbranch_vccnz .LBB375_3
	s_branch .LBB375_10
.LBB375_9:                              ;   in Loop: Header=BB375_4 Depth=1
	s_lshl_b64 s[46:47], s[10:11], 3
	s_delay_alu instid0(SALU_CYCLE_1)
	s_add_nc_u64 s[46:47], s[28:29], s[46:47]
	global_load_b64 v[0:1], v16, s[46:47]
	s_wait_loadcnt 0x0
	v_add_co_u32 v8, vcc_lo, v0, s30
	s_wait_alu 0xfffd
	v_add_co_ci_u32_e64 v9, null, s31, v1, vcc_lo
.LBB375_10:                             ;   in Loop: Header=BB375_4 Depth=1
	v_cmp_ne_u32_e32 vcc_lo, 1, v18
	v_mov_b32_e32 v10, 0
	v_mov_b32_e32 v11, 0
	s_cbranch_vccnz .LBB375_12
; %bb.11:                               ;   in Loop: Header=BB375_4 Depth=1
	s_lshl_b64 s[46:47], s[10:11], 3
	s_delay_alu instid0(SALU_CYCLE_1)
	s_add_nc_u64 s[46:47], s[24:25], s[46:47]
	global_load_b64 v[0:1], v16, s[46:47]
	s_wait_loadcnt 0x0
	v_add_co_u32 v10, vcc_lo, v0, s26
	s_wait_alu 0xfffd
	v_add_co_ci_u32_e64 v11, null, s27, v1, vcc_lo
.LBB375_12:                             ;   in Loop: Header=BB375_4 Depth=1
	s_lshl_b64 s[46:47], s[10:11], 3
	s_delay_alu instid0(SALU_CYCLE_1)
	s_add_nc_u64 s[46:47], s[20:21], s[46:47]
	global_load_b64 v[0:1], v16, s[46:47]
	s_wait_loadcnt 0x0
	v_add_co_u32 v22, vcc_lo, v0, s22
	s_wait_alu 0xfffd
	v_add_co_ci_u32_e64 v23, null, s23, v1, vcc_lo
	s_and_not1_b32 vcc_lo, exec_lo, s43
	s_wait_alu 0xfffe
	s_cbranch_vccnz .LBB375_17
; %bb.13:                               ;   in Loop: Header=BB375_4 Depth=1
	s_mov_b32 s46, 0
	s_mov_b32 s45, 0
                                        ; implicit-def: $vgpr2_vgpr3
	s_and_saveexec_b32 s47, s0
	s_cbranch_execz .LBB375_18
; %bb.14:                               ;   in Loop: Header=BB375_4 Depth=1
	v_mov_b32_e32 v2, 0
	v_dual_mov_b32 v3, 0 :: v_dual_mov_b32 v0, 0
	v_mov_b32_e32 v1, 0
	s_and_not1_b32 vcc_lo, exec_lo, s42
	s_wait_alu 0xfffe
	s_cbranch_vccnz .LBB375_16
; %bb.15:                               ;   in Loop: Header=BB375_4 Depth=1
	v_add_co_u32 v0, vcc_lo, v22, s40
	s_wait_alu 0xfffd
	v_add_co_ci_u32_e64 v1, null, s41, v23, vcc_lo
	flat_load_b128 v[12:15], v[0:1]
	s_wait_loadcnt_dscnt 0x0
	v_mul_f64_e32 v[0:1], s[18:19], v[14:15]
	v_mul_f64_e32 v[2:3], s[16:17], v[14:15]
	s_delay_alu instid0(VALU_DEP_2) | instskip(NEXT) | instid1(VALU_DEP_2)
	v_fma_f64 v[0:1], s[16:17], v[12:13], -v[0:1]
	v_fma_f64 v[2:3], s[18:19], v[12:13], v[2:3]
.LBB375_16:                             ;   in Loop: Header=BB375_4 Depth=1
	s_mov_b32 s45, exec_lo
	s_or_b32 exec_lo, exec_lo, s47
	s_delay_alu instid0(SALU_CYCLE_1)
	s_and_b32 vcc_lo, exec_lo, s46
	s_wait_alu 0xfffe
	s_cbranch_vccnz .LBB375_19
	s_branch .LBB375_45
.LBB375_17:                             ;   in Loop: Header=BB375_4 Depth=1
	s_mov_b32 s45, 0
                                        ; implicit-def: $vgpr2_vgpr3
	s_cbranch_execnz .LBB375_19
	s_branch .LBB375_45
.LBB375_18:                             ;   in Loop: Header=BB375_4 Depth=1
	s_or_b32 exec_lo, exec_lo, s47
	s_delay_alu instid0(SALU_CYCLE_1)
	s_and_b32 vcc_lo, exec_lo, s46
	s_wait_alu 0xfffe
	s_cbranch_vccz .LBB375_45
.LBB375_19:                             ;   in Loop: Header=BB375_4 Depth=1
	v_mov_b32_e32 v2, 0
	v_mov_b32_e32 v3, 0
	s_delay_alu instid0(VALU_DEP_2) | instskip(SKIP_1) | instid1(VALU_DEP_2)
	v_mov_b32_e32 v0, v2
	s_and_not1_b32 vcc_lo, exec_lo, s44
	v_mov_b32_e32 v1, v3
	s_wait_alu 0xfffe
	s_cbranch_vccnz .LBB375_22
; %bb.20:                               ;   in Loop: Header=BB375_4 Depth=1
	v_mov_b32_e32 v2, 0
	v_mov_b32_e32 v3, 0
	v_add_co_u32 v12, vcc_lo, v10, v4
	s_wait_alu 0xfffd
	v_add_co_ci_u32_e64 v13, null, v11, v5, vcc_lo
	v_add_co_u32 v14, vcc_lo, v8, v20
	s_wait_alu 0xfffd
	v_add_co_ci_u32_e64 v15, null, v9, v19, vcc_lo
	v_dual_mov_b32 v0, v2 :: v_dual_mov_b32 v1, v3
	s_mov_b32 s46, 0
.LBB375_21:                             ;   Parent Loop BB375_4 Depth=1
                                        ; =>  This Inner Loop Header: Depth=2
	flat_load_b128 v[24:27], v[14:15] offset:-8
	flat_load_b128 v[28:31], v[12:13] offset:-8
	v_add_co_u32 v12, vcc_lo, v12, s36
	s_wait_alu 0xfffd
	v_add_co_ci_u32_e64 v13, null, s37, v13, vcc_lo
	v_add_co_u32 v14, vcc_lo, 0x1000, v14
	s_wait_alu 0xfffd
	v_add_co_ci_u32_e64 v15, null, 0, v15, vcc_lo
	s_addk_co_i32 s46, 0x100
	s_delay_alu instid0(SALU_CYCLE_1) | instskip(SKIP_3) | instid1(VALU_DEP_2)
	s_cmp_ge_i32 s46, s34
	s_wait_loadcnt_dscnt 0x0
	v_mul_f64_e32 v[32:33], v[26:27], v[30:31]
	v_mul_f64_e32 v[26:27], v[26:27], v[28:29]
	v_fma_f64 v[28:29], v[24:25], v[28:29], v[32:33]
	s_delay_alu instid0(VALU_DEP_2) | instskip(NEXT) | instid1(VALU_DEP_2)
	v_fma_f64 v[24:25], v[24:25], v[30:31], -v[26:27]
	v_add_f64_e32 v[0:1], v[0:1], v[28:29]
	s_delay_alu instid0(VALU_DEP_2)
	v_add_f64_e32 v[2:3], v[2:3], v[24:25]
	s_cbranch_scc0 .LBB375_21
.LBB375_22:                             ;   in Loop: Header=BB375_4 Depth=1
	s_and_saveexec_b32 s46, s8
	s_cbranch_execz .LBB375_24
; %bb.23:                               ;   in Loop: Header=BB375_4 Depth=1
	v_add_co_u32 v8, vcc_lo, v8, v21
	s_wait_alu 0xfffd
	v_add_co_ci_u32_e64 v9, null, 0, v9, vcc_lo
	s_lshl_b64 s[48:49], s[34:35], 4
	v_add_co_u32 v12, vcc_lo, v8, s38
	s_wait_alu 0xfffd
	v_add_co_ci_u32_e64 v13, null, s39, v9, vcc_lo
	v_add_co_u32 v8, vcc_lo, v10, v6
	s_wait_alu 0xfffd
	v_add_co_ci_u32_e64 v9, null, v11, v7, vcc_lo
	s_wait_alu 0xfffe
	v_add_co_u32 v12, vcc_lo, v12, s48
	s_wait_alu 0xfffd
	v_add_co_ci_u32_e64 v13, null, s49, v13, vcc_lo
	flat_load_b128 v[8:11], v[8:9]
	flat_load_b128 v[12:15], v[12:13]
	s_wait_loadcnt_dscnt 0x0
	v_mul_f64_e32 v[24:25], v[14:15], v[10:11]
	v_mul_f64_e32 v[14:15], v[14:15], v[8:9]
	s_delay_alu instid0(VALU_DEP_2) | instskip(NEXT) | instid1(VALU_DEP_2)
	v_fma_f64 v[8:9], v[12:13], v[8:9], v[24:25]
	v_fma_f64 v[10:11], v[12:13], v[10:11], -v[14:15]
	s_delay_alu instid0(VALU_DEP_2) | instskip(NEXT) | instid1(VALU_DEP_2)
	v_add_f64_e32 v[0:1], v[0:1], v[8:9]
	v_add_f64_e32 v[2:3], v[2:3], v[10:11]
.LBB375_24:                             ;   in Loop: Header=BB375_4 Depth=1
	s_or_b32 exec_lo, exec_lo, s46
	ds_store_b128 v17, v[0:3]
	s_wait_dscnt 0x0
	s_barrier_signal -1
	s_barrier_wait -1
	global_inv scope:SCOPE_SE
	s_and_saveexec_b32 s46, s1
	s_cbranch_execz .LBB375_26
; %bb.25:                               ;   in Loop: Header=BB375_4 Depth=1
	ds_load_b128 v[0:3], v17 offset:2048
	ds_load_b128 v[8:11], v17
	s_wait_dscnt 0x0
	v_add_f64_e32 v[0:1], v[0:1], v[8:9]
	v_add_f64_e32 v[2:3], v[2:3], v[10:11]
	ds_store_b128 v17, v[0:3]
.LBB375_26:                             ;   in Loop: Header=BB375_4 Depth=1
	s_or_b32 exec_lo, exec_lo, s46
	s_wait_loadcnt_dscnt 0x0
	s_barrier_signal -1
	s_barrier_wait -1
	global_inv scope:SCOPE_SE
	s_and_saveexec_b32 s46, s2
	s_cbranch_execz .LBB375_28
; %bb.27:                               ;   in Loop: Header=BB375_4 Depth=1
	ds_load_b128 v[0:3], v17 offset:1024
	ds_load_b128 v[8:11], v17
	s_wait_dscnt 0x0
	v_add_f64_e32 v[0:1], v[0:1], v[8:9]
	v_add_f64_e32 v[2:3], v[2:3], v[10:11]
	ds_store_b128 v17, v[0:3]
.LBB375_28:                             ;   in Loop: Header=BB375_4 Depth=1
	s_or_b32 exec_lo, exec_lo, s46
	s_wait_loadcnt_dscnt 0x0
	;; [unrolled: 15-line block ×6, first 2 shown]
	s_barrier_signal -1
	s_barrier_wait -1
	global_inv scope:SCOPE_SE
	s_and_saveexec_b32 s46, s7
	s_cbranch_execz .LBB375_38
; %bb.37:                               ;   in Loop: Header=BB375_4 Depth=1
	ds_load_b128 v[0:3], v17
	ds_load_b128 v[8:11], v17 offset:32
	s_wait_dscnt 0x0
	v_add_f64_e32 v[0:1], v[8:9], v[0:1]
	v_add_f64_e32 v[2:3], v[10:11], v[2:3]
	ds_store_b128 v17, v[0:3]
.LBB375_38:                             ;   in Loop: Header=BB375_4 Depth=1
	s_or_b32 exec_lo, exec_lo, s46
	s_wait_loadcnt_dscnt 0x0
	s_barrier_signal -1
	s_barrier_wait -1
	global_inv scope:SCOPE_SE
	s_and_saveexec_b32 s46, s0
	s_cbranch_execz .LBB375_40
; %bb.39:                               ;   in Loop: Header=BB375_4 Depth=1
	ds_load_b128 v[0:3], v16
	ds_load_b128 v[8:11], v16 offset:16
	s_wait_dscnt 0x0
	v_add_f64_e32 v[0:1], v[8:9], v[0:1]
	v_add_f64_e32 v[2:3], v[10:11], v[2:3]
	ds_store_b128 v16, v[0:3]
.LBB375_40:                             ;   in Loop: Header=BB375_4 Depth=1
	s_or_b32 exec_lo, exec_lo, s46
	s_wait_loadcnt_dscnt 0x0
	s_barrier_signal -1
	s_barrier_wait -1
	global_inv scope:SCOPE_SE
                                        ; implicit-def: $vgpr2_vgpr3
	s_and_saveexec_b32 s46, s0
	s_cbranch_execz .LBB375_44
; %bb.41:                               ;   in Loop: Header=BB375_4 Depth=1
	ds_load_b128 v[8:11], v16
	s_and_not1_b32 vcc_lo, exec_lo, s42
	s_wait_dscnt 0x0
	v_mul_f64_e32 v[0:1], s[14:15], v[10:11]
	v_mul_f64_e32 v[2:3], s[12:13], v[10:11]
	s_delay_alu instid0(VALU_DEP_2) | instskip(NEXT) | instid1(VALU_DEP_2)
	v_fma_f64 v[0:1], s[12:13], v[8:9], -v[0:1]
	v_fma_f64 v[2:3], s[14:15], v[8:9], v[2:3]
	s_wait_alu 0xfffe
	s_cbranch_vccnz .LBB375_43
; %bb.42:                               ;   in Loop: Header=BB375_4 Depth=1
	v_add_co_u32 v8, vcc_lo, v22, s40
	s_wait_alu 0xfffd
	v_add_co_ci_u32_e64 v9, null, s41, v23, vcc_lo
	flat_load_b128 v[8:11], v[8:9]
	s_wait_loadcnt_dscnt 0x0
	v_mul_f64_e32 v[12:13], s[18:19], v[10:11]
	v_mul_f64_e32 v[10:11], s[16:17], v[10:11]
	s_delay_alu instid0(VALU_DEP_2) | instskip(NEXT) | instid1(VALU_DEP_2)
	v_fma_f64 v[12:13], s[16:17], v[8:9], -v[12:13]
	v_fma_f64 v[8:9], s[18:19], v[8:9], v[10:11]
	s_delay_alu instid0(VALU_DEP_2) | instskip(NEXT) | instid1(VALU_DEP_2)
	v_add_f64_e32 v[0:1], v[0:1], v[12:13]
	v_add_f64_e32 v[2:3], v[2:3], v[8:9]
.LBB375_43:                             ;   in Loop: Header=BB375_4 Depth=1
	s_or_b32 s45, s45, exec_lo
.LBB375_44:                             ;   in Loop: Header=BB375_4 Depth=1
	s_or_b32 exec_lo, exec_lo, s46
.LBB375_45:                             ;   in Loop: Header=BB375_4 Depth=1
	s_wait_alu 0xfffe
	s_and_saveexec_b32 s46, s45
	s_cbranch_execz .LBB375_2
; %bb.46:                               ;   in Loop: Header=BB375_4 Depth=1
	v_add_co_u32 v8, vcc_lo, v22, s40
	s_wait_alu 0xfffd
	v_add_co_ci_u32_e64 v9, null, s41, v23, vcc_lo
	flat_store_b128 v[8:9], v[0:3]
	s_branch .LBB375_2
.LBB375_47:
	s_endpgm
	.section	.rodata,"a",@progbits
	.p2align	6, 0x0
	.amdhsa_kernel _ZL20rocblas_gemvt_kernelILb1ELi256EPK19rocblas_complex_numIdES1_KPS1_EviiT2_lPKT1_lilS9_lilS6_lPT3_lili
		.amdhsa_group_segment_fixed_size 4096
		.amdhsa_private_segment_fixed_size 0
		.amdhsa_kernarg_size 156
		.amdhsa_user_sgpr_count 2
		.amdhsa_user_sgpr_dispatch_ptr 0
		.amdhsa_user_sgpr_queue_ptr 0
		.amdhsa_user_sgpr_kernarg_segment_ptr 1
		.amdhsa_user_sgpr_dispatch_id 0
		.amdhsa_user_sgpr_private_segment_size 0
		.amdhsa_wavefront_size32 1
		.amdhsa_uses_dynamic_stack 0
		.amdhsa_enable_private_segment 0
		.amdhsa_system_sgpr_workgroup_id_x 1
		.amdhsa_system_sgpr_workgroup_id_y 0
		.amdhsa_system_sgpr_workgroup_id_z 1
		.amdhsa_system_sgpr_workgroup_info 0
		.amdhsa_system_vgpr_workitem_id 0
		.amdhsa_next_free_vgpr 34
		.amdhsa_next_free_sgpr 50
		.amdhsa_reserve_vcc 1
		.amdhsa_float_round_mode_32 0
		.amdhsa_float_round_mode_16_64 0
		.amdhsa_float_denorm_mode_32 3
		.amdhsa_float_denorm_mode_16_64 3
		.amdhsa_fp16_overflow 0
		.amdhsa_workgroup_processor_mode 1
		.amdhsa_memory_ordered 1
		.amdhsa_forward_progress 1
		.amdhsa_inst_pref_size 17
		.amdhsa_round_robin_scheduling 0
		.amdhsa_exception_fp_ieee_invalid_op 0
		.amdhsa_exception_fp_denorm_src 0
		.amdhsa_exception_fp_ieee_div_zero 0
		.amdhsa_exception_fp_ieee_overflow 0
		.amdhsa_exception_fp_ieee_underflow 0
		.amdhsa_exception_fp_ieee_inexact 0
		.amdhsa_exception_int_div_zero 0
	.end_amdhsa_kernel
	.section	.text._ZL20rocblas_gemvt_kernelILb1ELi256EPK19rocblas_complex_numIdES1_KPS1_EviiT2_lPKT1_lilS9_lilS6_lPT3_lili,"axG",@progbits,_ZL20rocblas_gemvt_kernelILb1ELi256EPK19rocblas_complex_numIdES1_KPS1_EviiT2_lPKT1_lilS9_lilS6_lPT3_lili,comdat
.Lfunc_end375:
	.size	_ZL20rocblas_gemvt_kernelILb1ELi256EPK19rocblas_complex_numIdES1_KPS1_EviiT2_lPKT1_lilS9_lilS6_lPT3_lili, .Lfunc_end375-_ZL20rocblas_gemvt_kernelILb1ELi256EPK19rocblas_complex_numIdES1_KPS1_EviiT2_lPKT1_lilS9_lilS6_lPT3_lili
                                        ; -- End function
	.set _ZL20rocblas_gemvt_kernelILb1ELi256EPK19rocblas_complex_numIdES1_KPS1_EviiT2_lPKT1_lilS9_lilS6_lPT3_lili.num_vgpr, 34
	.set _ZL20rocblas_gemvt_kernelILb1ELi256EPK19rocblas_complex_numIdES1_KPS1_EviiT2_lPKT1_lilS9_lilS6_lPT3_lili.num_agpr, 0
	.set _ZL20rocblas_gemvt_kernelILb1ELi256EPK19rocblas_complex_numIdES1_KPS1_EviiT2_lPKT1_lilS9_lilS6_lPT3_lili.numbered_sgpr, 50
	.set _ZL20rocblas_gemvt_kernelILb1ELi256EPK19rocblas_complex_numIdES1_KPS1_EviiT2_lPKT1_lilS9_lilS6_lPT3_lili.num_named_barrier, 0
	.set _ZL20rocblas_gemvt_kernelILb1ELi256EPK19rocblas_complex_numIdES1_KPS1_EviiT2_lPKT1_lilS9_lilS6_lPT3_lili.private_seg_size, 0
	.set _ZL20rocblas_gemvt_kernelILb1ELi256EPK19rocblas_complex_numIdES1_KPS1_EviiT2_lPKT1_lilS9_lilS6_lPT3_lili.uses_vcc, 1
	.set _ZL20rocblas_gemvt_kernelILb1ELi256EPK19rocblas_complex_numIdES1_KPS1_EviiT2_lPKT1_lilS9_lilS6_lPT3_lili.uses_flat_scratch, 0
	.set _ZL20rocblas_gemvt_kernelILb1ELi256EPK19rocblas_complex_numIdES1_KPS1_EviiT2_lPKT1_lilS9_lilS6_lPT3_lili.has_dyn_sized_stack, 0
	.set _ZL20rocblas_gemvt_kernelILb1ELi256EPK19rocblas_complex_numIdES1_KPS1_EviiT2_lPKT1_lilS9_lilS6_lPT3_lili.has_recursion, 0
	.set _ZL20rocblas_gemvt_kernelILb1ELi256EPK19rocblas_complex_numIdES1_KPS1_EviiT2_lPKT1_lilS9_lilS6_lPT3_lili.has_indirect_call, 0
	.section	.AMDGPU.csdata,"",@progbits
; Kernel info:
; codeLenInByte = 2076
; TotalNumSgprs: 52
; NumVgprs: 34
; ScratchSize: 0
; MemoryBound: 0
; FloatMode: 240
; IeeeMode: 1
; LDSByteSize: 4096 bytes/workgroup (compile time only)
; SGPRBlocks: 0
; VGPRBlocks: 4
; NumSGPRsForWavesPerEU: 52
; NumVGPRsForWavesPerEU: 34
; Occupancy: 16
; WaveLimiterHint : 1
; COMPUTE_PGM_RSRC2:SCRATCH_EN: 0
; COMPUTE_PGM_RSRC2:USER_SGPR: 2
; COMPUTE_PGM_RSRC2:TRAP_HANDLER: 0
; COMPUTE_PGM_RSRC2:TGID_X_EN: 1
; COMPUTE_PGM_RSRC2:TGID_Y_EN: 0
; COMPUTE_PGM_RSRC2:TGID_Z_EN: 1
; COMPUTE_PGM_RSRC2:TIDIG_COMP_CNT: 0
	.section	.text._ZL32rocblas_gemvt_warp_reduce_kernelILb1ELi1024EiPK19rocblas_complex_numIdES3_KPS1_EviiT3_lPKT2_lT1_lS9_lSA_lS6_lPT4_lSA_li,"axG",@progbits,_ZL32rocblas_gemvt_warp_reduce_kernelILb1ELi1024EiPK19rocblas_complex_numIdES3_KPS1_EviiT3_lPKT2_lT1_lS9_lSA_lS6_lPT4_lSA_li,comdat
	.globl	_ZL32rocblas_gemvt_warp_reduce_kernelILb1ELi1024EiPK19rocblas_complex_numIdES3_KPS1_EviiT3_lPKT2_lT1_lS9_lSA_lS6_lPT4_lSA_li ; -- Begin function _ZL32rocblas_gemvt_warp_reduce_kernelILb1ELi1024EiPK19rocblas_complex_numIdES3_KPS1_EviiT3_lPKT2_lT1_lS9_lSA_lS6_lPT4_lSA_li
	.p2align	8
	.type	_ZL32rocblas_gemvt_warp_reduce_kernelILb1ELi1024EiPK19rocblas_complex_numIdES3_KPS1_EviiT3_lPKT2_lT1_lS9_lSA_lS6_lPT4_lSA_li,@function
_ZL32rocblas_gemvt_warp_reduce_kernelILb1ELi1024EiPK19rocblas_complex_numIdES3_KPS1_EviiT3_lPKT2_lT1_lS9_lSA_lS6_lPT4_lSA_li: ; @_ZL32rocblas_gemvt_warp_reduce_kernelILb1ELi1024EiPK19rocblas_complex_numIdES3_KPS1_EviiT3_lPKT2_lT1_lS9_lSA_lS6_lPT4_lSA_li
; %bb.0:
	s_load_b32 s33, s[0:1], 0x88
	s_lshr_b32 s6, ttmp7, 16
	s_wait_kmcnt 0x0
	s_cmp_ge_u32 s6, s33
	s_cbranch_scc1 .LBB376_39
; %bb.1:
	s_clause 0x6
	s_load_b32 s36, s[0:1], 0x0
	s_load_b32 s3, s[0:1], 0x78
	s_load_b256 s[8:15], s[0:1], 0x8
	s_load_b32 s4, s[0:1], 0x28
	s_load_b128 s[24:27], s[0:1], 0x38
	s_load_b32 s29, s[0:1], 0x48
	s_load_b256 s[16:23], s[0:1], 0x58
	v_lshrrev_b32_e32 v3, 1, v0
	v_dual_mov_b32 v1, 0 :: v_dual_and_b32 v2, 31, v0
	v_cmp_eq_u32_e64 s0, 0, v0
	v_cmp_gt_u32_e64 s1, 32, v0
	s_delay_alu instid0(VALU_DEP_4) | instskip(NEXT) | instid1(VALU_DEP_4)
	v_and_b32_e32 v26, 0x1f0, v3
	v_cmp_eq_u32_e64 s2, 0, v2
	v_mbcnt_lo_u32_b32 v31, -1, 0
	s_mov_b32 s7, 0
	s_wait_kmcnt 0x0
	s_ashr_i32 s5, s36, 31
	s_mul_i32 s34, s3, ttmp9
	s_lshr_b32 s5, s5, 22
	v_cmp_gt_i32_e32 vcc_lo, s36, v0
	s_add_co_i32 s3, s36, s5
	v_lshlrev_b32_e32 v25, 4, v2
	s_and_b32 s28, s3, 0xfffffc00
	s_mul_i32 s4, s4, ttmp9
	v_or_b32_e32 v3, s28, v0
	v_cndmask_b32_e32 v4, 0, v0, vcc_lo
	s_ashr_i32 s5, s4, 31
	v_mul_lo_u32 v27, v0, s29
	s_lshl_b64 s[30:31], s[4:5], 4
	v_mul_lo_u32 v2, s29, v3
	v_lshlrev_b32_e32 v5, 4, v4
	v_cmp_gt_i32_e64 s4, s36, v3
	v_cmp_gt_i32_e64 s3, s28, v0
	v_lshlrev_b32_e32 v30, 4, v4
	s_lshl_b32 s38, s29, 10
	v_add_co_u32 v5, s5, s30, v5
	v_ashrrev_i32_e32 v3, 31, v2
	v_add_co_ci_u32_e64 v28, null, s31, 0, s5
	s_delay_alu instid0(VALU_DEP_3) | instskip(SKIP_1) | instid1(VALU_DEP_3)
	v_or_b32_e32 v29, 8, v5
	s_ashr_i32 s35, s34, 31
	v_lshlrev_b64_e32 v[21:22], 4, v[2:3]
	s_ashr_i32 s29, s28, 31
	s_lshl_b64 s[14:15], s[14:15], 4
	s_lshl_b64 s[26:27], s[26:27], 4
	;; [unrolled: 1-line block ×4, first 2 shown]
	s_wait_alu 0xfffe
	s_lshl_b64 s[36:37], s[28:29], 4
	s_branch .LBB376_4
.LBB376_2:                              ;   in Loop: Header=BB376_4 Depth=1
	s_wait_alu 0xfffe
	s_or_b32 exec_lo, exec_lo, s5
.LBB376_3:                              ;   in Loop: Header=BB376_4 Depth=1
	s_add_co_i32 s6, s6, 0x10000
	s_delay_alu instid0(SALU_CYCLE_1)
	s_cmp_lt_u32 s6, s33
	s_cbranch_scc0 .LBB376_39
.LBB376_4:                              ; =>This Loop Header: Depth=1
                                        ;     Child Loop BB376_28 Depth 2
	s_mul_u64 s[40:41], s[10:11], s[6:7]
	s_mov_b32 s39, -1
	s_lshl_b64 s[40:41], s[40:41], 4
	s_delay_alu instid0(SALU_CYCLE_1) | instskip(SKIP_2) | instid1(SALU_CYCLE_1)
	s_add_nc_u64 s[40:41], s[8:9], s[40:41]
	global_load_b128 v[9:12], v1, s[40:41]
	s_mul_u64 s[40:41], s[18:19], s[6:7]
	s_lshl_b64 s[40:41], s[40:41], 4
	s_delay_alu instid0(SALU_CYCLE_1)
	s_add_nc_u64 s[40:41], s[16:17], s[40:41]
	s_wait_loadcnt 0x1
	global_load_b128 v[5:8], v1, s[40:41]
	s_wait_loadcnt 0x1
	v_cmp_neq_f64_e32 vcc_lo, 0, v[9:10]
	v_cmp_neq_f64_e64 s5, 0, v[11:12]
	s_or_b32 s29, vcc_lo, s5
	s_mov_b32 s5, s7
	s_wait_alu 0xfffe
	s_and_b32 vcc_lo, exec_lo, s29
	s_wait_alu 0xfffe
	s_cbranch_vccz .LBB376_7
; %bb.5:                                ;   in Loop: Header=BB376_4 Depth=1
	v_mov_b32_e32 v2, 0
	v_mov_b32_e32 v3, 0
	s_and_not1_b32 vcc_lo, exec_lo, s39
	s_wait_alu 0xfffe
	s_cbranch_vccz .LBB376_8
.LBB376_6:                              ;   in Loop: Header=BB376_4 Depth=1
	s_wait_alu 0xfffe
	s_and_not1_b32 vcc_lo, exec_lo, s5
	s_wait_alu 0xfffe
	s_cbranch_vccnz .LBB376_3
	s_branch .LBB376_9
.LBB376_7:                              ;   in Loop: Header=BB376_4 Depth=1
	s_wait_loadcnt 0x0
	v_cmp_neq_f64_e32 vcc_lo, 1.0, v[5:6]
	v_cmp_neq_f64_e64 s5, 0, v[7:8]
	s_or_b32 s5, vcc_lo, s5
	v_mov_b32_e32 v2, 0
	v_mov_b32_e32 v3, 0
	s_cbranch_execnz .LBB376_6
.LBB376_8:                              ;   in Loop: Header=BB376_4 Depth=1
	s_lshl_b64 s[40:41], s[6:7], 3
	s_delay_alu instid0(SALU_CYCLE_1)
	s_add_nc_u64 s[40:41], s[12:13], s[40:41]
	global_load_b64 v[2:3], v1, s[40:41]
	s_wait_loadcnt 0x0
	v_add_co_u32 v2, vcc_lo, v2, s14
	s_wait_alu 0xfffd
	v_add_co_ci_u32_e64 v3, null, s15, v3, vcc_lo
.LBB376_9:                              ;   in Loop: Header=BB376_4 Depth=1
	s_wait_dscnt 0x0
	v_mov_b32_e32 v17, 0
	v_mov_b32_e32 v18, 0
	s_and_not1_b32 vcc_lo, exec_lo, s29
	s_wait_alu 0xfffe
	s_cbranch_vccnz .LBB376_11
; %bb.10:                               ;   in Loop: Header=BB376_4 Depth=1
	s_lshl_b64 s[40:41], s[6:7], 3
	s_delay_alu instid0(SALU_CYCLE_1)
	s_add_nc_u64 s[40:41], s[24:25], s[40:41]
	global_load_b64 v[13:14], v1, s[40:41]
	s_wait_loadcnt 0x0
	v_add_co_u32 v17, vcc_lo, v13, s26
	s_wait_alu 0xfffd
	v_add_co_ci_u32_e64 v18, null, s27, v14, vcc_lo
.LBB376_11:                             ;   in Loop: Header=BB376_4 Depth=1
	s_lshl_b64 s[40:41], s[6:7], 3
	s_xor_b32 s5, s29, -1
	s_add_nc_u64 s[40:41], s[20:21], s[40:41]
	global_load_b64 v[13:14], v1, s[40:41]
	s_wait_loadcnt 0x0
	v_add_co_u32 v32, vcc_lo, v13, s22
	s_wait_alu 0xfffd
	v_add_co_ci_u32_e64 v33, null, s23, v14, vcc_lo
	s_wait_alu 0xfffe
	s_and_not1_b32 vcc_lo, exec_lo, s5
	s_wait_alu 0xfffe
	s_cbranch_vccnz .LBB376_16
; %bb.12:                               ;   in Loop: Header=BB376_4 Depth=1
	s_mov_b32 s39, 0
	s_mov_b32 s29, 0
                                        ; implicit-def: $vgpr15_vgpr16
	s_and_saveexec_b32 s40, s0
	s_cbranch_execz .LBB376_17
; %bb.13:                               ;   in Loop: Header=BB376_4 Depth=1
	v_cmp_neq_f64_e32 vcc_lo, 0, v[5:6]
	v_cmp_neq_f64_e64 s5, 0, v[7:8]
	v_mov_b32_e32 v15, 0
	v_dual_mov_b32 v16, 0 :: v_dual_mov_b32 v13, 0
	v_mov_b32_e32 v14, 0
	s_or_b32 s5, vcc_lo, s5
	s_wait_alu 0xfffe
	s_and_not1_b32 vcc_lo, exec_lo, s5
	s_wait_alu 0xfffe
	s_cbranch_vccnz .LBB376_15
; %bb.14:                               ;   in Loop: Header=BB376_4 Depth=1
	v_add_co_u32 v13, vcc_lo, v32, s34
	s_wait_alu 0xfffd
	v_add_co_ci_u32_e64 v14, null, s35, v33, vcc_lo
	flat_load_b128 v[34:37], v[13:14]
	s_wait_loadcnt_dscnt 0x0
	v_mul_f64_e32 v[13:14], v[7:8], v[36:37]
	v_mul_f64_e32 v[15:16], v[5:6], v[36:37]
	s_delay_alu instid0(VALU_DEP_2) | instskip(NEXT) | instid1(VALU_DEP_2)
	v_fma_f64 v[13:14], v[5:6], v[34:35], -v[13:14]
	v_fma_f64 v[15:16], v[7:8], v[34:35], v[15:16]
.LBB376_15:                             ;   in Loop: Header=BB376_4 Depth=1
	s_mov_b32 s29, exec_lo
	s_or_b32 exec_lo, exec_lo, s40
	s_delay_alu instid0(SALU_CYCLE_1)
	s_and_b32 vcc_lo, exec_lo, s39
	s_wait_alu 0xfffe
	s_cbranch_vccnz .LBB376_18
	s_branch .LBB376_37
.LBB376_16:                             ;   in Loop: Header=BB376_4 Depth=1
	s_mov_b32 s29, 0
                                        ; implicit-def: $vgpr15_vgpr16
	s_cbranch_execnz .LBB376_18
	s_branch .LBB376_37
.LBB376_17:                             ;   in Loop: Header=BB376_4 Depth=1
	s_or_b32 exec_lo, exec_lo, s40
	s_wait_alu 0xfffe
	s_and_b32 vcc_lo, exec_lo, s39
	s_wait_alu 0xfffe
	s_cbranch_vccz .LBB376_37
.LBB376_18:                             ;   in Loop: Header=BB376_4 Depth=1
	v_mov_b32_e32 v13, 0
	v_dual_mov_b32 v14, 0 :: v_dual_mov_b32 v15, 0
	v_mov_b32_e32 v16, 0
	s_and_saveexec_b32 s39, s3
	s_cbranch_execnz .LBB376_27
; %bb.19:                               ;   in Loop: Header=BB376_4 Depth=1
	s_wait_alu 0xfffe
	s_or_b32 exec_lo, exec_lo, s39
	s_and_saveexec_b32 s5, s4
	s_cbranch_execnz .LBB376_30
.LBB376_20:                             ;   in Loop: Header=BB376_4 Depth=1
	s_wait_alu 0xfffe
	s_or_b32 exec_lo, exec_lo, s5
	s_and_saveexec_b32 s5, s1
.LBB376_21:                             ;   in Loop: Header=BB376_4 Depth=1
	v_dual_mov_b32 v2, v1 :: v_dual_mov_b32 v3, v1
	v_mov_b32_e32 v4, v1
	ds_store_b128 v25, v[1:4]
.LBB376_22:                             ;   in Loop: Header=BB376_4 Depth=1
	s_wait_alu 0xfffe
	s_or_b32 exec_lo, exec_lo, s5
	v_lshl_or_b32 v4, v31, 2, 64
	v_cmp_gt_u32_e32 vcc_lo, 24, v31
	s_wait_dscnt 0x0
	s_barrier_signal -1
	s_barrier_wait -1
	ds_bpermute_b32 v2, v4, v15
	ds_bpermute_b32 v3, v4, v16
	;; [unrolled: 1-line block ×4, first 2 shown]
	s_wait_dscnt 0x0
	global_inv scope:SCOPE_SE
	v_add_f64_e32 v[2:3], v[15:16], v[2:3]
	s_wait_alu 0xfffd
	v_cndmask_b32_e64 v15, 0, 8, vcc_lo
	v_add_f64_e32 v[13:14], v[13:14], v[17:18]
	v_cmp_gt_u32_e32 vcc_lo, 28, v31
	s_delay_alu instid0(VALU_DEP_3)
	v_add_lshl_u32 v23, v15, v31, 2
	ds_bpermute_b32 v15, v23, v2
	ds_bpermute_b32 v16, v23, v3
	;; [unrolled: 1-line block ×4, first 2 shown]
	s_wait_dscnt 0x2
	v_add_f64_e32 v[2:3], v[2:3], v[15:16]
	s_wait_alu 0xfffd
	v_cndmask_b32_e64 v15, 0, 4, vcc_lo
	s_wait_dscnt 0x0
	v_add_f64_e32 v[13:14], v[13:14], v[17:18]
	v_cmp_gt_u32_e32 vcc_lo, 30, v31
	s_delay_alu instid0(VALU_DEP_3)
	v_add_lshl_u32 v24, v15, v31, 2
	ds_bpermute_b32 v15, v24, v2
	ds_bpermute_b32 v16, v24, v3
	ds_bpermute_b32 v17, v24, v13
	ds_bpermute_b32 v18, v24, v14
	s_wait_dscnt 0x2
	v_add_f64_e32 v[2:3], v[2:3], v[15:16]
	s_wait_alu 0xfffd
	v_cndmask_b32_e64 v15, 0, 2, vcc_lo
	s_wait_dscnt 0x0
	v_add_f64_e32 v[13:14], v[13:14], v[17:18]
	v_cmp_ne_u32_e32 vcc_lo, 31, v31
	s_delay_alu instid0(VALU_DEP_3)
	v_add_lshl_u32 v34, v15, v31, 2
	ds_bpermute_b32 v15, v34, v2
	ds_bpermute_b32 v16, v34, v3
	;; [unrolled: 1-line block ×4, first 2 shown]
	s_wait_dscnt 0x2
	v_add_f64_e32 v[2:3], v[2:3], v[15:16]
	s_wait_alu 0xfffd
	v_add_co_ci_u32_e64 v15, null, 0, v31, vcc_lo
	s_wait_dscnt 0x0
	v_add_f64_e32 v[13:14], v[13:14], v[17:18]
	s_delay_alu instid0(VALU_DEP_2)
	v_lshlrev_b32_e32 v35, 2, v15
	ds_bpermute_b32 v15, v35, v2
	ds_bpermute_b32 v16, v35, v3
	;; [unrolled: 1-line block ×4, first 2 shown]
	s_and_saveexec_b32 s5, s2
	s_cbranch_execz .LBB376_24
; %bb.23:                               ;   in Loop: Header=BB376_4 Depth=1
	s_wait_dscnt 0x0
	v_add_f64_e32 v[17:18], v[13:14], v[17:18]
	v_add_f64_e32 v[15:16], v[2:3], v[15:16]
	ds_store_b128 v26, v[15:18]
.LBB376_24:                             ;   in Loop: Header=BB376_4 Depth=1
	s_wait_alu 0xfffe
	s_or_b32 exec_lo, exec_lo, s5
	v_mov_b32_e32 v19, 0
	s_wait_dscnt 0x0
	v_dual_mov_b32 v20, 0 :: v_dual_mov_b32 v17, 0
	v_mov_b32_e32 v18, 0
	s_wait_loadcnt 0x0
	s_barrier_signal -1
	s_barrier_wait -1
	global_inv scope:SCOPE_SE
	s_and_saveexec_b32 s5, s1
	s_cbranch_execnz .LBB376_31
; %bb.25:                               ;   in Loop: Header=BB376_4 Depth=1
	s_wait_alu 0xfffe
	s_or_b32 exec_lo, exec_lo, s5
	s_and_saveexec_b32 s5, s1
	s_cbranch_execnz .LBB376_32
.LBB376_26:                             ;   in Loop: Header=BB376_4 Depth=1
	s_wait_alu 0xfffe
	s_or_b32 exec_lo, exec_lo, s5
                                        ; implicit-def: $vgpr15_vgpr16
	s_and_saveexec_b32 s39, s0
	s_cbranch_execnz .LBB376_33
	s_branch .LBB376_36
.LBB376_27:                             ;   in Loop: Header=BB376_4 Depth=1
	v_add_co_u32 v19, vcc_lo, v2, v29
	v_dual_mov_b32 v13, 0 :: v_dual_mov_b32 v4, v0
	v_dual_mov_b32 v14, 0 :: v_dual_mov_b32 v15, 0
	s_wait_alu 0xfffd
	v_add_co_ci_u32_e64 v20, null, v3, v28, vcc_lo
	v_dual_mov_b32 v16, 0 :: v_dual_mov_b32 v23, v27
	s_mov_b32 s40, 0
.LBB376_28:                             ;   Parent Loop BB376_4 Depth=1
                                        ; =>  This Inner Loop Header: Depth=2
	s_delay_alu instid0(VALU_DEP_1) | instskip(SKIP_1) | instid1(VALU_DEP_2)
	v_ashrrev_i32_e32 v24, 31, v23
	v_add_nc_u32_e32 v4, 0x400, v4
	v_lshlrev_b64_e32 v[34:35], 4, v[23:24]
	s_delay_alu instid0(VALU_DEP_2)
	v_cmp_le_i32_e64 s5, s28, v4
	v_add_nc_u32_e32 v23, s38, v23
	s_or_b32 s40, s5, s40
	v_add_co_u32 v38, vcc_lo, v17, v34
	s_wait_alu 0xfffd
	v_add_co_ci_u32_e64 v39, null, v18, v35, vcc_lo
	flat_load_b128 v[34:37], v[19:20] offset:-8
	flat_load_b128 v[38:41], v[38:39]
	v_add_co_u32 v19, vcc_lo, 0x4000, v19
	s_wait_alu 0xfffd
	v_add_co_ci_u32_e64 v20, null, 0, v20, vcc_lo
	s_wait_loadcnt_dscnt 0x0
	v_mul_f64_e32 v[42:43], v[36:37], v[40:41]
	v_mul_f64_e32 v[36:37], v[36:37], v[38:39]
	s_delay_alu instid0(VALU_DEP_2) | instskip(NEXT) | instid1(VALU_DEP_2)
	v_fma_f64 v[38:39], v[34:35], v[38:39], v[42:43]
	v_fma_f64 v[34:35], v[34:35], v[40:41], -v[36:37]
	s_delay_alu instid0(VALU_DEP_2) | instskip(NEXT) | instid1(VALU_DEP_2)
	v_add_f64_e32 v[15:16], v[15:16], v[38:39]
	v_add_f64_e32 v[13:14], v[13:14], v[34:35]
	s_and_not1_b32 exec_lo, exec_lo, s40
	s_cbranch_execnz .LBB376_28
; %bb.29:                               ;   in Loop: Header=BB376_4 Depth=1
	s_or_b32 exec_lo, exec_lo, s40
	s_wait_alu 0xfffe
	s_or_b32 exec_lo, exec_lo, s39
	s_and_saveexec_b32 s5, s4
	s_cbranch_execz .LBB376_20
.LBB376_30:                             ;   in Loop: Header=BB376_4 Depth=1
	v_add_co_u32 v2, vcc_lo, v2, v30
	s_wait_alu 0xfffd
	v_add_co_ci_u32_e64 v3, null, 0, v3, vcc_lo
	s_delay_alu instid0(VALU_DEP_2) | instskip(SKIP_1) | instid1(VALU_DEP_2)
	v_add_co_u32 v4, vcc_lo, v2, s30
	s_wait_alu 0xfffd
	v_add_co_ci_u32_e64 v19, null, s31, v3, vcc_lo
	v_add_co_u32 v2, vcc_lo, v17, v21
	s_wait_alu 0xfffd
	v_add_co_ci_u32_e64 v3, null, v18, v22, vcc_lo
	;; [unrolled: 3-line block ×3, first 2 shown]
	flat_load_b128 v[17:20], v[2:3]
	flat_load_b128 v[34:37], v[23:24]
	s_wait_loadcnt_dscnt 0x0
	v_mul_f64_e32 v[2:3], v[36:37], v[19:20]
	v_mul_f64_e32 v[23:24], v[36:37], v[17:18]
	s_delay_alu instid0(VALU_DEP_2) | instskip(NEXT) | instid1(VALU_DEP_2)
	v_fma_f64 v[2:3], v[34:35], v[17:18], v[2:3]
	v_fma_f64 v[17:18], v[34:35], v[19:20], -v[23:24]
	s_delay_alu instid0(VALU_DEP_2) | instskip(NEXT) | instid1(VALU_DEP_2)
	v_add_f64_e32 v[15:16], v[15:16], v[2:3]
	v_add_f64_e32 v[13:14], v[13:14], v[17:18]
	s_wait_alu 0xfffe
	s_or_b32 exec_lo, exec_lo, s5
	s_and_saveexec_b32 s5, s1
	s_cbranch_execnz .LBB376_21
	s_branch .LBB376_22
.LBB376_31:                             ;   in Loop: Header=BB376_4 Depth=1
	ds_load_b128 v[17:20], v25
	s_wait_alu 0xfffe
	s_or_b32 exec_lo, exec_lo, s5
	s_and_saveexec_b32 s5, s1
	s_cbranch_execz .LBB376_26
.LBB376_32:                             ;   in Loop: Header=BB376_4 Depth=1
	s_wait_dscnt 0x0
	ds_bpermute_b32 v2, v4, v17
	ds_bpermute_b32 v3, v4, v18
	ds_bpermute_b32 v13, v4, v19
	ds_bpermute_b32 v14, v4, v20
	s_wait_dscnt 0x2
	v_add_f64_e32 v[2:3], v[17:18], v[2:3]
	s_wait_dscnt 0x0
	v_add_f64_e32 v[13:14], v[19:20], v[13:14]
	ds_bpermute_b32 v15, v23, v2
	ds_bpermute_b32 v16, v23, v3
	ds_bpermute_b32 v17, v23, v13
	ds_bpermute_b32 v18, v23, v14
	s_wait_dscnt 0x2
	v_add_f64_e32 v[2:3], v[2:3], v[15:16]
	s_wait_dscnt 0x0
	v_add_f64_e32 v[13:14], v[13:14], v[17:18]
	;; [unrolled: 8-line block ×5, first 2 shown]
	s_wait_alu 0xfffe
	s_or_b32 exec_lo, exec_lo, s5
                                        ; implicit-def: $vgpr15_vgpr16
	s_and_saveexec_b32 s39, s0
	s_cbranch_execz .LBB376_36
.LBB376_33:                             ;   in Loop: Header=BB376_4 Depth=1
	s_wait_dscnt 0x0
	s_delay_alu instid0(VALU_DEP_1) | instskip(SKIP_3) | instid1(VALU_DEP_4)
	v_mul_f64_e32 v[2:3], v[11:12], v[19:20]
	v_mul_f64_e32 v[15:16], v[9:10], v[19:20]
	v_cmp_neq_f64_e32 vcc_lo, 0, v[5:6]
	v_cmp_neq_f64_e64 s5, 0, v[7:8]
	v_fma_f64 v[13:14], v[9:10], v[17:18], -v[2:3]
	s_delay_alu instid0(VALU_DEP_4)
	v_fma_f64 v[15:16], v[11:12], v[17:18], v[15:16]
	s_or_b32 s5, vcc_lo, s5
	s_wait_alu 0xfffe
	s_and_not1_b32 vcc_lo, exec_lo, s5
	s_wait_alu 0xfffe
	s_cbranch_vccnz .LBB376_35
; %bb.34:                               ;   in Loop: Header=BB376_4 Depth=1
	v_add_co_u32 v2, vcc_lo, v32, s34
	s_wait_alu 0xfffd
	v_add_co_ci_u32_e64 v3, null, s35, v33, vcc_lo
	flat_load_b128 v[9:12], v[2:3]
	s_wait_loadcnt_dscnt 0x0
	v_mul_f64_e32 v[2:3], v[7:8], v[11:12]
	v_mul_f64_e32 v[11:12], v[5:6], v[11:12]
	s_delay_alu instid0(VALU_DEP_2) | instskip(NEXT) | instid1(VALU_DEP_2)
	v_fma_f64 v[2:3], v[5:6], v[9:10], -v[2:3]
	v_fma_f64 v[4:5], v[7:8], v[9:10], v[11:12]
	s_delay_alu instid0(VALU_DEP_2) | instskip(NEXT) | instid1(VALU_DEP_2)
	v_add_f64_e32 v[13:14], v[13:14], v[2:3]
	v_add_f64_e32 v[15:16], v[15:16], v[4:5]
.LBB376_35:                             ;   in Loop: Header=BB376_4 Depth=1
	s_or_b32 s29, s29, exec_lo
.LBB376_36:                             ;   in Loop: Header=BB376_4 Depth=1
	s_wait_alu 0xfffe
	s_or_b32 exec_lo, exec_lo, s39
.LBB376_37:                             ;   in Loop: Header=BB376_4 Depth=1
	s_wait_alu 0xfffe
	s_and_saveexec_b32 s5, s29
	s_cbranch_execz .LBB376_2
; %bb.38:                               ;   in Loop: Header=BB376_4 Depth=1
	v_add_co_u32 v2, vcc_lo, v32, s34
	s_wait_alu 0xfffd
	v_add_co_ci_u32_e64 v3, null, s35, v33, vcc_lo
	flat_store_b128 v[2:3], v[13:16]
	s_branch .LBB376_2
.LBB376_39:
	s_endpgm
	.section	.rodata,"a",@progbits
	.p2align	6, 0x0
	.amdhsa_kernel _ZL32rocblas_gemvt_warp_reduce_kernelILb1ELi1024EiPK19rocblas_complex_numIdES3_KPS1_EviiT3_lPKT2_lT1_lS9_lSA_lS6_lPT4_lSA_li
		.amdhsa_group_segment_fixed_size 512
		.amdhsa_private_segment_fixed_size 0
		.amdhsa_kernarg_size 140
		.amdhsa_user_sgpr_count 2
		.amdhsa_user_sgpr_dispatch_ptr 0
		.amdhsa_user_sgpr_queue_ptr 0
		.amdhsa_user_sgpr_kernarg_segment_ptr 1
		.amdhsa_user_sgpr_dispatch_id 0
		.amdhsa_user_sgpr_private_segment_size 0
		.amdhsa_wavefront_size32 1
		.amdhsa_uses_dynamic_stack 0
		.amdhsa_enable_private_segment 0
		.amdhsa_system_sgpr_workgroup_id_x 1
		.amdhsa_system_sgpr_workgroup_id_y 0
		.amdhsa_system_sgpr_workgroup_id_z 1
		.amdhsa_system_sgpr_workgroup_info 0
		.amdhsa_system_vgpr_workitem_id 0
		.amdhsa_next_free_vgpr 44
		.amdhsa_next_free_sgpr 42
		.amdhsa_reserve_vcc 1
		.amdhsa_float_round_mode_32 0
		.amdhsa_float_round_mode_16_64 0
		.amdhsa_float_denorm_mode_32 3
		.amdhsa_float_denorm_mode_16_64 3
		.amdhsa_fp16_overflow 0
		.amdhsa_workgroup_processor_mode 1
		.amdhsa_memory_ordered 1
		.amdhsa_forward_progress 1
		.amdhsa_inst_pref_size 19
		.amdhsa_round_robin_scheduling 0
		.amdhsa_exception_fp_ieee_invalid_op 0
		.amdhsa_exception_fp_denorm_src 0
		.amdhsa_exception_fp_ieee_div_zero 0
		.amdhsa_exception_fp_ieee_overflow 0
		.amdhsa_exception_fp_ieee_underflow 0
		.amdhsa_exception_fp_ieee_inexact 0
		.amdhsa_exception_int_div_zero 0
	.end_amdhsa_kernel
	.section	.text._ZL32rocblas_gemvt_warp_reduce_kernelILb1ELi1024EiPK19rocblas_complex_numIdES3_KPS1_EviiT3_lPKT2_lT1_lS9_lSA_lS6_lPT4_lSA_li,"axG",@progbits,_ZL32rocblas_gemvt_warp_reduce_kernelILb1ELi1024EiPK19rocblas_complex_numIdES3_KPS1_EviiT3_lPKT2_lT1_lS9_lSA_lS6_lPT4_lSA_li,comdat
.Lfunc_end376:
	.size	_ZL32rocblas_gemvt_warp_reduce_kernelILb1ELi1024EiPK19rocblas_complex_numIdES3_KPS1_EviiT3_lPKT2_lT1_lS9_lSA_lS6_lPT4_lSA_li, .Lfunc_end376-_ZL32rocblas_gemvt_warp_reduce_kernelILb1ELi1024EiPK19rocblas_complex_numIdES3_KPS1_EviiT3_lPKT2_lT1_lS9_lSA_lS6_lPT4_lSA_li
                                        ; -- End function
	.set _ZL32rocblas_gemvt_warp_reduce_kernelILb1ELi1024EiPK19rocblas_complex_numIdES3_KPS1_EviiT3_lPKT2_lT1_lS9_lSA_lS6_lPT4_lSA_li.num_vgpr, 44
	.set _ZL32rocblas_gemvt_warp_reduce_kernelILb1ELi1024EiPK19rocblas_complex_numIdES3_KPS1_EviiT3_lPKT2_lT1_lS9_lSA_lS6_lPT4_lSA_li.num_agpr, 0
	.set _ZL32rocblas_gemvt_warp_reduce_kernelILb1ELi1024EiPK19rocblas_complex_numIdES3_KPS1_EviiT3_lPKT2_lT1_lS9_lSA_lS6_lPT4_lSA_li.numbered_sgpr, 42
	.set _ZL32rocblas_gemvt_warp_reduce_kernelILb1ELi1024EiPK19rocblas_complex_numIdES3_KPS1_EviiT3_lPKT2_lT1_lS9_lSA_lS6_lPT4_lSA_li.num_named_barrier, 0
	.set _ZL32rocblas_gemvt_warp_reduce_kernelILb1ELi1024EiPK19rocblas_complex_numIdES3_KPS1_EviiT3_lPKT2_lT1_lS9_lSA_lS6_lPT4_lSA_li.private_seg_size, 0
	.set _ZL32rocblas_gemvt_warp_reduce_kernelILb1ELi1024EiPK19rocblas_complex_numIdES3_KPS1_EviiT3_lPKT2_lT1_lS9_lSA_lS6_lPT4_lSA_li.uses_vcc, 1
	.set _ZL32rocblas_gemvt_warp_reduce_kernelILb1ELi1024EiPK19rocblas_complex_numIdES3_KPS1_EviiT3_lPKT2_lT1_lS9_lSA_lS6_lPT4_lSA_li.uses_flat_scratch, 0
	.set _ZL32rocblas_gemvt_warp_reduce_kernelILb1ELi1024EiPK19rocblas_complex_numIdES3_KPS1_EviiT3_lPKT2_lT1_lS9_lSA_lS6_lPT4_lSA_li.has_dyn_sized_stack, 0
	.set _ZL32rocblas_gemvt_warp_reduce_kernelILb1ELi1024EiPK19rocblas_complex_numIdES3_KPS1_EviiT3_lPKT2_lT1_lS9_lSA_lS6_lPT4_lSA_li.has_recursion, 0
	.set _ZL32rocblas_gemvt_warp_reduce_kernelILb1ELi1024EiPK19rocblas_complex_numIdES3_KPS1_EviiT3_lPKT2_lT1_lS9_lSA_lS6_lPT4_lSA_li.has_indirect_call, 0
	.section	.AMDGPU.csdata,"",@progbits
; Kernel info:
; codeLenInByte = 2344
; TotalNumSgprs: 44
; NumVgprs: 44
; ScratchSize: 0
; MemoryBound: 0
; FloatMode: 240
; IeeeMode: 1
; LDSByteSize: 512 bytes/workgroup (compile time only)
; SGPRBlocks: 0
; VGPRBlocks: 5
; NumSGPRsForWavesPerEU: 44
; NumVGPRsForWavesPerEU: 44
; Occupancy: 16
; WaveLimiterHint : 1
; COMPUTE_PGM_RSRC2:SCRATCH_EN: 0
; COMPUTE_PGM_RSRC2:USER_SGPR: 2
; COMPUTE_PGM_RSRC2:TRAP_HANDLER: 0
; COMPUTE_PGM_RSRC2:TGID_X_EN: 1
; COMPUTE_PGM_RSRC2:TGID_Y_EN: 0
; COMPUTE_PGM_RSRC2:TGID_Z_EN: 1
; COMPUTE_PGM_RSRC2:TIDIG_COMP_CNT: 0
	.section	.text._ZL32rocblas_gemvt_warp_reduce_kernelILb1ELi1024ElPK19rocblas_complex_numIdES3_KPS1_EviiT3_lPKT2_lT1_lS9_lSA_lS6_lPT4_lSA_li,"axG",@progbits,_ZL32rocblas_gemvt_warp_reduce_kernelILb1ELi1024ElPK19rocblas_complex_numIdES3_KPS1_EviiT3_lPKT2_lT1_lS9_lSA_lS6_lPT4_lSA_li,comdat
	.globl	_ZL32rocblas_gemvt_warp_reduce_kernelILb1ELi1024ElPK19rocblas_complex_numIdES3_KPS1_EviiT3_lPKT2_lT1_lS9_lSA_lS6_lPT4_lSA_li ; -- Begin function _ZL32rocblas_gemvt_warp_reduce_kernelILb1ELi1024ElPK19rocblas_complex_numIdES3_KPS1_EviiT3_lPKT2_lT1_lS9_lSA_lS6_lPT4_lSA_li
	.p2align	8
	.type	_ZL32rocblas_gemvt_warp_reduce_kernelILb1ELi1024ElPK19rocblas_complex_numIdES3_KPS1_EviiT3_lPKT2_lT1_lS9_lSA_lS6_lPT4_lSA_li,@function
_ZL32rocblas_gemvt_warp_reduce_kernelILb1ELi1024ElPK19rocblas_complex_numIdES3_KPS1_EviiT3_lPKT2_lT1_lS9_lSA_lS6_lPT4_lSA_li: ; @_ZL32rocblas_gemvt_warp_reduce_kernelILb1ELi1024ElPK19rocblas_complex_numIdES3_KPS1_EviiT3_lPKT2_lT1_lS9_lSA_lS6_lPT4_lSA_li
; %bb.0:
	s_load_b32 s33, s[0:1], 0x88
	s_lshr_b32 s6, ttmp7, 16
	s_wait_kmcnt 0x0
	s_cmp_ge_u32 s6, s33
	s_cbranch_scc1 .LBB377_39
; %bb.1:
	s_clause 0x6
	s_load_b64 s[36:37], s[0:1], 0x48
	s_load_b64 s[28:29], s[0:1], 0x78
	s_load_b32 s40, s[0:1], 0x0
	s_load_b64 s[30:31], s[0:1], 0x28
	s_load_b256 s[8:15], s[0:1], 0x8
	s_load_b128 s[24:27], s[0:1], 0x38
	s_load_b256 s[16:23], s[0:1], 0x58
	v_dual_mov_b32 v1, 0 :: v_dual_and_b32 v2, 31, v0
	s_mov_b32 s4, ttmp9
	s_ashr_i32 s5, ttmp9, 31
	v_lshrrev_b32_e32 v4, 1, v0
	s_delay_alu instid0(VALU_DEP_2)
	v_cmp_eq_u32_e64 s2, 0, v2
	v_cmp_eq_u32_e64 s0, 0, v0
	v_cmp_gt_u32_e64 s1, 32, v0
	v_mbcnt_lo_u32_b32 v32, -1, 0
	v_and_b32_e32 v28, 0x1f0, v4
	s_mov_b32 s7, 0
	s_wait_kmcnt 0x0
	s_mul_u64 s[38:39], s[28:29], s[4:5]
	s_ashr_i32 s3, s40, 31
	v_cmp_gt_i32_e32 vcc_lo, s40, v0
	s_lshr_b32 s3, s3, 22
	v_lshlrev_b32_e32 v27, 4, v2
	v_mad_co_u64_u32 v[2:3], null, s36, v0, 0
	s_add_co_i32 s3, s40, s3
	s_mul_u64 s[4:5], s[30:31], s[4:5]
	s_and_b32 s30, s3, 0xfffffc00
	v_cndmask_b32_e32 v6, 0, v0, vcc_lo
	v_or_b32_e32 v7, s30, v0
	s_ashr_i32 s31, s30, 31
	v_mad_co_u64_u32 v[3:4], null, s37, v0, v[3:4]
	s_delay_alu instid0(VALU_DEP_3) | instskip(NEXT) | instid1(VALU_DEP_3)
	v_lshlrev_b32_e32 v8, 4, v6
	v_mul_lo_u32 v9, s37, v7
	v_mad_co_u64_u32 v[4:5], null, s36, v7, 0
	s_lshl_b64 s[34:35], s[4:5], 4
	s_wait_alu 0xfffe
	s_mul_i32 s4, s36, s31
	v_lshlrev_b64_e32 v[21:22], 4, v[2:3]
	v_add_co_u32 v2, s5, s34, v8
	v_cmp_gt_i32_e64 s3, s30, v0
	v_add3_u32 v5, v5, s4, v9
	v_add_co_ci_u32_e64 v29, null, s35, 0, s5
	v_cmp_gt_i32_e64 s4, s40, v7
	v_or_b32_e32 v30, 8, v2
	s_delay_alu instid0(VALU_DEP_4)
	v_lshlrev_b64_e32 v[23:24], 4, v[4:5]
	v_or_b32_e32 v21, 8, v21
	v_lshlrev_b32_e32 v31, 4, v6
	s_lshl_b64 s[28:29], s[36:37], 14
	s_lshl_b64 s[14:15], s[14:15], 4
	;; [unrolled: 1-line block ×6, first 2 shown]
	s_branch .LBB377_4
.LBB377_2:                              ;   in Loop: Header=BB377_4 Depth=1
	s_wait_alu 0xfffe
	s_or_b32 exec_lo, exec_lo, s5
.LBB377_3:                              ;   in Loop: Header=BB377_4 Depth=1
	s_add_co_i32 s6, s6, 0x10000
	s_delay_alu instid0(SALU_CYCLE_1)
	s_cmp_lt_u32 s6, s33
	s_cbranch_scc0 .LBB377_39
.LBB377_4:                              ; =>This Loop Header: Depth=1
                                        ;     Child Loop BB377_28 Depth 2
	s_mul_u64 s[40:41], s[10:11], s[6:7]
	s_wait_alu 0xfffe
	s_lshl_b64 s[40:41], s[40:41], 4
	s_wait_alu 0xfffe
	s_add_nc_u64 s[40:41], s[8:9], s[40:41]
	global_load_b128 v[9:12], v1, s[40:41]
	s_mul_u64 s[40:41], s[18:19], s[6:7]
	s_wait_alu 0xfffe
	s_lshl_b64 s[40:41], s[40:41], 4
	s_wait_alu 0xfffe
	s_add_nc_u64 s[40:41], s[16:17], s[40:41]
	s_wait_loadcnt 0x1
	global_load_b128 v[5:8], v1, s[40:41]
	s_mov_b32 s40, -1
	s_wait_loadcnt 0x1
	v_cmp_neq_f64_e32 vcc_lo, 0, v[9:10]
	v_cmp_neq_f64_e64 s5, 0, v[11:12]
	s_or_b32 s31, vcc_lo, s5
	s_mov_b32 s5, s7
	s_wait_alu 0xfffe
	s_and_b32 vcc_lo, exec_lo, s31
	s_wait_alu 0xfffe
	s_cbranch_vccz .LBB377_7
; %bb.5:                                ;   in Loop: Header=BB377_4 Depth=1
	v_mov_b32_e32 v2, 0
	v_mov_b32_e32 v3, 0
	s_and_not1_b32 vcc_lo, exec_lo, s40
	s_wait_alu 0xfffe
	s_cbranch_vccz .LBB377_8
.LBB377_6:                              ;   in Loop: Header=BB377_4 Depth=1
	s_wait_alu 0xfffe
	s_and_not1_b32 vcc_lo, exec_lo, s5
	s_wait_alu 0xfffe
	s_cbranch_vccnz .LBB377_3
	s_branch .LBB377_9
.LBB377_7:                              ;   in Loop: Header=BB377_4 Depth=1
	s_wait_loadcnt 0x0
	v_cmp_neq_f64_e32 vcc_lo, 1.0, v[5:6]
	v_cmp_neq_f64_e64 s5, 0, v[7:8]
	s_or_b32 s5, vcc_lo, s5
	v_mov_b32_e32 v2, 0
	v_mov_b32_e32 v3, 0
	s_cbranch_execnz .LBB377_6
.LBB377_8:                              ;   in Loop: Header=BB377_4 Depth=1
	s_lshl_b64 s[40:41], s[6:7], 3
	s_wait_alu 0xfffe
	s_add_nc_u64 s[40:41], s[12:13], s[40:41]
	global_load_b64 v[2:3], v1, s[40:41]
	s_wait_loadcnt 0x0
	v_add_co_u32 v2, vcc_lo, v2, s14
	s_wait_alu 0xfffd
	v_add_co_ci_u32_e64 v3, null, s15, v3, vcc_lo
.LBB377_9:                              ;   in Loop: Header=BB377_4 Depth=1
	s_wait_dscnt 0x0
	v_mov_b32_e32 v17, 0
	v_mov_b32_e32 v18, 0
	s_and_not1_b32 vcc_lo, exec_lo, s31
	s_wait_alu 0xfffe
	s_cbranch_vccnz .LBB377_11
; %bb.10:                               ;   in Loop: Header=BB377_4 Depth=1
	s_lshl_b64 s[40:41], s[6:7], 3
	s_wait_alu 0xfffe
	s_add_nc_u64 s[40:41], s[24:25], s[40:41]
	global_load_b64 v[13:14], v1, s[40:41]
	s_wait_loadcnt 0x0
	v_add_co_u32 v17, vcc_lo, v13, s26
	s_wait_alu 0xfffd
	v_add_co_ci_u32_e64 v18, null, s27, v14, vcc_lo
.LBB377_11:                             ;   in Loop: Header=BB377_4 Depth=1
	s_lshl_b64 s[40:41], s[6:7], 3
	s_xor_b32 s5, s31, -1
	s_wait_alu 0xfffe
	s_add_nc_u64 s[40:41], s[20:21], s[40:41]
	global_load_b64 v[13:14], v1, s[40:41]
	s_wait_loadcnt 0x0
	v_add_co_u32 v33, vcc_lo, v13, s22
	s_wait_alu 0xfffd
	v_add_co_ci_u32_e64 v34, null, s23, v14, vcc_lo
	s_and_not1_b32 vcc_lo, exec_lo, s5
	s_wait_alu 0xfffe
	s_cbranch_vccnz .LBB377_16
; %bb.12:                               ;   in Loop: Header=BB377_4 Depth=1
	s_mov_b32 s40, 0
	s_mov_b32 s31, 0
                                        ; implicit-def: $vgpr15_vgpr16
	s_and_saveexec_b32 s41, s0
	s_cbranch_execz .LBB377_17
; %bb.13:                               ;   in Loop: Header=BB377_4 Depth=1
	v_cmp_neq_f64_e32 vcc_lo, 0, v[5:6]
	v_cmp_neq_f64_e64 s5, 0, v[7:8]
	v_mov_b32_e32 v15, 0
	v_dual_mov_b32 v16, 0 :: v_dual_mov_b32 v13, 0
	v_mov_b32_e32 v14, 0
	s_or_b32 s5, vcc_lo, s5
	s_wait_alu 0xfffe
	s_and_not1_b32 vcc_lo, exec_lo, s5
	s_wait_alu 0xfffe
	s_cbranch_vccnz .LBB377_15
; %bb.14:                               ;   in Loop: Header=BB377_4 Depth=1
	v_add_co_u32 v13, vcc_lo, v33, s36
	s_wait_alu 0xfffd
	v_add_co_ci_u32_e64 v14, null, s37, v34, vcc_lo
	flat_load_b128 v[35:38], v[13:14]
	s_wait_loadcnt_dscnt 0x0
	v_mul_f64_e32 v[13:14], v[7:8], v[37:38]
	v_mul_f64_e32 v[15:16], v[5:6], v[37:38]
	s_delay_alu instid0(VALU_DEP_2) | instskip(NEXT) | instid1(VALU_DEP_2)
	v_fma_f64 v[13:14], v[5:6], v[35:36], -v[13:14]
	v_fma_f64 v[15:16], v[7:8], v[35:36], v[15:16]
.LBB377_15:                             ;   in Loop: Header=BB377_4 Depth=1
	s_mov_b32 s31, exec_lo
	s_or_b32 exec_lo, exec_lo, s41
	s_delay_alu instid0(SALU_CYCLE_1)
	s_and_b32 vcc_lo, exec_lo, s40
	s_wait_alu 0xfffe
	s_cbranch_vccnz .LBB377_18
	s_branch .LBB377_37
.LBB377_16:                             ;   in Loop: Header=BB377_4 Depth=1
	s_mov_b32 s31, 0
                                        ; implicit-def: $vgpr15_vgpr16
	s_cbranch_execnz .LBB377_18
	s_branch .LBB377_37
.LBB377_17:                             ;   in Loop: Header=BB377_4 Depth=1
	s_wait_alu 0xfffe
	s_or_b32 exec_lo, exec_lo, s41
	s_delay_alu instid0(SALU_CYCLE_1)
	s_and_b32 vcc_lo, exec_lo, s40
	s_wait_alu 0xfffe
	s_cbranch_vccz .LBB377_37
.LBB377_18:                             ;   in Loop: Header=BB377_4 Depth=1
	v_mov_b32_e32 v13, 0
	v_dual_mov_b32 v14, 0 :: v_dual_mov_b32 v15, 0
	v_mov_b32_e32 v16, 0
	s_and_saveexec_b32 s40, s3
	s_cbranch_execnz .LBB377_27
; %bb.19:                               ;   in Loop: Header=BB377_4 Depth=1
	s_wait_alu 0xfffe
	s_or_b32 exec_lo, exec_lo, s40
	s_and_saveexec_b32 s5, s4
	s_cbranch_execnz .LBB377_30
.LBB377_20:                             ;   in Loop: Header=BB377_4 Depth=1
	s_wait_alu 0xfffe
	s_or_b32 exec_lo, exec_lo, s5
	s_and_saveexec_b32 s5, s1
.LBB377_21:                             ;   in Loop: Header=BB377_4 Depth=1
	v_dual_mov_b32 v2, v1 :: v_dual_mov_b32 v3, v1
	v_mov_b32_e32 v4, v1
	ds_store_b128 v27, v[1:4]
.LBB377_22:                             ;   in Loop: Header=BB377_4 Depth=1
	s_wait_alu 0xfffe
	s_or_b32 exec_lo, exec_lo, s5
	v_lshl_or_b32 v4, v32, 2, 64
	v_cmp_gt_u32_e32 vcc_lo, 24, v32
	s_wait_dscnt 0x0
	s_barrier_signal -1
	s_barrier_wait -1
	ds_bpermute_b32 v2, v4, v15
	ds_bpermute_b32 v3, v4, v16
	;; [unrolled: 1-line block ×4, first 2 shown]
	s_wait_dscnt 0x0
	global_inv scope:SCOPE_SE
	v_add_f64_e32 v[2:3], v[15:16], v[2:3]
	s_wait_alu 0xfffd
	v_cndmask_b32_e64 v15, 0, 8, vcc_lo
	v_add_f64_e32 v[13:14], v[13:14], v[17:18]
	v_cmp_gt_u32_e32 vcc_lo, 28, v32
	s_delay_alu instid0(VALU_DEP_3)
	v_add_lshl_u32 v25, v15, v32, 2
	ds_bpermute_b32 v15, v25, v2
	ds_bpermute_b32 v16, v25, v3
	ds_bpermute_b32 v17, v25, v13
	ds_bpermute_b32 v18, v25, v14
	s_wait_dscnt 0x2
	v_add_f64_e32 v[2:3], v[2:3], v[15:16]
	s_wait_alu 0xfffd
	v_cndmask_b32_e64 v15, 0, 4, vcc_lo
	s_wait_dscnt 0x0
	v_add_f64_e32 v[13:14], v[13:14], v[17:18]
	v_cmp_gt_u32_e32 vcc_lo, 30, v32
	s_delay_alu instid0(VALU_DEP_3)
	v_add_lshl_u32 v26, v15, v32, 2
	ds_bpermute_b32 v15, v26, v2
	ds_bpermute_b32 v16, v26, v3
	;; [unrolled: 1-line block ×4, first 2 shown]
	s_wait_dscnt 0x2
	v_add_f64_e32 v[2:3], v[2:3], v[15:16]
	s_wait_alu 0xfffd
	v_cndmask_b32_e64 v15, 0, 2, vcc_lo
	s_wait_dscnt 0x0
	v_add_f64_e32 v[13:14], v[13:14], v[17:18]
	v_cmp_ne_u32_e32 vcc_lo, 31, v32
	s_delay_alu instid0(VALU_DEP_3)
	v_add_lshl_u32 v35, v15, v32, 2
	ds_bpermute_b32 v15, v35, v2
	ds_bpermute_b32 v16, v35, v3
	;; [unrolled: 1-line block ×4, first 2 shown]
	s_wait_dscnt 0x2
	v_add_f64_e32 v[2:3], v[2:3], v[15:16]
	s_wait_alu 0xfffd
	v_add_co_ci_u32_e64 v15, null, 0, v32, vcc_lo
	s_wait_dscnt 0x0
	v_add_f64_e32 v[13:14], v[13:14], v[17:18]
	s_delay_alu instid0(VALU_DEP_2)
	v_lshlrev_b32_e32 v36, 2, v15
	ds_bpermute_b32 v15, v36, v2
	ds_bpermute_b32 v16, v36, v3
	;; [unrolled: 1-line block ×4, first 2 shown]
	s_and_saveexec_b32 s5, s2
	s_cbranch_execz .LBB377_24
; %bb.23:                               ;   in Loop: Header=BB377_4 Depth=1
	s_wait_dscnt 0x0
	v_add_f64_e32 v[17:18], v[13:14], v[17:18]
	v_add_f64_e32 v[15:16], v[2:3], v[15:16]
	ds_store_b128 v28, v[15:18]
.LBB377_24:                             ;   in Loop: Header=BB377_4 Depth=1
	s_wait_alu 0xfffe
	s_or_b32 exec_lo, exec_lo, s5
	v_mov_b32_e32 v19, 0
	s_wait_dscnt 0x0
	v_dual_mov_b32 v20, 0 :: v_dual_mov_b32 v17, 0
	v_mov_b32_e32 v18, 0
	s_wait_loadcnt 0x0
	s_barrier_signal -1
	s_barrier_wait -1
	global_inv scope:SCOPE_SE
	s_and_saveexec_b32 s5, s1
	s_cbranch_execnz .LBB377_31
; %bb.25:                               ;   in Loop: Header=BB377_4 Depth=1
	s_wait_alu 0xfffe
	s_or_b32 exec_lo, exec_lo, s5
	s_and_saveexec_b32 s5, s1
	s_cbranch_execnz .LBB377_32
.LBB377_26:                             ;   in Loop: Header=BB377_4 Depth=1
	s_wait_alu 0xfffe
	s_or_b32 exec_lo, exec_lo, s5
                                        ; implicit-def: $vgpr15_vgpr16
	s_and_saveexec_b32 s40, s0
	s_cbranch_execnz .LBB377_33
	s_branch .LBB377_36
.LBB377_27:                             ;   in Loop: Header=BB377_4 Depth=1
	v_add_co_u32 v19, vcc_lo, v2, v30
	s_wait_alu 0xfffd
	v_add_co_ci_u32_e64 v20, null, v3, v29, vcc_lo
	v_add_co_u32 v25, vcc_lo, v17, v21
	v_mov_b32_e32 v13, 0
	v_dual_mov_b32 v14, 0 :: v_dual_mov_b32 v15, 0
	s_wait_alu 0xfffd
	v_add_co_ci_u32_e64 v26, null, v18, v22, vcc_lo
	v_mov_b32_e32 v16, 0
	v_mov_b32_e32 v4, v0
	s_mov_b32 s41, 0
.LBB377_28:                             ;   Parent Loop BB377_4 Depth=1
                                        ; =>  This Inner Loop Header: Depth=2
	flat_load_b128 v[35:38], v[19:20] offset:-8
	flat_load_b128 v[39:42], v[25:26] offset:-8
	v_add_nc_u32_e32 v4, 0x400, v4
	v_add_co_u32 v19, vcc_lo, 0x4000, v19
	s_wait_alu 0xfffd
	v_add_co_ci_u32_e64 v20, null, 0, v20, vcc_lo
	s_delay_alu instid0(VALU_DEP_3)
	v_cmp_le_i32_e32 vcc_lo, s30, v4
	v_add_co_u32 v25, s5, v25, s28
	s_wait_alu 0xf1ff
	v_add_co_ci_u32_e64 v26, null, s29, v26, s5
	s_wait_alu 0xfffe
	s_or_b32 s41, vcc_lo, s41
	s_wait_loadcnt_dscnt 0x0
	v_mul_f64_e32 v[43:44], v[37:38], v[41:42]
	v_mul_f64_e32 v[37:38], v[37:38], v[39:40]
	s_delay_alu instid0(VALU_DEP_2) | instskip(NEXT) | instid1(VALU_DEP_2)
	v_fma_f64 v[39:40], v[35:36], v[39:40], v[43:44]
	v_fma_f64 v[35:36], v[35:36], v[41:42], -v[37:38]
	s_delay_alu instid0(VALU_DEP_2) | instskip(NEXT) | instid1(VALU_DEP_2)
	v_add_f64_e32 v[15:16], v[15:16], v[39:40]
	v_add_f64_e32 v[13:14], v[13:14], v[35:36]
	s_wait_alu 0xfffe
	s_and_not1_b32 exec_lo, exec_lo, s41
	s_cbranch_execnz .LBB377_28
; %bb.29:                               ;   in Loop: Header=BB377_4 Depth=1
	s_or_b32 exec_lo, exec_lo, s41
	s_delay_alu instid0(SALU_CYCLE_1)
	s_or_b32 exec_lo, exec_lo, s40
	s_and_saveexec_b32 s5, s4
	s_cbranch_execz .LBB377_20
.LBB377_30:                             ;   in Loop: Header=BB377_4 Depth=1
	v_add_co_u32 v2, vcc_lo, v2, v31
	s_wait_alu 0xfffd
	v_add_co_ci_u32_e64 v3, null, 0, v3, vcc_lo
	s_delay_alu instid0(VALU_DEP_2) | instskip(SKIP_1) | instid1(VALU_DEP_2)
	v_add_co_u32 v4, vcc_lo, v2, s34
	s_wait_alu 0xfffd
	v_add_co_ci_u32_e64 v19, null, s35, v3, vcc_lo
	v_add_co_u32 v2, vcc_lo, v17, v23
	s_wait_alu 0xfffd
	v_add_co_ci_u32_e64 v3, null, v18, v24, vcc_lo
	;; [unrolled: 3-line block ×3, first 2 shown]
	flat_load_b128 v[17:20], v[2:3]
	flat_load_b128 v[35:38], v[25:26]
	s_wait_loadcnt_dscnt 0x0
	v_mul_f64_e32 v[2:3], v[37:38], v[19:20]
	v_mul_f64_e32 v[25:26], v[37:38], v[17:18]
	s_delay_alu instid0(VALU_DEP_2) | instskip(NEXT) | instid1(VALU_DEP_2)
	v_fma_f64 v[2:3], v[35:36], v[17:18], v[2:3]
	v_fma_f64 v[17:18], v[35:36], v[19:20], -v[25:26]
	s_delay_alu instid0(VALU_DEP_2) | instskip(NEXT) | instid1(VALU_DEP_2)
	v_add_f64_e32 v[15:16], v[15:16], v[2:3]
	v_add_f64_e32 v[13:14], v[13:14], v[17:18]
	s_wait_alu 0xfffe
	s_or_b32 exec_lo, exec_lo, s5
	s_and_saveexec_b32 s5, s1
	s_cbranch_execnz .LBB377_21
	s_branch .LBB377_22
.LBB377_31:                             ;   in Loop: Header=BB377_4 Depth=1
	ds_load_b128 v[17:20], v27
	s_wait_alu 0xfffe
	s_or_b32 exec_lo, exec_lo, s5
	s_and_saveexec_b32 s5, s1
	s_cbranch_execz .LBB377_26
.LBB377_32:                             ;   in Loop: Header=BB377_4 Depth=1
	s_wait_dscnt 0x0
	ds_bpermute_b32 v2, v4, v17
	ds_bpermute_b32 v3, v4, v18
	ds_bpermute_b32 v13, v4, v19
	ds_bpermute_b32 v14, v4, v20
	s_wait_dscnt 0x2
	v_add_f64_e32 v[2:3], v[17:18], v[2:3]
	s_wait_dscnt 0x0
	v_add_f64_e32 v[13:14], v[19:20], v[13:14]
	ds_bpermute_b32 v15, v25, v2
	ds_bpermute_b32 v16, v25, v3
	ds_bpermute_b32 v17, v25, v13
	ds_bpermute_b32 v18, v25, v14
	s_wait_dscnt 0x2
	v_add_f64_e32 v[2:3], v[2:3], v[15:16]
	s_wait_dscnt 0x0
	v_add_f64_e32 v[13:14], v[13:14], v[17:18]
	;; [unrolled: 8-line block ×5, first 2 shown]
	s_wait_alu 0xfffe
	s_or_b32 exec_lo, exec_lo, s5
                                        ; implicit-def: $vgpr15_vgpr16
	s_and_saveexec_b32 s40, s0
	s_cbranch_execz .LBB377_36
.LBB377_33:                             ;   in Loop: Header=BB377_4 Depth=1
	s_wait_dscnt 0x0
	s_delay_alu instid0(VALU_DEP_1) | instskip(SKIP_3) | instid1(VALU_DEP_4)
	v_mul_f64_e32 v[2:3], v[11:12], v[19:20]
	v_mul_f64_e32 v[15:16], v[9:10], v[19:20]
	v_cmp_neq_f64_e32 vcc_lo, 0, v[5:6]
	v_cmp_neq_f64_e64 s5, 0, v[7:8]
	v_fma_f64 v[13:14], v[9:10], v[17:18], -v[2:3]
	s_delay_alu instid0(VALU_DEP_4)
	v_fma_f64 v[15:16], v[11:12], v[17:18], v[15:16]
	s_or_b32 s5, vcc_lo, s5
	s_wait_alu 0xfffe
	s_and_not1_b32 vcc_lo, exec_lo, s5
	s_wait_alu 0xfffe
	s_cbranch_vccnz .LBB377_35
; %bb.34:                               ;   in Loop: Header=BB377_4 Depth=1
	v_add_co_u32 v2, vcc_lo, v33, s36
	s_wait_alu 0xfffd
	v_add_co_ci_u32_e64 v3, null, s37, v34, vcc_lo
	flat_load_b128 v[9:12], v[2:3]
	s_wait_loadcnt_dscnt 0x0
	v_mul_f64_e32 v[2:3], v[7:8], v[11:12]
	v_mul_f64_e32 v[11:12], v[5:6], v[11:12]
	s_delay_alu instid0(VALU_DEP_2) | instskip(NEXT) | instid1(VALU_DEP_2)
	v_fma_f64 v[2:3], v[5:6], v[9:10], -v[2:3]
	v_fma_f64 v[4:5], v[7:8], v[9:10], v[11:12]
	s_delay_alu instid0(VALU_DEP_2) | instskip(NEXT) | instid1(VALU_DEP_2)
	v_add_f64_e32 v[13:14], v[13:14], v[2:3]
	v_add_f64_e32 v[15:16], v[15:16], v[4:5]
.LBB377_35:                             ;   in Loop: Header=BB377_4 Depth=1
	s_or_b32 s31, s31, exec_lo
.LBB377_36:                             ;   in Loop: Header=BB377_4 Depth=1
	s_wait_alu 0xfffe
	s_or_b32 exec_lo, exec_lo, s40
.LBB377_37:                             ;   in Loop: Header=BB377_4 Depth=1
	s_wait_alu 0xfffe
	s_and_saveexec_b32 s5, s31
	s_cbranch_execz .LBB377_2
; %bb.38:                               ;   in Loop: Header=BB377_4 Depth=1
	v_add_co_u32 v2, vcc_lo, v33, s36
	s_wait_alu 0xfffd
	v_add_co_ci_u32_e64 v3, null, s37, v34, vcc_lo
	flat_store_b128 v[2:3], v[13:16]
	s_branch .LBB377_2
.LBB377_39:
	s_endpgm
	.section	.rodata,"a",@progbits
	.p2align	6, 0x0
	.amdhsa_kernel _ZL32rocblas_gemvt_warp_reduce_kernelILb1ELi1024ElPK19rocblas_complex_numIdES3_KPS1_EviiT3_lPKT2_lT1_lS9_lSA_lS6_lPT4_lSA_li
		.amdhsa_group_segment_fixed_size 512
		.amdhsa_private_segment_fixed_size 0
		.amdhsa_kernarg_size 140
		.amdhsa_user_sgpr_count 2
		.amdhsa_user_sgpr_dispatch_ptr 0
		.amdhsa_user_sgpr_queue_ptr 0
		.amdhsa_user_sgpr_kernarg_segment_ptr 1
		.amdhsa_user_sgpr_dispatch_id 0
		.amdhsa_user_sgpr_private_segment_size 0
		.amdhsa_wavefront_size32 1
		.amdhsa_uses_dynamic_stack 0
		.amdhsa_enable_private_segment 0
		.amdhsa_system_sgpr_workgroup_id_x 1
		.amdhsa_system_sgpr_workgroup_id_y 0
		.amdhsa_system_sgpr_workgroup_id_z 1
		.amdhsa_system_sgpr_workgroup_info 0
		.amdhsa_system_vgpr_workitem_id 0
		.amdhsa_next_free_vgpr 45
		.amdhsa_next_free_sgpr 42
		.amdhsa_reserve_vcc 1
		.amdhsa_float_round_mode_32 0
		.amdhsa_float_round_mode_16_64 0
		.amdhsa_float_denorm_mode_32 3
		.amdhsa_float_denorm_mode_16_64 3
		.amdhsa_fp16_overflow 0
		.amdhsa_workgroup_processor_mode 1
		.amdhsa_memory_ordered 1
		.amdhsa_forward_progress 1
		.amdhsa_inst_pref_size 19
		.amdhsa_round_robin_scheduling 0
		.amdhsa_exception_fp_ieee_invalid_op 0
		.amdhsa_exception_fp_denorm_src 0
		.amdhsa_exception_fp_ieee_div_zero 0
		.amdhsa_exception_fp_ieee_overflow 0
		.amdhsa_exception_fp_ieee_underflow 0
		.amdhsa_exception_fp_ieee_inexact 0
		.amdhsa_exception_int_div_zero 0
	.end_amdhsa_kernel
	.section	.text._ZL32rocblas_gemvt_warp_reduce_kernelILb1ELi1024ElPK19rocblas_complex_numIdES3_KPS1_EviiT3_lPKT2_lT1_lS9_lSA_lS6_lPT4_lSA_li,"axG",@progbits,_ZL32rocblas_gemvt_warp_reduce_kernelILb1ELi1024ElPK19rocblas_complex_numIdES3_KPS1_EviiT3_lPKT2_lT1_lS9_lSA_lS6_lPT4_lSA_li,comdat
.Lfunc_end377:
	.size	_ZL32rocblas_gemvt_warp_reduce_kernelILb1ELi1024ElPK19rocblas_complex_numIdES3_KPS1_EviiT3_lPKT2_lT1_lS9_lSA_lS6_lPT4_lSA_li, .Lfunc_end377-_ZL32rocblas_gemvt_warp_reduce_kernelILb1ELi1024ElPK19rocblas_complex_numIdES3_KPS1_EviiT3_lPKT2_lT1_lS9_lSA_lS6_lPT4_lSA_li
                                        ; -- End function
	.set _ZL32rocblas_gemvt_warp_reduce_kernelILb1ELi1024ElPK19rocblas_complex_numIdES3_KPS1_EviiT3_lPKT2_lT1_lS9_lSA_lS6_lPT4_lSA_li.num_vgpr, 45
	.set _ZL32rocblas_gemvt_warp_reduce_kernelILb1ELi1024ElPK19rocblas_complex_numIdES3_KPS1_EviiT3_lPKT2_lT1_lS9_lSA_lS6_lPT4_lSA_li.num_agpr, 0
	.set _ZL32rocblas_gemvt_warp_reduce_kernelILb1ELi1024ElPK19rocblas_complex_numIdES3_KPS1_EviiT3_lPKT2_lT1_lS9_lSA_lS6_lPT4_lSA_li.numbered_sgpr, 42
	.set _ZL32rocblas_gemvt_warp_reduce_kernelILb1ELi1024ElPK19rocblas_complex_numIdES3_KPS1_EviiT3_lPKT2_lT1_lS9_lSA_lS6_lPT4_lSA_li.num_named_barrier, 0
	.set _ZL32rocblas_gemvt_warp_reduce_kernelILb1ELi1024ElPK19rocblas_complex_numIdES3_KPS1_EviiT3_lPKT2_lT1_lS9_lSA_lS6_lPT4_lSA_li.private_seg_size, 0
	.set _ZL32rocblas_gemvt_warp_reduce_kernelILb1ELi1024ElPK19rocblas_complex_numIdES3_KPS1_EviiT3_lPKT2_lT1_lS9_lSA_lS6_lPT4_lSA_li.uses_vcc, 1
	.set _ZL32rocblas_gemvt_warp_reduce_kernelILb1ELi1024ElPK19rocblas_complex_numIdES3_KPS1_EviiT3_lPKT2_lT1_lS9_lSA_lS6_lPT4_lSA_li.uses_flat_scratch, 0
	.set _ZL32rocblas_gemvt_warp_reduce_kernelILb1ELi1024ElPK19rocblas_complex_numIdES3_KPS1_EviiT3_lPKT2_lT1_lS9_lSA_lS6_lPT4_lSA_li.has_dyn_sized_stack, 0
	.set _ZL32rocblas_gemvt_warp_reduce_kernelILb1ELi1024ElPK19rocblas_complex_numIdES3_KPS1_EviiT3_lPKT2_lT1_lS9_lSA_lS6_lPT4_lSA_li.has_recursion, 0
	.set _ZL32rocblas_gemvt_warp_reduce_kernelILb1ELi1024ElPK19rocblas_complex_numIdES3_KPS1_EviiT3_lPKT2_lT1_lS9_lSA_lS6_lPT4_lSA_li.has_indirect_call, 0
	.section	.AMDGPU.csdata,"",@progbits
; Kernel info:
; codeLenInByte = 2396
; TotalNumSgprs: 44
; NumVgprs: 45
; ScratchSize: 0
; MemoryBound: 0
; FloatMode: 240
; IeeeMode: 1
; LDSByteSize: 512 bytes/workgroup (compile time only)
; SGPRBlocks: 0
; VGPRBlocks: 5
; NumSGPRsForWavesPerEU: 44
; NumVGPRsForWavesPerEU: 45
; Occupancy: 16
; WaveLimiterHint : 1
; COMPUTE_PGM_RSRC2:SCRATCH_EN: 0
; COMPUTE_PGM_RSRC2:USER_SGPR: 2
; COMPUTE_PGM_RSRC2:TRAP_HANDLER: 0
; COMPUTE_PGM_RSRC2:TGID_X_EN: 1
; COMPUTE_PGM_RSRC2:TGID_Y_EN: 0
; COMPUTE_PGM_RSRC2:TGID_Z_EN: 1
; COMPUTE_PGM_RSRC2:TIDIG_COMP_CNT: 0
	.section	.text._ZL32rocblas_gemvt_warp_reduce_kernelILb1ELi1024EiPK19rocblas_complex_numIdES1_KPS1_EviiT3_lPKT2_lT1_lS9_lSA_lS6_lPT4_lSA_li,"axG",@progbits,_ZL32rocblas_gemvt_warp_reduce_kernelILb1ELi1024EiPK19rocblas_complex_numIdES1_KPS1_EviiT3_lPKT2_lT1_lS9_lSA_lS6_lPT4_lSA_li,comdat
	.globl	_ZL32rocblas_gemvt_warp_reduce_kernelILb1ELi1024EiPK19rocblas_complex_numIdES1_KPS1_EviiT3_lPKT2_lT1_lS9_lSA_lS6_lPT4_lSA_li ; -- Begin function _ZL32rocblas_gemvt_warp_reduce_kernelILb1ELi1024EiPK19rocblas_complex_numIdES1_KPS1_EviiT3_lPKT2_lT1_lS9_lSA_lS6_lPT4_lSA_li
	.p2align	8
	.type	_ZL32rocblas_gemvt_warp_reduce_kernelILb1ELi1024EiPK19rocblas_complex_numIdES1_KPS1_EviiT3_lPKT2_lT1_lS9_lSA_lS6_lPT4_lSA_li,@function
_ZL32rocblas_gemvt_warp_reduce_kernelILb1ELi1024EiPK19rocblas_complex_numIdES1_KPS1_EviiT3_lPKT2_lT1_lS9_lSA_lS6_lPT4_lSA_li: ; @_ZL32rocblas_gemvt_warp_reduce_kernelILb1ELi1024EiPK19rocblas_complex_numIdES1_KPS1_EviiT3_lPKT2_lT1_lS9_lSA_lS6_lPT4_lSA_li
; %bb.0:
	s_load_b32 s33, s[0:1], 0x98
	s_lshr_b32 s6, ttmp7, 16
	s_wait_kmcnt 0x0
	s_cmp_ge_u32 s6, s33
	s_cbranch_scc1 .LBB378_40
; %bb.1:
	s_clause 0x8
	s_load_b128 s[8:11], s[0:1], 0x8
	s_load_b128 s[12:15], s[0:1], 0x60
	s_load_b32 s36, s[0:1], 0x0
	s_load_b32 s3, s[0:1], 0x88
	s_load_b128 s[16:19], s[0:1], 0x78
	s_load_b128 s[20:23], s[0:1], 0x20
	s_load_b32 s4, s[0:1], 0x30
	s_load_b128 s[24:27], s[0:1], 0x40
	s_load_b32 s29, s[0:1], 0x50
	v_dual_mov_b32 v1, 0 :: v_dual_and_b32 v2, 31, v0
	v_lshrrev_b32_e32 v3, 1, v0
	v_cmp_eq_u32_e64 s0, 0, v0
	v_cmp_gt_u32_e64 s1, 32, v0
	s_delay_alu instid0(VALU_DEP_4)
	v_cmp_eq_u32_e64 s2, 0, v2
	v_mbcnt_lo_u32_b32 v23, -1, 0
	v_and_b32_e32 v17, 0x1f0, v3
	s_mov_b32 s7, 0
	s_wait_kmcnt 0x0
	v_cmp_neq_f64_e64 s37, s[8:9], 0
	v_cmp_neq_f64_e64 s41, s[10:11], 0
	v_cmp_neq_f64_e64 s39, s[12:13], 1.0
	v_cmp_neq_f64_e64 s40, s[14:15], 0
	v_cmp_neq_f64_e64 s42, s[12:13], 0
	s_mul_i32 s34, s3, ttmp9
	s_ashr_i32 s3, s36, 31
	v_cmp_gt_i32_e32 vcc_lo, s36, v0
	s_lshr_b32 s3, s3, 22
	v_lshlrev_b32_e32 v16, 4, v2
	s_add_co_i32 s3, s36, s3
	s_mul_i32 s4, s4, ttmp9
	s_and_b32 s28, s3, 0xfffffc00
	v_cndmask_b32_e32 v3, 0, v0, vcc_lo
	v_or_b32_e32 v4, s28, v0
	s_ashr_i32 s5, s4, 31
	v_mul_lo_u32 v18, v0, s29
	s_lshl_b64 s[30:31], s[4:5], 4
	v_lshlrev_b32_e32 v5, 4, v3
	v_mul_lo_u32 v2, s29, v4
	v_lshlrev_b32_e32 v19, 4, v3
	v_cmp_gt_i32_e64 s3, s28, v0
	s_lshl_b32 s38, s29, 10
	v_add_co_u32 v5, s4, s30, v5
	s_delay_alu instid0(VALU_DEP_1) | instskip(SKIP_2) | instid1(VALU_DEP_4)
	v_add_co_ci_u32_e64 v20, null, s31, 0, s4
	v_ashrrev_i32_e32 v3, 31, v2
	v_cmp_gt_i32_e64 s4, s36, v4
	v_or_b32_e32 v21, 8, v5
	s_ashr_i32 s35, s34, 31
	s_ashr_i32 s29, s28, 31
	v_lshlrev_b64_e32 v[10:11], 4, v[2:3]
	s_lshl_b64 s[22:23], s[22:23], 4
	s_lshl_b64 s[26:27], s[26:27], 4
	s_lshl_b64 s[18:19], s[18:19], 4
	s_lshl_b64 s[34:35], s[34:35], 4
	s_or_b32 s5, s37, s41
	s_wait_alu 0xfffe
	s_lshl_b64 s[36:37], s[28:29], 4
	v_cndmask_b32_e64 v22, 0, 1, s5
	s_or_b32 s39, s39, s40
	s_or_b32 s40, s42, s40
	s_xor_b32 s41, s5, -1
	s_branch .LBB378_4
.LBB378_2:                              ;   in Loop: Header=BB378_4 Depth=1
	s_wait_alu 0xfffe
	s_or_b32 exec_lo, exec_lo, s5
.LBB378_3:                              ;   in Loop: Header=BB378_4 Depth=1
	s_add_co_i32 s6, s6, 0x10000
	s_delay_alu instid0(SALU_CYCLE_1)
	s_cmp_lt_u32 s6, s33
	s_cbranch_scc0 .LBB378_40
.LBB378_4:                              ; =>This Loop Header: Depth=1
                                        ;     Child Loop BB378_29 Depth 2
	s_and_not1_b32 vcc_lo, exec_lo, s41
	s_mov_b32 s5, s7
	s_mov_b32 s29, -1
	s_wait_alu 0xfffe
	s_cbranch_vccnz .LBB378_7
; %bb.5:                                ;   in Loop: Header=BB378_4 Depth=1
	s_mov_b32 s29, 0
	s_and_b32 vcc_lo, exec_lo, s39
	s_mov_b32 s5, 0
	s_wait_alu 0xfffe
	s_cbranch_vccz .LBB378_7
; %bb.6:                                ;   in Loop: Header=BB378_4 Depth=1
	s_mov_b32 s5, -1
.LBB378_7:                              ;   in Loop: Header=BB378_4 Depth=1
	s_wait_dscnt 0x0
	v_mov_b32_e32 v6, 0
	v_mov_b32_e32 v7, 0
	s_and_b32 vcc_lo, exec_lo, s29
	s_wait_alu 0xfffe
	s_cbranch_vccnz .LBB378_9
; %bb.8:                                ;   in Loop: Header=BB378_4 Depth=1
	s_and_not1_b32 vcc_lo, exec_lo, s5
	s_wait_alu 0xfffe
	s_cbranch_vccnz .LBB378_3
	s_branch .LBB378_10
.LBB378_9:                              ;   in Loop: Header=BB378_4 Depth=1
	s_lshl_b64 s[42:43], s[6:7], 3
	s_delay_alu instid0(SALU_CYCLE_1)
	s_add_nc_u64 s[42:43], s[20:21], s[42:43]
	global_load_b64 v[2:3], v1, s[42:43]
	s_wait_loadcnt 0x0
	v_add_co_u32 v6, vcc_lo, v2, s22
	s_wait_alu 0xfffd
	v_add_co_ci_u32_e64 v7, null, s23, v3, vcc_lo
.LBB378_10:                             ;   in Loop: Header=BB378_4 Depth=1
	v_cmp_ne_u32_e32 vcc_lo, 1, v22
	v_mov_b32_e32 v8, 0
	v_mov_b32_e32 v9, 0
	s_cbranch_vccnz .LBB378_12
; %bb.11:                               ;   in Loop: Header=BB378_4 Depth=1
	s_lshl_b64 s[42:43], s[6:7], 3
	s_delay_alu instid0(SALU_CYCLE_1)
	s_add_nc_u64 s[42:43], s[24:25], s[42:43]
	global_load_b64 v[2:3], v1, s[42:43]
	s_wait_loadcnt 0x0
	v_add_co_u32 v8, vcc_lo, v2, s26
	s_wait_alu 0xfffd
	v_add_co_ci_u32_e64 v9, null, s27, v3, vcc_lo
.LBB378_12:                             ;   in Loop: Header=BB378_4 Depth=1
	s_lshl_b64 s[42:43], s[6:7], 3
	s_delay_alu instid0(SALU_CYCLE_1)
	s_add_nc_u64 s[42:43], s[16:17], s[42:43]
	global_load_b64 v[2:3], v1, s[42:43]
	s_wait_loadcnt 0x0
	v_add_co_u32 v24, vcc_lo, v2, s18
	s_wait_alu 0xfffd
	v_add_co_ci_u32_e64 v25, null, s19, v3, vcc_lo
	s_and_not1_b32 vcc_lo, exec_lo, s41
	s_wait_alu 0xfffe
	s_cbranch_vccnz .LBB378_17
; %bb.13:                               ;   in Loop: Header=BB378_4 Depth=1
	s_mov_b32 s5, 0
	s_mov_b32 s29, 0
                                        ; implicit-def: $vgpr4_vgpr5
	s_and_saveexec_b32 s42, s0
	s_cbranch_execz .LBB378_18
; %bb.14:                               ;   in Loop: Header=BB378_4 Depth=1
	v_mov_b32_e32 v4, 0
	v_dual_mov_b32 v5, 0 :: v_dual_mov_b32 v2, 0
	v_mov_b32_e32 v3, 0
	s_and_not1_b32 vcc_lo, exec_lo, s40
	s_wait_alu 0xfffe
	s_cbranch_vccnz .LBB378_16
; %bb.15:                               ;   in Loop: Header=BB378_4 Depth=1
	v_add_co_u32 v2, vcc_lo, v24, s34
	s_wait_alu 0xfffd
	v_add_co_ci_u32_e64 v3, null, s35, v25, vcc_lo
	flat_load_b128 v[12:15], v[2:3]
	s_wait_loadcnt_dscnt 0x0
	v_mul_f64_e32 v[2:3], s[14:15], v[14:15]
	v_mul_f64_e32 v[4:5], s[12:13], v[14:15]
	s_delay_alu instid0(VALU_DEP_2) | instskip(NEXT) | instid1(VALU_DEP_2)
	v_fma_f64 v[2:3], s[12:13], v[12:13], -v[2:3]
	v_fma_f64 v[4:5], s[14:15], v[12:13], v[4:5]
.LBB378_16:                             ;   in Loop: Header=BB378_4 Depth=1
	s_mov_b32 s29, exec_lo
	s_or_b32 exec_lo, exec_lo, s42
	s_delay_alu instid0(SALU_CYCLE_1)
	s_and_b32 vcc_lo, exec_lo, s5
	s_wait_alu 0xfffe
	s_cbranch_vccnz .LBB378_19
	s_branch .LBB378_38
.LBB378_17:                             ;   in Loop: Header=BB378_4 Depth=1
	s_mov_b32 s29, 0
                                        ; implicit-def: $vgpr4_vgpr5
	s_cbranch_execnz .LBB378_19
	s_branch .LBB378_38
.LBB378_18:                             ;   in Loop: Header=BB378_4 Depth=1
	s_or_b32 exec_lo, exec_lo, s42
	s_wait_alu 0xfffe
	s_and_b32 vcc_lo, exec_lo, s5
	s_wait_alu 0xfffe
	s_cbranch_vccz .LBB378_38
.LBB378_19:                             ;   in Loop: Header=BB378_4 Depth=1
	v_mov_b32_e32 v12, 0
	v_dual_mov_b32 v13, 0 :: v_dual_mov_b32 v14, 0
	v_mov_b32_e32 v15, 0
	s_and_saveexec_b32 s42, s3
	s_cbranch_execnz .LBB378_28
; %bb.20:                               ;   in Loop: Header=BB378_4 Depth=1
	s_or_b32 exec_lo, exec_lo, s42
	s_and_saveexec_b32 s5, s4
	s_cbranch_execnz .LBB378_31
.LBB378_21:                             ;   in Loop: Header=BB378_4 Depth=1
	s_wait_alu 0xfffe
	s_or_b32 exec_lo, exec_lo, s5
	s_and_saveexec_b32 s5, s1
.LBB378_22:                             ;   in Loop: Header=BB378_4 Depth=1
	v_dual_mov_b32 v2, v1 :: v_dual_mov_b32 v3, v1
	v_mov_b32_e32 v4, v1
	ds_store_b128 v16, v[1:4]
.LBB378_23:                             ;   in Loop: Header=BB378_4 Depth=1
	s_wait_alu 0xfffe
	s_or_b32 exec_lo, exec_lo, s5
	v_lshl_or_b32 v26, v23, 2, 64
	v_cmp_gt_u32_e32 vcc_lo, 24, v23
	s_wait_dscnt 0x0
	s_barrier_signal -1
	s_barrier_wait -1
	ds_bpermute_b32 v2, v26, v14
	ds_bpermute_b32 v3, v26, v15
	;; [unrolled: 1-line block ×4, first 2 shown]
	s_wait_alu 0xfffd
	v_cndmask_b32_e64 v6, 0, 8, vcc_lo
	v_cmp_gt_u32_e32 vcc_lo, 28, v23
	s_wait_dscnt 0x0
	global_inv scope:SCOPE_SE
	v_add_f64_e32 v[2:3], v[14:15], v[2:3]
	v_add_f64_e32 v[4:5], v[12:13], v[4:5]
	v_add_lshl_u32 v12, v6, v23, 2
	ds_bpermute_b32 v6, v12, v2
	ds_bpermute_b32 v7, v12, v3
	;; [unrolled: 1-line block ×4, first 2 shown]
	s_wait_dscnt 0x2
	v_add_f64_e32 v[2:3], v[2:3], v[6:7]
	s_wait_alu 0xfffd
	v_cndmask_b32_e64 v6, 0, 4, vcc_lo
	s_wait_dscnt 0x0
	v_add_f64_e32 v[4:5], v[4:5], v[8:9]
	v_cmp_gt_u32_e32 vcc_lo, 30, v23
	s_delay_alu instid0(VALU_DEP_3)
	v_add_lshl_u32 v13, v6, v23, 2
	ds_bpermute_b32 v6, v13, v2
	ds_bpermute_b32 v7, v13, v3
	;; [unrolled: 1-line block ×4, first 2 shown]
	s_wait_dscnt 0x2
	v_add_f64_e32 v[2:3], v[2:3], v[6:7]
	s_wait_alu 0xfffd
	v_cndmask_b32_e64 v6, 0, 2, vcc_lo
	s_wait_dscnt 0x0
	v_add_f64_e32 v[4:5], v[4:5], v[8:9]
	v_cmp_ne_u32_e32 vcc_lo, 31, v23
	s_delay_alu instid0(VALU_DEP_3)
	v_add_lshl_u32 v14, v6, v23, 2
	ds_bpermute_b32 v6, v14, v2
	ds_bpermute_b32 v7, v14, v3
	;; [unrolled: 1-line block ×4, first 2 shown]
	s_wait_dscnt 0x2
	v_add_f64_e32 v[2:3], v[2:3], v[6:7]
	s_wait_alu 0xfffd
	v_add_co_ci_u32_e64 v6, null, 0, v23, vcc_lo
	s_wait_dscnt 0x0
	v_add_f64_e32 v[4:5], v[4:5], v[8:9]
	s_delay_alu instid0(VALU_DEP_2)
	v_lshlrev_b32_e32 v15, 2, v6
	ds_bpermute_b32 v6, v15, v2
	ds_bpermute_b32 v7, v15, v3
	;; [unrolled: 1-line block ×4, first 2 shown]
	s_and_saveexec_b32 s5, s2
	s_cbranch_execz .LBB378_25
; %bb.24:                               ;   in Loop: Header=BB378_4 Depth=1
	s_wait_dscnt 0x0
	v_add_f64_e32 v[4:5], v[4:5], v[8:9]
	v_add_f64_e32 v[2:3], v[2:3], v[6:7]
	ds_store_b128 v17, v[2:5]
.LBB378_25:                             ;   in Loop: Header=BB378_4 Depth=1
	s_wait_alu 0xfffe
	s_or_b32 exec_lo, exec_lo, s5
	s_wait_dscnt 0x0
	v_mov_b32_e32 v8, 0
	v_dual_mov_b32 v9, 0 :: v_dual_mov_b32 v6, 0
	v_mov_b32_e32 v7, 0
	s_wait_loadcnt 0x0
	s_barrier_signal -1
	s_barrier_wait -1
	global_inv scope:SCOPE_SE
	s_and_saveexec_b32 s5, s1
	s_cbranch_execnz .LBB378_32
; %bb.26:                               ;   in Loop: Header=BB378_4 Depth=1
	s_wait_alu 0xfffe
	s_or_b32 exec_lo, exec_lo, s5
	s_and_saveexec_b32 s5, s1
	s_cbranch_execnz .LBB378_33
.LBB378_27:                             ;   in Loop: Header=BB378_4 Depth=1
	s_wait_alu 0xfffe
	s_or_b32 exec_lo, exec_lo, s5
                                        ; implicit-def: $vgpr4_vgpr5
	s_and_saveexec_b32 s5, s0
	s_cbranch_execnz .LBB378_34
	s_branch .LBB378_37
.LBB378_28:                             ;   in Loop: Header=BB378_4 Depth=1
	v_add_co_u32 v2, vcc_lo, v6, v21
	v_mov_b32_e32 v12, 0
	v_mov_b32_e32 v14, 0
	s_wait_alu 0xfffd
	v_add_co_ci_u32_e64 v3, null, v7, v20, vcc_lo
	v_dual_mov_b32 v13, 0 :: v_dual_mov_b32 v26, v0
	v_dual_mov_b32 v15, 0 :: v_dual_mov_b32 v4, v18
	s_mov_b32 s43, 0
.LBB378_29:                             ;   Parent Loop BB378_4 Depth=1
                                        ; =>  This Inner Loop Header: Depth=2
	s_delay_alu instid0(VALU_DEP_1) | instskip(NEXT) | instid1(VALU_DEP_3)
	v_ashrrev_i32_e32 v5, 31, v4
	v_add_nc_u32_e32 v26, 0x400, v26
	s_delay_alu instid0(VALU_DEP_2) | instskip(NEXT) | instid1(VALU_DEP_2)
	v_lshlrev_b64_e32 v[27:28], 4, v[4:5]
	v_cmp_le_i32_e64 s5, s28, v26
	v_add_nc_u32_e32 v4, s38, v4
	s_or_b32 s43, s5, s43
	v_add_co_u32 v31, vcc_lo, v8, v27
	s_wait_alu 0xfffd
	v_add_co_ci_u32_e64 v32, null, v9, v28, vcc_lo
	flat_load_b128 v[27:30], v[2:3] offset:-8
	flat_load_b128 v[31:34], v[31:32]
	v_add_co_u32 v2, vcc_lo, 0x4000, v2
	s_wait_alu 0xfffd
	v_add_co_ci_u32_e64 v3, null, 0, v3, vcc_lo
	s_wait_loadcnt_dscnt 0x0
	v_mul_f64_e32 v[35:36], v[29:30], v[33:34]
	v_mul_f64_e32 v[29:30], v[29:30], v[31:32]
	s_delay_alu instid0(VALU_DEP_2) | instskip(NEXT) | instid1(VALU_DEP_2)
	v_fma_f64 v[31:32], v[27:28], v[31:32], v[35:36]
	v_fma_f64 v[27:28], v[27:28], v[33:34], -v[29:30]
	s_delay_alu instid0(VALU_DEP_2) | instskip(NEXT) | instid1(VALU_DEP_2)
	v_add_f64_e32 v[14:15], v[14:15], v[31:32]
	v_add_f64_e32 v[12:13], v[12:13], v[27:28]
	s_and_not1_b32 exec_lo, exec_lo, s43
	s_cbranch_execnz .LBB378_29
; %bb.30:                               ;   in Loop: Header=BB378_4 Depth=1
	s_or_b32 exec_lo, exec_lo, s43
	s_delay_alu instid0(SALU_CYCLE_1)
	s_or_b32 exec_lo, exec_lo, s42
	s_and_saveexec_b32 s5, s4
	s_cbranch_execz .LBB378_21
.LBB378_31:                             ;   in Loop: Header=BB378_4 Depth=1
	v_add_co_u32 v2, vcc_lo, v6, v19
	s_wait_alu 0xfffd
	v_add_co_ci_u32_e64 v3, null, 0, v7, vcc_lo
	s_delay_alu instid0(VALU_DEP_2) | instskip(SKIP_1) | instid1(VALU_DEP_2)
	v_add_co_u32 v4, vcc_lo, v2, s30
	s_wait_alu 0xfffd
	v_add_co_ci_u32_e64 v5, null, s31, v3, vcc_lo
	v_add_co_u32 v2, vcc_lo, v8, v10
	s_wait_alu 0xfffd
	v_add_co_ci_u32_e64 v3, null, v9, v11, vcc_lo
	;; [unrolled: 3-line block ×3, first 2 shown]
	flat_load_b128 v[2:5], v[2:3]
	flat_load_b128 v[6:9], v[6:7]
	s_wait_loadcnt_dscnt 0x0
	v_mul_f64_e32 v[26:27], v[8:9], v[4:5]
	v_mul_f64_e32 v[8:9], v[8:9], v[2:3]
	s_delay_alu instid0(VALU_DEP_2) | instskip(NEXT) | instid1(VALU_DEP_2)
	v_fma_f64 v[2:3], v[6:7], v[2:3], v[26:27]
	v_fma_f64 v[4:5], v[6:7], v[4:5], -v[8:9]
	s_delay_alu instid0(VALU_DEP_2) | instskip(NEXT) | instid1(VALU_DEP_2)
	v_add_f64_e32 v[14:15], v[14:15], v[2:3]
	v_add_f64_e32 v[12:13], v[12:13], v[4:5]
	s_wait_alu 0xfffe
	s_or_b32 exec_lo, exec_lo, s5
	s_and_saveexec_b32 s5, s1
	s_cbranch_execnz .LBB378_22
	s_branch .LBB378_23
.LBB378_32:                             ;   in Loop: Header=BB378_4 Depth=1
	ds_load_b128 v[6:9], v16
	s_wait_alu 0xfffe
	s_or_b32 exec_lo, exec_lo, s5
	s_and_saveexec_b32 s5, s1
	s_cbranch_execz .LBB378_27
.LBB378_33:                             ;   in Loop: Header=BB378_4 Depth=1
	s_wait_dscnt 0x0
	ds_bpermute_b32 v2, v26, v6
	ds_bpermute_b32 v3, v26, v7
	ds_bpermute_b32 v4, v26, v8
	ds_bpermute_b32 v5, v26, v9
	s_wait_dscnt 0x2
	v_add_f64_e32 v[2:3], v[6:7], v[2:3]
	s_wait_dscnt 0x0
	v_add_f64_e32 v[4:5], v[8:9], v[4:5]
	ds_bpermute_b32 v6, v12, v2
	ds_bpermute_b32 v7, v12, v3
	ds_bpermute_b32 v8, v12, v4
	ds_bpermute_b32 v9, v12, v5
	s_wait_dscnt 0x2
	v_add_f64_e32 v[2:3], v[2:3], v[6:7]
	s_wait_dscnt 0x0
	v_add_f64_e32 v[4:5], v[4:5], v[8:9]
	;; [unrolled: 8-line block ×5, first 2 shown]
	s_wait_alu 0xfffe
	s_or_b32 exec_lo, exec_lo, s5
                                        ; implicit-def: $vgpr4_vgpr5
	s_and_saveexec_b32 s5, s0
	s_cbranch_execz .LBB378_37
.LBB378_34:                             ;   in Loop: Header=BB378_4 Depth=1
	s_wait_dscnt 0x0
	s_delay_alu instid0(VALU_DEP_1) | instskip(SKIP_2) | instid1(VALU_DEP_2)
	v_mul_f64_e32 v[2:3], s[10:11], v[8:9]
	v_mul_f64_e32 v[4:5], s[8:9], v[8:9]
	s_and_not1_b32 vcc_lo, exec_lo, s40
	v_fma_f64 v[2:3], s[8:9], v[6:7], -v[2:3]
	s_delay_alu instid0(VALU_DEP_2)
	v_fma_f64 v[4:5], s[10:11], v[6:7], v[4:5]
	s_wait_alu 0xfffe
	s_cbranch_vccnz .LBB378_36
; %bb.35:                               ;   in Loop: Header=BB378_4 Depth=1
	v_add_co_u32 v6, vcc_lo, v24, s34
	s_wait_alu 0xfffd
	v_add_co_ci_u32_e64 v7, null, s35, v25, vcc_lo
	flat_load_b128 v[6:9], v[6:7]
	s_wait_loadcnt_dscnt 0x0
	v_mul_f64_e32 v[12:13], s[14:15], v[8:9]
	v_mul_f64_e32 v[8:9], s[12:13], v[8:9]
	s_delay_alu instid0(VALU_DEP_2) | instskip(NEXT) | instid1(VALU_DEP_2)
	v_fma_f64 v[12:13], s[12:13], v[6:7], -v[12:13]
	v_fma_f64 v[6:7], s[14:15], v[6:7], v[8:9]
	s_delay_alu instid0(VALU_DEP_2) | instskip(NEXT) | instid1(VALU_DEP_2)
	v_add_f64_e32 v[2:3], v[2:3], v[12:13]
	v_add_f64_e32 v[4:5], v[4:5], v[6:7]
.LBB378_36:                             ;   in Loop: Header=BB378_4 Depth=1
	s_or_b32 s29, s29, exec_lo
.LBB378_37:                             ;   in Loop: Header=BB378_4 Depth=1
	s_wait_alu 0xfffe
	s_or_b32 exec_lo, exec_lo, s5
.LBB378_38:                             ;   in Loop: Header=BB378_4 Depth=1
	s_wait_alu 0xfffe
	s_and_saveexec_b32 s5, s29
	s_cbranch_execz .LBB378_2
; %bb.39:                               ;   in Loop: Header=BB378_4 Depth=1
	s_wait_dscnt 0x0
	v_add_co_u32 v6, vcc_lo, v24, s34
	s_wait_alu 0xfffd
	v_add_co_ci_u32_e64 v7, null, s35, v25, vcc_lo
	flat_store_b128 v[6:7], v[2:5]
	s_branch .LBB378_2
.LBB378_40:
	s_endpgm
	.section	.rodata,"a",@progbits
	.p2align	6, 0x0
	.amdhsa_kernel _ZL32rocblas_gemvt_warp_reduce_kernelILb1ELi1024EiPK19rocblas_complex_numIdES1_KPS1_EviiT3_lPKT2_lT1_lS9_lSA_lS6_lPT4_lSA_li
		.amdhsa_group_segment_fixed_size 512
		.amdhsa_private_segment_fixed_size 0
		.amdhsa_kernarg_size 156
		.amdhsa_user_sgpr_count 2
		.amdhsa_user_sgpr_dispatch_ptr 0
		.amdhsa_user_sgpr_queue_ptr 0
		.amdhsa_user_sgpr_kernarg_segment_ptr 1
		.amdhsa_user_sgpr_dispatch_id 0
		.amdhsa_user_sgpr_private_segment_size 0
		.amdhsa_wavefront_size32 1
		.amdhsa_uses_dynamic_stack 0
		.amdhsa_enable_private_segment 0
		.amdhsa_system_sgpr_workgroup_id_x 1
		.amdhsa_system_sgpr_workgroup_id_y 0
		.amdhsa_system_sgpr_workgroup_id_z 1
		.amdhsa_system_sgpr_workgroup_info 0
		.amdhsa_system_vgpr_workitem_id 0
		.amdhsa_next_free_vgpr 37
		.amdhsa_next_free_sgpr 44
		.amdhsa_reserve_vcc 1
		.amdhsa_float_round_mode_32 0
		.amdhsa_float_round_mode_16_64 0
		.amdhsa_float_denorm_mode_32 3
		.amdhsa_float_denorm_mode_16_64 3
		.amdhsa_fp16_overflow 0
		.amdhsa_workgroup_processor_mode 1
		.amdhsa_memory_ordered 1
		.amdhsa_forward_progress 1
		.amdhsa_inst_pref_size 18
		.amdhsa_round_robin_scheduling 0
		.amdhsa_exception_fp_ieee_invalid_op 0
		.amdhsa_exception_fp_denorm_src 0
		.amdhsa_exception_fp_ieee_div_zero 0
		.amdhsa_exception_fp_ieee_overflow 0
		.amdhsa_exception_fp_ieee_underflow 0
		.amdhsa_exception_fp_ieee_inexact 0
		.amdhsa_exception_int_div_zero 0
	.end_amdhsa_kernel
	.section	.text._ZL32rocblas_gemvt_warp_reduce_kernelILb1ELi1024EiPK19rocblas_complex_numIdES1_KPS1_EviiT3_lPKT2_lT1_lS9_lSA_lS6_lPT4_lSA_li,"axG",@progbits,_ZL32rocblas_gemvt_warp_reduce_kernelILb1ELi1024EiPK19rocblas_complex_numIdES1_KPS1_EviiT3_lPKT2_lT1_lS9_lSA_lS6_lPT4_lSA_li,comdat
.Lfunc_end378:
	.size	_ZL32rocblas_gemvt_warp_reduce_kernelILb1ELi1024EiPK19rocblas_complex_numIdES1_KPS1_EviiT3_lPKT2_lT1_lS9_lSA_lS6_lPT4_lSA_li, .Lfunc_end378-_ZL32rocblas_gemvt_warp_reduce_kernelILb1ELi1024EiPK19rocblas_complex_numIdES1_KPS1_EviiT3_lPKT2_lT1_lS9_lSA_lS6_lPT4_lSA_li
                                        ; -- End function
	.set _ZL32rocblas_gemvt_warp_reduce_kernelILb1ELi1024EiPK19rocblas_complex_numIdES1_KPS1_EviiT3_lPKT2_lT1_lS9_lSA_lS6_lPT4_lSA_li.num_vgpr, 37
	.set _ZL32rocblas_gemvt_warp_reduce_kernelILb1ELi1024EiPK19rocblas_complex_numIdES1_KPS1_EviiT3_lPKT2_lT1_lS9_lSA_lS6_lPT4_lSA_li.num_agpr, 0
	.set _ZL32rocblas_gemvt_warp_reduce_kernelILb1ELi1024EiPK19rocblas_complex_numIdES1_KPS1_EviiT3_lPKT2_lT1_lS9_lSA_lS6_lPT4_lSA_li.numbered_sgpr, 44
	.set _ZL32rocblas_gemvt_warp_reduce_kernelILb1ELi1024EiPK19rocblas_complex_numIdES1_KPS1_EviiT3_lPKT2_lT1_lS9_lSA_lS6_lPT4_lSA_li.num_named_barrier, 0
	.set _ZL32rocblas_gemvt_warp_reduce_kernelILb1ELi1024EiPK19rocblas_complex_numIdES1_KPS1_EviiT3_lPKT2_lT1_lS9_lSA_lS6_lPT4_lSA_li.private_seg_size, 0
	.set _ZL32rocblas_gemvt_warp_reduce_kernelILb1ELi1024EiPK19rocblas_complex_numIdES1_KPS1_EviiT3_lPKT2_lT1_lS9_lSA_lS6_lPT4_lSA_li.uses_vcc, 1
	.set _ZL32rocblas_gemvt_warp_reduce_kernelILb1ELi1024EiPK19rocblas_complex_numIdES1_KPS1_EviiT3_lPKT2_lT1_lS9_lSA_lS6_lPT4_lSA_li.uses_flat_scratch, 0
	.set _ZL32rocblas_gemvt_warp_reduce_kernelILb1ELi1024EiPK19rocblas_complex_numIdES1_KPS1_EviiT3_lPKT2_lT1_lS9_lSA_lS6_lPT4_lSA_li.has_dyn_sized_stack, 0
	.set _ZL32rocblas_gemvt_warp_reduce_kernelILb1ELi1024EiPK19rocblas_complex_numIdES1_KPS1_EviiT3_lPKT2_lT1_lS9_lSA_lS6_lPT4_lSA_li.has_recursion, 0
	.set _ZL32rocblas_gemvt_warp_reduce_kernelILb1ELi1024EiPK19rocblas_complex_numIdES1_KPS1_EviiT3_lPKT2_lT1_lS9_lSA_lS6_lPT4_lSA_li.has_indirect_call, 0
	.section	.AMDGPU.csdata,"",@progbits
; Kernel info:
; codeLenInByte = 2276
; TotalNumSgprs: 46
; NumVgprs: 37
; ScratchSize: 0
; MemoryBound: 0
; FloatMode: 240
; IeeeMode: 1
; LDSByteSize: 512 bytes/workgroup (compile time only)
; SGPRBlocks: 0
; VGPRBlocks: 4
; NumSGPRsForWavesPerEU: 46
; NumVGPRsForWavesPerEU: 37
; Occupancy: 16
; WaveLimiterHint : 1
; COMPUTE_PGM_RSRC2:SCRATCH_EN: 0
; COMPUTE_PGM_RSRC2:USER_SGPR: 2
; COMPUTE_PGM_RSRC2:TRAP_HANDLER: 0
; COMPUTE_PGM_RSRC2:TGID_X_EN: 1
; COMPUTE_PGM_RSRC2:TGID_Y_EN: 0
; COMPUTE_PGM_RSRC2:TGID_Z_EN: 1
; COMPUTE_PGM_RSRC2:TIDIG_COMP_CNT: 0
	.section	.text._ZL32rocblas_gemvt_warp_reduce_kernelILb1ELi1024ElPK19rocblas_complex_numIdES1_KPS1_EviiT3_lPKT2_lT1_lS9_lSA_lS6_lPT4_lSA_li,"axG",@progbits,_ZL32rocblas_gemvt_warp_reduce_kernelILb1ELi1024ElPK19rocblas_complex_numIdES1_KPS1_EviiT3_lPKT2_lT1_lS9_lSA_lS6_lPT4_lSA_li,comdat
	.globl	_ZL32rocblas_gemvt_warp_reduce_kernelILb1ELi1024ElPK19rocblas_complex_numIdES1_KPS1_EviiT3_lPKT2_lT1_lS9_lSA_lS6_lPT4_lSA_li ; -- Begin function _ZL32rocblas_gemvt_warp_reduce_kernelILb1ELi1024ElPK19rocblas_complex_numIdES1_KPS1_EviiT3_lPKT2_lT1_lS9_lSA_lS6_lPT4_lSA_li
	.p2align	8
	.type	_ZL32rocblas_gemvt_warp_reduce_kernelILb1ELi1024ElPK19rocblas_complex_numIdES1_KPS1_EviiT3_lPKT2_lT1_lS9_lSA_lS6_lPT4_lSA_li,@function
_ZL32rocblas_gemvt_warp_reduce_kernelILb1ELi1024ElPK19rocblas_complex_numIdES1_KPS1_EviiT3_lPKT2_lT1_lS9_lSA_lS6_lPT4_lSA_li: ; @_ZL32rocblas_gemvt_warp_reduce_kernelILb1ELi1024ElPK19rocblas_complex_numIdES1_KPS1_EviiT3_lPKT2_lT1_lS9_lSA_lS6_lPT4_lSA_li
; %bb.0:
	s_load_b32 s33, s[0:1], 0x98
	s_lshr_b32 s6, ttmp7, 16
	s_wait_kmcnt 0x0
	s_cmp_ge_u32 s6, s33
	s_cbranch_scc1 .LBB379_40
; %bb.1:
	s_clause 0x8
	s_load_b128 s[8:11], s[0:1], 0x8
	s_load_b128 s[12:15], s[0:1], 0x60
	s_load_b32 s38, s[0:1], 0x0
	s_load_b128 s[16:19], s[0:1], 0x78
	s_load_b64 s[36:37], s[0:1], 0x50
	s_load_b64 s[28:29], s[0:1], 0x88
	s_load_b128 s[20:23], s[0:1], 0x20
	s_load_b64 s[30:31], s[0:1], 0x30
	s_load_b128 s[24:27], s[0:1], 0x40
	v_dual_mov_b32 v1, 0 :: v_dual_and_b32 v2, 31, v0
	v_lshrrev_b32_e32 v3, 1, v0
	s_mov_b32 s4, ttmp9
	s_ashr_i32 s5, ttmp9, 31
	s_delay_alu instid0(VALU_DEP_2)
	v_lshlrev_b32_e32 v18, 4, v2
	v_cmp_eq_u32_e64 s2, 0, v2
	v_cmp_eq_u32_e64 s0, 0, v0
	v_cmp_gt_u32_e64 s1, 32, v0
	v_mbcnt_lo_u32_b32 v24, -1, 0
	s_mov_b32 s7, 0
	s_wait_kmcnt 0x0
	v_cmp_neq_f64_e64 s39, s[8:9], 0
	v_cmp_neq_f64_e64 s44, s[10:11], 0
	v_cmp_neq_f64_e64 s40, s[12:13], 1.0
	v_cmp_neq_f64_e64 s41, s[14:15], 0
	v_cmp_neq_f64_e64 s45, s[12:13], 0
	s_ashr_i32 s3, s38, 31
	v_cmp_gt_i32_e32 vcc_lo, s38, v0
	s_lshr_b32 s3, s3, 22
	v_and_b32_e32 v19, 0x1f0, v3
	v_mad_co_u64_u32 v[2:3], null, s36, v0, 0
	s_add_co_i32 s3, s38, s3
	s_mul_u64 s[42:43], s[28:29], s[4:5]
	s_mul_u64 s[4:5], s[30:31], s[4:5]
	s_and_b32 s30, s3, 0xfffffc00
	v_cndmask_b32_e32 v6, 0, v0, vcc_lo
	v_or_b32_e32 v7, s30, v0
	v_mad_co_u64_u32 v[3:4], null, s37, v0, v[3:4]
	s_ashr_i32 s31, s30, 31
	v_lshlrev_b32_e32 v8, 4, v6
	v_mul_lo_u32 v9, s37, v7
	v_mad_co_u64_u32 v[4:5], null, s36, v7, 0
	s_lshl_b64 s[34:35], s[4:5], 4
	s_wait_alu 0xfffe
	s_mul_i32 s5, s36, s31
	v_lshlrev_b64_e32 v[10:11], 4, v[2:3]
	v_add_co_u32 v8, s4, s34, v8
	v_cmp_gt_i32_e64 s3, s30, v0
	v_add3_u32 v5, v5, s5, v9
	v_add_co_ci_u32_e64 v20, null, s35, 0, s4
	v_cmp_gt_i32_e64 s4, s38, v7
	v_or_b32_e32 v21, 8, v8
	s_delay_alu instid0(VALU_DEP_4)
	v_lshlrev_b64_e32 v[12:13], 4, v[4:5]
	v_or_b32_e32 v10, 8, v10
	v_lshlrev_b32_e32 v23, 4, v6
	s_lshl_b64 s[28:29], s[36:37], 14
	s_or_b32 s5, s39, s44
	s_lshl_b64 s[22:23], s[22:23], 4
	s_wait_alu 0xfffe
	v_cndmask_b32_e64 v22, 0, 1, s5
	s_or_b32 s38, s40, s41
	s_xor_b32 s39, s5, -1
	s_or_b32 s40, s45, s41
	s_lshl_b64 s[26:27], s[26:27], 4
	s_lshl_b64 s[18:19], s[18:19], 4
	;; [unrolled: 1-line block ×3, first 2 shown]
	s_branch .LBB379_4
.LBB379_2:                              ;   in Loop: Header=BB379_4 Depth=1
	s_wait_alu 0xfffe
	s_or_b32 exec_lo, exec_lo, s5
.LBB379_3:                              ;   in Loop: Header=BB379_4 Depth=1
	s_add_co_i32 s6, s6, 0x10000
	s_delay_alu instid0(SALU_CYCLE_1)
	s_cmp_lt_u32 s6, s33
	s_cbranch_scc0 .LBB379_40
.LBB379_4:                              ; =>This Loop Header: Depth=1
                                        ;     Child Loop BB379_29 Depth 2
	s_wait_alu 0xfffe
	s_and_not1_b32 vcc_lo, exec_lo, s39
	s_mov_b32 s5, s7
	s_mov_b32 s41, -1
	s_wait_alu 0xfffe
	s_cbranch_vccnz .LBB379_7
; %bb.5:                                ;   in Loop: Header=BB379_4 Depth=1
	s_mov_b32 s41, 0
	s_and_b32 vcc_lo, exec_lo, s38
	s_mov_b32 s5, 0
	s_wait_alu 0xfffe
	s_cbranch_vccz .LBB379_7
; %bb.6:                                ;   in Loop: Header=BB379_4 Depth=1
	s_mov_b32 s5, -1
.LBB379_7:                              ;   in Loop: Header=BB379_4 Depth=1
	s_wait_dscnt 0x0
	v_mov_b32_e32 v6, 0
	v_mov_b32_e32 v7, 0
	s_and_b32 vcc_lo, exec_lo, s41
	s_wait_alu 0xfffe
	s_cbranch_vccnz .LBB379_9
; %bb.8:                                ;   in Loop: Header=BB379_4 Depth=1
	s_and_not1_b32 vcc_lo, exec_lo, s5
	s_wait_alu 0xfffe
	s_cbranch_vccnz .LBB379_3
	s_branch .LBB379_10
.LBB379_9:                              ;   in Loop: Header=BB379_4 Depth=1
	s_lshl_b64 s[42:43], s[6:7], 3
	s_wait_alu 0xfffe
	s_add_nc_u64 s[42:43], s[20:21], s[42:43]
	global_load_b64 v[2:3], v1, s[42:43]
	s_wait_loadcnt 0x0
	v_add_co_u32 v6, vcc_lo, v2, s22
	s_wait_alu 0xfffd
	v_add_co_ci_u32_e64 v7, null, s23, v3, vcc_lo
.LBB379_10:                             ;   in Loop: Header=BB379_4 Depth=1
	v_cmp_ne_u32_e32 vcc_lo, 1, v22
	v_mov_b32_e32 v8, 0
	v_mov_b32_e32 v9, 0
	s_cbranch_vccnz .LBB379_12
; %bb.11:                               ;   in Loop: Header=BB379_4 Depth=1
	s_lshl_b64 s[42:43], s[6:7], 3
	s_wait_alu 0xfffe
	s_add_nc_u64 s[42:43], s[24:25], s[42:43]
	global_load_b64 v[2:3], v1, s[42:43]
	s_wait_loadcnt 0x0
	v_add_co_u32 v8, vcc_lo, v2, s26
	s_wait_alu 0xfffd
	v_add_co_ci_u32_e64 v9, null, s27, v3, vcc_lo
.LBB379_12:                             ;   in Loop: Header=BB379_4 Depth=1
	s_lshl_b64 s[42:43], s[6:7], 3
	s_wait_alu 0xfffe
	s_add_nc_u64 s[42:43], s[16:17], s[42:43]
	global_load_b64 v[2:3], v1, s[42:43]
	s_wait_loadcnt 0x0
	v_add_co_u32 v25, vcc_lo, v2, s18
	s_wait_alu 0xfffd
	v_add_co_ci_u32_e64 v26, null, s19, v3, vcc_lo
	s_and_not1_b32 vcc_lo, exec_lo, s39
	s_wait_alu 0xfffe
	s_cbranch_vccnz .LBB379_17
; %bb.13:                               ;   in Loop: Header=BB379_4 Depth=1
	s_mov_b32 s5, 0
	s_mov_b32 s41, 0
                                        ; implicit-def: $vgpr4_vgpr5
	s_and_saveexec_b32 s42, s0
	s_cbranch_execz .LBB379_18
; %bb.14:                               ;   in Loop: Header=BB379_4 Depth=1
	v_mov_b32_e32 v4, 0
	v_dual_mov_b32 v5, 0 :: v_dual_mov_b32 v2, 0
	v_mov_b32_e32 v3, 0
	s_and_not1_b32 vcc_lo, exec_lo, s40
	s_wait_alu 0xfffe
	s_cbranch_vccnz .LBB379_16
; %bb.15:                               ;   in Loop: Header=BB379_4 Depth=1
	v_add_co_u32 v2, vcc_lo, v25, s36
	s_wait_alu 0xfffd
	v_add_co_ci_u32_e64 v3, null, s37, v26, vcc_lo
	flat_load_b128 v[14:17], v[2:3]
	s_wait_loadcnt_dscnt 0x0
	v_mul_f64_e32 v[2:3], s[14:15], v[16:17]
	v_mul_f64_e32 v[4:5], s[12:13], v[16:17]
	s_delay_alu instid0(VALU_DEP_2) | instskip(NEXT) | instid1(VALU_DEP_2)
	v_fma_f64 v[2:3], s[12:13], v[14:15], -v[2:3]
	v_fma_f64 v[4:5], s[14:15], v[14:15], v[4:5]
.LBB379_16:                             ;   in Loop: Header=BB379_4 Depth=1
	s_mov_b32 s41, exec_lo
	s_or_b32 exec_lo, exec_lo, s42
	s_delay_alu instid0(SALU_CYCLE_1)
	s_and_b32 vcc_lo, exec_lo, s5
	s_wait_alu 0xfffe
	s_cbranch_vccnz .LBB379_19
	s_branch .LBB379_38
.LBB379_17:                             ;   in Loop: Header=BB379_4 Depth=1
	s_mov_b32 s41, 0
                                        ; implicit-def: $vgpr4_vgpr5
	s_cbranch_execnz .LBB379_19
	s_branch .LBB379_38
.LBB379_18:                             ;   in Loop: Header=BB379_4 Depth=1
	s_wait_alu 0xfffe
	s_or_b32 exec_lo, exec_lo, s42
	s_delay_alu instid0(SALU_CYCLE_1)
	s_and_b32 vcc_lo, exec_lo, s5
	s_wait_alu 0xfffe
	s_cbranch_vccz .LBB379_38
.LBB379_19:                             ;   in Loop: Header=BB379_4 Depth=1
	v_mov_b32_e32 v14, 0
	v_dual_mov_b32 v15, 0 :: v_dual_mov_b32 v16, 0
	v_mov_b32_e32 v17, 0
	s_and_saveexec_b32 s42, s3
	s_cbranch_execnz .LBB379_28
; %bb.20:                               ;   in Loop: Header=BB379_4 Depth=1
	s_wait_alu 0xfffe
	s_or_b32 exec_lo, exec_lo, s42
	s_and_saveexec_b32 s5, s4
	s_cbranch_execnz .LBB379_31
.LBB379_21:                             ;   in Loop: Header=BB379_4 Depth=1
	s_wait_alu 0xfffe
	s_or_b32 exec_lo, exec_lo, s5
	s_and_saveexec_b32 s5, s1
.LBB379_22:                             ;   in Loop: Header=BB379_4 Depth=1
	v_dual_mov_b32 v2, v1 :: v_dual_mov_b32 v3, v1
	v_mov_b32_e32 v4, v1
	ds_store_b128 v18, v[1:4]
.LBB379_23:                             ;   in Loop: Header=BB379_4 Depth=1
	s_wait_alu 0xfffe
	s_or_b32 exec_lo, exec_lo, s5
	v_lshl_or_b32 v27, v24, 2, 64
	v_cmp_gt_u32_e32 vcc_lo, 24, v24
	s_wait_dscnt 0x0
	s_barrier_signal -1
	s_barrier_wait -1
	ds_bpermute_b32 v2, v27, v16
	ds_bpermute_b32 v3, v27, v17
	;; [unrolled: 1-line block ×4, first 2 shown]
	s_wait_alu 0xfffd
	v_cndmask_b32_e64 v6, 0, 8, vcc_lo
	v_cmp_gt_u32_e32 vcc_lo, 28, v24
	s_wait_dscnt 0x0
	global_inv scope:SCOPE_SE
	v_add_f64_e32 v[2:3], v[16:17], v[2:3]
	v_add_f64_e32 v[4:5], v[14:15], v[4:5]
	v_add_lshl_u32 v14, v6, v24, 2
	ds_bpermute_b32 v6, v14, v2
	ds_bpermute_b32 v7, v14, v3
	;; [unrolled: 1-line block ×4, first 2 shown]
	s_wait_dscnt 0x2
	v_add_f64_e32 v[2:3], v[2:3], v[6:7]
	s_wait_alu 0xfffd
	v_cndmask_b32_e64 v6, 0, 4, vcc_lo
	s_wait_dscnt 0x0
	v_add_f64_e32 v[4:5], v[4:5], v[8:9]
	v_cmp_gt_u32_e32 vcc_lo, 30, v24
	s_delay_alu instid0(VALU_DEP_3)
	v_add_lshl_u32 v15, v6, v24, 2
	ds_bpermute_b32 v6, v15, v2
	ds_bpermute_b32 v7, v15, v3
	;; [unrolled: 1-line block ×4, first 2 shown]
	s_wait_dscnt 0x2
	v_add_f64_e32 v[2:3], v[2:3], v[6:7]
	s_wait_alu 0xfffd
	v_cndmask_b32_e64 v6, 0, 2, vcc_lo
	s_wait_dscnt 0x0
	v_add_f64_e32 v[4:5], v[4:5], v[8:9]
	v_cmp_ne_u32_e32 vcc_lo, 31, v24
	s_delay_alu instid0(VALU_DEP_3)
	v_add_lshl_u32 v16, v6, v24, 2
	ds_bpermute_b32 v6, v16, v2
	ds_bpermute_b32 v7, v16, v3
	;; [unrolled: 1-line block ×4, first 2 shown]
	s_wait_dscnt 0x2
	v_add_f64_e32 v[2:3], v[2:3], v[6:7]
	s_wait_alu 0xfffd
	v_add_co_ci_u32_e64 v6, null, 0, v24, vcc_lo
	s_wait_dscnt 0x0
	v_add_f64_e32 v[4:5], v[4:5], v[8:9]
	s_delay_alu instid0(VALU_DEP_2)
	v_lshlrev_b32_e32 v17, 2, v6
	ds_bpermute_b32 v6, v17, v2
	ds_bpermute_b32 v7, v17, v3
	;; [unrolled: 1-line block ×4, first 2 shown]
	s_and_saveexec_b32 s5, s2
	s_cbranch_execz .LBB379_25
; %bb.24:                               ;   in Loop: Header=BB379_4 Depth=1
	s_wait_dscnt 0x0
	v_add_f64_e32 v[4:5], v[4:5], v[8:9]
	v_add_f64_e32 v[2:3], v[2:3], v[6:7]
	ds_store_b128 v19, v[2:5]
.LBB379_25:                             ;   in Loop: Header=BB379_4 Depth=1
	s_wait_alu 0xfffe
	s_or_b32 exec_lo, exec_lo, s5
	s_wait_dscnt 0x0
	v_mov_b32_e32 v8, 0
	v_dual_mov_b32 v9, 0 :: v_dual_mov_b32 v6, 0
	v_mov_b32_e32 v7, 0
	s_wait_loadcnt 0x0
	s_barrier_signal -1
	s_barrier_wait -1
	global_inv scope:SCOPE_SE
	s_and_saveexec_b32 s5, s1
	s_cbranch_execnz .LBB379_32
; %bb.26:                               ;   in Loop: Header=BB379_4 Depth=1
	s_wait_alu 0xfffe
	s_or_b32 exec_lo, exec_lo, s5
	s_and_saveexec_b32 s5, s1
	s_cbranch_execnz .LBB379_33
.LBB379_27:                             ;   in Loop: Header=BB379_4 Depth=1
	s_wait_alu 0xfffe
	s_or_b32 exec_lo, exec_lo, s5
                                        ; implicit-def: $vgpr4_vgpr5
	s_and_saveexec_b32 s5, s0
	s_cbranch_execnz .LBB379_34
	s_branch .LBB379_37
.LBB379_28:                             ;   in Loop: Header=BB379_4 Depth=1
	v_add_co_u32 v2, vcc_lo, v6, v21
	s_wait_alu 0xfffd
	v_add_co_ci_u32_e64 v3, null, v7, v20, vcc_lo
	v_add_co_u32 v4, vcc_lo, v8, v10
	v_mov_b32_e32 v14, 0
	v_dual_mov_b32 v15, 0 :: v_dual_mov_b32 v16, 0
	s_wait_alu 0xfffd
	v_add_co_ci_u32_e64 v5, null, v9, v11, vcc_lo
	v_mov_b32_e32 v17, 0
	v_mov_b32_e32 v27, v0
	s_mov_b32 s43, 0
.LBB379_29:                             ;   Parent Loop BB379_4 Depth=1
                                        ; =>  This Inner Loop Header: Depth=2
	flat_load_b128 v[28:31], v[2:3] offset:-8
	flat_load_b128 v[32:35], v[4:5] offset:-8
	v_add_nc_u32_e32 v27, 0x400, v27
	v_add_co_u32 v2, vcc_lo, 0x4000, v2
	s_wait_alu 0xfffd
	v_add_co_ci_u32_e64 v3, null, 0, v3, vcc_lo
	s_delay_alu instid0(VALU_DEP_3)
	v_cmp_le_i32_e32 vcc_lo, s30, v27
	v_add_co_u32 v4, s5, v4, s28
	s_wait_alu 0xf1ff
	v_add_co_ci_u32_e64 v5, null, s29, v5, s5
	s_wait_alu 0xfffe
	s_or_b32 s43, vcc_lo, s43
	s_wait_loadcnt_dscnt 0x0
	v_mul_f64_e32 v[36:37], v[30:31], v[34:35]
	v_mul_f64_e32 v[30:31], v[30:31], v[32:33]
	s_delay_alu instid0(VALU_DEP_2) | instskip(NEXT) | instid1(VALU_DEP_2)
	v_fma_f64 v[32:33], v[28:29], v[32:33], v[36:37]
	v_fma_f64 v[28:29], v[28:29], v[34:35], -v[30:31]
	s_delay_alu instid0(VALU_DEP_2) | instskip(NEXT) | instid1(VALU_DEP_2)
	v_add_f64_e32 v[16:17], v[16:17], v[32:33]
	v_add_f64_e32 v[14:15], v[14:15], v[28:29]
	s_wait_alu 0xfffe
	s_and_not1_b32 exec_lo, exec_lo, s43
	s_cbranch_execnz .LBB379_29
; %bb.30:                               ;   in Loop: Header=BB379_4 Depth=1
	s_or_b32 exec_lo, exec_lo, s43
	s_delay_alu instid0(SALU_CYCLE_1)
	s_or_b32 exec_lo, exec_lo, s42
	s_and_saveexec_b32 s5, s4
	s_cbranch_execz .LBB379_21
.LBB379_31:                             ;   in Loop: Header=BB379_4 Depth=1
	v_add_co_u32 v2, vcc_lo, v6, v23
	s_wait_alu 0xfffd
	v_add_co_ci_u32_e64 v3, null, 0, v7, vcc_lo
	s_lshl_b64 s[42:43], s[30:31], 4
	v_add_co_u32 v4, vcc_lo, v2, s34
	s_wait_alu 0xfffd
	v_add_co_ci_u32_e64 v5, null, s35, v3, vcc_lo
	v_add_co_u32 v2, vcc_lo, v8, v12
	s_wait_alu 0xfffd
	v_add_co_ci_u32_e64 v3, null, v9, v13, vcc_lo
	s_wait_alu 0xfffe
	v_add_co_u32 v6, vcc_lo, v4, s42
	s_wait_alu 0xfffd
	v_add_co_ci_u32_e64 v7, null, s43, v5, vcc_lo
	flat_load_b128 v[2:5], v[2:3]
	flat_load_b128 v[6:9], v[6:7]
	s_wait_loadcnt_dscnt 0x0
	v_mul_f64_e32 v[27:28], v[8:9], v[4:5]
	v_mul_f64_e32 v[8:9], v[8:9], v[2:3]
	s_delay_alu instid0(VALU_DEP_2) | instskip(NEXT) | instid1(VALU_DEP_2)
	v_fma_f64 v[2:3], v[6:7], v[2:3], v[27:28]
	v_fma_f64 v[4:5], v[6:7], v[4:5], -v[8:9]
	s_delay_alu instid0(VALU_DEP_2) | instskip(NEXT) | instid1(VALU_DEP_2)
	v_add_f64_e32 v[16:17], v[16:17], v[2:3]
	v_add_f64_e32 v[14:15], v[14:15], v[4:5]
	s_or_b32 exec_lo, exec_lo, s5
	s_and_saveexec_b32 s5, s1
	s_cbranch_execnz .LBB379_22
	s_branch .LBB379_23
.LBB379_32:                             ;   in Loop: Header=BB379_4 Depth=1
	ds_load_b128 v[6:9], v18
	s_wait_alu 0xfffe
	s_or_b32 exec_lo, exec_lo, s5
	s_and_saveexec_b32 s5, s1
	s_cbranch_execz .LBB379_27
.LBB379_33:                             ;   in Loop: Header=BB379_4 Depth=1
	s_wait_dscnt 0x0
	ds_bpermute_b32 v2, v27, v6
	ds_bpermute_b32 v3, v27, v7
	ds_bpermute_b32 v4, v27, v8
	ds_bpermute_b32 v5, v27, v9
	s_wait_dscnt 0x2
	v_add_f64_e32 v[2:3], v[6:7], v[2:3]
	s_wait_dscnt 0x0
	v_add_f64_e32 v[4:5], v[8:9], v[4:5]
	ds_bpermute_b32 v6, v14, v2
	ds_bpermute_b32 v7, v14, v3
	ds_bpermute_b32 v8, v14, v4
	ds_bpermute_b32 v9, v14, v5
	s_wait_dscnt 0x2
	v_add_f64_e32 v[2:3], v[2:3], v[6:7]
	s_wait_dscnt 0x0
	v_add_f64_e32 v[4:5], v[4:5], v[8:9]
	;; [unrolled: 8-line block ×5, first 2 shown]
	s_wait_alu 0xfffe
	s_or_b32 exec_lo, exec_lo, s5
                                        ; implicit-def: $vgpr4_vgpr5
	s_and_saveexec_b32 s5, s0
	s_cbranch_execz .LBB379_37
.LBB379_34:                             ;   in Loop: Header=BB379_4 Depth=1
	s_wait_dscnt 0x0
	s_delay_alu instid0(VALU_DEP_1) | instskip(SKIP_2) | instid1(VALU_DEP_2)
	v_mul_f64_e32 v[2:3], s[10:11], v[8:9]
	v_mul_f64_e32 v[4:5], s[8:9], v[8:9]
	s_and_not1_b32 vcc_lo, exec_lo, s40
	v_fma_f64 v[2:3], s[8:9], v[6:7], -v[2:3]
	s_delay_alu instid0(VALU_DEP_2)
	v_fma_f64 v[4:5], s[10:11], v[6:7], v[4:5]
	s_wait_alu 0xfffe
	s_cbranch_vccnz .LBB379_36
; %bb.35:                               ;   in Loop: Header=BB379_4 Depth=1
	v_add_co_u32 v6, vcc_lo, v25, s36
	s_wait_alu 0xfffd
	v_add_co_ci_u32_e64 v7, null, s37, v26, vcc_lo
	flat_load_b128 v[6:9], v[6:7]
	s_wait_loadcnt_dscnt 0x0
	v_mul_f64_e32 v[14:15], s[14:15], v[8:9]
	v_mul_f64_e32 v[8:9], s[12:13], v[8:9]
	s_delay_alu instid0(VALU_DEP_2) | instskip(NEXT) | instid1(VALU_DEP_2)
	v_fma_f64 v[14:15], s[12:13], v[6:7], -v[14:15]
	v_fma_f64 v[6:7], s[14:15], v[6:7], v[8:9]
	s_delay_alu instid0(VALU_DEP_2) | instskip(NEXT) | instid1(VALU_DEP_2)
	v_add_f64_e32 v[2:3], v[2:3], v[14:15]
	v_add_f64_e32 v[4:5], v[4:5], v[6:7]
.LBB379_36:                             ;   in Loop: Header=BB379_4 Depth=1
	s_or_b32 s41, s41, exec_lo
.LBB379_37:                             ;   in Loop: Header=BB379_4 Depth=1
	s_wait_alu 0xfffe
	s_or_b32 exec_lo, exec_lo, s5
.LBB379_38:                             ;   in Loop: Header=BB379_4 Depth=1
	s_and_saveexec_b32 s5, s41
	s_cbranch_execz .LBB379_2
; %bb.39:                               ;   in Loop: Header=BB379_4 Depth=1
	s_wait_dscnt 0x0
	v_add_co_u32 v6, vcc_lo, v25, s36
	s_wait_alu 0xfffd
	v_add_co_ci_u32_e64 v7, null, s37, v26, vcc_lo
	flat_store_b128 v[6:7], v[2:5]
	s_branch .LBB379_2
.LBB379_40:
	s_endpgm
	.section	.rodata,"a",@progbits
	.p2align	6, 0x0
	.amdhsa_kernel _ZL32rocblas_gemvt_warp_reduce_kernelILb1ELi1024ElPK19rocblas_complex_numIdES1_KPS1_EviiT3_lPKT2_lT1_lS9_lSA_lS6_lPT4_lSA_li
		.amdhsa_group_segment_fixed_size 512
		.amdhsa_private_segment_fixed_size 0
		.amdhsa_kernarg_size 156
		.amdhsa_user_sgpr_count 2
		.amdhsa_user_sgpr_dispatch_ptr 0
		.amdhsa_user_sgpr_queue_ptr 0
		.amdhsa_user_sgpr_kernarg_segment_ptr 1
		.amdhsa_user_sgpr_dispatch_id 0
		.amdhsa_user_sgpr_private_segment_size 0
		.amdhsa_wavefront_size32 1
		.amdhsa_uses_dynamic_stack 0
		.amdhsa_enable_private_segment 0
		.amdhsa_system_sgpr_workgroup_id_x 1
		.amdhsa_system_sgpr_workgroup_id_y 0
		.amdhsa_system_sgpr_workgroup_id_z 1
		.amdhsa_system_sgpr_workgroup_info 0
		.amdhsa_system_vgpr_workitem_id 0
		.amdhsa_next_free_vgpr 38
		.amdhsa_next_free_sgpr 46
		.amdhsa_reserve_vcc 1
		.amdhsa_float_round_mode_32 0
		.amdhsa_float_round_mode_16_64 0
		.amdhsa_float_denorm_mode_32 3
		.amdhsa_float_denorm_mode_16_64 3
		.amdhsa_fp16_overflow 0
		.amdhsa_workgroup_processor_mode 1
		.amdhsa_memory_ordered 1
		.amdhsa_forward_progress 1
		.amdhsa_inst_pref_size 19
		.amdhsa_round_robin_scheduling 0
		.amdhsa_exception_fp_ieee_invalid_op 0
		.amdhsa_exception_fp_denorm_src 0
		.amdhsa_exception_fp_ieee_div_zero 0
		.amdhsa_exception_fp_ieee_overflow 0
		.amdhsa_exception_fp_ieee_underflow 0
		.amdhsa_exception_fp_ieee_inexact 0
		.amdhsa_exception_int_div_zero 0
	.end_amdhsa_kernel
	.section	.text._ZL32rocblas_gemvt_warp_reduce_kernelILb1ELi1024ElPK19rocblas_complex_numIdES1_KPS1_EviiT3_lPKT2_lT1_lS9_lSA_lS6_lPT4_lSA_li,"axG",@progbits,_ZL32rocblas_gemvt_warp_reduce_kernelILb1ELi1024ElPK19rocblas_complex_numIdES1_KPS1_EviiT3_lPKT2_lT1_lS9_lSA_lS6_lPT4_lSA_li,comdat
.Lfunc_end379:
	.size	_ZL32rocblas_gemvt_warp_reduce_kernelILb1ELi1024ElPK19rocblas_complex_numIdES1_KPS1_EviiT3_lPKT2_lT1_lS9_lSA_lS6_lPT4_lSA_li, .Lfunc_end379-_ZL32rocblas_gemvt_warp_reduce_kernelILb1ELi1024ElPK19rocblas_complex_numIdES1_KPS1_EviiT3_lPKT2_lT1_lS9_lSA_lS6_lPT4_lSA_li
                                        ; -- End function
	.set _ZL32rocblas_gemvt_warp_reduce_kernelILb1ELi1024ElPK19rocblas_complex_numIdES1_KPS1_EviiT3_lPKT2_lT1_lS9_lSA_lS6_lPT4_lSA_li.num_vgpr, 38
	.set _ZL32rocblas_gemvt_warp_reduce_kernelILb1ELi1024ElPK19rocblas_complex_numIdES1_KPS1_EviiT3_lPKT2_lT1_lS9_lSA_lS6_lPT4_lSA_li.num_agpr, 0
	.set _ZL32rocblas_gemvt_warp_reduce_kernelILb1ELi1024ElPK19rocblas_complex_numIdES1_KPS1_EviiT3_lPKT2_lT1_lS9_lSA_lS6_lPT4_lSA_li.numbered_sgpr, 46
	.set _ZL32rocblas_gemvt_warp_reduce_kernelILb1ELi1024ElPK19rocblas_complex_numIdES1_KPS1_EviiT3_lPKT2_lT1_lS9_lSA_lS6_lPT4_lSA_li.num_named_barrier, 0
	.set _ZL32rocblas_gemvt_warp_reduce_kernelILb1ELi1024ElPK19rocblas_complex_numIdES1_KPS1_EviiT3_lPKT2_lT1_lS9_lSA_lS6_lPT4_lSA_li.private_seg_size, 0
	.set _ZL32rocblas_gemvt_warp_reduce_kernelILb1ELi1024ElPK19rocblas_complex_numIdES1_KPS1_EviiT3_lPKT2_lT1_lS9_lSA_lS6_lPT4_lSA_li.uses_vcc, 1
	.set _ZL32rocblas_gemvt_warp_reduce_kernelILb1ELi1024ElPK19rocblas_complex_numIdES1_KPS1_EviiT3_lPKT2_lT1_lS9_lSA_lS6_lPT4_lSA_li.uses_flat_scratch, 0
	.set _ZL32rocblas_gemvt_warp_reduce_kernelILb1ELi1024ElPK19rocblas_complex_numIdES1_KPS1_EviiT3_lPKT2_lT1_lS9_lSA_lS6_lPT4_lSA_li.has_dyn_sized_stack, 0
	.set _ZL32rocblas_gemvt_warp_reduce_kernelILb1ELi1024ElPK19rocblas_complex_numIdES1_KPS1_EviiT3_lPKT2_lT1_lS9_lSA_lS6_lPT4_lSA_li.has_recursion, 0
	.set _ZL32rocblas_gemvt_warp_reduce_kernelILb1ELi1024ElPK19rocblas_complex_numIdES1_KPS1_EviiT3_lPKT2_lT1_lS9_lSA_lS6_lPT4_lSA_li.has_indirect_call, 0
	.section	.AMDGPU.csdata,"",@progbits
; Kernel info:
; codeLenInByte = 2320
; TotalNumSgprs: 48
; NumVgprs: 38
; ScratchSize: 0
; MemoryBound: 0
; FloatMode: 240
; IeeeMode: 1
; LDSByteSize: 512 bytes/workgroup (compile time only)
; SGPRBlocks: 0
; VGPRBlocks: 4
; NumSGPRsForWavesPerEU: 48
; NumVGPRsForWavesPerEU: 38
; Occupancy: 16
; WaveLimiterHint : 1
; COMPUTE_PGM_RSRC2:SCRATCH_EN: 0
; COMPUTE_PGM_RSRC2:USER_SGPR: 2
; COMPUTE_PGM_RSRC2:TRAP_HANDLER: 0
; COMPUTE_PGM_RSRC2:TGID_X_EN: 1
; COMPUTE_PGM_RSRC2:TGID_Y_EN: 0
; COMPUTE_PGM_RSRC2:TGID_Z_EN: 1
; COMPUTE_PGM_RSRC2:TIDIG_COMP_CNT: 0
	.section	.text._ZL34rocblas_gemvn_sm_mn_batched_kernelILi32ELi24EDF16_PKfDF16_EviiT2_lPKT1_lilS5_lilS2_lPT3_lili,"axG",@progbits,_ZL34rocblas_gemvn_sm_mn_batched_kernelILi32ELi24EDF16_PKfDF16_EviiT2_lPKT1_lilS5_lilS2_lPT3_lili,comdat
	.globl	_ZL34rocblas_gemvn_sm_mn_batched_kernelILi32ELi24EDF16_PKfDF16_EviiT2_lPKT1_lilS5_lilS2_lPT3_lili ; -- Begin function _ZL34rocblas_gemvn_sm_mn_batched_kernelILi32ELi24EDF16_PKfDF16_EviiT2_lPKT1_lilS5_lilS2_lPT3_lili
	.p2align	8
	.type	_ZL34rocblas_gemvn_sm_mn_batched_kernelILi32ELi24EDF16_PKfDF16_EviiT2_lPKT1_lilS5_lilS2_lPT3_lili,@function
_ZL34rocblas_gemvn_sm_mn_batched_kernelILi32ELi24EDF16_PKfDF16_EviiT2_lPKT1_lilS5_lilS2_lPT3_lili: ; @_ZL34rocblas_gemvn_sm_mn_batched_kernelILi32ELi24EDF16_PKfDF16_EviiT2_lPKT1_lilS5_lilS2_lPT3_lili
; %bb.0:
	s_endpgm
	.section	.rodata,"a",@progbits
	.p2align	6, 0x0
	.amdhsa_kernel _ZL34rocblas_gemvn_sm_mn_batched_kernelILi32ELi24EDF16_PKfDF16_EviiT2_lPKT1_lilS5_lilS2_lPT3_lili
		.amdhsa_group_segment_fixed_size 0
		.amdhsa_private_segment_fixed_size 0
		.amdhsa_kernarg_size 140
		.amdhsa_user_sgpr_count 2
		.amdhsa_user_sgpr_dispatch_ptr 0
		.amdhsa_user_sgpr_queue_ptr 0
		.amdhsa_user_sgpr_kernarg_segment_ptr 1
		.amdhsa_user_sgpr_dispatch_id 0
		.amdhsa_user_sgpr_private_segment_size 0
		.amdhsa_wavefront_size32 1
		.amdhsa_uses_dynamic_stack 0
		.amdhsa_enable_private_segment 0
		.amdhsa_system_sgpr_workgroup_id_x 1
		.amdhsa_system_sgpr_workgroup_id_y 0
		.amdhsa_system_sgpr_workgroup_id_z 0
		.amdhsa_system_sgpr_workgroup_info 0
		.amdhsa_system_vgpr_workitem_id 0
		.amdhsa_next_free_vgpr 1
		.amdhsa_next_free_sgpr 1
		.amdhsa_reserve_vcc 0
		.amdhsa_float_round_mode_32 0
		.amdhsa_float_round_mode_16_64 0
		.amdhsa_float_denorm_mode_32 3
		.amdhsa_float_denorm_mode_16_64 3
		.amdhsa_fp16_overflow 0
		.amdhsa_workgroup_processor_mode 1
		.amdhsa_memory_ordered 1
		.amdhsa_forward_progress 1
		.amdhsa_inst_pref_size 1
		.amdhsa_round_robin_scheduling 0
		.amdhsa_exception_fp_ieee_invalid_op 0
		.amdhsa_exception_fp_denorm_src 0
		.amdhsa_exception_fp_ieee_div_zero 0
		.amdhsa_exception_fp_ieee_overflow 0
		.amdhsa_exception_fp_ieee_underflow 0
		.amdhsa_exception_fp_ieee_inexact 0
		.amdhsa_exception_int_div_zero 0
	.end_amdhsa_kernel
	.section	.text._ZL34rocblas_gemvn_sm_mn_batched_kernelILi32ELi24EDF16_PKfDF16_EviiT2_lPKT1_lilS5_lilS2_lPT3_lili,"axG",@progbits,_ZL34rocblas_gemvn_sm_mn_batched_kernelILi32ELi24EDF16_PKfDF16_EviiT2_lPKT1_lilS5_lilS2_lPT3_lili,comdat
.Lfunc_end380:
	.size	_ZL34rocblas_gemvn_sm_mn_batched_kernelILi32ELi24EDF16_PKfDF16_EviiT2_lPKT1_lilS5_lilS2_lPT3_lili, .Lfunc_end380-_ZL34rocblas_gemvn_sm_mn_batched_kernelILi32ELi24EDF16_PKfDF16_EviiT2_lPKT1_lilS5_lilS2_lPT3_lili
                                        ; -- End function
	.set _ZL34rocblas_gemvn_sm_mn_batched_kernelILi32ELi24EDF16_PKfDF16_EviiT2_lPKT1_lilS5_lilS2_lPT3_lili.num_vgpr, 0
	.set _ZL34rocblas_gemvn_sm_mn_batched_kernelILi32ELi24EDF16_PKfDF16_EviiT2_lPKT1_lilS5_lilS2_lPT3_lili.num_agpr, 0
	.set _ZL34rocblas_gemvn_sm_mn_batched_kernelILi32ELi24EDF16_PKfDF16_EviiT2_lPKT1_lilS5_lilS2_lPT3_lili.numbered_sgpr, 0
	.set _ZL34rocblas_gemvn_sm_mn_batched_kernelILi32ELi24EDF16_PKfDF16_EviiT2_lPKT1_lilS5_lilS2_lPT3_lili.num_named_barrier, 0
	.set _ZL34rocblas_gemvn_sm_mn_batched_kernelILi32ELi24EDF16_PKfDF16_EviiT2_lPKT1_lilS5_lilS2_lPT3_lili.private_seg_size, 0
	.set _ZL34rocblas_gemvn_sm_mn_batched_kernelILi32ELi24EDF16_PKfDF16_EviiT2_lPKT1_lilS5_lilS2_lPT3_lili.uses_vcc, 0
	.set _ZL34rocblas_gemvn_sm_mn_batched_kernelILi32ELi24EDF16_PKfDF16_EviiT2_lPKT1_lilS5_lilS2_lPT3_lili.uses_flat_scratch, 0
	.set _ZL34rocblas_gemvn_sm_mn_batched_kernelILi32ELi24EDF16_PKfDF16_EviiT2_lPKT1_lilS5_lilS2_lPT3_lili.has_dyn_sized_stack, 0
	.set _ZL34rocblas_gemvn_sm_mn_batched_kernelILi32ELi24EDF16_PKfDF16_EviiT2_lPKT1_lilS5_lilS2_lPT3_lili.has_recursion, 0
	.set _ZL34rocblas_gemvn_sm_mn_batched_kernelILi32ELi24EDF16_PKfDF16_EviiT2_lPKT1_lilS5_lilS2_lPT3_lili.has_indirect_call, 0
	.section	.AMDGPU.csdata,"",@progbits
; Kernel info:
; codeLenInByte = 4
; TotalNumSgprs: 0
; NumVgprs: 0
; ScratchSize: 0
; MemoryBound: 0
; FloatMode: 240
; IeeeMode: 1
; LDSByteSize: 0 bytes/workgroup (compile time only)
; SGPRBlocks: 0
; VGPRBlocks: 0
; NumSGPRsForWavesPerEU: 1
; NumVGPRsForWavesPerEU: 1
; Occupancy: 16
; WaveLimiterHint : 0
; COMPUTE_PGM_RSRC2:SCRATCH_EN: 0
; COMPUTE_PGM_RSRC2:USER_SGPR: 2
; COMPUTE_PGM_RSRC2:TRAP_HANDLER: 0
; COMPUTE_PGM_RSRC2:TGID_X_EN: 1
; COMPUTE_PGM_RSRC2:TGID_Y_EN: 0
; COMPUTE_PGM_RSRC2:TGID_Z_EN: 0
; COMPUTE_PGM_RSRC2:TIDIG_COMP_CNT: 0
	.section	.text._ZL34rocblas_gemvn_sm_mn_batched_kernelILi32ELi24EDF16_fDF16_EviiT2_lPKT1_lilS3_lilS0_lPT3_lili,"axG",@progbits,_ZL34rocblas_gemvn_sm_mn_batched_kernelILi32ELi24EDF16_fDF16_EviiT2_lPKT1_lilS3_lilS0_lPT3_lili,comdat
	.globl	_ZL34rocblas_gemvn_sm_mn_batched_kernelILi32ELi24EDF16_fDF16_EviiT2_lPKT1_lilS3_lilS0_lPT3_lili ; -- Begin function _ZL34rocblas_gemvn_sm_mn_batched_kernelILi32ELi24EDF16_fDF16_EviiT2_lPKT1_lilS3_lilS0_lPT3_lili
	.p2align	8
	.type	_ZL34rocblas_gemvn_sm_mn_batched_kernelILi32ELi24EDF16_fDF16_EviiT2_lPKT1_lilS3_lilS0_lPT3_lili,@function
_ZL34rocblas_gemvn_sm_mn_batched_kernelILi32ELi24EDF16_fDF16_EviiT2_lPKT1_lilS3_lilS0_lPT3_lili: ; @_ZL34rocblas_gemvn_sm_mn_batched_kernelILi32ELi24EDF16_fDF16_EviiT2_lPKT1_lilS3_lilS0_lPT3_lili
; %bb.0:
	s_endpgm
	.section	.rodata,"a",@progbits
	.p2align	6, 0x0
	.amdhsa_kernel _ZL34rocblas_gemvn_sm_mn_batched_kernelILi32ELi24EDF16_fDF16_EviiT2_lPKT1_lilS3_lilS0_lPT3_lili
		.amdhsa_group_segment_fixed_size 0
		.amdhsa_private_segment_fixed_size 0
		.amdhsa_kernarg_size 140
		.amdhsa_user_sgpr_count 2
		.amdhsa_user_sgpr_dispatch_ptr 0
		.amdhsa_user_sgpr_queue_ptr 0
		.amdhsa_user_sgpr_kernarg_segment_ptr 1
		.amdhsa_user_sgpr_dispatch_id 0
		.amdhsa_user_sgpr_private_segment_size 0
		.amdhsa_wavefront_size32 1
		.amdhsa_uses_dynamic_stack 0
		.amdhsa_enable_private_segment 0
		.amdhsa_system_sgpr_workgroup_id_x 1
		.amdhsa_system_sgpr_workgroup_id_y 0
		.amdhsa_system_sgpr_workgroup_id_z 0
		.amdhsa_system_sgpr_workgroup_info 0
		.amdhsa_system_vgpr_workitem_id 0
		.amdhsa_next_free_vgpr 1
		.amdhsa_next_free_sgpr 1
		.amdhsa_reserve_vcc 0
		.amdhsa_float_round_mode_32 0
		.amdhsa_float_round_mode_16_64 0
		.amdhsa_float_denorm_mode_32 3
		.amdhsa_float_denorm_mode_16_64 3
		.amdhsa_fp16_overflow 0
		.amdhsa_workgroup_processor_mode 1
		.amdhsa_memory_ordered 1
		.amdhsa_forward_progress 1
		.amdhsa_inst_pref_size 1
		.amdhsa_round_robin_scheduling 0
		.amdhsa_exception_fp_ieee_invalid_op 0
		.amdhsa_exception_fp_denorm_src 0
		.amdhsa_exception_fp_ieee_div_zero 0
		.amdhsa_exception_fp_ieee_overflow 0
		.amdhsa_exception_fp_ieee_underflow 0
		.amdhsa_exception_fp_ieee_inexact 0
		.amdhsa_exception_int_div_zero 0
	.end_amdhsa_kernel
	.section	.text._ZL34rocblas_gemvn_sm_mn_batched_kernelILi32ELi24EDF16_fDF16_EviiT2_lPKT1_lilS3_lilS0_lPT3_lili,"axG",@progbits,_ZL34rocblas_gemvn_sm_mn_batched_kernelILi32ELi24EDF16_fDF16_EviiT2_lPKT1_lilS3_lilS0_lPT3_lili,comdat
.Lfunc_end381:
	.size	_ZL34rocblas_gemvn_sm_mn_batched_kernelILi32ELi24EDF16_fDF16_EviiT2_lPKT1_lilS3_lilS0_lPT3_lili, .Lfunc_end381-_ZL34rocblas_gemvn_sm_mn_batched_kernelILi32ELi24EDF16_fDF16_EviiT2_lPKT1_lilS3_lilS0_lPT3_lili
                                        ; -- End function
	.set _ZL34rocblas_gemvn_sm_mn_batched_kernelILi32ELi24EDF16_fDF16_EviiT2_lPKT1_lilS3_lilS0_lPT3_lili.num_vgpr, 0
	.set _ZL34rocblas_gemvn_sm_mn_batched_kernelILi32ELi24EDF16_fDF16_EviiT2_lPKT1_lilS3_lilS0_lPT3_lili.num_agpr, 0
	.set _ZL34rocblas_gemvn_sm_mn_batched_kernelILi32ELi24EDF16_fDF16_EviiT2_lPKT1_lilS3_lilS0_lPT3_lili.numbered_sgpr, 0
	.set _ZL34rocblas_gemvn_sm_mn_batched_kernelILi32ELi24EDF16_fDF16_EviiT2_lPKT1_lilS3_lilS0_lPT3_lili.num_named_barrier, 0
	.set _ZL34rocblas_gemvn_sm_mn_batched_kernelILi32ELi24EDF16_fDF16_EviiT2_lPKT1_lilS3_lilS0_lPT3_lili.private_seg_size, 0
	.set _ZL34rocblas_gemvn_sm_mn_batched_kernelILi32ELi24EDF16_fDF16_EviiT2_lPKT1_lilS3_lilS0_lPT3_lili.uses_vcc, 0
	.set _ZL34rocblas_gemvn_sm_mn_batched_kernelILi32ELi24EDF16_fDF16_EviiT2_lPKT1_lilS3_lilS0_lPT3_lili.uses_flat_scratch, 0
	.set _ZL34rocblas_gemvn_sm_mn_batched_kernelILi32ELi24EDF16_fDF16_EviiT2_lPKT1_lilS3_lilS0_lPT3_lili.has_dyn_sized_stack, 0
	.set _ZL34rocblas_gemvn_sm_mn_batched_kernelILi32ELi24EDF16_fDF16_EviiT2_lPKT1_lilS3_lilS0_lPT3_lili.has_recursion, 0
	.set _ZL34rocblas_gemvn_sm_mn_batched_kernelILi32ELi24EDF16_fDF16_EviiT2_lPKT1_lilS3_lilS0_lPT3_lili.has_indirect_call, 0
	.section	.AMDGPU.csdata,"",@progbits
; Kernel info:
; codeLenInByte = 4
; TotalNumSgprs: 0
; NumVgprs: 0
; ScratchSize: 0
; MemoryBound: 0
; FloatMode: 240
; IeeeMode: 1
; LDSByteSize: 0 bytes/workgroup (compile time only)
; SGPRBlocks: 0
; VGPRBlocks: 0
; NumSGPRsForWavesPerEU: 1
; NumVGPRsForWavesPerEU: 1
; Occupancy: 16
; WaveLimiterHint : 0
; COMPUTE_PGM_RSRC2:SCRATCH_EN: 0
; COMPUTE_PGM_RSRC2:USER_SGPR: 2
; COMPUTE_PGM_RSRC2:TRAP_HANDLER: 0
; COMPUTE_PGM_RSRC2:TGID_X_EN: 1
; COMPUTE_PGM_RSRC2:TGID_Y_EN: 0
; COMPUTE_PGM_RSRC2:TGID_Z_EN: 0
; COMPUTE_PGM_RSRC2:TIDIG_COMP_CNT: 0
	.section	.text._ZL20rocblas_gemvn_kernelILi64ELi4EiDF16_PKfDF16_EviiT3_lPKT2_lT1_lS5_lS6_lS2_lPT4_lS6_li,"axG",@progbits,_ZL20rocblas_gemvn_kernelILi64ELi4EiDF16_PKfDF16_EviiT3_lPKT2_lT1_lS5_lS6_lS2_lPT4_lS6_li,comdat
	.globl	_ZL20rocblas_gemvn_kernelILi64ELi4EiDF16_PKfDF16_EviiT3_lPKT2_lT1_lS5_lS6_lS2_lPT4_lS6_li ; -- Begin function _ZL20rocblas_gemvn_kernelILi64ELi4EiDF16_PKfDF16_EviiT3_lPKT2_lT1_lS5_lS6_lS2_lPT4_lS6_li
	.p2align	8
	.type	_ZL20rocblas_gemvn_kernelILi64ELi4EiDF16_PKfDF16_EviiT3_lPKT2_lT1_lS5_lS6_lS2_lPT4_lS6_li,@function
_ZL20rocblas_gemvn_kernelILi64ELi4EiDF16_PKfDF16_EviiT3_lPKT2_lT1_lS5_lS6_lS2_lPT4_lS6_li: ; @_ZL20rocblas_gemvn_kernelILi64ELi4EiDF16_PKfDF16_EviiT3_lPKT2_lT1_lS5_lS6_lS2_lPT4_lS6_li
; %bb.0:
	s_load_b64 s[2:3], s[0:1], 0x9c
	s_wait_kmcnt 0x0
	s_lshr_b32 s4, s2, 16
	s_and_b32 s2, s2, 0xffff
	s_and_b32 s3, s3, 0xffff
	s_mul_i32 s2, s4, s2
	s_delay_alu instid0(SALU_CYCLE_1) | instskip(NEXT) | instid1(SALU_CYCLE_1)
	s_mul_i32 s2, s2, s3
	s_cmp_lg_u32 s2, 0x100
	s_cbranch_scc1 .LBB382_53
; %bb.1:
	s_load_b32 s31, s[0:1], 0x88
	s_lshr_b32 s34, ttmp7, 16
	s_wait_kmcnt 0x0
	s_cmp_ge_u32 s34, s31
	s_cbranch_scc1 .LBB382_53
; %bb.2:
	s_clause 0x3
	s_load_b96 s[4:6], s[0:1], 0x70
	s_load_b256 s[8:15], s[0:1], 0x8
	s_load_b96 s[28:30], s[0:1], 0x40
	s_load_b64 s[36:37], s[0:1], 0x0
	v_and_b32_e32 v9, 0x3ff, v0
	v_bfe_u32 v8, v0, 10, 10
	s_clause 0x2
	s_load_b32 s33, s[0:1], 0x28
	s_load_b128 s[24:27], s[0:1], 0x30
	s_load_b256 s[16:23], s[0:1], 0x50
	s_lshl_b32 s42, ttmp9, 8
	v_mov_b32_e32 v1, 0
	v_or_b32_e32 v19, s42, v9
	v_lshl_add_u32 v5, v8, 6, v9
	v_lshlrev_b32_e32 v20, 2, v8
	s_load_b64 s[38:39], s[0:1], 0x80
	s_mov_b32 s35, 0
	v_add_nc_u32_e32 v7, 0x80, v19
	v_add_nc_u32_e32 v0, s42, v5
	v_or_b32_e32 v11, s42, v5
	v_add_nc_u32_e32 v6, 64, v19
	v_add_nc_u32_e32 v10, 0xc0, v19
	v_or_b32_e32 v12, 3, v20
	s_wait_kmcnt 0x0
	v_mad_co_u64_u32 v[2:3], null, s6, v0, 0
	s_lshl_b64 s[2:3], s[14:15], 1
	s_ashr_i32 s1, s6, 31
	s_ashr_i32 s7, s37, 31
	s_add_nc_u64 s[12:13], s[12:13], s[2:3]
	v_cmp_gt_i32_e64 s3, s36, v7
	v_mul_lo_u32 v7, s33, v20
	s_lshl_b64 s[4:5], s[4:5], 1
	s_wait_alu 0xfffe
	s_lshr_b32 s2, s7, 28
	v_mad_co_u64_u32 v[3:4], null, s1, v0, v[3:4]
	v_mul_lo_u32 v4, s6, v11
	v_cmp_gt_i32_e64 s6, s36, v11
	v_mul_lo_u32 v11, v8, s33
	s_add_co_i32 s1, s37, s2
	s_add_nc_u64 s[22:23], s[22:23], s[4:5]
	v_cmp_gt_i32_e64 s2, s36, v6
	v_cmp_gt_i32_e64 s4, s36, v10
	v_lshlrev_b32_e32 v6, 2, v9
	v_or_b32_e32 v10, 2, v20
	v_mul_lo_u32 v13, v8, s30
	s_lshl_b64 s[14:15], s[28:29], 1
	s_ashr_i32 s29, s36, 31
	s_mov_b32 s28, s36
	s_wait_alu 0xfffe
	s_and_b32 s43, s1, -16
	s_add_nc_u64 s[14:15], s[26:27], s[14:15]
	v_cmp_gt_i64_e32 vcc_lo, s[28:29], v[0:1]
	v_lshl_add_u32 v0, v8, 10, v6
	v_lshl_add_u32 v21, v8, 8, v6
	v_add3_u32 v22, v7, s33, v9
	v_mad_co_u64_u32 v[6:7], null, s33, v10, v[9:10]
	s_mov_b32 s26, s30
	s_wait_alu 0xfffe
	s_sub_co_i32 s5, s37, s43
	v_mad_co_u64_u32 v[7:8], null, s33, v12, v[9:10]
	v_lshl_add_u32 v23, v11, 2, v9
	v_mad_co_u64_u32 v[8:9], null, s30, v20, s[26:27]
	v_mul_lo_u32 v24, s30, v10
	v_mul_lo_u32 v25, s30, v12
	s_cmp_gt_i32 s5, 0
	v_cmp_gt_u32_e64 s5, 0x100, v5
	v_lshlrev_b64_e32 v[9:10], 1, v[2:3]
	v_cmp_gt_i32_e64 s0, s36, v19
	v_cmp_gt_i32_e64 s1, s43, v20
	v_ashrrev_i32_e32 v5, 31, v4
	v_lshlrev_b32_e32 v26, 2, v13
	s_cselect_b32 s36, -1, 0
	s_and_b32 s44, s5, vcc_lo
	s_lshl_b32 s45, s33, 4
	s_lshl_b32 s46, s30, 4
	s_branch .LBB382_5
.LBB382_3:                              ;   in Loop: Header=BB382_5 Depth=1
	s_wait_alu 0xfffe
	s_or_b32 exec_lo, exec_lo, s7
.LBB382_4:                              ;   in Loop: Header=BB382_5 Depth=1
	s_add_co_i32 s34, s34, 0x10000
	s_delay_alu instid0(SALU_CYCLE_1)
	s_cmp_lt_u32 s34, s31
	s_cbranch_scc0 .LBB382_53
.LBB382_5:                              ; =>This Loop Header: Depth=1
                                        ;     Child Loop BB382_21 Depth 2
	s_mul_u64 s[26:27], s[10:11], s[34:35]
	s_mul_u64 s[28:29], s[20:21], s[34:35]
	s_wait_alu 0xfffe
	s_lshl_b64 s[26:27], s[26:27], 2
	s_lshl_b64 s[28:29], s[28:29], 2
	s_wait_alu 0xfffe
	s_add_nc_u64 s[26:27], s[8:9], s[26:27]
	s_add_nc_u64 s[28:29], s[18:19], s[28:29]
	s_clause 0x1
	global_load_b32 v27, v1, s[26:27]
	global_load_b32 v11, v1, s[28:29]
	s_wait_loadcnt 0x1
	v_cmp_eq_f32_e32 vcc_lo, 0, v27
	s_wait_loadcnt 0x0
	v_cmp_eq_f32_e64 s7, 1.0, v11
	v_readfirstlane_b32 s48, v11
	s_and_b32 s7, vcc_lo, s7
	s_wait_alu 0xfffe
	s_and_b32 vcc_lo, exec_lo, s7
	s_wait_alu 0xfffe
	s_cbranch_vccnz .LBB382_4
; %bb.6:                                ;   in Loop: Header=BB382_5 Depth=1
	v_cmp_neq_f32_e32 vcc_lo, 0, v27
	s_mul_u64 s[26:27], s[38:39], s[34:35]
	s_wait_alu 0xfffe
	s_lshl_b64 s[26:27], s[26:27], 1
	s_wait_alu 0xfffe
	s_add_nc_u64 s[26:27], s[22:23], s[26:27]
	s_cbranch_vccnz .LBB382_10
; %bb.7:                                ;   in Loop: Header=BB382_5 Depth=1
	s_mov_b32 s7, 0
	s_mov_b32 s47, 0
                                        ; implicit-def: $vgpr13
	s_and_saveexec_b32 s28, s44
	s_cbranch_execz .LBB382_11
; %bb.8:                                ;   in Loop: Header=BB382_5 Depth=1
	s_cmp_eq_f32 s48, 0
	s_cbranch_scc1 .LBB382_13
; %bb.9:                                ;   in Loop: Header=BB382_5 Depth=1
	s_wait_alu 0xfffe
	v_add_co_u32 v11, vcc_lo, s26, v9
	s_wait_alu 0xfffd
	v_add_co_ci_u32_e64 v12, null, s27, v10, vcc_lo
	global_load_u16 v11, v[11:12], off
	s_wait_loadcnt 0x0
	v_fma_mixlo_f16 v13, s48, v11, 0 op_sel_hi:[0,1,0]
	s_branch .LBB382_14
.LBB382_10:                             ;   in Loop: Header=BB382_5 Depth=1
	s_mov_b32 s47, 0
                                        ; implicit-def: $vgpr13
	s_cbranch_execz .LBB382_12
	s_branch .LBB382_15
.LBB382_11:                             ;   in Loop: Header=BB382_5 Depth=1
	s_wait_alu 0xfffe
	s_or_b32 exec_lo, exec_lo, s28
	s_delay_alu instid0(SALU_CYCLE_1)
	s_and_b32 vcc_lo, exec_lo, s7
	s_wait_alu 0xfffe
	s_cbranch_vccnz .LBB382_15
.LBB382_12:                             ;   in Loop: Header=BB382_5 Depth=1
	v_dual_mov_b32 v12, v3 :: v_dual_mov_b32 v11, v2
	s_and_saveexec_b32 s7, s47
	s_cbranch_execz .LBB382_3
	s_branch .LBB382_52
.LBB382_13:                             ;   in Loop: Header=BB382_5 Depth=1
	v_mov_b32_e32 v13, 0
.LBB382_14:                             ;   in Loop: Header=BB382_5 Depth=1
	s_mov_b32 s47, exec_lo
	s_wait_alu 0xfffe
	s_or_b32 exec_lo, exec_lo, s28
	s_delay_alu instid0(SALU_CYCLE_1)
	s_and_b32 vcc_lo, exec_lo, s7
	s_wait_alu 0xfffe
	s_cbranch_vccz .LBB382_12
.LBB382_15:                             ;   in Loop: Header=BB382_5 Depth=1
	s_mul_u64 s[28:29], s[24:25], s[34:35]
	s_mul_u64 s[40:41], s[16:17], s[34:35]
	v_dual_mov_b32 v28, 0 :: v_dual_mov_b32 v29, 0
	v_dual_mov_b32 v32, v20 :: v_dual_mov_b32 v31, 0
	v_mov_b32_e32 v30, 0
	s_wait_alu 0xfffe
	s_lshl_b64 s[28:29], s[28:29], 1
	s_lshl_b64 s[40:41], s[40:41], 1
	s_wait_alu 0xfffe
	s_add_nc_u64 s[28:29], s[12:13], s[28:29]
	s_add_nc_u64 s[40:41], s[14:15], s[40:41]
	s_and_saveexec_b32 s7, s1
	s_cbranch_execz .LBB382_27
; %bb.16:                               ;   in Loop: Header=BB382_5 Depth=1
	v_dual_mov_b32 v28, 0 :: v_dual_mov_b32 v33, v23
	v_dual_mov_b32 v34, v7 :: v_dual_mov_b32 v35, v6
	;; [unrolled: 1-line block ×4, first 2 shown]
	v_mov_b32_e32 v30, 0
	s_mov_b32 s49, 0
	s_mov_b32 s50, 0
	s_branch .LBB382_21
.LBB382_17:                             ;   in Loop: Header=BB382_21 Depth=2
	s_or_b32 exec_lo, exec_lo, s54
	s_wait_loadcnt 0x3
	v_fma_mix_f32 v11, v49, v53, v30 op_sel_hi:[0,1,0]
	s_wait_loadcnt 0x2
	s_delay_alu instid0(VALU_DEP_1) | instskip(SKIP_1) | instid1(VALU_DEP_1)
	v_fma_mix_f32 v11, v50, v54, v11 op_sel_hi:[0,1,0]
	s_wait_loadcnt 0x1
	v_fma_mix_f32 v11, v51, v55, v11 op_sel_hi:[0,1,0]
	s_wait_loadcnt 0x0
	s_delay_alu instid0(VALU_DEP_1)
	v_fma_mix_f32 v30, v52, v56, v11 op_sel_hi:[0,1,0]
.LBB382_18:                             ;   in Loop: Header=BB382_21 Depth=2
	s_or_b32 exec_lo, exec_lo, s53
	s_wait_loadcnt 0x3
	v_fma_mix_f32 v11, v49, v45, v29 op_sel_hi:[0,1,0]
	s_wait_loadcnt 0x2
	s_delay_alu instid0(VALU_DEP_1) | instskip(SKIP_1) | instid1(VALU_DEP_1)
	v_fma_mix_f32 v11, v50, v46, v11 op_sel_hi:[0,1,0]
	s_wait_loadcnt 0x1
	v_fma_mix_f32 v11, v51, v47, v11 op_sel_hi:[0,1,0]
	s_wait_loadcnt 0x0
	s_delay_alu instid0(VALU_DEP_1)
	v_fma_mix_f32 v29, v52, v48, v11 op_sel_hi:[0,1,0]
.LBB382_19:                             ;   in Loop: Header=BB382_21 Depth=2
	s_or_b32 exec_lo, exec_lo, s52
	s_wait_loadcnt 0x3
	v_fma_mix_f32 v11, v37, v41, v28 op_sel_hi:[1,1,0]
	s_wait_loadcnt 0x2
	s_delay_alu instid0(VALU_DEP_1) | instskip(SKIP_1) | instid1(VALU_DEP_1)
	v_fma_mix_f32 v11, v38, v42, v11 op_sel_hi:[1,1,0]
	s_wait_loadcnt 0x1
	v_fma_mix_f32 v11, v39, v43, v11 op_sel_hi:[1,1,0]
	s_wait_loadcnt 0x0
	s_delay_alu instid0(VALU_DEP_1)
	v_fma_mix_f32 v28, v40, v44, v11 op_sel_hi:[1,1,0]
.LBB382_20:                             ;   in Loop: Header=BB382_21 Depth=2
	s_wait_alu 0xfffe
	s_or_b32 exec_lo, exec_lo, s51
	v_add_nc_u32_e32 v32, 16, v32
	v_add_nc_u32_e32 v36, s45, v36
	;; [unrolled: 1-line block ×5, first 2 shown]
	v_cmp_le_i32_e32 vcc_lo, s43, v32
	s_add_co_i32 s50, s50, s46
	s_or_b32 s49, vcc_lo, s49
	s_wait_alu 0xfffe
	s_and_not1_b32 exec_lo, exec_lo, s49
	s_cbranch_execz .LBB382_26
.LBB382_21:                             ;   Parent Loop BB382_5 Depth=1
                                        ; =>  This Inner Loop Header: Depth=2
	s_and_saveexec_b32 s51, s0
	s_cbranch_execz .LBB382_20
; %bb.22:                               ;   in Loop: Header=BB382_21 Depth=2
	s_wait_alu 0xfffe
	v_add_nc_u32_e32 v11, s50, v26
	v_add_nc_u32_e32 v13, s50, v8
	;; [unrolled: 1-line block ×5, first 2 shown]
	v_ashrrev_i32_e32 v12, 31, v11
	v_ashrrev_i32_e32 v14, 31, v13
	;; [unrolled: 1-line block ×5, first 2 shown]
	v_lshlrev_b64_e32 v[11:12], 1, v[11:12]
	v_lshlrev_b64_e32 v[13:14], 1, v[13:14]
	;; [unrolled: 1-line block ×3, first 2 shown]
	s_delay_alu instid0(VALU_DEP_3) | instskip(SKIP_1) | instid1(VALU_DEP_4)
	v_add_co_u32 v39, vcc_lo, s40, v11
	s_wait_alu 0xfffd
	v_add_co_ci_u32_e64 v40, null, s41, v12, vcc_lo
	s_delay_alu instid0(VALU_DEP_4)
	v_add_co_u32 v41, vcc_lo, s40, v13
	v_add_nc_u32_e32 v13, s42, v36
	s_wait_alu 0xfffd
	v_add_co_ci_u32_e64 v42, null, s41, v14, vcc_lo
	v_lshlrev_b64_e32 v[11:12], 1, v[17:18]
	v_add_co_u32 v43, vcc_lo, s40, v15
	v_add_nc_u32_e32 v17, s42, v35
	s_wait_alu 0xfffd
	v_add_co_ci_u32_e64 v44, null, s41, v16, vcc_lo
	v_lshlrev_b64_e32 v[15:16], 1, v[37:38]
	v_add_nc_u32_e32 v37, s42, v34
	v_ashrrev_i32_e32 v14, 31, v13
	v_ashrrev_i32_e32 v18, 31, v17
	v_add_co_u32 v45, vcc_lo, s40, v11
	s_delay_alu instid0(VALU_DEP_4)
	v_ashrrev_i32_e32 v38, 31, v37
	s_wait_alu 0xfffd
	v_add_co_ci_u32_e64 v46, null, s41, v12, vcc_lo
	v_lshlrev_b64_e32 v[13:14], 1, v[13:14]
	v_add_co_u32 v11, vcc_lo, s28, v15
	s_wait_alu 0xfffd
	v_add_co_ci_u32_e64 v12, null, s29, v16, vcc_lo
	v_lshlrev_b64_e32 v[15:16], 1, v[17:18]
	v_lshlrev_b64_e32 v[17:18], 1, v[37:38]
	v_add_co_u32 v13, vcc_lo, s28, v13
	s_wait_alu 0xfffd
	v_add_co_ci_u32_e64 v14, null, s29, v14, vcc_lo
	s_delay_alu instid0(VALU_DEP_4)
	v_add_co_u32 v15, vcc_lo, s28, v15
	s_wait_alu 0xfffd
	v_add_co_ci_u32_e64 v16, null, s29, v16, vcc_lo
	v_add_co_u32 v17, vcc_lo, s28, v17
	s_wait_alu 0xfffd
	v_add_co_ci_u32_e64 v18, null, s29, v18, vcc_lo
	s_clause 0x3
	global_load_u16 v37, v[39:40], off
	global_load_u16 v38, v[41:42], off
	;; [unrolled: 1-line block ×4, first 2 shown]
	s_clause 0x3
	global_load_u16 v41, v[11:12], off
	global_load_u16 v42, v[13:14], off
	;; [unrolled: 1-line block ×4, first 2 shown]
	s_and_saveexec_b32 s52, s2
	s_cbranch_execz .LBB382_19
; %bb.23:                               ;   in Loop: Header=BB382_21 Depth=2
	s_clause 0x3
	global_load_u16 v45, v[11:12], off offset:128
	global_load_u16 v46, v[13:14], off offset:128
	;; [unrolled: 1-line block ×4, first 2 shown]
	s_wait_loadcnt 0xb
	v_cvt_f32_f16_e32 v49, v37
	s_wait_loadcnt 0xa
	v_cvt_f32_f16_e32 v50, v38
	;; [unrolled: 2-line block ×4, first 2 shown]
	s_and_saveexec_b32 s53, s3
	s_cbranch_execz .LBB382_18
; %bb.24:                               ;   in Loop: Header=BB382_21 Depth=2
	s_clause 0x3
	global_load_u16 v53, v[11:12], off offset:256
	global_load_u16 v54, v[13:14], off offset:256
	;; [unrolled: 1-line block ×4, first 2 shown]
	s_and_saveexec_b32 s54, s4
	s_cbranch_execz .LBB382_17
; %bb.25:                               ;   in Loop: Header=BB382_21 Depth=2
	s_clause 0x3
	global_load_u16 v11, v[11:12], off offset:384
	global_load_u16 v12, v[13:14], off offset:384
	;; [unrolled: 1-line block ×4, first 2 shown]
	s_wait_loadcnt 0x3
	v_fma_mix_f32 v11, v49, v11, v31 op_sel_hi:[0,1,0]
	s_wait_loadcnt 0x2
	s_delay_alu instid0(VALU_DEP_1) | instskip(SKIP_1) | instid1(VALU_DEP_1)
	v_fma_mix_f32 v11, v50, v12, v11 op_sel_hi:[0,1,0]
	s_wait_loadcnt 0x1
	v_fma_mix_f32 v11, v51, v13, v11 op_sel_hi:[0,1,0]
	s_wait_loadcnt 0x0
	s_delay_alu instid0(VALU_DEP_1)
	v_fma_mix_f32 v31, v52, v14, v11 op_sel_hi:[0,1,0]
	s_branch .LBB382_17
.LBB382_26:                             ;   in Loop: Header=BB382_5 Depth=1
	s_or_b32 exec_lo, exec_lo, s49
.LBB382_27:                             ;   in Loop: Header=BB382_5 Depth=1
	s_wait_alu 0xfffe
	s_or_b32 exec_lo, exec_lo, s7
	s_delay_alu instid0(SALU_CYCLE_1)
	s_and_not1_b32 vcc_lo, exec_lo, s36
	s_wait_alu 0xfffe
	s_cbranch_vccnz .LBB382_45
; %bb.28:                               ;   in Loop: Header=BB382_5 Depth=1
	v_cmp_gt_i32_e32 vcc_lo, s37, v32
	v_dual_mov_b32 v33, 0 :: v_dual_mov_b32 v34, 0
	v_or_b32_e32 v11, 1, v32
	v_dual_mov_b32 v35, 0 :: v_dual_mov_b32 v36, 0
	s_and_saveexec_b32 s49, vcc_lo
	s_cbranch_execz .LBB382_36
; %bb.29:                               ;   in Loop: Header=BB382_5 Depth=1
	v_mul_lo_u32 v12, v32, s30
	v_dual_mov_b32 v35, 0 :: v_dual_mov_b32 v34, 0
	v_mov_b32_e32 v33, 0
	s_mov_b32 s50, exec_lo
	s_delay_alu instid0(VALU_DEP_3) | instskip(NEXT) | instid1(VALU_DEP_1)
	v_ashrrev_i32_e32 v13, 31, v12
	v_lshlrev_b64_e32 v[12:13], 1, v[12:13]
	s_delay_alu instid0(VALU_DEP_1) | instskip(SKIP_1) | instid1(VALU_DEP_2)
	v_add_co_u32 v12, s7, s40, v12
	s_wait_alu 0xf1ff
	v_add_co_ci_u32_e64 v13, null, s41, v13, s7
	global_load_u16 v12, v[12:13], off
	v_cmpx_gt_i32_e64 s37, v11
	s_cbranch_execz .LBB382_35
; %bb.30:                               ;   in Loop: Header=BB382_5 Depth=1
	v_mul_lo_u32 v13, v11, s30
	v_dual_mov_b32 v34, 0 :: v_dual_mov_b32 v33, 0
	s_mov_b32 s51, exec_lo
	s_delay_alu instid0(VALU_DEP_2) | instskip(NEXT) | instid1(VALU_DEP_1)
	v_ashrrev_i32_e32 v14, 31, v13
	v_lshlrev_b64_e32 v[13:14], 1, v[13:14]
	s_delay_alu instid0(VALU_DEP_1) | instskip(SKIP_1) | instid1(VALU_DEP_2)
	v_add_co_u32 v13, s7, s40, v13
	s_wait_alu 0xf1ff
	v_add_co_ci_u32_e64 v14, null, s41, v14, s7
	global_load_u16 v13, v[13:14], off
	v_or_b32_e32 v14, 2, v32
	s_delay_alu instid0(VALU_DEP_1)
	v_cmpx_gt_i32_e64 s37, v14
	s_cbranch_execz .LBB382_34
; %bb.31:                               ;   in Loop: Header=BB382_5 Depth=1
	v_mul_lo_u32 v14, v14, s30
	v_mov_b32_e32 v33, 0
	s_mov_b32 s52, exec_lo
	s_delay_alu instid0(VALU_DEP_2) | instskip(NEXT) | instid1(VALU_DEP_1)
	v_ashrrev_i32_e32 v15, 31, v14
	v_lshlrev_b64_e32 v[14:15], 1, v[14:15]
	s_delay_alu instid0(VALU_DEP_1) | instskip(SKIP_1) | instid1(VALU_DEP_2)
	v_add_co_u32 v14, s7, s40, v14
	s_wait_alu 0xf1ff
	v_add_co_ci_u32_e64 v15, null, s41, v15, s7
	global_load_u16 v14, v[14:15], off
	v_or_b32_e32 v15, 3, v32
	s_delay_alu instid0(VALU_DEP_1)
	v_cmpx_gt_i32_e64 s37, v15
	s_cbranch_execz .LBB382_33
; %bb.32:                               ;   in Loop: Header=BB382_5 Depth=1
	v_mul_lo_u32 v15, v15, s30
	s_delay_alu instid0(VALU_DEP_1) | instskip(NEXT) | instid1(VALU_DEP_1)
	v_ashrrev_i32_e32 v16, 31, v15
	v_lshlrev_b64_e32 v[15:16], 1, v[15:16]
	s_delay_alu instid0(VALU_DEP_1) | instskip(SKIP_1) | instid1(VALU_DEP_2)
	v_add_co_u32 v15, s7, s40, v15
	s_wait_alu 0xf1ff
	v_add_co_ci_u32_e64 v16, null, s41, v16, s7
	global_load_u16 v15, v[15:16], off
	s_wait_loadcnt 0x0
	v_cvt_f32_f16_e32 v33, v15
.LBB382_33:                             ;   in Loop: Header=BB382_5 Depth=1
	s_or_b32 exec_lo, exec_lo, s52
	s_wait_loadcnt 0x0
	v_cvt_f32_f16_e32 v34, v14
.LBB382_34:                             ;   in Loop: Header=BB382_5 Depth=1
	s_wait_alu 0xfffe
	s_or_b32 exec_lo, exec_lo, s51
	s_wait_loadcnt 0x0
	v_cvt_f32_f16_e32 v35, v13
.LBB382_35:                             ;   in Loop: Header=BB382_5 Depth=1
	s_wait_alu 0xfffe
	s_or_b32 exec_lo, exec_lo, s50
	s_wait_loadcnt 0x0
	v_cvt_f32_f16_e32 v36, v12
.LBB382_36:                             ;   in Loop: Header=BB382_5 Depth=1
	s_wait_alu 0xfffe
	s_or_b32 exec_lo, exec_lo, s49
	s_and_saveexec_b32 s7, s0
	s_cbranch_execz .LBB382_44
; %bb.37:                               ;   in Loop: Header=BB382_5 Depth=1
	v_mul_lo_u32 v13, v32, s33
	v_or_b32_e32 v12, 2, v32
	v_mul_lo_u32 v15, v11, s33
	v_or_b32_e32 v14, 3, v32
	s_delay_alu instid0(VALU_DEP_3) | instskip(NEXT) | instid1(VALU_DEP_2)
	v_mul_lo_u32 v16, v12, s33
	v_mul_lo_u32 v17, v14, s33
	v_cndmask_b32_e32 v13, 0, v13, vcc_lo
	v_cmp_gt_i32_e32 vcc_lo, s37, v11
	s_wait_alu 0xfffd
	v_cndmask_b32_e32 v15, 0, v15, vcc_lo
	v_cmp_gt_i32_e32 vcc_lo, s37, v12
	s_wait_alu 0xfffd
	;; [unrolled: 3-line block ×3, first 2 shown]
	v_dual_cndmask_b32 v14, 0, v17 :: v_dual_add_nc_u32 v11, v13, v19
	v_add_nc_u32_e32 v13, v15, v19
	v_add_nc_u32_e32 v15, v12, v19
	s_delay_alu instid0(VALU_DEP_3) | instskip(NEXT) | instid1(VALU_DEP_4)
	v_ashrrev_i32_e32 v12, 31, v11
	v_add_nc_u32_e32 v17, v14, v19
	s_delay_alu instid0(VALU_DEP_4) | instskip(NEXT) | instid1(VALU_DEP_4)
	v_ashrrev_i32_e32 v14, 31, v13
	v_ashrrev_i32_e32 v16, 31, v15
	s_delay_alu instid0(VALU_DEP_4) | instskip(NEXT) | instid1(VALU_DEP_4)
	v_lshlrev_b64_e32 v[11:12], 1, v[11:12]
	v_ashrrev_i32_e32 v18, 31, v17
	s_delay_alu instid0(VALU_DEP_4) | instskip(NEXT) | instid1(VALU_DEP_4)
	v_lshlrev_b64_e32 v[13:14], 1, v[13:14]
	v_lshlrev_b64_e32 v[15:16], 1, v[15:16]
	s_delay_alu instid0(VALU_DEP_4) | instskip(NEXT) | instid1(VALU_DEP_4)
	v_add_co_u32 v11, vcc_lo, s28, v11
	v_lshlrev_b64_e32 v[17:18], 1, v[17:18]
	s_wait_alu 0xfffd
	v_add_co_ci_u32_e64 v12, null, s29, v12, vcc_lo
	v_add_co_u32 v13, vcc_lo, s28, v13
	s_wait_alu 0xfffd
	v_add_co_ci_u32_e64 v14, null, s29, v14, vcc_lo
	v_add_co_u32 v15, vcc_lo, s28, v15
	;; [unrolled: 3-line block ×3, first 2 shown]
	s_wait_alu 0xfffd
	v_add_co_ci_u32_e64 v18, null, s29, v18, vcc_lo
	s_clause 0x3
	global_load_u16 v32, v[11:12], off
	global_load_u16 v37, v[13:14], off
	;; [unrolled: 1-line block ×4, first 2 shown]
	s_and_saveexec_b32 s28, s2
	s_cbranch_execz .LBB382_43
; %bb.38:                               ;   in Loop: Header=BB382_5 Depth=1
	s_clause 0x3
	global_load_u16 v40, v[11:12], off offset:128
	global_load_u16 v41, v[13:14], off offset:128
	global_load_u16 v42, v[15:16], off offset:128
	global_load_u16 v43, v[17:18], off offset:128
	s_and_saveexec_b32 s29, s3
	s_cbranch_execz .LBB382_42
; %bb.39:                               ;   in Loop: Header=BB382_5 Depth=1
	s_clause 0x3
	global_load_u16 v44, v[11:12], off offset:256
	global_load_u16 v45, v[13:14], off offset:256
	global_load_u16 v46, v[15:16], off offset:256
	global_load_u16 v47, v[17:18], off offset:256
	;; [unrolled: 8-line block ×3, first 2 shown]
	s_wait_loadcnt 0x3
	v_fma_mix_f32 v11, v36, v11, v31 op_sel_hi:[0,1,0]
	s_wait_loadcnt 0x2
	s_delay_alu instid0(VALU_DEP_1) | instskip(SKIP_1) | instid1(VALU_DEP_1)
	v_fma_mix_f32 v11, v35, v12, v11 op_sel_hi:[0,1,0]
	s_wait_loadcnt 0x1
	v_fma_mix_f32 v11, v34, v13, v11 op_sel_hi:[0,1,0]
	s_wait_loadcnt 0x0
	s_delay_alu instid0(VALU_DEP_1)
	v_fma_mix_f32 v31, v33, v14, v11 op_sel_hi:[0,1,0]
.LBB382_41:                             ;   in Loop: Header=BB382_5 Depth=1
	s_wait_alu 0xfffe
	s_or_b32 exec_lo, exec_lo, s40
	s_wait_loadcnt 0x3
	v_fma_mix_f32 v11, v36, v44, v30 op_sel_hi:[0,1,0]
	s_wait_loadcnt 0x2
	s_delay_alu instid0(VALU_DEP_1) | instskip(SKIP_1) | instid1(VALU_DEP_1)
	v_fma_mix_f32 v11, v35, v45, v11 op_sel_hi:[0,1,0]
	s_wait_loadcnt 0x1
	v_fma_mix_f32 v11, v34, v46, v11 op_sel_hi:[0,1,0]
	s_wait_loadcnt 0x0
	s_delay_alu instid0(VALU_DEP_1)
	v_fma_mix_f32 v30, v33, v47, v11 op_sel_hi:[0,1,0]
.LBB382_42:                             ;   in Loop: Header=BB382_5 Depth=1
	s_wait_alu 0xfffe
	s_or_b32 exec_lo, exec_lo, s29
	s_wait_loadcnt 0x3
	v_fma_mix_f32 v11, v36, v40, v29 op_sel_hi:[0,1,0]
	s_wait_loadcnt 0x2
	s_delay_alu instid0(VALU_DEP_1) | instskip(SKIP_1) | instid1(VALU_DEP_1)
	v_fma_mix_f32 v11, v35, v41, v11 op_sel_hi:[0,1,0]
	s_wait_loadcnt 0x1
	v_fma_mix_f32 v11, v34, v42, v11 op_sel_hi:[0,1,0]
	s_wait_loadcnt 0x0
	s_delay_alu instid0(VALU_DEP_1)
	v_fma_mix_f32 v29, v33, v43, v11 op_sel_hi:[0,1,0]
.LBB382_43:                             ;   in Loop: Header=BB382_5 Depth=1
	s_wait_alu 0xfffe
	s_or_b32 exec_lo, exec_lo, s28
	s_wait_loadcnt 0x3
	v_fma_mix_f32 v11, v36, v32, v28 op_sel_hi:[0,1,0]
	s_wait_loadcnt 0x2
	s_delay_alu instid0(VALU_DEP_1) | instskip(SKIP_1) | instid1(VALU_DEP_1)
	v_fma_mix_f32 v11, v35, v37, v11 op_sel_hi:[0,1,0]
	s_wait_loadcnt 0x1
	v_fma_mix_f32 v11, v34, v38, v11 op_sel_hi:[0,1,0]
	s_wait_loadcnt 0x0
	s_delay_alu instid0(VALU_DEP_1)
	v_fma_mix_f32 v28, v33, v39, v11 op_sel_hi:[0,1,0]
.LBB382_44:                             ;   in Loop: Header=BB382_5 Depth=1
	s_wait_alu 0xfffe
	s_or_b32 exec_lo, exec_lo, s7
.LBB382_45:                             ;   in Loop: Header=BB382_5 Depth=1
	ds_store_2addr_stride64_b32 v0, v28, v29 offset1:1
	ds_store_2addr_stride64_b32 v0, v30, v31 offset0:2 offset1:3
	s_wait_dscnt 0x0
	s_barrier_signal -1
	s_barrier_wait -1
	global_inv scope:SCOPE_SE
                                        ; implicit-def: $vgpr13
	s_and_saveexec_b32 s7, s5
	s_cbranch_execz .LBB382_51
; %bb.46:                               ;   in Loop: Header=BB382_5 Depth=1
	ds_load_2addr_stride64_b32 v[11:12], v21 offset1:4
	ds_load_2addr_stride64_b32 v[13:14], v21 offset0:8 offset1:12
	s_mov_b32 s29, s47
	s_wait_dscnt 0x1
	v_add_f32_e32 v11, v11, v12
	s_wait_dscnt 0x0
	s_delay_alu instid0(VALU_DEP_1) | instskip(NEXT) | instid1(VALU_DEP_1)
	v_add_f32_e32 v11, v13, v11
                                        ; implicit-def: $vgpr13
	v_add_f32_e32 v11, v14, v11
	ds_store_b32 v21, v11
	s_and_saveexec_b32 s28, s6
	s_cbranch_execz .LBB382_50
; %bb.47:                               ;   in Loop: Header=BB382_5 Depth=1
	v_mul_f32_e32 v11, v27, v11
	s_cmp_eq_f32 s48, 0
	s_cbranch_scc1 .LBB382_49
; %bb.48:                               ;   in Loop: Header=BB382_5 Depth=1
	v_lshlrev_b64_e32 v[12:13], 1, v[4:5]
	s_delay_alu instid0(VALU_DEP_1) | instskip(SKIP_1) | instid1(VALU_DEP_2)
	v_add_co_u32 v12, vcc_lo, s26, v12
	s_wait_alu 0xfffd
	v_add_co_ci_u32_e64 v13, null, s27, v13, vcc_lo
	global_load_u16 v12, v[12:13], off
	s_wait_loadcnt 0x0
	v_fma_mix_f32 v11, s48, v12, v11 op_sel_hi:[0,1,0]
.LBB382_49:                             ;   in Loop: Header=BB382_5 Depth=1
	s_delay_alu instid0(VALU_DEP_1)
	v_cvt_f16_f32_e32 v13, v11
	s_or_b32 s29, s47, exec_lo
.LBB382_50:                             ;   in Loop: Header=BB382_5 Depth=1
	s_wait_alu 0xfffe
	s_or_b32 exec_lo, exec_lo, s28
	s_delay_alu instid0(SALU_CYCLE_1)
	s_and_not1_b32 s28, s47, exec_lo
	s_and_b32 s29, s29, exec_lo
	s_wait_alu 0xfffe
	s_or_b32 s47, s28, s29
.LBB382_51:                             ;   in Loop: Header=BB382_5 Depth=1
	s_wait_alu 0xfffe
	s_or_b32 exec_lo, exec_lo, s7
	v_dual_mov_b32 v12, v5 :: v_dual_mov_b32 v11, v4
	s_and_saveexec_b32 s7, s47
	s_cbranch_execz .LBB382_3
.LBB382_52:                             ;   in Loop: Header=BB382_5 Depth=1
	s_delay_alu instid0(VALU_DEP_1) | instskip(SKIP_1) | instid1(VALU_DEP_1)
	v_lshlrev_b64_e32 v[11:12], 1, v[11:12]
	s_wait_alu 0xfffe
	v_add_co_u32 v11, vcc_lo, s26, v11
	s_wait_alu 0xfffd
	s_delay_alu instid0(VALU_DEP_2)
	v_add_co_ci_u32_e64 v12, null, s27, v12, vcc_lo
	global_store_b16 v[11:12], v13, off
	s_branch .LBB382_3
.LBB382_53:
	s_endpgm
	.section	.rodata,"a",@progbits
	.p2align	6, 0x0
	.amdhsa_kernel _ZL20rocblas_gemvn_kernelILi64ELi4EiDF16_PKfDF16_EviiT3_lPKT2_lT1_lS5_lS6_lS2_lPT4_lS6_li
		.amdhsa_group_segment_fixed_size 4096
		.amdhsa_private_segment_fixed_size 0
		.amdhsa_kernarg_size 400
		.amdhsa_user_sgpr_count 2
		.amdhsa_user_sgpr_dispatch_ptr 0
		.amdhsa_user_sgpr_queue_ptr 0
		.amdhsa_user_sgpr_kernarg_segment_ptr 1
		.amdhsa_user_sgpr_dispatch_id 0
		.amdhsa_user_sgpr_private_segment_size 0
		.amdhsa_wavefront_size32 1
		.amdhsa_uses_dynamic_stack 0
		.amdhsa_enable_private_segment 0
		.amdhsa_system_sgpr_workgroup_id_x 1
		.amdhsa_system_sgpr_workgroup_id_y 0
		.amdhsa_system_sgpr_workgroup_id_z 1
		.amdhsa_system_sgpr_workgroup_info 0
		.amdhsa_system_vgpr_workitem_id 1
		.amdhsa_next_free_vgpr 57
		.amdhsa_next_free_sgpr 55
		.amdhsa_reserve_vcc 1
		.amdhsa_float_round_mode_32 0
		.amdhsa_float_round_mode_16_64 0
		.amdhsa_float_denorm_mode_32 3
		.amdhsa_float_denorm_mode_16_64 3
		.amdhsa_fp16_overflow 0
		.amdhsa_workgroup_processor_mode 1
		.amdhsa_memory_ordered 1
		.amdhsa_forward_progress 1
		.amdhsa_inst_pref_size 26
		.amdhsa_round_robin_scheduling 0
		.amdhsa_exception_fp_ieee_invalid_op 0
		.amdhsa_exception_fp_denorm_src 0
		.amdhsa_exception_fp_ieee_div_zero 0
		.amdhsa_exception_fp_ieee_overflow 0
		.amdhsa_exception_fp_ieee_underflow 0
		.amdhsa_exception_fp_ieee_inexact 0
		.amdhsa_exception_int_div_zero 0
	.end_amdhsa_kernel
	.section	.text._ZL20rocblas_gemvn_kernelILi64ELi4EiDF16_PKfDF16_EviiT3_lPKT2_lT1_lS5_lS6_lS2_lPT4_lS6_li,"axG",@progbits,_ZL20rocblas_gemvn_kernelILi64ELi4EiDF16_PKfDF16_EviiT3_lPKT2_lT1_lS5_lS6_lS2_lPT4_lS6_li,comdat
.Lfunc_end382:
	.size	_ZL20rocblas_gemvn_kernelILi64ELi4EiDF16_PKfDF16_EviiT3_lPKT2_lT1_lS5_lS6_lS2_lPT4_lS6_li, .Lfunc_end382-_ZL20rocblas_gemvn_kernelILi64ELi4EiDF16_PKfDF16_EviiT3_lPKT2_lT1_lS5_lS6_lS2_lPT4_lS6_li
                                        ; -- End function
	.set _ZL20rocblas_gemvn_kernelILi64ELi4EiDF16_PKfDF16_EviiT3_lPKT2_lT1_lS5_lS6_lS2_lPT4_lS6_li.num_vgpr, 57
	.set _ZL20rocblas_gemvn_kernelILi64ELi4EiDF16_PKfDF16_EviiT3_lPKT2_lT1_lS5_lS6_lS2_lPT4_lS6_li.num_agpr, 0
	.set _ZL20rocblas_gemvn_kernelILi64ELi4EiDF16_PKfDF16_EviiT3_lPKT2_lT1_lS5_lS6_lS2_lPT4_lS6_li.numbered_sgpr, 55
	.set _ZL20rocblas_gemvn_kernelILi64ELi4EiDF16_PKfDF16_EviiT3_lPKT2_lT1_lS5_lS6_lS2_lPT4_lS6_li.num_named_barrier, 0
	.set _ZL20rocblas_gemvn_kernelILi64ELi4EiDF16_PKfDF16_EviiT3_lPKT2_lT1_lS5_lS6_lS2_lPT4_lS6_li.private_seg_size, 0
	.set _ZL20rocblas_gemvn_kernelILi64ELi4EiDF16_PKfDF16_EviiT3_lPKT2_lT1_lS5_lS6_lS2_lPT4_lS6_li.uses_vcc, 1
	.set _ZL20rocblas_gemvn_kernelILi64ELi4EiDF16_PKfDF16_EviiT3_lPKT2_lT1_lS5_lS6_lS2_lPT4_lS6_li.uses_flat_scratch, 0
	.set _ZL20rocblas_gemvn_kernelILi64ELi4EiDF16_PKfDF16_EviiT3_lPKT2_lT1_lS5_lS6_lS2_lPT4_lS6_li.has_dyn_sized_stack, 0
	.set _ZL20rocblas_gemvn_kernelILi64ELi4EiDF16_PKfDF16_EviiT3_lPKT2_lT1_lS5_lS6_lS2_lPT4_lS6_li.has_recursion, 0
	.set _ZL20rocblas_gemvn_kernelILi64ELi4EiDF16_PKfDF16_EviiT3_lPKT2_lT1_lS5_lS6_lS2_lPT4_lS6_li.has_indirect_call, 0
	.section	.AMDGPU.csdata,"",@progbits
; Kernel info:
; codeLenInByte = 3308
; TotalNumSgprs: 57
; NumVgprs: 57
; ScratchSize: 0
; MemoryBound: 0
; FloatMode: 240
; IeeeMode: 1
; LDSByteSize: 4096 bytes/workgroup (compile time only)
; SGPRBlocks: 0
; VGPRBlocks: 7
; NumSGPRsForWavesPerEU: 57
; NumVGPRsForWavesPerEU: 57
; Occupancy: 16
; WaveLimiterHint : 1
; COMPUTE_PGM_RSRC2:SCRATCH_EN: 0
; COMPUTE_PGM_RSRC2:USER_SGPR: 2
; COMPUTE_PGM_RSRC2:TRAP_HANDLER: 0
; COMPUTE_PGM_RSRC2:TGID_X_EN: 1
; COMPUTE_PGM_RSRC2:TGID_Y_EN: 0
; COMPUTE_PGM_RSRC2:TGID_Z_EN: 1
; COMPUTE_PGM_RSRC2:TIDIG_COMP_CNT: 1
	.section	.text._ZL20rocblas_gemvn_kernelILi64ELi4ElDF16_PKfDF16_EviiT3_lPKT2_lT1_lS5_lS6_lS2_lPT4_lS6_li,"axG",@progbits,_ZL20rocblas_gemvn_kernelILi64ELi4ElDF16_PKfDF16_EviiT3_lPKT2_lT1_lS5_lS6_lS2_lPT4_lS6_li,comdat
	.globl	_ZL20rocblas_gemvn_kernelILi64ELi4ElDF16_PKfDF16_EviiT3_lPKT2_lT1_lS5_lS6_lS2_lPT4_lS6_li ; -- Begin function _ZL20rocblas_gemvn_kernelILi64ELi4ElDF16_PKfDF16_EviiT3_lPKT2_lT1_lS5_lS6_lS2_lPT4_lS6_li
	.p2align	8
	.type	_ZL20rocblas_gemvn_kernelILi64ELi4ElDF16_PKfDF16_EviiT3_lPKT2_lT1_lS5_lS6_lS2_lPT4_lS6_li,@function
_ZL20rocblas_gemvn_kernelILi64ELi4ElDF16_PKfDF16_EviiT3_lPKT2_lT1_lS5_lS6_lS2_lPT4_lS6_li: ; @_ZL20rocblas_gemvn_kernelILi64ELi4ElDF16_PKfDF16_EviiT3_lPKT2_lT1_lS5_lS6_lS2_lPT4_lS6_li
; %bb.0:
	s_load_b64 s[2:3], s[0:1], 0x9c
	s_wait_kmcnt 0x0
	s_lshr_b32 s4, s2, 16
	s_and_b32 s2, s2, 0xffff
	s_and_b32 s3, s3, 0xffff
	s_mul_i32 s2, s4, s2
	s_delay_alu instid0(SALU_CYCLE_1) | instskip(NEXT) | instid1(SALU_CYCLE_1)
	s_mul_i32 s2, s2, s3
	s_cmp_lg_u32 s2, 0x100
	s_cbranch_scc1 .LBB383_53
; %bb.1:
	s_load_b32 s33, s[0:1], 0x88
	s_lshr_b32 s10, ttmp7, 16
	s_wait_kmcnt 0x0
	s_cmp_ge_u32 s10, s33
	s_cbranch_scc1 .LBB383_53
; %bb.2:
	s_clause 0x2
	s_load_b512 s[12:27], s[0:1], 0x8
	s_load_b512 s[36:51], s[0:1], 0x48
	s_load_b64 s[8:9], s[0:1], 0x0
	v_and_b32_e32 v5, 0x3ff, v0
	v_bfe_u32 v17, v0, 10, 10
	s_lshl_b32 s34, ttmp9, 8
	v_mov_b32_e32 v1, 0
	s_mov_b32 s11, 0
	v_or_b32_e32 v6, s34, v5
	v_lshlrev_b32_e32 v18, 2, v17
	v_lshl_add_u32 v10, v17, 6, v5
	s_delay_alu instid0(VALU_DEP_3) | instskip(SKIP_1) | instid1(VALU_DEP_4)
	v_add_nc_u32_e32 v8, 0x80, v6
	v_add_nc_u32_e32 v9, 0xc0, v6
	v_or_b32_e32 v20, 3, v18
	s_delay_alu instid0(VALU_DEP_4)
	v_add_nc_u32_e32 v0, s34, v10
	v_or_b32_e32 v21, s34, v10
	v_or_b32_e32 v24, 2, v18
	v_ashrrev_i32_e32 v7, 31, v6
	s_wait_kmcnt 0x0
	s_lshl_b64 s[4:5], s[18:19], 1
	s_lshl_b64 s[18:19], s[26:27], 1
	s_ashr_i32 s28, s9, 31
	s_add_nc_u64 s[16:17], s[16:17], s[4:5]
	s_lshr_b32 s4, s28, 28
	s_lshl_b64 s[6:7], s[46:47], 1
	s_add_co_i32 s4, s9, s4
	s_ashr_i32 s31, s8, 31
	s_and_b32 s52, s4, -16
	v_cmp_gt_i32_e64 s2, s8, v8
	s_sub_co_i32 s5, s9, s52
	v_cmp_gt_i32_e64 s3, s8, v9
	s_cmp_gt_i32 s5, 0
	v_mad_co_u64_u32 v[8:9], null, s36, v17, 0
	v_cmp_gt_u32_e64 s5, 0x100, v10
	v_mad_co_u64_u32 v[10:11], null, s20, v20, 0
	s_mov_b32 s30, s8
	s_add_nc_u64 s[28:29], s[44:45], s[6:7]
	s_cselect_b32 s53, -1, 0
	v_mul_lo_u32 v22, s49, v21
	s_ashr_i32 s6, s34, 31
	v_mad_co_u64_u32 v[28:29], null, s36, v24, 0
	v_mad_co_u64_u32 v[12:13], null, s37, v17, v[9:10]
	v_mov_b32_e32 v9, v11
	v_mad_co_u64_u32 v[13:14], null, s36, v20, 0
	v_mad_co_u64_u32 v[2:3], null, s48, v0, 0
	s_delay_alu instid0(VALU_DEP_3) | instskip(SKIP_1) | instid1(VALU_DEP_4)
	v_mad_co_u64_u32 v[15:16], null, s21, v20, v[9:10]
	v_dual_mov_b32 v9, v12 :: v_dual_add_nc_u32 v4, 64, v6
	v_mov_b32_e32 v12, v14
	v_cmp_gt_i64_e32 vcc_lo, s[30:31], v[0:1]
	s_mul_i32 s7, s48, s6
	s_delay_alu instid0(VALU_DEP_3)
	v_cmp_gt_i32_e64 s1, s8, v4
	v_mad_co_u64_u32 v[3:4], null, s49, v0, v[3:4]
	v_lshlrev_b64_e32 v[8:9], 3, v[8:9]
	v_dual_mov_b32 v11, v15 :: v_dual_lshlrev_b32 v4, 2, v5
	v_mad_co_u64_u32 v[14:15], null, s37, v20, v[12:13]
	v_mad_co_u64_u32 v[15:16], null, s20, v17, 0
	s_delay_alu instid0(VALU_DEP_3)
	v_lshl_add_u32 v0, v17, 10, v4
	v_lshl_add_u32 v19, v17, 8, v4
	v_mad_co_u64_u32 v[4:5], null, s48, v21, 0
	s_and_b32 s54, s5, vcc_lo
	v_add_co_u32 v20, vcc_lo, s24, v8
	v_cmp_gt_i32_e64 s6, s8, v21
	v_add_co_ci_u32_e64 v21, null, s25, v9, vcc_lo
	v_lshlrev_b64_e32 v[8:9], 1, v[10:11]
	v_mad_co_u64_u32 v[11:12], null, s20, v24, 0
	v_mov_b32_e32 v10, v16
	v_add3_u32 v5, v5, s7, v22
	v_mad_co_u64_u32 v[30:31], null, s36, v18, s[36:37]
	v_add_co_u32 v22, vcc_lo, s16, v8
	s_delay_alu instid0(VALU_DEP_4)
	v_mad_co_u64_u32 v[16:17], null, s21, v17, v[10:11]
	s_wait_alu 0xfffd
	v_add_co_ci_u32_e64 v23, null, s17, v9, vcc_lo
	v_lshlrev_b64_e32 v[9:10], 1, v[13:14]
	v_mov_b32_e32 v8, v12
	v_mov_b32_e32 v12, v29
	v_mad_co_u64_u32 v[32:33], null, s20, v18, s[20:21]
	v_cmp_gt_i32_e64 s0, s8, v6
	s_delay_alu instid0(VALU_DEP_4)
	v_mad_co_u64_u32 v[13:14], null, s21, v24, v[8:9]
	v_mov_b32_e32 v8, v31
	v_lshlrev_b64_e32 v[6:7], 1, v[6:7]
	v_cmp_gt_i32_e64 s4, s52, v18
	s_add_nc_u64 s[26:27], s[24:25], s[18:19]
	s_lshl_b64 s[30:31], s[38:39], 1
	s_lshl_b64 s[34:35], s[22:23], 1
	v_mad_co_u64_u32 v[26:27], null, s37, v24, v[12:13]
	v_add_co_u32 v24, vcc_lo, s24, v9
	s_wait_alu 0xfffd
	v_add_co_ci_u32_e64 v25, null, s25, v10, vcc_lo
	v_lshlrev_b64_e32 v[9:10], 3, v[15:16]
	s_delay_alu instid0(VALU_DEP_4) | instskip(SKIP_1) | instid1(VALU_DEP_2)
	v_dual_mov_b32 v12, v13 :: v_dual_mov_b32 v29, v26
	s_lshl_b64 s[44:45], s[20:21], 5
	v_add_co_u32 v26, vcc_lo, s16, v9
	v_mad_co_u64_u32 v[13:14], null, s37, v18, v[8:9]
	s_wait_alu 0xfffd
	v_add_co_ci_u32_e64 v27, null, s17, v10, vcc_lo
	v_lshlrev_b64_e32 v[9:10], 1, v[11:12]
	v_mov_b32_e32 v8, v33
	v_lshlrev_b64_e32 v[14:15], 1, v[28:29]
	v_mov_b32_e32 v31, v13
	s_delay_alu instid0(VALU_DEP_3) | instskip(SKIP_1) | instid1(VALU_DEP_3)
	v_mad_co_u64_u32 v[11:12], null, s21, v18, v[8:9]
	v_add_co_u32 v28, vcc_lo, s16, v9
	v_lshlrev_b64_e32 v[8:9], 1, v[30:31]
	s_wait_alu 0xfffd
	v_add_co_ci_u32_e64 v29, null, s17, v10, vcc_lo
	v_add_co_u32 v30, vcc_lo, s24, v14
	v_mov_b32_e32 v33, v11
	s_wait_alu 0xfffd
	v_add_co_ci_u32_e64 v31, null, s25, v15, vcc_lo
	s_delay_alu instid0(VALU_DEP_2) | instskip(SKIP_4) | instid1(VALU_DEP_4)
	v_lshlrev_b64_e32 v[10:11], 1, v[32:33]
	v_add_co_u32 v32, vcc_lo, s24, v8
	s_wait_alu 0xfffd
	v_add_co_ci_u32_e64 v33, null, s25, v9, vcc_lo
	v_lshlrev_b64_e32 v[8:9], 1, v[2:3]
	v_add_co_u32 v34, vcc_lo, s16, v10
	s_wait_alu 0xfffd
	v_add_co_ci_u32_e64 v35, null, s17, v11, vcc_lo
	s_lshl_b64 s[24:25], s[36:37], 5
	s_branch .LBB383_5
.LBB383_3:                              ;   in Loop: Header=BB383_5 Depth=1
	s_wait_alu 0xfffe
	s_or_b32 exec_lo, exec_lo, s7
.LBB383_4:                              ;   in Loop: Header=BB383_5 Depth=1
	s_add_co_i32 s10, s10, 0x10000
	s_delay_alu instid0(SALU_CYCLE_1)
	s_cmp_lt_u32 s10, s33
	s_cbranch_scc0 .LBB383_53
.LBB383_5:                              ; =>This Loop Header: Depth=1
                                        ;     Child Loop BB383_21 Depth 2
	s_mul_u64 s[46:47], s[14:15], s[10:11]
	s_mul_u64 s[48:49], s[42:43], s[10:11]
	s_wait_alu 0xfffe
	s_lshl_b64 s[46:47], s[46:47], 2
	s_lshl_b64 s[48:49], s[48:49], 2
	s_wait_alu 0xfffe
	s_add_nc_u64 s[46:47], s[12:13], s[46:47]
	s_add_nc_u64 s[48:49], s[40:41], s[48:49]
	s_clause 0x1
	global_load_b32 v36, v1, s[46:47]
	global_load_b32 v10, v1, s[48:49]
	s_wait_loadcnt 0x1
	v_cmp_eq_f32_e32 vcc_lo, 0, v36
	s_wait_loadcnt 0x0
	v_cmp_eq_f32_e64 s7, 1.0, v10
	v_readfirstlane_b32 s56, v10
	s_and_b32 s7, vcc_lo, s7
	s_wait_alu 0xfffe
	s_and_b32 vcc_lo, exec_lo, s7
	s_wait_alu 0xfffe
	s_cbranch_vccnz .LBB383_4
; %bb.6:                                ;   in Loop: Header=BB383_5 Depth=1
	v_cmp_neq_f32_e32 vcc_lo, 0, v36
	s_mul_u64 s[46:47], s[50:51], s[10:11]
	s_wait_alu 0xfffe
	s_lshl_b64 s[46:47], s[46:47], 1
	s_wait_alu 0xfffe
	s_add_nc_u64 s[46:47], s[28:29], s[46:47]
	s_cbranch_vccnz .LBB383_10
; %bb.7:                                ;   in Loop: Header=BB383_5 Depth=1
	s_mov_b32 s7, 0
	s_mov_b32 s55, 0
                                        ; implicit-def: $vgpr12
	s_and_saveexec_b32 s8, s54
	s_cbranch_execz .LBB383_11
; %bb.8:                                ;   in Loop: Header=BB383_5 Depth=1
	s_cmp_eq_f32 s56, 0
	s_cbranch_scc1 .LBB383_13
; %bb.9:                                ;   in Loop: Header=BB383_5 Depth=1
	s_wait_alu 0xfffe
	v_add_co_u32 v10, vcc_lo, s46, v8
	s_wait_alu 0xfffd
	v_add_co_ci_u32_e64 v11, null, s47, v9, vcc_lo
	global_load_u16 v10, v[10:11], off
	s_wait_loadcnt 0x0
	v_fma_mixlo_f16 v12, s56, v10, 0 op_sel_hi:[0,1,0]
	s_branch .LBB383_14
.LBB383_10:                             ;   in Loop: Header=BB383_5 Depth=1
	s_mov_b32 s55, 0
                                        ; implicit-def: $vgpr12
	s_cbranch_execz .LBB383_12
	s_branch .LBB383_15
.LBB383_11:                             ;   in Loop: Header=BB383_5 Depth=1
	s_wait_alu 0xfffe
	s_or_b32 exec_lo, exec_lo, s8
	s_delay_alu instid0(SALU_CYCLE_1)
	s_and_b32 vcc_lo, exec_lo, s7
	s_wait_alu 0xfffe
	s_cbranch_vccnz .LBB383_15
.LBB383_12:                             ;   in Loop: Header=BB383_5 Depth=1
	v_dual_mov_b32 v11, v3 :: v_dual_mov_b32 v10, v2
	s_and_saveexec_b32 s7, s55
	s_cbranch_execz .LBB383_3
	s_branch .LBB383_52
.LBB383_13:                             ;   in Loop: Header=BB383_5 Depth=1
	v_mov_b32_e32 v12, 0
.LBB383_14:                             ;   in Loop: Header=BB383_5 Depth=1
	s_mov_b32 s55, exec_lo
	s_wait_alu 0xfffe
	s_or_b32 exec_lo, exec_lo, s8
	s_delay_alu instid0(SALU_CYCLE_1)
	s_and_b32 vcc_lo, exec_lo, s7
	s_wait_alu 0xfffe
	s_cbranch_vccz .LBB383_12
.LBB383_15:                             ;   in Loop: Header=BB383_5 Depth=1
	v_dual_mov_b32 v37, 0 :: v_dual_mov_b32 v38, 0
	v_dual_mov_b32 v41, v18 :: v_dual_mov_b32 v40, 0
	v_mov_b32_e32 v39, 0
	s_and_saveexec_b32 s8, s4
	s_cbranch_execz .LBB383_27
; %bb.16:                               ;   in Loop: Header=BB383_5 Depth=1
	s_mul_u64 s[48:49], s[30:31], s[10:11]
	s_mul_u64 s[58:59], s[34:35], s[10:11]
	s_wait_alu 0xfffe
	v_add_co_u32 v42, vcc_lo, v20, s48
	s_wait_alu 0xfffd
	v_add_co_ci_u32_e64 v43, null, s49, v21, vcc_lo
	v_add_co_u32 v44, vcc_lo, v22, s58
	s_wait_alu 0xfffd
	v_add_co_ci_u32_e64 v45, null, s59, v23, vcc_lo
	;; [unrolled: 3-line block ×8, first 2 shown]
	v_dual_mov_b32 v37, 0 :: v_dual_mov_b32 v38, 0
	v_dual_mov_b32 v41, v18 :: v_dual_mov_b32 v40, 0
	v_mov_b32_e32 v39, 0
	s_mov_b32 s48, 0
	s_branch .LBB383_21
.LBB383_17:                             ;   in Loop: Header=BB383_21 Depth=2
	s_wait_alu 0xfffe
	s_or_b32 exec_lo, exec_lo, s58
	s_wait_loadcnt 0x3
	v_fma_mix_f32 v10, v70, v74, v39 op_sel_hi:[0,1,0]
	s_wait_loadcnt 0x2
	s_delay_alu instid0(VALU_DEP_1) | instskip(SKIP_1) | instid1(VALU_DEP_1)
	v_fma_mix_f32 v10, v71, v75, v10 op_sel_hi:[0,1,0]
	s_wait_loadcnt 0x1
	v_fma_mix_f32 v10, v72, v76, v10 op_sel_hi:[0,1,0]
	s_wait_loadcnt 0x0
	s_delay_alu instid0(VALU_DEP_1)
	v_fma_mix_f32 v39, v73, v77, v10 op_sel_hi:[0,1,0]
.LBB383_18:                             ;   in Loop: Header=BB383_21 Depth=2
	s_wait_alu 0xfffe
	s_or_b32 exec_lo, exec_lo, s57
	s_wait_loadcnt 0x3
	v_fma_mix_f32 v10, v70, v66, v38 op_sel_hi:[0,1,0]
	s_wait_loadcnt 0x2
	s_delay_alu instid0(VALU_DEP_1) | instskip(SKIP_1) | instid1(VALU_DEP_1)
	v_fma_mix_f32 v10, v71, v67, v10 op_sel_hi:[0,1,0]
	s_wait_loadcnt 0x1
	v_fma_mix_f32 v10, v72, v68, v10 op_sel_hi:[0,1,0]
	s_wait_loadcnt 0x0
	s_delay_alu instid0(VALU_DEP_1)
	v_fma_mix_f32 v38, v73, v69, v10 op_sel_hi:[0,1,0]
.LBB383_19:                             ;   in Loop: Header=BB383_21 Depth=2
	s_wait_alu 0xfffe
	s_or_b32 exec_lo, exec_lo, s49
	s_wait_loadcnt 0x3
	v_fma_mix_f32 v10, v58, v62, v37 op_sel_hi:[1,1,0]
	s_wait_loadcnt 0x2
	s_delay_alu instid0(VALU_DEP_1) | instskip(SKIP_1) | instid1(VALU_DEP_1)
	v_fma_mix_f32 v10, v59, v63, v10 op_sel_hi:[1,1,0]
	s_wait_loadcnt 0x1
	v_fma_mix_f32 v10, v60, v64, v10 op_sel_hi:[1,1,0]
	s_wait_loadcnt 0x0
	s_delay_alu instid0(VALU_DEP_1)
	v_fma_mix_f32 v37, v61, v65, v10 op_sel_hi:[1,1,0]
.LBB383_20:                             ;   in Loop: Header=BB383_21 Depth=2
	s_wait_alu 0xfffe
	s_or_b32 exec_lo, exec_lo, s7
	v_add_co_u32 v42, vcc_lo, v42, s24
	s_wait_alu 0xfffd
	v_add_co_ci_u32_e64 v43, null, s25, v43, vcc_lo
	v_add_co_u32 v44, vcc_lo, v44, s44
	s_wait_alu 0xfffd
	v_add_co_ci_u32_e64 v45, null, s45, v45, vcc_lo
	;; [unrolled: 3-line block ×4, first 2 shown]
	v_add_co_u32 v50, vcc_lo, v50, s44
	v_add_nc_u32_e32 v41, 16, v41
	s_wait_alu 0xfffd
	v_add_co_ci_u32_e64 v51, null, s45, v51, vcc_lo
	v_add_co_u32 v52, vcc_lo, v52, s24
	s_wait_alu 0xfffd
	v_add_co_ci_u32_e64 v53, null, s25, v53, vcc_lo
	v_add_co_u32 v54, vcc_lo, v54, s24
	s_wait_alu 0xfffd
	v_add_co_ci_u32_e64 v55, null, s25, v55, vcc_lo
	v_cmp_le_i32_e32 vcc_lo, s52, v41
	v_add_co_u32 v56, s7, v56, s44
	s_wait_alu 0xf1ff
	v_add_co_ci_u32_e64 v57, null, s45, v57, s7
	s_or_b32 s48, vcc_lo, s48
	s_wait_alu 0xfffe
	s_and_not1_b32 exec_lo, exec_lo, s48
	s_cbranch_execz .LBB383_26
.LBB383_21:                             ;   Parent Loop BB383_5 Depth=1
                                        ; =>  This Inner Loop Header: Depth=2
	s_and_saveexec_b32 s7, s0
	s_cbranch_execz .LBB383_20
; %bb.22:                               ;   in Loop: Header=BB383_21 Depth=2
	v_add_co_u32 v10, vcc_lo, v42, s18
	s_wait_alu 0xfffd
	v_add_co_ci_u32_e64 v11, null, s19, v43, vcc_lo
	v_add_co_u32 v12, vcc_lo, v54, s18
	s_wait_alu 0xfffd
	v_add_co_ci_u32_e64 v13, null, s19, v55, vcc_lo
	;; [unrolled: 3-line block ×3, first 2 shown]
	v_add_co_u32 v61, vcc_lo, v46, s18
	global_load_u16 v58, v[10:11], off
	global_load_u16 v59, v[12:13], off
	;; [unrolled: 1-line block ×3, first 2 shown]
	s_wait_alu 0xfffd
	v_add_co_ci_u32_e64 v62, null, s19, v47, vcc_lo
	v_add_co_u32 v10, vcc_lo, v48, v6
	s_wait_alu 0xfffd
	v_add_co_ci_u32_e64 v11, null, v49, v7, vcc_lo
	v_add_co_u32 v12, vcc_lo, v56, v6
	;; [unrolled: 3-line block ×4, first 2 shown]
	s_wait_alu 0xfffd
	v_add_co_ci_u32_e64 v17, null, v45, v7, vcc_lo
	global_load_u16 v61, v[61:62], off
	global_load_u16 v62, v[10:11], off
	;; [unrolled: 1-line block ×5, first 2 shown]
	s_and_saveexec_b32 s49, s1
	s_cbranch_execz .LBB383_19
; %bb.23:                               ;   in Loop: Header=BB383_21 Depth=2
	global_load_u16 v66, v[10:11], off offset:128
	global_load_u16 v67, v[12:13], off offset:128
	;; [unrolled: 1-line block ×4, first 2 shown]
	s_wait_loadcnt 0xb
	v_cvt_f32_f16_e32 v70, v58
	s_wait_loadcnt 0xa
	v_cvt_f32_f16_e32 v71, v59
	;; [unrolled: 2-line block ×4, first 2 shown]
	s_and_saveexec_b32 s57, s2
	s_cbranch_execz .LBB383_18
; %bb.24:                               ;   in Loop: Header=BB383_21 Depth=2
	global_load_u16 v74, v[10:11], off offset:256
	global_load_u16 v75, v[12:13], off offset:256
	;; [unrolled: 1-line block ×4, first 2 shown]
	s_and_saveexec_b32 s58, s3
	s_cbranch_execz .LBB383_17
; %bb.25:                               ;   in Loop: Header=BB383_21 Depth=2
	global_load_u16 v10, v[10:11], off offset:384
	global_load_u16 v11, v[12:13], off offset:384
	global_load_u16 v12, v[14:15], off offset:384
	global_load_u16 v13, v[16:17], off offset:384
	s_wait_loadcnt 0x3
	v_fma_mix_f32 v10, v70, v10, v40 op_sel_hi:[0,1,0]
	s_wait_loadcnt 0x2
	s_delay_alu instid0(VALU_DEP_1) | instskip(SKIP_1) | instid1(VALU_DEP_1)
	v_fma_mix_f32 v10, v71, v11, v10 op_sel_hi:[0,1,0]
	s_wait_loadcnt 0x1
	v_fma_mix_f32 v10, v72, v12, v10 op_sel_hi:[0,1,0]
	s_wait_loadcnt 0x0
	s_delay_alu instid0(VALU_DEP_1)
	v_fma_mix_f32 v40, v73, v13, v10 op_sel_hi:[0,1,0]
	s_branch .LBB383_17
.LBB383_26:                             ;   in Loop: Header=BB383_5 Depth=1
	s_or_b32 exec_lo, exec_lo, s48
.LBB383_27:                             ;   in Loop: Header=BB383_5 Depth=1
	s_wait_alu 0xfffe
	s_or_b32 exec_lo, exec_lo, s8
	s_delay_alu instid0(SALU_CYCLE_1)
	s_and_not1_b32 vcc_lo, exec_lo, s53
	s_wait_alu 0xfffe
	s_cbranch_vccnz .LBB383_45
; %bb.28:                               ;   in Loop: Header=BB383_5 Depth=1
	v_cmp_gt_i32_e32 vcc_lo, s9, v41
	v_dual_mov_b32 v42, 0 :: v_dual_mov_b32 v43, 0
	v_or_b32_e32 v10, 1, v41
	v_dual_mov_b32 v44, 0 :: v_dual_mov_b32 v45, 0
	s_and_saveexec_b32 s8, vcc_lo
	s_cbranch_execz .LBB383_36
; %bb.29:                               ;   in Loop: Header=BB383_5 Depth=1
	v_mad_co_u64_u32 v[11:12], null, s36, v41, 0
	s_mul_u64 s[48:49], s[38:39], s[10:11]
	v_dual_mov_b32 v44, 0 :: v_dual_mov_b32 v43, 0
	s_wait_alu 0xfffe
	s_lshl_b64 s[48:49], s[48:49], 1
	v_mov_b32_e32 v42, 0
	s_wait_alu 0xfffe
	s_add_nc_u64 s[48:49], s[26:27], s[48:49]
	v_mad_co_u64_u32 v[12:13], null, s37, v41, v[12:13]
	s_mov_b32 s57, exec_lo
	v_lshlrev_b64_e32 v[11:12], 1, v[11:12]
	s_wait_alu 0xfffe
	s_delay_alu instid0(VALU_DEP_1) | instskip(SKIP_1) | instid1(VALU_DEP_2)
	v_add_co_u32 v11, s7, s48, v11
	s_wait_alu 0xf1ff
	v_add_co_ci_u32_e64 v12, null, s49, v12, s7
	global_load_u16 v11, v[11:12], off
	v_cmpx_gt_i32_e64 s9, v10
	s_cbranch_execz .LBB383_35
; %bb.30:                               ;   in Loop: Header=BB383_5 Depth=1
	v_mad_co_u64_u32 v[12:13], null, s36, v10, 0
	v_dual_mov_b32 v43, 0 :: v_dual_mov_b32 v42, 0
	s_mov_b32 s58, exec_lo
	s_delay_alu instid0(VALU_DEP_2) | instskip(NEXT) | instid1(VALU_DEP_1)
	v_mad_co_u64_u32 v[13:14], null, s37, v10, v[13:14]
	v_lshlrev_b64_e32 v[12:13], 1, v[12:13]
	s_delay_alu instid0(VALU_DEP_1) | instskip(SKIP_1) | instid1(VALU_DEP_2)
	v_add_co_u32 v12, s7, s48, v12
	s_wait_alu 0xf1ff
	v_add_co_ci_u32_e64 v13, null, s49, v13, s7
	global_load_u16 v12, v[12:13], off
	v_or_b32_e32 v13, 2, v41
	s_delay_alu instid0(VALU_DEP_1)
	v_cmpx_gt_i32_e64 s9, v13
	s_cbranch_execz .LBB383_34
; %bb.31:                               ;   in Loop: Header=BB383_5 Depth=1
	v_mad_co_u64_u32 v[14:15], null, s36, v13, 0
	v_mov_b32_e32 v42, 0
	s_mov_b32 s59, exec_lo
	s_delay_alu instid0(VALU_DEP_2) | instskip(NEXT) | instid1(VALU_DEP_1)
	v_mad_co_u64_u32 v[15:16], null, s37, v13, v[15:16]
	v_lshlrev_b64_e32 v[13:14], 1, v[14:15]
	s_delay_alu instid0(VALU_DEP_1) | instskip(SKIP_1) | instid1(VALU_DEP_2)
	v_add_co_u32 v13, s7, s48, v13
	s_wait_alu 0xf1ff
	v_add_co_ci_u32_e64 v14, null, s49, v14, s7
	global_load_u16 v13, v[13:14], off
	v_or_b32_e32 v14, 3, v41
	s_delay_alu instid0(VALU_DEP_1)
	v_cmpx_gt_i32_e64 s9, v14
	s_cbranch_execz .LBB383_33
; %bb.32:                               ;   in Loop: Header=BB383_5 Depth=1
	v_mad_co_u64_u32 v[15:16], null, s36, v14, 0
	s_delay_alu instid0(VALU_DEP_1) | instskip(NEXT) | instid1(VALU_DEP_1)
	v_mad_co_u64_u32 v[16:17], null, s37, v14, v[16:17]
	v_lshlrev_b64_e32 v[14:15], 1, v[15:16]
	s_delay_alu instid0(VALU_DEP_1) | instskip(SKIP_1) | instid1(VALU_DEP_2)
	v_add_co_u32 v14, s7, s48, v14
	s_wait_alu 0xf1ff
	v_add_co_ci_u32_e64 v15, null, s49, v15, s7
	global_load_u16 v14, v[14:15], off
	s_wait_loadcnt 0x0
	v_cvt_f32_f16_e32 v42, v14
.LBB383_33:                             ;   in Loop: Header=BB383_5 Depth=1
	s_wait_alu 0xfffe
	s_or_b32 exec_lo, exec_lo, s59
	s_wait_loadcnt 0x0
	v_cvt_f32_f16_e32 v43, v13
.LBB383_34:                             ;   in Loop: Header=BB383_5 Depth=1
	s_wait_alu 0xfffe
	s_or_b32 exec_lo, exec_lo, s58
	s_wait_loadcnt 0x0
	v_cvt_f32_f16_e32 v44, v12
.LBB383_35:                             ;   in Loop: Header=BB383_5 Depth=1
	s_or_b32 exec_lo, exec_lo, s57
	s_wait_loadcnt 0x0
	v_cvt_f32_f16_e32 v45, v11
.LBB383_36:                             ;   in Loop: Header=BB383_5 Depth=1
	s_wait_alu 0xfffe
	s_or_b32 exec_lo, exec_lo, s8
	s_and_saveexec_b32 s48, s0
	s_cbranch_execz .LBB383_44
; %bb.37:                               ;   in Loop: Header=BB383_5 Depth=1
	v_mad_co_u64_u32 v[11:12], null, s20, v41, 0
	v_mad_co_u64_u32 v[13:14], null, s20, v10, 0
	v_or_b32_e32 v50, 2, v41
	v_or_b32_e32 v51, 3, v41
	s_mul_u64 s[58:59], s[22:23], s[10:11]
	s_wait_alu 0xfffe
	s_lshl_b64 s[58:59], s[58:59], 1
	v_cmp_gt_i32_e64 s7, s9, v50
	s_delay_alu instid0(VALU_DEP_4) | instskip(SKIP_4) | instid1(VALU_DEP_2)
	v_mad_co_u64_u32 v[15:16], null, s21, v41, v[12:13]
	v_mad_co_u64_u32 v[16:17], null, s20, v50, 0
	;; [unrolled: 1-line block ×3, first 2 shown]
	s_wait_alu 0xfffe
	s_add_nc_u64 s[58:59], s[16:17], s[58:59]
	v_dual_cndmask_b32 v12, 0, v15 :: v_dual_mov_b32 v15, v17
	s_delay_alu instid0(VALU_DEP_2) | instskip(NEXT) | instid1(VALU_DEP_2)
	v_mov_b32_e32 v17, v47
	v_mad_co_u64_u32 v[48:49], null, s21, v10, v[14:15]
	v_cndmask_b32_e32 v11, 0, v11, vcc_lo
	v_cmp_gt_i32_e32 vcc_lo, s9, v10
	s_wait_alu 0xfffd
	s_delay_alu instid0(VALU_DEP_3) | instskip(NEXT) | instid1(VALU_DEP_3)
	v_dual_cndmask_b32 v13, 0, v13 :: v_dual_cndmask_b32 v14, 0, v48
	v_lshlrev_b64_e32 v[11:12], 1, v[11:12]
	s_wait_alu 0xfffe
	s_delay_alu instid0(VALU_DEP_1) | instskip(SKIP_1) | instid1(VALU_DEP_2)
	v_add_co_u32 v10, s8, s58, v11
	s_wait_alu 0xf1ff
	v_add_co_ci_u32_e64 v11, null, s59, v12, s8
	v_lshlrev_b64_e32 v[12:13], 1, v[13:14]
	s_delay_alu instid0(VALU_DEP_3) | instskip(SKIP_1) | instid1(VALU_DEP_3)
	v_add_co_u32 v10, vcc_lo, v10, v6
	s_wait_alu 0xfffd
	v_add_co_ci_u32_e64 v11, null, v11, v7, vcc_lo
	v_cmp_gt_i32_e32 vcc_lo, s9, v51
	v_cndmask_b32_e64 v14, 0, v16, s7
	s_wait_alu 0xfffd
	v_cndmask_b32_e32 v46, 0, v46, vcc_lo
	v_mad_co_u64_u32 v[49:50], null, s21, v50, v[15:16]
	v_mad_co_u64_u32 v[16:17], null, s21, v51, v[17:18]
	s_delay_alu instid0(VALU_DEP_2) | instskip(SKIP_1) | instid1(VALU_DEP_3)
	v_cndmask_b32_e64 v15, 0, v49, s7
	v_add_co_u32 v12, s7, s58, v12
	v_cndmask_b32_e32 v47, 0, v16, vcc_lo
	s_wait_alu 0xf1ff
	v_add_co_ci_u32_e64 v13, null, s59, v13, s7
	v_lshlrev_b64_e32 v[14:15], 1, v[14:15]
	v_add_co_u32 v12, vcc_lo, v12, v6
	v_lshlrev_b64_e32 v[16:17], 1, v[46:47]
	s_wait_alu 0xfffd
	v_add_co_ci_u32_e64 v13, null, v13, v7, vcc_lo
	s_delay_alu instid0(VALU_DEP_4)
	v_add_co_u32 v14, vcc_lo, s58, v14
	s_wait_alu 0xfffd
	v_add_co_ci_u32_e64 v15, null, s59, v15, vcc_lo
	v_add_co_u32 v16, vcc_lo, s58, v16
	s_wait_alu 0xfffd
	v_add_co_ci_u32_e64 v17, null, s59, v17, vcc_lo
	;; [unrolled: 3-line block ×4, first 2 shown]
	s_clause 0x3
	global_load_u16 v41, v[10:11], off
	global_load_u16 v46, v[12:13], off
	;; [unrolled: 1-line block ×4, first 2 shown]
	s_and_saveexec_b32 s7, s1
	s_cbranch_execz .LBB383_43
; %bb.38:                               ;   in Loop: Header=BB383_5 Depth=1
	s_clause 0x3
	global_load_u16 v49, v[10:11], off offset:128
	global_load_u16 v50, v[12:13], off offset:128
	global_load_u16 v51, v[14:15], off offset:128
	global_load_u16 v52, v[16:17], off offset:128
	s_and_saveexec_b32 s8, s2
	s_cbranch_execz .LBB383_42
; %bb.39:                               ;   in Loop: Header=BB383_5 Depth=1
	s_clause 0x3
	global_load_u16 v53, v[10:11], off offset:256
	global_load_u16 v54, v[12:13], off offset:256
	global_load_u16 v55, v[14:15], off offset:256
	global_load_u16 v56, v[16:17], off offset:256
	;; [unrolled: 8-line block ×3, first 2 shown]
	s_wait_loadcnt 0x3
	v_fma_mix_f32 v10, v45, v10, v40 op_sel_hi:[0,1,0]
	s_wait_loadcnt 0x2
	s_delay_alu instid0(VALU_DEP_1) | instskip(SKIP_1) | instid1(VALU_DEP_1)
	v_fma_mix_f32 v10, v44, v11, v10 op_sel_hi:[0,1,0]
	s_wait_loadcnt 0x1
	v_fma_mix_f32 v10, v43, v12, v10 op_sel_hi:[0,1,0]
	s_wait_loadcnt 0x0
	s_delay_alu instid0(VALU_DEP_1)
	v_fma_mix_f32 v40, v42, v13, v10 op_sel_hi:[0,1,0]
.LBB383_41:                             ;   in Loop: Header=BB383_5 Depth=1
	s_wait_alu 0xfffe
	s_or_b32 exec_lo, exec_lo, s49
	s_wait_loadcnt 0x3
	v_fma_mix_f32 v10, v45, v53, v39 op_sel_hi:[0,1,0]
	s_wait_loadcnt 0x2
	s_delay_alu instid0(VALU_DEP_1) | instskip(SKIP_1) | instid1(VALU_DEP_1)
	v_fma_mix_f32 v10, v44, v54, v10 op_sel_hi:[0,1,0]
	s_wait_loadcnt 0x1
	v_fma_mix_f32 v10, v43, v55, v10 op_sel_hi:[0,1,0]
	s_wait_loadcnt 0x0
	s_delay_alu instid0(VALU_DEP_1)
	v_fma_mix_f32 v39, v42, v56, v10 op_sel_hi:[0,1,0]
.LBB383_42:                             ;   in Loop: Header=BB383_5 Depth=1
	s_wait_alu 0xfffe
	s_or_b32 exec_lo, exec_lo, s8
	s_wait_loadcnt 0x3
	v_fma_mix_f32 v10, v45, v49, v38 op_sel_hi:[0,1,0]
	s_wait_loadcnt 0x2
	s_delay_alu instid0(VALU_DEP_1) | instskip(SKIP_1) | instid1(VALU_DEP_1)
	v_fma_mix_f32 v10, v44, v50, v10 op_sel_hi:[0,1,0]
	s_wait_loadcnt 0x1
	v_fma_mix_f32 v10, v43, v51, v10 op_sel_hi:[0,1,0]
	s_wait_loadcnt 0x0
	s_delay_alu instid0(VALU_DEP_1)
	v_fma_mix_f32 v38, v42, v52, v10 op_sel_hi:[0,1,0]
.LBB383_43:                             ;   in Loop: Header=BB383_5 Depth=1
	s_wait_alu 0xfffe
	s_or_b32 exec_lo, exec_lo, s7
	s_wait_loadcnt 0x3
	v_fma_mix_f32 v10, v45, v41, v37 op_sel_hi:[0,1,0]
	s_wait_loadcnt 0x2
	s_delay_alu instid0(VALU_DEP_1) | instskip(SKIP_1) | instid1(VALU_DEP_1)
	v_fma_mix_f32 v10, v44, v46, v10 op_sel_hi:[0,1,0]
	s_wait_loadcnt 0x1
	v_fma_mix_f32 v10, v43, v47, v10 op_sel_hi:[0,1,0]
	s_wait_loadcnt 0x0
	s_delay_alu instid0(VALU_DEP_1)
	v_fma_mix_f32 v37, v42, v48, v10 op_sel_hi:[0,1,0]
.LBB383_44:                             ;   in Loop: Header=BB383_5 Depth=1
	s_wait_alu 0xfffe
	s_or_b32 exec_lo, exec_lo, s48
.LBB383_45:                             ;   in Loop: Header=BB383_5 Depth=1
	ds_store_2addr_stride64_b32 v0, v37, v38 offset1:1
	ds_store_2addr_stride64_b32 v0, v39, v40 offset0:2 offset1:3
	s_wait_dscnt 0x0
	s_barrier_signal -1
	s_barrier_wait -1
	global_inv scope:SCOPE_SE
                                        ; implicit-def: $vgpr12
	s_and_saveexec_b32 s7, s5
	s_cbranch_execz .LBB383_51
; %bb.46:                               ;   in Loop: Header=BB383_5 Depth=1
	ds_load_2addr_stride64_b32 v[10:11], v19 offset1:4
	ds_load_2addr_stride64_b32 v[12:13], v19 offset0:8 offset1:12
	s_mov_b32 s48, s55
	s_wait_dscnt 0x1
	v_add_f32_e32 v10, v10, v11
	s_wait_dscnt 0x0
	s_delay_alu instid0(VALU_DEP_1) | instskip(NEXT) | instid1(VALU_DEP_1)
	v_add_f32_e32 v10, v12, v10
                                        ; implicit-def: $vgpr12
	v_add_f32_e32 v10, v13, v10
	ds_store_b32 v19, v10
	s_and_saveexec_b32 s8, s6
	s_cbranch_execz .LBB383_50
; %bb.47:                               ;   in Loop: Header=BB383_5 Depth=1
	v_mul_f32_e32 v10, v36, v10
	s_cmp_eq_f32 s56, 0
	s_cbranch_scc1 .LBB383_49
; %bb.48:                               ;   in Loop: Header=BB383_5 Depth=1
	v_lshlrev_b64_e32 v[11:12], 1, v[4:5]
	s_delay_alu instid0(VALU_DEP_1) | instskip(SKIP_1) | instid1(VALU_DEP_2)
	v_add_co_u32 v11, vcc_lo, s46, v11
	s_wait_alu 0xfffd
	v_add_co_ci_u32_e64 v12, null, s47, v12, vcc_lo
	global_load_u16 v11, v[11:12], off
	s_wait_loadcnt 0x0
	v_fma_mix_f32 v10, s56, v11, v10 op_sel_hi:[0,1,0]
.LBB383_49:                             ;   in Loop: Header=BB383_5 Depth=1
	s_delay_alu instid0(VALU_DEP_1)
	v_cvt_f16_f32_e32 v12, v10
	s_or_b32 s48, s55, exec_lo
.LBB383_50:                             ;   in Loop: Header=BB383_5 Depth=1
	s_wait_alu 0xfffe
	s_or_b32 exec_lo, exec_lo, s8
	s_delay_alu instid0(SALU_CYCLE_1)
	s_and_not1_b32 s8, s55, exec_lo
	s_and_b32 s48, s48, exec_lo
	s_wait_alu 0xfffe
	s_or_b32 s55, s8, s48
.LBB383_51:                             ;   in Loop: Header=BB383_5 Depth=1
	s_wait_alu 0xfffe
	s_or_b32 exec_lo, exec_lo, s7
	v_dual_mov_b32 v11, v5 :: v_dual_mov_b32 v10, v4
	s_and_saveexec_b32 s7, s55
	s_cbranch_execz .LBB383_3
.LBB383_52:                             ;   in Loop: Header=BB383_5 Depth=1
	s_delay_alu instid0(VALU_DEP_1) | instskip(SKIP_1) | instid1(VALU_DEP_1)
	v_lshlrev_b64_e32 v[10:11], 1, v[10:11]
	s_wait_alu 0xfffe
	v_add_co_u32 v10, vcc_lo, s46, v10
	s_wait_alu 0xfffd
	s_delay_alu instid0(VALU_DEP_2)
	v_add_co_ci_u32_e64 v11, null, s47, v11, vcc_lo
	global_store_b16 v[10:11], v12, off
	s_branch .LBB383_3
.LBB383_53:
	s_endpgm
	.section	.rodata,"a",@progbits
	.p2align	6, 0x0
	.amdhsa_kernel _ZL20rocblas_gemvn_kernelILi64ELi4ElDF16_PKfDF16_EviiT3_lPKT2_lT1_lS5_lS6_lS2_lPT4_lS6_li
		.amdhsa_group_segment_fixed_size 4096
		.amdhsa_private_segment_fixed_size 0
		.amdhsa_kernarg_size 400
		.amdhsa_user_sgpr_count 2
		.amdhsa_user_sgpr_dispatch_ptr 0
		.amdhsa_user_sgpr_queue_ptr 0
		.amdhsa_user_sgpr_kernarg_segment_ptr 1
		.amdhsa_user_sgpr_dispatch_id 0
		.amdhsa_user_sgpr_private_segment_size 0
		.amdhsa_wavefront_size32 1
		.amdhsa_uses_dynamic_stack 0
		.amdhsa_enable_private_segment 0
		.amdhsa_system_sgpr_workgroup_id_x 1
		.amdhsa_system_sgpr_workgroup_id_y 0
		.amdhsa_system_sgpr_workgroup_id_z 1
		.amdhsa_system_sgpr_workgroup_info 0
		.amdhsa_system_vgpr_workitem_id 1
		.amdhsa_next_free_vgpr 78
		.amdhsa_next_free_sgpr 60
		.amdhsa_reserve_vcc 1
		.amdhsa_float_round_mode_32 0
		.amdhsa_float_round_mode_16_64 0
		.amdhsa_float_denorm_mode_32 3
		.amdhsa_float_denorm_mode_16_64 3
		.amdhsa_fp16_overflow 0
		.amdhsa_workgroup_processor_mode 1
		.amdhsa_memory_ordered 1
		.amdhsa_forward_progress 1
		.amdhsa_inst_pref_size 31
		.amdhsa_round_robin_scheduling 0
		.amdhsa_exception_fp_ieee_invalid_op 0
		.amdhsa_exception_fp_denorm_src 0
		.amdhsa_exception_fp_ieee_div_zero 0
		.amdhsa_exception_fp_ieee_overflow 0
		.amdhsa_exception_fp_ieee_underflow 0
		.amdhsa_exception_fp_ieee_inexact 0
		.amdhsa_exception_int_div_zero 0
	.end_amdhsa_kernel
	.section	.text._ZL20rocblas_gemvn_kernelILi64ELi4ElDF16_PKfDF16_EviiT3_lPKT2_lT1_lS5_lS6_lS2_lPT4_lS6_li,"axG",@progbits,_ZL20rocblas_gemvn_kernelILi64ELi4ElDF16_PKfDF16_EviiT3_lPKT2_lT1_lS5_lS6_lS2_lPT4_lS6_li,comdat
.Lfunc_end383:
	.size	_ZL20rocblas_gemvn_kernelILi64ELi4ElDF16_PKfDF16_EviiT3_lPKT2_lT1_lS5_lS6_lS2_lPT4_lS6_li, .Lfunc_end383-_ZL20rocblas_gemvn_kernelILi64ELi4ElDF16_PKfDF16_EviiT3_lPKT2_lT1_lS5_lS6_lS2_lPT4_lS6_li
                                        ; -- End function
	.set _ZL20rocblas_gemvn_kernelILi64ELi4ElDF16_PKfDF16_EviiT3_lPKT2_lT1_lS5_lS6_lS2_lPT4_lS6_li.num_vgpr, 78
	.set _ZL20rocblas_gemvn_kernelILi64ELi4ElDF16_PKfDF16_EviiT3_lPKT2_lT1_lS5_lS6_lS2_lPT4_lS6_li.num_agpr, 0
	.set _ZL20rocblas_gemvn_kernelILi64ELi4ElDF16_PKfDF16_EviiT3_lPKT2_lT1_lS5_lS6_lS2_lPT4_lS6_li.numbered_sgpr, 60
	.set _ZL20rocblas_gemvn_kernelILi64ELi4ElDF16_PKfDF16_EviiT3_lPKT2_lT1_lS5_lS6_lS2_lPT4_lS6_li.num_named_barrier, 0
	.set _ZL20rocblas_gemvn_kernelILi64ELi4ElDF16_PKfDF16_EviiT3_lPKT2_lT1_lS5_lS6_lS2_lPT4_lS6_li.private_seg_size, 0
	.set _ZL20rocblas_gemvn_kernelILi64ELi4ElDF16_PKfDF16_EviiT3_lPKT2_lT1_lS5_lS6_lS2_lPT4_lS6_li.uses_vcc, 1
	.set _ZL20rocblas_gemvn_kernelILi64ELi4ElDF16_PKfDF16_EviiT3_lPKT2_lT1_lS5_lS6_lS2_lPT4_lS6_li.uses_flat_scratch, 0
	.set _ZL20rocblas_gemvn_kernelILi64ELi4ElDF16_PKfDF16_EviiT3_lPKT2_lT1_lS5_lS6_lS2_lPT4_lS6_li.has_dyn_sized_stack, 0
	.set _ZL20rocblas_gemvn_kernelILi64ELi4ElDF16_PKfDF16_EviiT3_lPKT2_lT1_lS5_lS6_lS2_lPT4_lS6_li.has_recursion, 0
	.set _ZL20rocblas_gemvn_kernelILi64ELi4ElDF16_PKfDF16_EviiT3_lPKT2_lT1_lS5_lS6_lS2_lPT4_lS6_li.has_indirect_call, 0
	.section	.AMDGPU.csdata,"",@progbits
; Kernel info:
; codeLenInByte = 3916
; TotalNumSgprs: 62
; NumVgprs: 78
; ScratchSize: 0
; MemoryBound: 0
; FloatMode: 240
; IeeeMode: 1
; LDSByteSize: 4096 bytes/workgroup (compile time only)
; SGPRBlocks: 0
; VGPRBlocks: 9
; NumSGPRsForWavesPerEU: 62
; NumVGPRsForWavesPerEU: 78
; Occupancy: 16
; WaveLimiterHint : 1
; COMPUTE_PGM_RSRC2:SCRATCH_EN: 0
; COMPUTE_PGM_RSRC2:USER_SGPR: 2
; COMPUTE_PGM_RSRC2:TRAP_HANDLER: 0
; COMPUTE_PGM_RSRC2:TGID_X_EN: 1
; COMPUTE_PGM_RSRC2:TGID_Y_EN: 0
; COMPUTE_PGM_RSRC2:TGID_Z_EN: 1
; COMPUTE_PGM_RSRC2:TIDIG_COMP_CNT: 1
	.section	.text._ZL20rocblas_gemvn_kernelILi64ELi4EiDF16_fDF16_EviiT3_lPKT2_lT1_lS3_lS4_lS0_lPT4_lS4_li,"axG",@progbits,_ZL20rocblas_gemvn_kernelILi64ELi4EiDF16_fDF16_EviiT3_lPKT2_lT1_lS3_lS4_lS0_lPT4_lS4_li,comdat
	.globl	_ZL20rocblas_gemvn_kernelILi64ELi4EiDF16_fDF16_EviiT3_lPKT2_lT1_lS3_lS4_lS0_lPT4_lS4_li ; -- Begin function _ZL20rocblas_gemvn_kernelILi64ELi4EiDF16_fDF16_EviiT3_lPKT2_lT1_lS3_lS4_lS0_lPT4_lS4_li
	.p2align	8
	.type	_ZL20rocblas_gemvn_kernelILi64ELi4EiDF16_fDF16_EviiT3_lPKT2_lT1_lS3_lS4_lS0_lPT4_lS4_li,@function
_ZL20rocblas_gemvn_kernelILi64ELi4EiDF16_fDF16_EviiT3_lPKT2_lT1_lS3_lS4_lS0_lPT4_lS4_li: ; @_ZL20rocblas_gemvn_kernelILi64ELi4EiDF16_fDF16_EviiT3_lPKT2_lT1_lS3_lS4_lS0_lPT4_lS4_li
; %bb.0:
	s_load_b64 s[2:3], s[0:1], 0x9c
	s_wait_kmcnt 0x0
	s_lshr_b32 s4, s2, 16
	s_and_b32 s2, s2, 0xffff
	s_and_b32 s3, s3, 0xffff
	s_mul_i32 s2, s4, s2
	s_delay_alu instid0(SALU_CYCLE_1) | instskip(NEXT) | instid1(SALU_CYCLE_1)
	s_mul_i32 s2, s2, s3
	s_cmp_lg_u32 s2, 0x100
	s_cbranch_scc1 .LBB384_53
; %bb.1:
	s_load_b32 s19, s[0:1], 0x88
	s_lshr_b32 s28, ttmp7, 16
	s_wait_kmcnt 0x0
	s_cmp_ge_u32 s28, s19
	s_cbranch_scc1 .LBB384_53
; %bb.2:
	s_clause 0x8
	s_load_b128 s[4:7], s[0:1], 0x18
	s_load_b96 s[16:18], s[0:1], 0x40
	s_load_b128 s[12:15], s[0:1], 0x68
	s_load_b32 s34, s[0:1], 0x78
	s_load_b96 s[20:22], s[0:1], 0x0
	s_load_b32 s23, s[0:1], 0x28
	s_load_b128 s[8:11], s[0:1], 0x30
	s_load_b96 s[24:26], s[0:1], 0x50
	s_load_b64 s[30:31], s[0:1], 0x80
	v_dual_mov_b32 v4, 0 :: v_dual_and_b32 v7, 0x3ff, v0
	v_bfe_u32 v6, v0, 10, 10
	s_mov_b32 s29, 0
	s_delay_alu instid0(VALU_DEP_2) | instskip(NEXT) | instid1(VALU_DEP_2)
	v_lshlrev_b32_e32 v5, 2, v7
	v_lshl_add_u32 v8, v6, 6, v7
	v_lshlrev_b32_e32 v17, 2, v6
	s_delay_alu instid0(VALU_DEP_3)
	v_lshl_add_u32 v18, v6, 10, v5
	s_wait_kmcnt 0x0
	s_lshl_b64 s[0:1], s[6:7], 1
	s_lshl_b64 s[2:3], s[16:17], 1
	;; [unrolled: 1-line block ×3, first 2 shown]
	s_ashr_i32 s35, s34, 31
	s_cmp_eq_f32 s22, 0
	s_add_nc_u64 s[14:15], s[4:5], s[0:1]
	v_mul_lo_u32 v9, s23, v17
	s_mov_b32 s16, s20
	s_cselect_b32 s27, -1, 0
	s_cmp_neq_f32 s22, 0
	s_add_nc_u64 s[10:11], s[10:11], s[2:3]
	s_add_nc_u64 s[12:13], s[12:13], s[6:7]
	v_lshl_add_u32 v20, v6, 8, v5
	s_cselect_b32 s36, -1, 0
	s_cmp_neq_f32 s26, 1.0
	v_add3_u32 v21, v9, s23, v7
	v_or_b32_e32 v9, 3, v17
	s_cselect_b32 s0, -1, 0
	s_lshl_b32 s33, ttmp9, 8
	s_ashr_i32 s17, s20, 31
	v_add_nc_u32_e32 v3, s33, v8
	v_or_b32_e32 v10, s33, v8
	s_or_b32 s38, s36, s0
	s_cmp_neq_f32 s26, 0
	v_or_b32_e32 v19, s33, v7
	v_mad_co_u64_u32 v[0:1], null, s34, v3, 0
	v_mul_lo_u32 v2, s34, v10
	s_cselect_b32 s39, -1, 0
	s_ashr_i32 s1, s21, 31
	v_cmp_gt_i64_e32 vcc_lo, s[16:17], v[3:4]
	s_lshr_b32 s1, s1, 28
	v_add_nc_u32_e32 v11, 64, v19
	s_add_co_i32 s3, s21, s1
	v_cmp_gt_i32_e64 s6, s20, v10
	v_mad_co_u64_u32 v[3:4], null, s35, v3, v[1:2]
	s_and_b32 s40, s3, -16
	v_mul_lo_u32 v10, v6, s23
	s_sub_co_i32 s5, s21, s40
	v_cmp_gt_i32_e64 s1, s20, v11
	s_cmp_gt_i32 s5, 0
	v_cmp_gt_u32_e64 s5, 0x100, v8
	v_or_b32_e32 v8, 2, v17
	v_mul_lo_u32 v11, v6, s18
	v_dual_mov_b32 v1, v3 :: v_dual_add_nc_u32 v12, 0x80, v19
	v_add_nc_u32_e32 v13, 0xc0, v19
	s_delay_alu instid0(VALU_DEP_4)
	v_mad_co_u64_u32 v[4:5], null, s23, v8, v[7:8]
	s_mov_b32 s16, s18
	v_mad_co_u64_u32 v[5:6], null, s23, v9, v[7:8]
	v_lshl_add_u32 v22, v10, 2, v7
	s_wait_alu 0xfffe
	v_mad_co_u64_u32 v[6:7], null, s18, v17, s[16:17]
	v_mul_lo_u32 v23, s18, v8
	v_mul_lo_u32 v24, s18, v9
	v_lshlrev_b64_e32 v[7:8], 1, v[0:1]
	v_cmp_gt_i32_e64 s0, s20, v19
	v_cmp_gt_i32_e64 s2, s20, v12
	;; [unrolled: 1-line block ×4, first 2 shown]
	v_ashrrev_i32_e32 v3, 31, v2
	v_lshlrev_b32_e32 v25, 2, v11
	s_cselect_b32 s20, -1, 0
	s_and_b32 s41, s5, vcc_lo
	s_lshl_b32 s42, s23, 4
	s_lshl_b32 s43, s18, 4
	s_branch .LBB384_5
.LBB384_3:                              ;   in Loop: Header=BB384_5 Depth=1
	s_wait_alu 0xfffe
	s_or_b32 exec_lo, exec_lo, s7
.LBB384_4:                              ;   in Loop: Header=BB384_5 Depth=1
	s_add_co_i32 s28, s28, 0x10000
	s_delay_alu instid0(SALU_CYCLE_1)
	s_cmp_lt_u32 s28, s19
	s_cbranch_scc0 .LBB384_53
.LBB384_5:                              ; =>This Loop Header: Depth=1
                                        ;     Child Loop BB384_21 Depth 2
	s_and_not1_b32 vcc_lo, exec_lo, s38
	s_wait_alu 0xfffe
	s_cbranch_vccnz .LBB384_4
; %bb.6:                                ;   in Loop: Header=BB384_5 Depth=1
	s_mul_u64 s[16:17], s[30:31], s[28:29]
	s_and_not1_b32 vcc_lo, exec_lo, s27
	s_wait_alu 0xfffe
	s_lshl_b64 s[16:17], s[16:17], 1
	s_wait_alu 0xfffe
	s_add_nc_u64 s[16:17], s[12:13], s[16:17]
	s_cbranch_vccnz .LBB384_10
; %bb.7:                                ;   in Loop: Header=BB384_5 Depth=1
	s_mov_b32 s7, 0
	s_mov_b32 s44, 0
                                        ; implicit-def: $vgpr11
	s_and_saveexec_b32 s34, s41
	s_cbranch_execz .LBB384_11
; %bb.8:                                ;   in Loop: Header=BB384_5 Depth=1
	s_and_not1_b32 vcc_lo, exec_lo, s39
	s_wait_alu 0xfffe
	s_cbranch_vccnz .LBB384_13
; %bb.9:                                ;   in Loop: Header=BB384_5 Depth=1
	v_add_co_u32 v9, vcc_lo, s16, v7
	s_wait_alu 0xfffd
	v_add_co_ci_u32_e64 v10, null, s17, v8, vcc_lo
	global_load_u16 v9, v[9:10], off
	s_wait_loadcnt 0x0
	v_fma_mixlo_f16 v11, s26, v9, 0 op_sel_hi:[0,1,0]
	s_branch .LBB384_14
.LBB384_10:                             ;   in Loop: Header=BB384_5 Depth=1
	s_mov_b32 s44, 0
                                        ; implicit-def: $vgpr11
	s_cbranch_execz .LBB384_12
	s_branch .LBB384_15
.LBB384_11:                             ;   in Loop: Header=BB384_5 Depth=1
	s_wait_alu 0xfffe
	s_or_b32 exec_lo, exec_lo, s34
	s_delay_alu instid0(SALU_CYCLE_1)
	s_and_b32 vcc_lo, exec_lo, s7
	s_wait_alu 0xfffe
	s_cbranch_vccnz .LBB384_15
.LBB384_12:                             ;   in Loop: Header=BB384_5 Depth=1
	v_dual_mov_b32 v10, v1 :: v_dual_mov_b32 v9, v0
	s_and_saveexec_b32 s7, s44
	s_cbranch_execz .LBB384_3
	s_branch .LBB384_52
.LBB384_13:                             ;   in Loop: Header=BB384_5 Depth=1
	v_mov_b32_e32 v11, 0
.LBB384_14:                             ;   in Loop: Header=BB384_5 Depth=1
	s_mov_b32 s44, exec_lo
	s_wait_alu 0xfffe
	s_or_b32 exec_lo, exec_lo, s34
	s_delay_alu instid0(SALU_CYCLE_1)
	s_and_b32 vcc_lo, exec_lo, s7
	s_wait_alu 0xfffe
	s_cbranch_vccz .LBB384_12
.LBB384_15:                             ;   in Loop: Header=BB384_5 Depth=1
	s_mul_u64 s[34:35], s[8:9], s[28:29]
	s_mul_u64 s[36:37], s[24:25], s[28:29]
	v_dual_mov_b32 v26, 0 :: v_dual_mov_b32 v27, 0
	v_dual_mov_b32 v30, v17 :: v_dual_mov_b32 v29, 0
	v_mov_b32_e32 v28, 0
	s_wait_alu 0xfffe
	s_lshl_b64 s[34:35], s[34:35], 1
	s_lshl_b64 s[36:37], s[36:37], 1
	s_wait_alu 0xfffe
	s_add_nc_u64 s[34:35], s[14:15], s[34:35]
	s_add_nc_u64 s[36:37], s[10:11], s[36:37]
	s_and_saveexec_b32 s7, s4
	s_cbranch_execz .LBB384_27
; %bb.16:                               ;   in Loop: Header=BB384_5 Depth=1
	v_dual_mov_b32 v26, 0 :: v_dual_mov_b32 v31, v22
	v_dual_mov_b32 v32, v5 :: v_dual_mov_b32 v33, v4
	;; [unrolled: 1-line block ×4, first 2 shown]
	v_mov_b32_e32 v28, 0
	s_mov_b32 s45, 0
	s_mov_b32 s46, 0
	s_branch .LBB384_21
.LBB384_17:                             ;   in Loop: Header=BB384_21 Depth=2
	s_or_b32 exec_lo, exec_lo, s50
	s_wait_loadcnt 0x3
	v_fma_mix_f32 v9, v47, v51, v28 op_sel_hi:[0,1,0]
	s_wait_loadcnt 0x2
	s_delay_alu instid0(VALU_DEP_1) | instskip(SKIP_1) | instid1(VALU_DEP_1)
	v_fma_mix_f32 v9, v48, v52, v9 op_sel_hi:[0,1,0]
	s_wait_loadcnt 0x1
	v_fma_mix_f32 v9, v49, v53, v9 op_sel_hi:[0,1,0]
	s_wait_loadcnt 0x0
	s_delay_alu instid0(VALU_DEP_1)
	v_fma_mix_f32 v28, v50, v54, v9 op_sel_hi:[0,1,0]
.LBB384_18:                             ;   in Loop: Header=BB384_21 Depth=2
	s_or_b32 exec_lo, exec_lo, s49
	s_wait_loadcnt 0x3
	v_fma_mix_f32 v9, v47, v43, v27 op_sel_hi:[0,1,0]
	s_wait_loadcnt 0x2
	s_delay_alu instid0(VALU_DEP_1) | instskip(SKIP_1) | instid1(VALU_DEP_1)
	v_fma_mix_f32 v9, v48, v44, v9 op_sel_hi:[0,1,0]
	s_wait_loadcnt 0x1
	v_fma_mix_f32 v9, v49, v45, v9 op_sel_hi:[0,1,0]
	s_wait_loadcnt 0x0
	s_delay_alu instid0(VALU_DEP_1)
	v_fma_mix_f32 v27, v50, v46, v9 op_sel_hi:[0,1,0]
.LBB384_19:                             ;   in Loop: Header=BB384_21 Depth=2
	s_or_b32 exec_lo, exec_lo, s48
	s_wait_loadcnt 0x3
	v_fma_mix_f32 v9, v35, v39, v26 op_sel_hi:[1,1,0]
	s_wait_loadcnt 0x2
	s_delay_alu instid0(VALU_DEP_1) | instskip(SKIP_1) | instid1(VALU_DEP_1)
	v_fma_mix_f32 v9, v36, v40, v9 op_sel_hi:[1,1,0]
	s_wait_loadcnt 0x1
	v_fma_mix_f32 v9, v37, v41, v9 op_sel_hi:[1,1,0]
	s_wait_loadcnt 0x0
	s_delay_alu instid0(VALU_DEP_1)
	v_fma_mix_f32 v26, v38, v42, v9 op_sel_hi:[1,1,0]
.LBB384_20:                             ;   in Loop: Header=BB384_21 Depth=2
	s_wait_alu 0xfffe
	s_or_b32 exec_lo, exec_lo, s47
	v_add_nc_u32_e32 v30, 16, v30
	v_add_nc_u32_e32 v34, s42, v34
	v_add_nc_u32_e32 v33, s42, v33
	v_add_nc_u32_e32 v32, s42, v32
	v_add_nc_u32_e32 v31, s42, v31
	v_cmp_le_i32_e32 vcc_lo, s40, v30
	s_add_co_i32 s46, s46, s43
	s_or_b32 s45, vcc_lo, s45
	s_delay_alu instid0(SALU_CYCLE_1)
	s_and_not1_b32 exec_lo, exec_lo, s45
	s_cbranch_execz .LBB384_26
.LBB384_21:                             ;   Parent Loop BB384_5 Depth=1
                                        ; =>  This Inner Loop Header: Depth=2
	s_and_saveexec_b32 s47, s0
	s_cbranch_execz .LBB384_20
; %bb.22:                               ;   in Loop: Header=BB384_21 Depth=2
	s_wait_alu 0xfffe
	v_add_nc_u32_e32 v9, s46, v25
	v_add_nc_u32_e32 v11, s46, v6
	;; [unrolled: 1-line block ×5, first 2 shown]
	v_ashrrev_i32_e32 v10, 31, v9
	v_ashrrev_i32_e32 v12, 31, v11
	;; [unrolled: 1-line block ×5, first 2 shown]
	v_lshlrev_b64_e32 v[9:10], 1, v[9:10]
	v_lshlrev_b64_e32 v[11:12], 1, v[11:12]
	v_lshlrev_b64_e32 v[13:14], 1, v[13:14]
	s_delay_alu instid0(VALU_DEP_3) | instskip(SKIP_1) | instid1(VALU_DEP_4)
	v_add_co_u32 v37, vcc_lo, s36, v9
	s_wait_alu 0xfffd
	v_add_co_ci_u32_e64 v38, null, s37, v10, vcc_lo
	s_delay_alu instid0(VALU_DEP_4)
	v_add_co_u32 v39, vcc_lo, s36, v11
	v_add_nc_u32_e32 v11, s33, v34
	s_wait_alu 0xfffd
	v_add_co_ci_u32_e64 v40, null, s37, v12, vcc_lo
	v_lshlrev_b64_e32 v[9:10], 1, v[15:16]
	v_add_co_u32 v41, vcc_lo, s36, v13
	v_add_nc_u32_e32 v15, s33, v33
	s_wait_alu 0xfffd
	v_add_co_ci_u32_e64 v42, null, s37, v14, vcc_lo
	v_lshlrev_b64_e32 v[13:14], 1, v[35:36]
	v_add_nc_u32_e32 v35, s33, v32
	v_ashrrev_i32_e32 v12, 31, v11
	v_ashrrev_i32_e32 v16, 31, v15
	v_add_co_u32 v43, vcc_lo, s36, v9
	s_delay_alu instid0(VALU_DEP_4)
	v_ashrrev_i32_e32 v36, 31, v35
	s_wait_alu 0xfffd
	v_add_co_ci_u32_e64 v44, null, s37, v10, vcc_lo
	v_lshlrev_b64_e32 v[11:12], 1, v[11:12]
	v_add_co_u32 v9, vcc_lo, s34, v13
	s_wait_alu 0xfffd
	v_add_co_ci_u32_e64 v10, null, s35, v14, vcc_lo
	v_lshlrev_b64_e32 v[13:14], 1, v[15:16]
	v_lshlrev_b64_e32 v[15:16], 1, v[35:36]
	v_add_co_u32 v11, vcc_lo, s34, v11
	s_wait_alu 0xfffd
	v_add_co_ci_u32_e64 v12, null, s35, v12, vcc_lo
	s_delay_alu instid0(VALU_DEP_4)
	v_add_co_u32 v13, vcc_lo, s34, v13
	s_wait_alu 0xfffd
	v_add_co_ci_u32_e64 v14, null, s35, v14, vcc_lo
	v_add_co_u32 v15, vcc_lo, s34, v15
	s_wait_alu 0xfffd
	v_add_co_ci_u32_e64 v16, null, s35, v16, vcc_lo
	s_clause 0x3
	global_load_u16 v35, v[37:38], off
	global_load_u16 v36, v[39:40], off
	;; [unrolled: 1-line block ×4, first 2 shown]
	s_clause 0x3
	global_load_u16 v39, v[9:10], off
	global_load_u16 v40, v[11:12], off
	;; [unrolled: 1-line block ×4, first 2 shown]
	s_and_saveexec_b32 s48, s1
	s_cbranch_execz .LBB384_19
; %bb.23:                               ;   in Loop: Header=BB384_21 Depth=2
	s_clause 0x3
	global_load_u16 v43, v[9:10], off offset:128
	global_load_u16 v44, v[11:12], off offset:128
	;; [unrolled: 1-line block ×4, first 2 shown]
	s_wait_loadcnt 0xb
	v_cvt_f32_f16_e32 v47, v35
	s_wait_loadcnt 0xa
	v_cvt_f32_f16_e32 v48, v36
	;; [unrolled: 2-line block ×4, first 2 shown]
	s_and_saveexec_b32 s49, s2
	s_cbranch_execz .LBB384_18
; %bb.24:                               ;   in Loop: Header=BB384_21 Depth=2
	s_clause 0x3
	global_load_u16 v51, v[9:10], off offset:256
	global_load_u16 v52, v[11:12], off offset:256
	;; [unrolled: 1-line block ×4, first 2 shown]
	s_and_saveexec_b32 s50, s3
	s_cbranch_execz .LBB384_17
; %bb.25:                               ;   in Loop: Header=BB384_21 Depth=2
	s_clause 0x3
	global_load_u16 v9, v[9:10], off offset:384
	global_load_u16 v10, v[11:12], off offset:384
	;; [unrolled: 1-line block ×4, first 2 shown]
	s_wait_loadcnt 0x3
	v_fma_mix_f32 v9, v47, v9, v29 op_sel_hi:[0,1,0]
	s_wait_loadcnt 0x2
	s_delay_alu instid0(VALU_DEP_1) | instskip(SKIP_1) | instid1(VALU_DEP_1)
	v_fma_mix_f32 v9, v48, v10, v9 op_sel_hi:[0,1,0]
	s_wait_loadcnt 0x1
	v_fma_mix_f32 v9, v49, v11, v9 op_sel_hi:[0,1,0]
	s_wait_loadcnt 0x0
	s_delay_alu instid0(VALU_DEP_1)
	v_fma_mix_f32 v29, v50, v12, v9 op_sel_hi:[0,1,0]
	s_branch .LBB384_17
.LBB384_26:                             ;   in Loop: Header=BB384_5 Depth=1
	s_or_b32 exec_lo, exec_lo, s45
.LBB384_27:                             ;   in Loop: Header=BB384_5 Depth=1
	s_wait_alu 0xfffe
	s_or_b32 exec_lo, exec_lo, s7
	s_delay_alu instid0(SALU_CYCLE_1)
	s_and_not1_b32 vcc_lo, exec_lo, s20
	s_wait_alu 0xfffe
	s_cbranch_vccnz .LBB384_45
; %bb.28:                               ;   in Loop: Header=BB384_5 Depth=1
	v_cmp_gt_i32_e32 vcc_lo, s21, v30
	v_dual_mov_b32 v31, 0 :: v_dual_mov_b32 v32, 0
	v_or_b32_e32 v9, 1, v30
	v_dual_mov_b32 v33, 0 :: v_dual_mov_b32 v34, 0
	s_and_saveexec_b32 s45, vcc_lo
	s_cbranch_execz .LBB384_36
; %bb.29:                               ;   in Loop: Header=BB384_5 Depth=1
	v_mul_lo_u32 v10, v30, s18
	v_dual_mov_b32 v33, 0 :: v_dual_mov_b32 v32, 0
	v_mov_b32_e32 v31, 0
	s_mov_b32 s46, exec_lo
	s_delay_alu instid0(VALU_DEP_3) | instskip(NEXT) | instid1(VALU_DEP_1)
	v_ashrrev_i32_e32 v11, 31, v10
	v_lshlrev_b64_e32 v[10:11], 1, v[10:11]
	s_delay_alu instid0(VALU_DEP_1) | instskip(SKIP_1) | instid1(VALU_DEP_2)
	v_add_co_u32 v10, s7, s36, v10
	s_wait_alu 0xf1ff
	v_add_co_ci_u32_e64 v11, null, s37, v11, s7
	global_load_u16 v10, v[10:11], off
	v_cmpx_gt_i32_e64 s21, v9
	s_cbranch_execz .LBB384_35
; %bb.30:                               ;   in Loop: Header=BB384_5 Depth=1
	v_mul_lo_u32 v11, v9, s18
	v_dual_mov_b32 v32, 0 :: v_dual_mov_b32 v31, 0
	s_mov_b32 s47, exec_lo
	s_delay_alu instid0(VALU_DEP_2) | instskip(NEXT) | instid1(VALU_DEP_1)
	v_ashrrev_i32_e32 v12, 31, v11
	v_lshlrev_b64_e32 v[11:12], 1, v[11:12]
	s_delay_alu instid0(VALU_DEP_1) | instskip(SKIP_1) | instid1(VALU_DEP_2)
	v_add_co_u32 v11, s7, s36, v11
	s_wait_alu 0xf1ff
	v_add_co_ci_u32_e64 v12, null, s37, v12, s7
	global_load_u16 v11, v[11:12], off
	v_or_b32_e32 v12, 2, v30
	s_delay_alu instid0(VALU_DEP_1)
	v_cmpx_gt_i32_e64 s21, v12
	s_cbranch_execz .LBB384_34
; %bb.31:                               ;   in Loop: Header=BB384_5 Depth=1
	v_mul_lo_u32 v12, v12, s18
	v_mov_b32_e32 v31, 0
	s_mov_b32 s48, exec_lo
	s_delay_alu instid0(VALU_DEP_2) | instskip(NEXT) | instid1(VALU_DEP_1)
	v_ashrrev_i32_e32 v13, 31, v12
	v_lshlrev_b64_e32 v[12:13], 1, v[12:13]
	s_delay_alu instid0(VALU_DEP_1) | instskip(SKIP_1) | instid1(VALU_DEP_2)
	v_add_co_u32 v12, s7, s36, v12
	s_wait_alu 0xf1ff
	v_add_co_ci_u32_e64 v13, null, s37, v13, s7
	global_load_u16 v12, v[12:13], off
	v_or_b32_e32 v13, 3, v30
	s_delay_alu instid0(VALU_DEP_1)
	v_cmpx_gt_i32_e64 s21, v13
	s_cbranch_execz .LBB384_33
; %bb.32:                               ;   in Loop: Header=BB384_5 Depth=1
	v_mul_lo_u32 v13, v13, s18
	s_delay_alu instid0(VALU_DEP_1) | instskip(NEXT) | instid1(VALU_DEP_1)
	v_ashrrev_i32_e32 v14, 31, v13
	v_lshlrev_b64_e32 v[13:14], 1, v[13:14]
	s_delay_alu instid0(VALU_DEP_1) | instskip(SKIP_1) | instid1(VALU_DEP_2)
	v_add_co_u32 v13, s7, s36, v13
	s_wait_alu 0xf1ff
	v_add_co_ci_u32_e64 v14, null, s37, v14, s7
	global_load_u16 v13, v[13:14], off
	s_wait_loadcnt 0x0
	v_cvt_f32_f16_e32 v31, v13
.LBB384_33:                             ;   in Loop: Header=BB384_5 Depth=1
	s_or_b32 exec_lo, exec_lo, s48
	s_wait_loadcnt 0x0
	v_cvt_f32_f16_e32 v32, v12
.LBB384_34:                             ;   in Loop: Header=BB384_5 Depth=1
	s_wait_alu 0xfffe
	s_or_b32 exec_lo, exec_lo, s47
	s_wait_loadcnt 0x0
	v_cvt_f32_f16_e32 v33, v11
.LBB384_35:                             ;   in Loop: Header=BB384_5 Depth=1
	s_wait_alu 0xfffe
	s_or_b32 exec_lo, exec_lo, s46
	s_wait_loadcnt 0x0
	v_cvt_f32_f16_e32 v34, v10
.LBB384_36:                             ;   in Loop: Header=BB384_5 Depth=1
	s_or_b32 exec_lo, exec_lo, s45
	s_and_saveexec_b32 s7, s0
	s_cbranch_execz .LBB384_44
; %bb.37:                               ;   in Loop: Header=BB384_5 Depth=1
	v_mul_lo_u32 v11, v30, s23
	v_or_b32_e32 v10, 2, v30
	v_mul_lo_u32 v13, v9, s23
	v_or_b32_e32 v12, 3, v30
	s_delay_alu instid0(VALU_DEP_3) | instskip(NEXT) | instid1(VALU_DEP_2)
	v_mul_lo_u32 v14, v10, s23
	v_mul_lo_u32 v15, v12, s23
	v_cndmask_b32_e32 v11, 0, v11, vcc_lo
	v_cmp_gt_i32_e32 vcc_lo, s21, v9
	s_wait_alu 0xfffd
	v_cndmask_b32_e32 v13, 0, v13, vcc_lo
	v_cmp_gt_i32_e32 vcc_lo, s21, v10
	s_wait_alu 0xfffd
	v_cndmask_b32_e32 v10, 0, v14, vcc_lo
	v_cmp_gt_i32_e32 vcc_lo, s21, v12
	v_add_nc_u32_e32 v9, v11, v19
	s_wait_alu 0xfffd
	v_cndmask_b32_e32 v12, 0, v15, vcc_lo
	v_add_nc_u32_e32 v11, v13, v19
	v_add_nc_u32_e32 v13, v10, v19
	v_ashrrev_i32_e32 v10, 31, v9
	s_delay_alu instid0(VALU_DEP_4) | instskip(NEXT) | instid1(VALU_DEP_4)
	v_add_nc_u32_e32 v15, v12, v19
	v_ashrrev_i32_e32 v12, 31, v11
	s_delay_alu instid0(VALU_DEP_4) | instskip(NEXT) | instid1(VALU_DEP_4)
	v_ashrrev_i32_e32 v14, 31, v13
	v_lshlrev_b64_e32 v[9:10], 1, v[9:10]
	s_delay_alu instid0(VALU_DEP_4) | instskip(NEXT) | instid1(VALU_DEP_4)
	v_ashrrev_i32_e32 v16, 31, v15
	v_lshlrev_b64_e32 v[11:12], 1, v[11:12]
	s_delay_alu instid0(VALU_DEP_4) | instskip(NEXT) | instid1(VALU_DEP_4)
	v_lshlrev_b64_e32 v[13:14], 1, v[13:14]
	v_add_co_u32 v9, vcc_lo, s34, v9
	s_delay_alu instid0(VALU_DEP_4)
	v_lshlrev_b64_e32 v[15:16], 1, v[15:16]
	s_wait_alu 0xfffd
	v_add_co_ci_u32_e64 v10, null, s35, v10, vcc_lo
	v_add_co_u32 v11, vcc_lo, s34, v11
	s_wait_alu 0xfffd
	v_add_co_ci_u32_e64 v12, null, s35, v12, vcc_lo
	v_add_co_u32 v13, vcc_lo, s34, v13
	;; [unrolled: 3-line block ×3, first 2 shown]
	s_wait_alu 0xfffd
	v_add_co_ci_u32_e64 v16, null, s35, v16, vcc_lo
	s_clause 0x3
	global_load_u16 v30, v[9:10], off
	global_load_u16 v35, v[11:12], off
	;; [unrolled: 1-line block ×4, first 2 shown]
	s_and_saveexec_b32 s34, s1
	s_cbranch_execz .LBB384_43
; %bb.38:                               ;   in Loop: Header=BB384_5 Depth=1
	s_clause 0x3
	global_load_u16 v38, v[9:10], off offset:128
	global_load_u16 v39, v[11:12], off offset:128
	global_load_u16 v40, v[13:14], off offset:128
	global_load_u16 v41, v[15:16], off offset:128
	s_and_saveexec_b32 s35, s2
	s_cbranch_execz .LBB384_42
; %bb.39:                               ;   in Loop: Header=BB384_5 Depth=1
	s_clause 0x3
	global_load_u16 v42, v[9:10], off offset:256
	global_load_u16 v43, v[11:12], off offset:256
	global_load_u16 v44, v[13:14], off offset:256
	global_load_u16 v45, v[15:16], off offset:256
	;; [unrolled: 8-line block ×3, first 2 shown]
	s_wait_loadcnt 0x3
	v_fma_mix_f32 v9, v34, v9, v29 op_sel_hi:[0,1,0]
	s_wait_loadcnt 0x2
	s_delay_alu instid0(VALU_DEP_1) | instskip(SKIP_1) | instid1(VALU_DEP_1)
	v_fma_mix_f32 v9, v33, v10, v9 op_sel_hi:[0,1,0]
	s_wait_loadcnt 0x1
	v_fma_mix_f32 v9, v32, v11, v9 op_sel_hi:[0,1,0]
	s_wait_loadcnt 0x0
	s_delay_alu instid0(VALU_DEP_1)
	v_fma_mix_f32 v29, v31, v12, v9 op_sel_hi:[0,1,0]
.LBB384_41:                             ;   in Loop: Header=BB384_5 Depth=1
	s_wait_alu 0xfffe
	s_or_b32 exec_lo, exec_lo, s36
	s_wait_loadcnt 0x3
	v_fma_mix_f32 v9, v34, v42, v28 op_sel_hi:[0,1,0]
	s_wait_loadcnt 0x2
	s_delay_alu instid0(VALU_DEP_1) | instskip(SKIP_1) | instid1(VALU_DEP_1)
	v_fma_mix_f32 v9, v33, v43, v9 op_sel_hi:[0,1,0]
	s_wait_loadcnt 0x1
	v_fma_mix_f32 v9, v32, v44, v9 op_sel_hi:[0,1,0]
	s_wait_loadcnt 0x0
	s_delay_alu instid0(VALU_DEP_1)
	v_fma_mix_f32 v28, v31, v45, v9 op_sel_hi:[0,1,0]
.LBB384_42:                             ;   in Loop: Header=BB384_5 Depth=1
	s_wait_alu 0xfffe
	s_or_b32 exec_lo, exec_lo, s35
	s_wait_loadcnt 0x3
	v_fma_mix_f32 v9, v34, v38, v27 op_sel_hi:[0,1,0]
	s_wait_loadcnt 0x2
	s_delay_alu instid0(VALU_DEP_1) | instskip(SKIP_1) | instid1(VALU_DEP_1)
	v_fma_mix_f32 v9, v33, v39, v9 op_sel_hi:[0,1,0]
	s_wait_loadcnt 0x1
	v_fma_mix_f32 v9, v32, v40, v9 op_sel_hi:[0,1,0]
	s_wait_loadcnt 0x0
	s_delay_alu instid0(VALU_DEP_1)
	v_fma_mix_f32 v27, v31, v41, v9 op_sel_hi:[0,1,0]
.LBB384_43:                             ;   in Loop: Header=BB384_5 Depth=1
	s_wait_alu 0xfffe
	s_or_b32 exec_lo, exec_lo, s34
	s_wait_loadcnt 0x3
	v_fma_mix_f32 v9, v34, v30, v26 op_sel_hi:[0,1,0]
	s_wait_loadcnt 0x2
	s_delay_alu instid0(VALU_DEP_1) | instskip(SKIP_1) | instid1(VALU_DEP_1)
	v_fma_mix_f32 v9, v33, v35, v9 op_sel_hi:[0,1,0]
	s_wait_loadcnt 0x1
	v_fma_mix_f32 v9, v32, v36, v9 op_sel_hi:[0,1,0]
	s_wait_loadcnt 0x0
	s_delay_alu instid0(VALU_DEP_1)
	v_fma_mix_f32 v26, v31, v37, v9 op_sel_hi:[0,1,0]
.LBB384_44:                             ;   in Loop: Header=BB384_5 Depth=1
	s_wait_alu 0xfffe
	s_or_b32 exec_lo, exec_lo, s7
.LBB384_45:                             ;   in Loop: Header=BB384_5 Depth=1
	ds_store_2addr_stride64_b32 v18, v26, v27 offset1:1
	ds_store_2addr_stride64_b32 v18, v28, v29 offset0:2 offset1:3
	s_wait_dscnt 0x0
	s_barrier_signal -1
	s_barrier_wait -1
	global_inv scope:SCOPE_SE
                                        ; implicit-def: $vgpr11
	s_and_saveexec_b32 s7, s5
	s_cbranch_execz .LBB384_51
; %bb.46:                               ;   in Loop: Header=BB384_5 Depth=1
	ds_load_2addr_stride64_b32 v[9:10], v20 offset1:4
	ds_load_2addr_stride64_b32 v[11:12], v20 offset0:8 offset1:12
	s_mov_b32 s35, s44
	s_wait_dscnt 0x1
	v_add_f32_e32 v9, v9, v10
	s_wait_dscnt 0x0
	s_delay_alu instid0(VALU_DEP_1) | instskip(NEXT) | instid1(VALU_DEP_1)
	v_add_f32_e32 v9, v11, v9
                                        ; implicit-def: $vgpr11
	v_add_f32_e32 v9, v12, v9
	ds_store_b32 v20, v9
	s_and_saveexec_b32 s34, s6
	s_cbranch_execz .LBB384_50
; %bb.47:                               ;   in Loop: Header=BB384_5 Depth=1
	v_mul_f32_e32 v9, s22, v9
	s_and_not1_b32 vcc_lo, exec_lo, s39
	s_wait_alu 0xfffe
	s_cbranch_vccnz .LBB384_49
; %bb.48:                               ;   in Loop: Header=BB384_5 Depth=1
	v_lshlrev_b64_e32 v[10:11], 1, v[2:3]
	s_delay_alu instid0(VALU_DEP_1) | instskip(SKIP_1) | instid1(VALU_DEP_2)
	v_add_co_u32 v10, vcc_lo, s16, v10
	s_wait_alu 0xfffd
	v_add_co_ci_u32_e64 v11, null, s17, v11, vcc_lo
	global_load_u16 v10, v[10:11], off
	s_wait_loadcnt 0x0
	v_fma_mix_f32 v9, s26, v10, v9 op_sel_hi:[0,1,0]
.LBB384_49:                             ;   in Loop: Header=BB384_5 Depth=1
	s_delay_alu instid0(VALU_DEP_1)
	v_cvt_f16_f32_e32 v11, v9
	s_or_b32 s35, s44, exec_lo
.LBB384_50:                             ;   in Loop: Header=BB384_5 Depth=1
	s_wait_alu 0xfffe
	s_or_b32 exec_lo, exec_lo, s34
	s_delay_alu instid0(SALU_CYCLE_1)
	s_and_not1_b32 s34, s44, exec_lo
	s_and_b32 s35, s35, exec_lo
	s_wait_alu 0xfffe
	s_or_b32 s44, s34, s35
.LBB384_51:                             ;   in Loop: Header=BB384_5 Depth=1
	s_wait_alu 0xfffe
	s_or_b32 exec_lo, exec_lo, s7
	v_dual_mov_b32 v10, v3 :: v_dual_mov_b32 v9, v2
	s_and_saveexec_b32 s7, s44
	s_cbranch_execz .LBB384_3
.LBB384_52:                             ;   in Loop: Header=BB384_5 Depth=1
	s_delay_alu instid0(VALU_DEP_1) | instskip(SKIP_1) | instid1(VALU_DEP_1)
	v_lshlrev_b64_e32 v[9:10], 1, v[9:10]
	s_wait_alu 0xfffe
	v_add_co_u32 v9, vcc_lo, s16, v9
	s_wait_alu 0xfffd
	s_delay_alu instid0(VALU_DEP_2)
	v_add_co_ci_u32_e64 v10, null, s17, v10, vcc_lo
	global_store_b16 v[9:10], v11, off
	s_branch .LBB384_3
.LBB384_53:
	s_endpgm
	.section	.rodata,"a",@progbits
	.p2align	6, 0x0
	.amdhsa_kernel _ZL20rocblas_gemvn_kernelILi64ELi4EiDF16_fDF16_EviiT3_lPKT2_lT1_lS3_lS4_lS0_lPT4_lS4_li
		.amdhsa_group_segment_fixed_size 4096
		.amdhsa_private_segment_fixed_size 0
		.amdhsa_kernarg_size 400
		.amdhsa_user_sgpr_count 2
		.amdhsa_user_sgpr_dispatch_ptr 0
		.amdhsa_user_sgpr_queue_ptr 0
		.amdhsa_user_sgpr_kernarg_segment_ptr 1
		.amdhsa_user_sgpr_dispatch_id 0
		.amdhsa_user_sgpr_private_segment_size 0
		.amdhsa_wavefront_size32 1
		.amdhsa_uses_dynamic_stack 0
		.amdhsa_enable_private_segment 0
		.amdhsa_system_sgpr_workgroup_id_x 1
		.amdhsa_system_sgpr_workgroup_id_y 0
		.amdhsa_system_sgpr_workgroup_id_z 1
		.amdhsa_system_sgpr_workgroup_info 0
		.amdhsa_system_vgpr_workitem_id 1
		.amdhsa_next_free_vgpr 55
		.amdhsa_next_free_sgpr 51
		.amdhsa_reserve_vcc 1
		.amdhsa_float_round_mode_32 0
		.amdhsa_float_round_mode_16_64 0
		.amdhsa_float_denorm_mode_32 3
		.amdhsa_float_denorm_mode_16_64 3
		.amdhsa_fp16_overflow 0
		.amdhsa_workgroup_processor_mode 1
		.amdhsa_memory_ordered 1
		.amdhsa_forward_progress 1
		.amdhsa_inst_pref_size 26
		.amdhsa_round_robin_scheduling 0
		.amdhsa_exception_fp_ieee_invalid_op 0
		.amdhsa_exception_fp_denorm_src 0
		.amdhsa_exception_fp_ieee_div_zero 0
		.amdhsa_exception_fp_ieee_overflow 0
		.amdhsa_exception_fp_ieee_underflow 0
		.amdhsa_exception_fp_ieee_inexact 0
		.amdhsa_exception_int_div_zero 0
	.end_amdhsa_kernel
	.section	.text._ZL20rocblas_gemvn_kernelILi64ELi4EiDF16_fDF16_EviiT3_lPKT2_lT1_lS3_lS4_lS0_lPT4_lS4_li,"axG",@progbits,_ZL20rocblas_gemvn_kernelILi64ELi4EiDF16_fDF16_EviiT3_lPKT2_lT1_lS3_lS4_lS0_lPT4_lS4_li,comdat
.Lfunc_end384:
	.size	_ZL20rocblas_gemvn_kernelILi64ELi4EiDF16_fDF16_EviiT3_lPKT2_lT1_lS3_lS4_lS0_lPT4_lS4_li, .Lfunc_end384-_ZL20rocblas_gemvn_kernelILi64ELi4EiDF16_fDF16_EviiT3_lPKT2_lT1_lS3_lS4_lS0_lPT4_lS4_li
                                        ; -- End function
	.set _ZL20rocblas_gemvn_kernelILi64ELi4EiDF16_fDF16_EviiT3_lPKT2_lT1_lS3_lS4_lS0_lPT4_lS4_li.num_vgpr, 55
	.set _ZL20rocblas_gemvn_kernelILi64ELi4EiDF16_fDF16_EviiT3_lPKT2_lT1_lS3_lS4_lS0_lPT4_lS4_li.num_agpr, 0
	.set _ZL20rocblas_gemvn_kernelILi64ELi4EiDF16_fDF16_EviiT3_lPKT2_lT1_lS3_lS4_lS0_lPT4_lS4_li.numbered_sgpr, 51
	.set _ZL20rocblas_gemvn_kernelILi64ELi4EiDF16_fDF16_EviiT3_lPKT2_lT1_lS3_lS4_lS0_lPT4_lS4_li.num_named_barrier, 0
	.set _ZL20rocblas_gemvn_kernelILi64ELi4EiDF16_fDF16_EviiT3_lPKT2_lT1_lS3_lS4_lS0_lPT4_lS4_li.private_seg_size, 0
	.set _ZL20rocblas_gemvn_kernelILi64ELi4EiDF16_fDF16_EviiT3_lPKT2_lT1_lS3_lS4_lS0_lPT4_lS4_li.uses_vcc, 1
	.set _ZL20rocblas_gemvn_kernelILi64ELi4EiDF16_fDF16_EviiT3_lPKT2_lT1_lS3_lS4_lS0_lPT4_lS4_li.uses_flat_scratch, 0
	.set _ZL20rocblas_gemvn_kernelILi64ELi4EiDF16_fDF16_EviiT3_lPKT2_lT1_lS3_lS4_lS0_lPT4_lS4_li.has_dyn_sized_stack, 0
	.set _ZL20rocblas_gemvn_kernelILi64ELi4EiDF16_fDF16_EviiT3_lPKT2_lT1_lS3_lS4_lS0_lPT4_lS4_li.has_recursion, 0
	.set _ZL20rocblas_gemvn_kernelILi64ELi4EiDF16_fDF16_EviiT3_lPKT2_lT1_lS3_lS4_lS0_lPT4_lS4_li.has_indirect_call, 0
	.section	.AMDGPU.csdata,"",@progbits
; Kernel info:
; codeLenInByte = 3264
; TotalNumSgprs: 53
; NumVgprs: 55
; ScratchSize: 0
; MemoryBound: 0
; FloatMode: 240
; IeeeMode: 1
; LDSByteSize: 4096 bytes/workgroup (compile time only)
; SGPRBlocks: 0
; VGPRBlocks: 6
; NumSGPRsForWavesPerEU: 53
; NumVGPRsForWavesPerEU: 55
; Occupancy: 16
; WaveLimiterHint : 1
; COMPUTE_PGM_RSRC2:SCRATCH_EN: 0
; COMPUTE_PGM_RSRC2:USER_SGPR: 2
; COMPUTE_PGM_RSRC2:TRAP_HANDLER: 0
; COMPUTE_PGM_RSRC2:TGID_X_EN: 1
; COMPUTE_PGM_RSRC2:TGID_Y_EN: 0
; COMPUTE_PGM_RSRC2:TGID_Z_EN: 1
; COMPUTE_PGM_RSRC2:TIDIG_COMP_CNT: 1
	.section	.text._ZL20rocblas_gemvn_kernelILi64ELi4ElDF16_fDF16_EviiT3_lPKT2_lT1_lS3_lS4_lS0_lPT4_lS4_li,"axG",@progbits,_ZL20rocblas_gemvn_kernelILi64ELi4ElDF16_fDF16_EviiT3_lPKT2_lT1_lS3_lS4_lS0_lPT4_lS4_li,comdat
	.globl	_ZL20rocblas_gemvn_kernelILi64ELi4ElDF16_fDF16_EviiT3_lPKT2_lT1_lS3_lS4_lS0_lPT4_lS4_li ; -- Begin function _ZL20rocblas_gemvn_kernelILi64ELi4ElDF16_fDF16_EviiT3_lPKT2_lT1_lS3_lS4_lS0_lPT4_lS4_li
	.p2align	8
	.type	_ZL20rocblas_gemvn_kernelILi64ELi4ElDF16_fDF16_EviiT3_lPKT2_lT1_lS3_lS4_lS0_lPT4_lS4_li,@function
_ZL20rocblas_gemvn_kernelILi64ELi4ElDF16_fDF16_EviiT3_lPKT2_lT1_lS3_lS4_lS0_lPT4_lS4_li: ; @_ZL20rocblas_gemvn_kernelILi64ELi4ElDF16_fDF16_EviiT3_lPKT2_lT1_lS3_lS4_lS0_lPT4_lS4_li
; %bb.0:
	s_load_b64 s[2:3], s[0:1], 0x9c
	s_wait_kmcnt 0x0
	s_lshr_b32 s4, s2, 16
	s_and_b32 s2, s2, 0xffff
	s_and_b32 s3, s3, 0xffff
	s_mul_i32 s2, s4, s2
	s_delay_alu instid0(SALU_CYCLE_1) | instskip(NEXT) | instid1(SALU_CYCLE_1)
	s_mul_i32 s2, s2, s3
	s_cmp_lg_u32 s2, 0x100
	s_cbranch_scc1 .LBB385_53
; %bb.1:
	s_load_b32 s33, s[0:1], 0x88
	s_lshr_b32 s34, ttmp7, 16
	s_wait_kmcnt 0x0
	s_cmp_ge_u32 s34, s33
	s_cbranch_scc1 .LBB385_53
; %bb.2:
	s_clause 0x3
	s_load_b512 s[8:23], s[0:1], 0x18
	s_load_b256 s[24:31], s[0:1], 0x68
	s_load_b96 s[36:38], s[0:1], 0x0
	s_load_b32 s39, s[0:1], 0x58
	v_bfe_u32 v15, v0, 10, 10
	v_and_b32_e32 v1, 0x3ff, v0
	s_mov_b32 s35, 0
	s_delay_alu instid0(VALU_DEP_2) | instskip(NEXT) | instid1(VALU_DEP_2)
	v_dual_mov_b32 v3, 0 :: v_dual_lshlrev_b32 v16, 2, v15
	v_lshlrev_b32_e32 v10, 2, v1
	s_delay_alu instid0(VALU_DEP_2) | instskip(NEXT) | instid1(VALU_DEP_2)
	v_or_b32_e32 v19, 3, v16
	v_lshl_add_u32 v17, v15, 10, v10
	v_lshl_add_u32 v18, v15, 8, v10
	s_wait_kmcnt 0x0
	s_lshl_b64 s[2:3], s[10:11], 1
	s_lshl_b64 s[10:11], s[18:19], 1
	;; [unrolled: 1-line block ×3, first 2 shown]
	s_cmp_eq_f32 s38, 0
	s_add_nc_u64 s[18:19], s[8:9], s[2:3]
	v_mad_co_u64_u32 v[4:5], null, s20, v15, 0
	s_cselect_b32 s46, -1, 0
	s_cmp_neq_f32 s38, 0
	v_mad_co_u64_u32 v[6:7], null, s12, v19, 0
	s_add_nc_u64 s[24:25], s[24:25], s[4:5]
	s_cselect_b32 s1, -1, 0
	s_cmp_neq_f32 s39, 1.0
	s_mov_b32 s6, s36
	s_add_nc_u64 s[26:27], s[16:17], s[10:11]
	s_cselect_b32 s2, -1, 0
	s_lshl_b32 s8, ttmp9, 8
	s_ashr_i32 s7, s36, 31
	s_or_b32 s47, s1, s2
	v_or_b32_e32 v8, s8, v1
	s_cmp_neq_f32 s39, 0
	s_cselect_b32 s48, -1, 0
	s_ashr_i32 s2, s37, 31
	s_delay_alu instid0(VALU_DEP_1)
	v_add_nc_u32_e32 v11, 0x80, v8
	s_lshr_b32 s2, s2, 28
	v_ashrrev_i32_e32 v9, 31, v8
	s_add_co_i32 s3, s37, s2
	v_cmp_gt_i32_e64 s1, s36, v8
	s_and_b32 s49, s3, -16
	v_cmp_gt_i32_e64 s3, s36, v11
	v_mad_co_u64_u32 v[10:11], null, s21, v15, v[5:6]
	v_dual_mov_b32 v5, v7 :: v_dual_add_nc_u32 v12, 0xc0, v8
	s_sub_co_i32 s5, s37, s49
	v_or_b32_e32 v23, 2, v16
	s_cmp_gt_i32 s5, 0
	v_mad_co_u64_u32 v[29:30], null, s20, v16, s[20:21]
	v_mad_co_u64_u32 v[13:14], null, s13, v19, v[5:6]
	v_mov_b32_e32 v5, v10
	v_cmp_gt_i32_e64 s4, s36, v12
	v_mad_co_u64_u32 v[11:12], null, s20, v19, 0
	s_cselect_b32 s50, -1, 0
	v_lshlrev_b64_e32 v[4:5], 3, v[4:5]
	v_mov_b32_e32 v7, v13
	v_mad_co_u64_u32 v[27:28], null, s20, v23, 0
	v_mad_co_u64_u32 v[31:32], null, s12, v16, s[12:13]
	v_mov_b32_e32 v10, v12
	v_lshl_add_u32 v0, v15, 6, v1
	v_lshlrev_b64_e32 v[6:7], 1, v[6:7]
	v_cmp_gt_i32_e64 s5, s49, v16
	s_lshl_b64 s[40:41], s[14:15], 1
	v_mad_co_u64_u32 v[12:13], null, s21, v19, v[10:11]
	v_add_nc_u32_e32 v2, s8, v0
	v_cmp_gt_u32_e64 s0, 0x100, v0
	v_or_b32_e32 v20, s8, v0
	v_mad_co_u64_u32 v[13:14], null, s12, v15, 0
	s_delay_alu instid0(VALU_DEP_4)
	v_mad_co_u64_u32 v[0:1], null, s28, v2, 0
	v_cmp_gt_i64_e32 vcc_lo, s[6:7], v[2:3]
	v_add_nc_u32_e32 v3, 64, v8
	s_ashr_i32 s6, s8, 31
	v_mul_lo_u32 v21, s29, v20
	s_wait_alu 0xfffe
	s_mul_i32 s7, s28, s6
	v_cmp_gt_i32_e64 s6, s36, v20
	v_mad_co_u64_u32 v[1:2], null, s29, v2, v[1:2]
	v_cmp_gt_i32_e64 s2, s36, v3
	v_mad_co_u64_u32 v[2:3], null, s28, v20, 0
	s_and_b32 s36, s0, vcc_lo
	v_add_co_u32 v19, vcc_lo, s16, v4
	s_delay_alu instid0(VALU_DEP_1)
	v_add_co_ci_u32_e64 v20, null, s17, v5, vcc_lo
	v_lshlrev_b64_e32 v[4:5], 1, v[8:9]
	v_mad_co_u64_u32 v[9:10], null, s12, v23, 0
	v_mov_b32_e32 v8, v14
	s_wait_alu 0xfffe
	v_add3_u32 v3, v3, s7, v21
	v_add_co_u32 v21, vcc_lo, s18, v6
	s_wait_alu 0xfffd
	v_add_co_ci_u32_e64 v22, null, s19, v7, vcc_lo
	v_mad_co_u64_u32 v[14:15], null, s13, v15, v[8:9]
	v_lshlrev_b64_e32 v[7:8], 1, v[11:12]
	v_mov_b32_e32 v6, v10
	v_mov_b32_e32 v10, v28
	s_lshl_b64 s[28:29], s[22:23], 1
	s_lshl_b64 s[42:43], s[12:13], 5
	s_delay_alu instid0(VALU_DEP_2) | instskip(SKIP_1) | instid1(VALU_DEP_2)
	v_mad_co_u64_u32 v[11:12], null, s13, v23, v[6:7]
	v_mov_b32_e32 v6, v30
	v_mad_co_u64_u32 v[25:26], null, s21, v23, v[10:11]
	v_add_co_u32 v23, vcc_lo, s16, v7
	s_wait_alu 0xfffd
	v_add_co_ci_u32_e64 v24, null, s17, v8, vcc_lo
	v_lshlrev_b64_e32 v[7:8], 3, v[13:14]
	v_mov_b32_e32 v10, v11
	v_mov_b32_e32 v28, v25
	s_delay_alu instid0(VALU_DEP_3)
	v_add_co_u32 v25, vcc_lo, s18, v7
	v_mad_co_u64_u32 v[11:12], null, s21, v16, v[6:7]
	s_wait_alu 0xfffd
	v_add_co_ci_u32_e64 v26, null, s19, v8, vcc_lo
	v_lshlrev_b64_e32 v[7:8], 1, v[9:10]
	v_mov_b32_e32 v6, v32
	v_lshlrev_b64_e32 v[12:13], 1, v[27:28]
	v_mov_b32_e32 v30, v11
	s_delay_alu instid0(VALU_DEP_3) | instskip(SKIP_1) | instid1(VALU_DEP_3)
	v_mad_co_u64_u32 v[9:10], null, s13, v16, v[6:7]
	v_add_co_u32 v27, vcc_lo, s18, v7
	v_lshlrev_b64_e32 v[6:7], 1, v[29:30]
	s_wait_alu 0xfffd
	v_add_co_ci_u32_e64 v28, null, s19, v8, vcc_lo
	v_add_co_u32 v29, vcc_lo, s16, v12
	v_mov_b32_e32 v32, v9
	s_wait_alu 0xfffd
	v_add_co_ci_u32_e64 v30, null, s17, v13, vcc_lo
	s_delay_alu instid0(VALU_DEP_2) | instskip(SKIP_4) | instid1(VALU_DEP_4)
	v_lshlrev_b64_e32 v[8:9], 1, v[31:32]
	v_add_co_u32 v31, vcc_lo, s16, v6
	s_wait_alu 0xfffd
	v_add_co_ci_u32_e64 v32, null, s17, v7, vcc_lo
	v_lshlrev_b64_e32 v[6:7], 1, v[0:1]
	v_add_co_u32 v33, vcc_lo, s18, v8
	s_wait_alu 0xfffd
	v_add_co_ci_u32_e64 v34, null, s19, v9, vcc_lo
	s_lshl_b64 s[16:17], s[20:21], 5
	s_branch .LBB385_5
.LBB385_3:                              ;   in Loop: Header=BB385_5 Depth=1
	s_wait_alu 0xfffe
	s_or_b32 exec_lo, exec_lo, s7
.LBB385_4:                              ;   in Loop: Header=BB385_5 Depth=1
	s_add_co_i32 s34, s34, 0x10000
	s_delay_alu instid0(SALU_CYCLE_1)
	s_cmp_lt_u32 s34, s33
	s_cbranch_scc0 .LBB385_53
.LBB385_5:                              ; =>This Loop Header: Depth=1
                                        ;     Child Loop BB385_21 Depth 2
	s_and_not1_b32 vcc_lo, exec_lo, s47
	s_wait_alu 0xfffe
	s_cbranch_vccnz .LBB385_4
; %bb.6:                                ;   in Loop: Header=BB385_5 Depth=1
	s_mul_u64 s[8:9], s[30:31], s[34:35]
	s_and_not1_b32 vcc_lo, exec_lo, s46
	s_wait_alu 0xfffe
	s_lshl_b64 s[8:9], s[8:9], 1
	s_wait_alu 0xfffe
	s_add_nc_u64 s[44:45], s[24:25], s[8:9]
	s_cbranch_vccnz .LBB385_10
; %bb.7:                                ;   in Loop: Header=BB385_5 Depth=1
	s_mov_b32 s7, 0
	s_mov_b32 s51, 0
                                        ; implicit-def: $vgpr10
	s_and_saveexec_b32 s8, s36
	s_cbranch_execz .LBB385_11
; %bb.8:                                ;   in Loop: Header=BB385_5 Depth=1
	s_and_not1_b32 vcc_lo, exec_lo, s48
	s_wait_alu 0xfffe
	s_cbranch_vccnz .LBB385_13
; %bb.9:                                ;   in Loop: Header=BB385_5 Depth=1
	v_add_co_u32 v8, vcc_lo, s44, v6
	s_wait_alu 0xfffd
	v_add_co_ci_u32_e64 v9, null, s45, v7, vcc_lo
	global_load_u16 v8, v[8:9], off
	s_wait_loadcnt 0x0
	v_fma_mixlo_f16 v10, s39, v8, 0 op_sel_hi:[0,1,0]
	s_branch .LBB385_14
.LBB385_10:                             ;   in Loop: Header=BB385_5 Depth=1
	s_mov_b32 s51, 0
                                        ; implicit-def: $vgpr10
	s_cbranch_execz .LBB385_12
	s_branch .LBB385_15
.LBB385_11:                             ;   in Loop: Header=BB385_5 Depth=1
	s_wait_alu 0xfffe
	s_or_b32 exec_lo, exec_lo, s8
	s_delay_alu instid0(SALU_CYCLE_1)
	s_and_b32 vcc_lo, exec_lo, s7
	s_wait_alu 0xfffe
	s_cbranch_vccnz .LBB385_15
.LBB385_12:                             ;   in Loop: Header=BB385_5 Depth=1
	v_dual_mov_b32 v9, v1 :: v_dual_mov_b32 v8, v0
	s_and_saveexec_b32 s7, s51
	s_cbranch_execz .LBB385_3
	s_branch .LBB385_52
.LBB385_13:                             ;   in Loop: Header=BB385_5 Depth=1
	v_mov_b32_e32 v10, 0
.LBB385_14:                             ;   in Loop: Header=BB385_5 Depth=1
	s_mov_b32 s51, exec_lo
	s_or_b32 exec_lo, exec_lo, s8
	s_delay_alu instid0(SALU_CYCLE_1)
	s_and_b32 vcc_lo, exec_lo, s7
	s_wait_alu 0xfffe
	s_cbranch_vccz .LBB385_12
.LBB385_15:                             ;   in Loop: Header=BB385_5 Depth=1
	v_dual_mov_b32 v35, 0 :: v_dual_mov_b32 v36, 0
	v_dual_mov_b32 v39, v16 :: v_dual_mov_b32 v38, 0
	v_mov_b32_e32 v37, 0
	s_and_saveexec_b32 s8, s5
	s_cbranch_execz .LBB385_27
; %bb.16:                               ;   in Loop: Header=BB385_5 Depth=1
	s_mul_u64 s[52:53], s[28:29], s[34:35]
	s_mul_u64 s[54:55], s[40:41], s[34:35]
	s_wait_alu 0xfffe
	v_add_co_u32 v40, vcc_lo, v19, s52
	s_wait_alu 0xfffd
	v_add_co_ci_u32_e64 v41, null, s53, v20, vcc_lo
	v_add_co_u32 v42, vcc_lo, v21, s54
	s_wait_alu 0xfffd
	v_add_co_ci_u32_e64 v43, null, s55, v22, vcc_lo
	;; [unrolled: 3-line block ×8, first 2 shown]
	v_dual_mov_b32 v35, 0 :: v_dual_mov_b32 v36, 0
	v_dual_mov_b32 v39, v16 :: v_dual_mov_b32 v38, 0
	v_mov_b32_e32 v37, 0
	s_mov_b32 s9, 0
	s_branch .LBB385_21
.LBB385_17:                             ;   in Loop: Header=BB385_21 Depth=2
	s_wait_alu 0xfffe
	s_or_b32 exec_lo, exec_lo, s54
	s_wait_loadcnt 0x3
	v_fma_mix_f32 v8, v68, v72, v37 op_sel_hi:[0,1,0]
	s_wait_loadcnt 0x2
	s_delay_alu instid0(VALU_DEP_1) | instskip(SKIP_1) | instid1(VALU_DEP_1)
	v_fma_mix_f32 v8, v69, v73, v8 op_sel_hi:[0,1,0]
	s_wait_loadcnt 0x1
	v_fma_mix_f32 v8, v70, v74, v8 op_sel_hi:[0,1,0]
	s_wait_loadcnt 0x0
	s_delay_alu instid0(VALU_DEP_1)
	v_fma_mix_f32 v37, v71, v75, v8 op_sel_hi:[0,1,0]
.LBB385_18:                             ;   in Loop: Header=BB385_21 Depth=2
	s_wait_alu 0xfffe
	s_or_b32 exec_lo, exec_lo, s53
	s_wait_loadcnt 0x3
	v_fma_mix_f32 v8, v68, v64, v36 op_sel_hi:[0,1,0]
	s_wait_loadcnt 0x2
	s_delay_alu instid0(VALU_DEP_1) | instskip(SKIP_1) | instid1(VALU_DEP_1)
	v_fma_mix_f32 v8, v69, v65, v8 op_sel_hi:[0,1,0]
	s_wait_loadcnt 0x1
	v_fma_mix_f32 v8, v70, v66, v8 op_sel_hi:[0,1,0]
	s_wait_loadcnt 0x0
	s_delay_alu instid0(VALU_DEP_1)
	v_fma_mix_f32 v36, v71, v67, v8 op_sel_hi:[0,1,0]
.LBB385_19:                             ;   in Loop: Header=BB385_21 Depth=2
	s_wait_alu 0xfffe
	s_or_b32 exec_lo, exec_lo, s52
	s_wait_loadcnt 0x3
	v_fma_mix_f32 v8, v56, v60, v35 op_sel_hi:[1,1,0]
	s_wait_loadcnt 0x2
	s_delay_alu instid0(VALU_DEP_1) | instskip(SKIP_1) | instid1(VALU_DEP_1)
	v_fma_mix_f32 v8, v57, v61, v8 op_sel_hi:[1,1,0]
	s_wait_loadcnt 0x1
	v_fma_mix_f32 v8, v58, v62, v8 op_sel_hi:[1,1,0]
	s_wait_loadcnt 0x0
	s_delay_alu instid0(VALU_DEP_1)
	v_fma_mix_f32 v35, v59, v63, v8 op_sel_hi:[1,1,0]
.LBB385_20:                             ;   in Loop: Header=BB385_21 Depth=2
	s_wait_alu 0xfffe
	s_or_b32 exec_lo, exec_lo, s7
	v_add_co_u32 v40, vcc_lo, v40, s16
	s_wait_alu 0xfffd
	v_add_co_ci_u32_e64 v41, null, s17, v41, vcc_lo
	v_add_co_u32 v42, vcc_lo, v42, s42
	s_wait_alu 0xfffd
	v_add_co_ci_u32_e64 v43, null, s43, v43, vcc_lo
	;; [unrolled: 3-line block ×4, first 2 shown]
	v_add_co_u32 v48, vcc_lo, v48, s42
	v_add_nc_u32_e32 v39, 16, v39
	s_wait_alu 0xfffd
	v_add_co_ci_u32_e64 v49, null, s43, v49, vcc_lo
	v_add_co_u32 v50, vcc_lo, v50, s16
	s_wait_alu 0xfffd
	v_add_co_ci_u32_e64 v51, null, s17, v51, vcc_lo
	v_add_co_u32 v52, vcc_lo, v52, s16
	s_wait_alu 0xfffd
	v_add_co_ci_u32_e64 v53, null, s17, v53, vcc_lo
	v_cmp_le_i32_e32 vcc_lo, s49, v39
	v_add_co_u32 v54, s7, v54, s42
	s_wait_alu 0xf1ff
	v_add_co_ci_u32_e64 v55, null, s43, v55, s7
	s_or_b32 s9, vcc_lo, s9
	s_wait_alu 0xfffe
	s_and_not1_b32 exec_lo, exec_lo, s9
	s_cbranch_execz .LBB385_26
.LBB385_21:                             ;   Parent Loop BB385_5 Depth=1
                                        ; =>  This Inner Loop Header: Depth=2
	s_and_saveexec_b32 s7, s1
	s_cbranch_execz .LBB385_20
; %bb.22:                               ;   in Loop: Header=BB385_21 Depth=2
	v_add_co_u32 v8, vcc_lo, v40, s10
	s_wait_alu 0xfffd
	v_add_co_ci_u32_e64 v9, null, s11, v41, vcc_lo
	v_add_co_u32 v10, vcc_lo, v52, s10
	s_wait_alu 0xfffd
	v_add_co_ci_u32_e64 v11, null, s11, v53, vcc_lo
	;; [unrolled: 3-line block ×3, first 2 shown]
	v_add_co_u32 v59, vcc_lo, v44, s10
	global_load_u16 v56, v[8:9], off
	global_load_u16 v57, v[10:11], off
	;; [unrolled: 1-line block ×3, first 2 shown]
	s_wait_alu 0xfffd
	v_add_co_ci_u32_e64 v60, null, s11, v45, vcc_lo
	v_add_co_u32 v8, vcc_lo, v46, v4
	s_wait_alu 0xfffd
	v_add_co_ci_u32_e64 v9, null, v47, v5, vcc_lo
	v_add_co_u32 v10, vcc_lo, v54, v4
	;; [unrolled: 3-line block ×4, first 2 shown]
	s_wait_alu 0xfffd
	v_add_co_ci_u32_e64 v15, null, v43, v5, vcc_lo
	global_load_u16 v59, v[59:60], off
	global_load_u16 v60, v[8:9], off
	;; [unrolled: 1-line block ×5, first 2 shown]
	s_and_saveexec_b32 s52, s2
	s_cbranch_execz .LBB385_19
; %bb.23:                               ;   in Loop: Header=BB385_21 Depth=2
	global_load_u16 v64, v[8:9], off offset:128
	global_load_u16 v65, v[10:11], off offset:128
	;; [unrolled: 1-line block ×4, first 2 shown]
	s_wait_loadcnt 0xb
	v_cvt_f32_f16_e32 v68, v56
	s_wait_loadcnt 0xa
	v_cvt_f32_f16_e32 v69, v57
	;; [unrolled: 2-line block ×4, first 2 shown]
	s_and_saveexec_b32 s53, s3
	s_cbranch_execz .LBB385_18
; %bb.24:                               ;   in Loop: Header=BB385_21 Depth=2
	global_load_u16 v72, v[8:9], off offset:256
	global_load_u16 v73, v[10:11], off offset:256
	;; [unrolled: 1-line block ×4, first 2 shown]
	s_and_saveexec_b32 s54, s4
	s_cbranch_execz .LBB385_17
; %bb.25:                               ;   in Loop: Header=BB385_21 Depth=2
	global_load_u16 v8, v[8:9], off offset:384
	global_load_u16 v9, v[10:11], off offset:384
	;; [unrolled: 1-line block ×4, first 2 shown]
	s_wait_loadcnt 0x3
	v_fma_mix_f32 v8, v68, v8, v38 op_sel_hi:[0,1,0]
	s_wait_loadcnt 0x2
	s_delay_alu instid0(VALU_DEP_1) | instskip(SKIP_1) | instid1(VALU_DEP_1)
	v_fma_mix_f32 v8, v69, v9, v8 op_sel_hi:[0,1,0]
	s_wait_loadcnt 0x1
	v_fma_mix_f32 v8, v70, v10, v8 op_sel_hi:[0,1,0]
	s_wait_loadcnt 0x0
	s_delay_alu instid0(VALU_DEP_1)
	v_fma_mix_f32 v38, v71, v11, v8 op_sel_hi:[0,1,0]
	s_branch .LBB385_17
.LBB385_26:                             ;   in Loop: Header=BB385_5 Depth=1
	s_or_b32 exec_lo, exec_lo, s9
.LBB385_27:                             ;   in Loop: Header=BB385_5 Depth=1
	s_wait_alu 0xfffe
	s_or_b32 exec_lo, exec_lo, s8
	s_delay_alu instid0(SALU_CYCLE_1)
	s_and_not1_b32 vcc_lo, exec_lo, s50
	s_wait_alu 0xfffe
	s_cbranch_vccnz .LBB385_45
; %bb.28:                               ;   in Loop: Header=BB385_5 Depth=1
	v_cmp_gt_i32_e32 vcc_lo, s37, v39
	v_dual_mov_b32 v40, 0 :: v_dual_mov_b32 v41, 0
	v_or_b32_e32 v8, 1, v39
	v_dual_mov_b32 v42, 0 :: v_dual_mov_b32 v43, 0
	s_and_saveexec_b32 s52, vcc_lo
	s_cbranch_execz .LBB385_36
; %bb.29:                               ;   in Loop: Header=BB385_5 Depth=1
	v_mad_co_u64_u32 v[9:10], null, s20, v39, 0
	s_mul_u64 s[8:9], s[22:23], s[34:35]
	v_dual_mov_b32 v42, 0 :: v_dual_mov_b32 v41, 0
	s_wait_alu 0xfffe
	s_lshl_b64 s[8:9], s[8:9], 1
	v_mov_b32_e32 v40, 0
	s_wait_alu 0xfffe
	s_add_nc_u64 s[8:9], s[26:27], s[8:9]
	v_mad_co_u64_u32 v[10:11], null, s21, v39, v[10:11]
	s_mov_b32 s53, exec_lo
	v_lshlrev_b64_e32 v[9:10], 1, v[9:10]
	s_wait_alu 0xfffe
	s_delay_alu instid0(VALU_DEP_1) | instskip(SKIP_1) | instid1(VALU_DEP_2)
	v_add_co_u32 v9, s7, s8, v9
	s_wait_alu 0xf1ff
	v_add_co_ci_u32_e64 v10, null, s9, v10, s7
	global_load_u16 v9, v[9:10], off
	v_cmpx_gt_i32_e64 s37, v8
	s_cbranch_execz .LBB385_35
; %bb.30:                               ;   in Loop: Header=BB385_5 Depth=1
	v_mad_co_u64_u32 v[10:11], null, s20, v8, 0
	v_dual_mov_b32 v41, 0 :: v_dual_mov_b32 v40, 0
	s_mov_b32 s54, exec_lo
	s_delay_alu instid0(VALU_DEP_2) | instskip(NEXT) | instid1(VALU_DEP_1)
	v_mad_co_u64_u32 v[11:12], null, s21, v8, v[11:12]
	v_lshlrev_b64_e32 v[10:11], 1, v[10:11]
	s_delay_alu instid0(VALU_DEP_1) | instskip(SKIP_1) | instid1(VALU_DEP_2)
	v_add_co_u32 v10, s7, s8, v10
	s_wait_alu 0xf1ff
	v_add_co_ci_u32_e64 v11, null, s9, v11, s7
	global_load_u16 v10, v[10:11], off
	v_or_b32_e32 v11, 2, v39
	s_delay_alu instid0(VALU_DEP_1)
	v_cmpx_gt_i32_e64 s37, v11
	s_cbranch_execz .LBB385_34
; %bb.31:                               ;   in Loop: Header=BB385_5 Depth=1
	v_mad_co_u64_u32 v[12:13], null, s20, v11, 0
	v_mov_b32_e32 v40, 0
	s_mov_b32 s55, exec_lo
	s_delay_alu instid0(VALU_DEP_2) | instskip(NEXT) | instid1(VALU_DEP_1)
	v_mad_co_u64_u32 v[13:14], null, s21, v11, v[13:14]
	v_lshlrev_b64_e32 v[11:12], 1, v[12:13]
	s_delay_alu instid0(VALU_DEP_1) | instskip(SKIP_1) | instid1(VALU_DEP_2)
	v_add_co_u32 v11, s7, s8, v11
	s_wait_alu 0xf1ff
	v_add_co_ci_u32_e64 v12, null, s9, v12, s7
	global_load_u16 v11, v[11:12], off
	v_or_b32_e32 v12, 3, v39
	s_delay_alu instid0(VALU_DEP_1)
	v_cmpx_gt_i32_e64 s37, v12
	s_cbranch_execz .LBB385_33
; %bb.32:                               ;   in Loop: Header=BB385_5 Depth=1
	v_mad_co_u64_u32 v[13:14], null, s20, v12, 0
	s_delay_alu instid0(VALU_DEP_1) | instskip(NEXT) | instid1(VALU_DEP_1)
	v_mad_co_u64_u32 v[14:15], null, s21, v12, v[14:15]
	v_lshlrev_b64_e32 v[12:13], 1, v[13:14]
	s_delay_alu instid0(VALU_DEP_1) | instskip(SKIP_1) | instid1(VALU_DEP_2)
	v_add_co_u32 v12, s7, s8, v12
	s_wait_alu 0xf1ff
	v_add_co_ci_u32_e64 v13, null, s9, v13, s7
	global_load_u16 v12, v[12:13], off
	s_wait_loadcnt 0x0
	v_cvt_f32_f16_e32 v40, v12
.LBB385_33:                             ;   in Loop: Header=BB385_5 Depth=1
	s_wait_alu 0xfffe
	s_or_b32 exec_lo, exec_lo, s55
	s_wait_loadcnt 0x0
	v_cvt_f32_f16_e32 v41, v11
.LBB385_34:                             ;   in Loop: Header=BB385_5 Depth=1
	s_wait_alu 0xfffe
	s_or_b32 exec_lo, exec_lo, s54
	s_wait_loadcnt 0x0
	v_cvt_f32_f16_e32 v42, v10
.LBB385_35:                             ;   in Loop: Header=BB385_5 Depth=1
	s_or_b32 exec_lo, exec_lo, s53
	s_wait_loadcnt 0x0
	v_cvt_f32_f16_e32 v43, v9
.LBB385_36:                             ;   in Loop: Header=BB385_5 Depth=1
	s_wait_alu 0xfffe
	s_or_b32 exec_lo, exec_lo, s52
	s_and_saveexec_b32 s9, s1
	s_cbranch_execz .LBB385_44
; %bb.37:                               ;   in Loop: Header=BB385_5 Depth=1
	v_mad_co_u64_u32 v[9:10], null, s12, v39, 0
	v_mad_co_u64_u32 v[11:12], null, s12, v8, 0
	v_or_b32_e32 v48, 2, v39
	v_or_b32_e32 v49, 3, v39
	s_mul_u64 s[52:53], s[14:15], s[34:35]
	s_wait_alu 0xfffe
	s_lshl_b64 s[52:53], s[52:53], 1
	v_cmp_gt_i32_e64 s7, s37, v48
	s_delay_alu instid0(VALU_DEP_4) | instskip(SKIP_4) | instid1(VALU_DEP_2)
	v_mad_co_u64_u32 v[13:14], null, s13, v39, v[10:11]
	v_mad_co_u64_u32 v[14:15], null, s12, v48, 0
	;; [unrolled: 1-line block ×3, first 2 shown]
	s_wait_alu 0xfffe
	s_add_nc_u64 s[52:53], s[18:19], s[52:53]
	v_dual_cndmask_b32 v10, 0, v13 :: v_dual_mov_b32 v13, v15
	s_delay_alu instid0(VALU_DEP_2) | instskip(NEXT) | instid1(VALU_DEP_2)
	v_mov_b32_e32 v15, v45
	v_mad_co_u64_u32 v[46:47], null, s13, v8, v[12:13]
	v_cndmask_b32_e32 v9, 0, v9, vcc_lo
	v_cmp_gt_i32_e32 vcc_lo, s37, v8
	s_wait_alu 0xfffd
	s_delay_alu instid0(VALU_DEP_3) | instskip(NEXT) | instid1(VALU_DEP_3)
	v_dual_cndmask_b32 v11, 0, v11 :: v_dual_cndmask_b32 v12, 0, v46
	v_lshlrev_b64_e32 v[9:10], 1, v[9:10]
	s_wait_alu 0xfffe
	s_delay_alu instid0(VALU_DEP_1) | instskip(SKIP_1) | instid1(VALU_DEP_2)
	v_add_co_u32 v8, s8, s52, v9
	s_wait_alu 0xf1ff
	v_add_co_ci_u32_e64 v9, null, s53, v10, s8
	v_lshlrev_b64_e32 v[10:11], 1, v[11:12]
	s_delay_alu instid0(VALU_DEP_3) | instskip(SKIP_1) | instid1(VALU_DEP_3)
	v_add_co_u32 v8, vcc_lo, v8, v4
	s_wait_alu 0xfffd
	v_add_co_ci_u32_e64 v9, null, v9, v5, vcc_lo
	v_cmp_gt_i32_e32 vcc_lo, s37, v49
	v_cndmask_b32_e64 v12, 0, v14, s7
	s_wait_alu 0xfffd
	v_cndmask_b32_e32 v44, 0, v44, vcc_lo
	v_mad_co_u64_u32 v[47:48], null, s13, v48, v[13:14]
	v_mad_co_u64_u32 v[14:15], null, s13, v49, v[15:16]
	s_delay_alu instid0(VALU_DEP_2) | instskip(SKIP_1) | instid1(VALU_DEP_3)
	v_cndmask_b32_e64 v13, 0, v47, s7
	v_add_co_u32 v10, s7, s52, v10
	v_cndmask_b32_e32 v45, 0, v14, vcc_lo
	s_wait_alu 0xf1ff
	v_add_co_ci_u32_e64 v11, null, s53, v11, s7
	v_lshlrev_b64_e32 v[12:13], 1, v[12:13]
	v_add_co_u32 v10, vcc_lo, v10, v4
	v_lshlrev_b64_e32 v[14:15], 1, v[44:45]
	s_wait_alu 0xfffd
	v_add_co_ci_u32_e64 v11, null, v11, v5, vcc_lo
	s_delay_alu instid0(VALU_DEP_4)
	v_add_co_u32 v12, vcc_lo, s52, v12
	s_wait_alu 0xfffd
	v_add_co_ci_u32_e64 v13, null, s53, v13, vcc_lo
	v_add_co_u32 v14, vcc_lo, s52, v14
	s_wait_alu 0xfffd
	v_add_co_ci_u32_e64 v15, null, s53, v15, vcc_lo
	;; [unrolled: 3-line block ×4, first 2 shown]
	s_clause 0x3
	global_load_u16 v39, v[8:9], off
	global_load_u16 v44, v[10:11], off
	;; [unrolled: 1-line block ×4, first 2 shown]
	s_and_saveexec_b32 s7, s2
	s_cbranch_execz .LBB385_43
; %bb.38:                               ;   in Loop: Header=BB385_5 Depth=1
	s_clause 0x3
	global_load_u16 v47, v[8:9], off offset:128
	global_load_u16 v48, v[10:11], off offset:128
	global_load_u16 v49, v[12:13], off offset:128
	global_load_u16 v50, v[14:15], off offset:128
	s_and_saveexec_b32 s8, s3
	s_cbranch_execz .LBB385_42
; %bb.39:                               ;   in Loop: Header=BB385_5 Depth=1
	s_clause 0x3
	global_load_u16 v51, v[8:9], off offset:256
	global_load_u16 v52, v[10:11], off offset:256
	global_load_u16 v53, v[12:13], off offset:256
	global_load_u16 v54, v[14:15], off offset:256
	;; [unrolled: 8-line block ×3, first 2 shown]
	s_wait_loadcnt 0x3
	v_fma_mix_f32 v8, v43, v8, v38 op_sel_hi:[0,1,0]
	s_wait_loadcnt 0x2
	s_delay_alu instid0(VALU_DEP_1) | instskip(SKIP_1) | instid1(VALU_DEP_1)
	v_fma_mix_f32 v8, v42, v9, v8 op_sel_hi:[0,1,0]
	s_wait_loadcnt 0x1
	v_fma_mix_f32 v8, v41, v10, v8 op_sel_hi:[0,1,0]
	s_wait_loadcnt 0x0
	s_delay_alu instid0(VALU_DEP_1)
	v_fma_mix_f32 v38, v40, v11, v8 op_sel_hi:[0,1,0]
.LBB385_41:                             ;   in Loop: Header=BB385_5 Depth=1
	s_wait_alu 0xfffe
	s_or_b32 exec_lo, exec_lo, s52
	s_wait_loadcnt 0x3
	v_fma_mix_f32 v8, v43, v51, v37 op_sel_hi:[0,1,0]
	s_wait_loadcnt 0x2
	s_delay_alu instid0(VALU_DEP_1) | instskip(SKIP_1) | instid1(VALU_DEP_1)
	v_fma_mix_f32 v8, v42, v52, v8 op_sel_hi:[0,1,0]
	s_wait_loadcnt 0x1
	v_fma_mix_f32 v8, v41, v53, v8 op_sel_hi:[0,1,0]
	s_wait_loadcnt 0x0
	s_delay_alu instid0(VALU_DEP_1)
	v_fma_mix_f32 v37, v40, v54, v8 op_sel_hi:[0,1,0]
.LBB385_42:                             ;   in Loop: Header=BB385_5 Depth=1
	s_wait_alu 0xfffe
	s_or_b32 exec_lo, exec_lo, s8
	s_wait_loadcnt 0x3
	v_fma_mix_f32 v8, v43, v47, v36 op_sel_hi:[0,1,0]
	s_wait_loadcnt 0x2
	s_delay_alu instid0(VALU_DEP_1) | instskip(SKIP_1) | instid1(VALU_DEP_1)
	v_fma_mix_f32 v8, v42, v48, v8 op_sel_hi:[0,1,0]
	s_wait_loadcnt 0x1
	v_fma_mix_f32 v8, v41, v49, v8 op_sel_hi:[0,1,0]
	s_wait_loadcnt 0x0
	s_delay_alu instid0(VALU_DEP_1)
	v_fma_mix_f32 v36, v40, v50, v8 op_sel_hi:[0,1,0]
.LBB385_43:                             ;   in Loop: Header=BB385_5 Depth=1
	s_wait_alu 0xfffe
	s_or_b32 exec_lo, exec_lo, s7
	s_wait_loadcnt 0x3
	v_fma_mix_f32 v8, v43, v39, v35 op_sel_hi:[0,1,0]
	s_wait_loadcnt 0x2
	s_delay_alu instid0(VALU_DEP_1) | instskip(SKIP_1) | instid1(VALU_DEP_1)
	v_fma_mix_f32 v8, v42, v44, v8 op_sel_hi:[0,1,0]
	s_wait_loadcnt 0x1
	v_fma_mix_f32 v8, v41, v45, v8 op_sel_hi:[0,1,0]
	s_wait_loadcnt 0x0
	s_delay_alu instid0(VALU_DEP_1)
	v_fma_mix_f32 v35, v40, v46, v8 op_sel_hi:[0,1,0]
.LBB385_44:                             ;   in Loop: Header=BB385_5 Depth=1
	s_wait_alu 0xfffe
	s_or_b32 exec_lo, exec_lo, s9
.LBB385_45:                             ;   in Loop: Header=BB385_5 Depth=1
	ds_store_2addr_stride64_b32 v17, v35, v36 offset1:1
	ds_store_2addr_stride64_b32 v17, v37, v38 offset0:2 offset1:3
	s_wait_dscnt 0x0
	s_barrier_signal -1
	s_barrier_wait -1
	global_inv scope:SCOPE_SE
                                        ; implicit-def: $vgpr10
	s_and_saveexec_b32 s7, s0
	s_cbranch_execz .LBB385_51
; %bb.46:                               ;   in Loop: Header=BB385_5 Depth=1
	ds_load_2addr_stride64_b32 v[8:9], v18 offset1:4
	ds_load_2addr_stride64_b32 v[10:11], v18 offset0:8 offset1:12
	s_mov_b32 s9, s51
	s_wait_dscnt 0x1
	v_add_f32_e32 v8, v8, v9
	s_wait_dscnt 0x0
	s_delay_alu instid0(VALU_DEP_1) | instskip(NEXT) | instid1(VALU_DEP_1)
	v_add_f32_e32 v8, v10, v8
                                        ; implicit-def: $vgpr10
	v_add_f32_e32 v8, v11, v8
	ds_store_b32 v18, v8
	s_and_saveexec_b32 s8, s6
	s_cbranch_execz .LBB385_50
; %bb.47:                               ;   in Loop: Header=BB385_5 Depth=1
	v_mul_f32_e32 v8, s38, v8
	s_and_not1_b32 vcc_lo, exec_lo, s48
	s_wait_alu 0xfffe
	s_cbranch_vccnz .LBB385_49
; %bb.48:                               ;   in Loop: Header=BB385_5 Depth=1
	v_lshlrev_b64_e32 v[9:10], 1, v[2:3]
	s_delay_alu instid0(VALU_DEP_1) | instskip(SKIP_1) | instid1(VALU_DEP_2)
	v_add_co_u32 v9, vcc_lo, s44, v9
	s_wait_alu 0xfffd
	v_add_co_ci_u32_e64 v10, null, s45, v10, vcc_lo
	global_load_u16 v9, v[9:10], off
	s_wait_loadcnt 0x0
	v_fma_mix_f32 v8, s39, v9, v8 op_sel_hi:[0,1,0]
.LBB385_49:                             ;   in Loop: Header=BB385_5 Depth=1
	s_delay_alu instid0(VALU_DEP_1)
	v_cvt_f16_f32_e32 v10, v8
	s_or_b32 s9, s51, exec_lo
.LBB385_50:                             ;   in Loop: Header=BB385_5 Depth=1
	s_wait_alu 0xfffe
	s_or_b32 exec_lo, exec_lo, s8
	s_delay_alu instid0(SALU_CYCLE_1)
	s_and_not1_b32 s8, s51, exec_lo
	s_and_b32 s9, s9, exec_lo
	s_wait_alu 0xfffe
	s_or_b32 s51, s8, s9
.LBB385_51:                             ;   in Loop: Header=BB385_5 Depth=1
	s_wait_alu 0xfffe
	s_or_b32 exec_lo, exec_lo, s7
	v_dual_mov_b32 v9, v3 :: v_dual_mov_b32 v8, v2
	s_and_saveexec_b32 s7, s51
	s_cbranch_execz .LBB385_3
.LBB385_52:                             ;   in Loop: Header=BB385_5 Depth=1
	s_delay_alu instid0(VALU_DEP_1) | instskip(SKIP_1) | instid1(VALU_DEP_1)
	v_lshlrev_b64_e32 v[8:9], 1, v[8:9]
	s_wait_alu 0xfffe
	v_add_co_u32 v8, vcc_lo, s44, v8
	s_wait_alu 0xfffd
	s_delay_alu instid0(VALU_DEP_2)
	v_add_co_ci_u32_e64 v9, null, s45, v9, vcc_lo
	global_store_b16 v[8:9], v10, off
	s_branch .LBB385_3
.LBB385_53:
	s_endpgm
	.section	.rodata,"a",@progbits
	.p2align	6, 0x0
	.amdhsa_kernel _ZL20rocblas_gemvn_kernelILi64ELi4ElDF16_fDF16_EviiT3_lPKT2_lT1_lS3_lS4_lS0_lPT4_lS4_li
		.amdhsa_group_segment_fixed_size 4096
		.amdhsa_private_segment_fixed_size 0
		.amdhsa_kernarg_size 400
		.amdhsa_user_sgpr_count 2
		.amdhsa_user_sgpr_dispatch_ptr 0
		.amdhsa_user_sgpr_queue_ptr 0
		.amdhsa_user_sgpr_kernarg_segment_ptr 1
		.amdhsa_user_sgpr_dispatch_id 0
		.amdhsa_user_sgpr_private_segment_size 0
		.amdhsa_wavefront_size32 1
		.amdhsa_uses_dynamic_stack 0
		.amdhsa_enable_private_segment 0
		.amdhsa_system_sgpr_workgroup_id_x 1
		.amdhsa_system_sgpr_workgroup_id_y 0
		.amdhsa_system_sgpr_workgroup_id_z 1
		.amdhsa_system_sgpr_workgroup_info 0
		.amdhsa_system_vgpr_workitem_id 1
		.amdhsa_next_free_vgpr 76
		.amdhsa_next_free_sgpr 56
		.amdhsa_reserve_vcc 1
		.amdhsa_float_round_mode_32 0
		.amdhsa_float_round_mode_16_64 0
		.amdhsa_float_denorm_mode_32 3
		.amdhsa_float_denorm_mode_16_64 3
		.amdhsa_fp16_overflow 0
		.amdhsa_workgroup_processor_mode 1
		.amdhsa_memory_ordered 1
		.amdhsa_forward_progress 1
		.amdhsa_inst_pref_size 31
		.amdhsa_round_robin_scheduling 0
		.amdhsa_exception_fp_ieee_invalid_op 0
		.amdhsa_exception_fp_denorm_src 0
		.amdhsa_exception_fp_ieee_div_zero 0
		.amdhsa_exception_fp_ieee_overflow 0
		.amdhsa_exception_fp_ieee_underflow 0
		.amdhsa_exception_fp_ieee_inexact 0
		.amdhsa_exception_int_div_zero 0
	.end_amdhsa_kernel
	.section	.text._ZL20rocblas_gemvn_kernelILi64ELi4ElDF16_fDF16_EviiT3_lPKT2_lT1_lS3_lS4_lS0_lPT4_lS4_li,"axG",@progbits,_ZL20rocblas_gemvn_kernelILi64ELi4ElDF16_fDF16_EviiT3_lPKT2_lT1_lS3_lS4_lS0_lPT4_lS4_li,comdat
.Lfunc_end385:
	.size	_ZL20rocblas_gemvn_kernelILi64ELi4ElDF16_fDF16_EviiT3_lPKT2_lT1_lS3_lS4_lS0_lPT4_lS4_li, .Lfunc_end385-_ZL20rocblas_gemvn_kernelILi64ELi4ElDF16_fDF16_EviiT3_lPKT2_lT1_lS3_lS4_lS0_lPT4_lS4_li
                                        ; -- End function
	.set _ZL20rocblas_gemvn_kernelILi64ELi4ElDF16_fDF16_EviiT3_lPKT2_lT1_lS3_lS4_lS0_lPT4_lS4_li.num_vgpr, 76
	.set _ZL20rocblas_gemvn_kernelILi64ELi4ElDF16_fDF16_EviiT3_lPKT2_lT1_lS3_lS4_lS0_lPT4_lS4_li.num_agpr, 0
	.set _ZL20rocblas_gemvn_kernelILi64ELi4ElDF16_fDF16_EviiT3_lPKT2_lT1_lS3_lS4_lS0_lPT4_lS4_li.numbered_sgpr, 56
	.set _ZL20rocblas_gemvn_kernelILi64ELi4ElDF16_fDF16_EviiT3_lPKT2_lT1_lS3_lS4_lS0_lPT4_lS4_li.num_named_barrier, 0
	.set _ZL20rocblas_gemvn_kernelILi64ELi4ElDF16_fDF16_EviiT3_lPKT2_lT1_lS3_lS4_lS0_lPT4_lS4_li.private_seg_size, 0
	.set _ZL20rocblas_gemvn_kernelILi64ELi4ElDF16_fDF16_EviiT3_lPKT2_lT1_lS3_lS4_lS0_lPT4_lS4_li.uses_vcc, 1
	.set _ZL20rocblas_gemvn_kernelILi64ELi4ElDF16_fDF16_EviiT3_lPKT2_lT1_lS3_lS4_lS0_lPT4_lS4_li.uses_flat_scratch, 0
	.set _ZL20rocblas_gemvn_kernelILi64ELi4ElDF16_fDF16_EviiT3_lPKT2_lT1_lS3_lS4_lS0_lPT4_lS4_li.has_dyn_sized_stack, 0
	.set _ZL20rocblas_gemvn_kernelILi64ELi4ElDF16_fDF16_EviiT3_lPKT2_lT1_lS3_lS4_lS0_lPT4_lS4_li.has_recursion, 0
	.set _ZL20rocblas_gemvn_kernelILi64ELi4ElDF16_fDF16_EviiT3_lPKT2_lT1_lS3_lS4_lS0_lPT4_lS4_li.has_indirect_call, 0
	.section	.AMDGPU.csdata,"",@progbits
; Kernel info:
; codeLenInByte = 3872
; TotalNumSgprs: 58
; NumVgprs: 76
; ScratchSize: 0
; MemoryBound: 0
; FloatMode: 240
; IeeeMode: 1
; LDSByteSize: 4096 bytes/workgroup (compile time only)
; SGPRBlocks: 0
; VGPRBlocks: 9
; NumSGPRsForWavesPerEU: 58
; NumVGPRsForWavesPerEU: 76
; Occupancy: 16
; WaveLimiterHint : 1
; COMPUTE_PGM_RSRC2:SCRATCH_EN: 0
; COMPUTE_PGM_RSRC2:USER_SGPR: 2
; COMPUTE_PGM_RSRC2:TRAP_HANDLER: 0
; COMPUTE_PGM_RSRC2:TGID_X_EN: 1
; COMPUTE_PGM_RSRC2:TGID_Y_EN: 0
; COMPUTE_PGM_RSRC2:TGID_Z_EN: 1
; COMPUTE_PGM_RSRC2:TIDIG_COMP_CNT: 1
	.section	.text._ZL20rocblas_gemvn_kernelILi32ELi16EiDF16_PKfDF16_EviiT3_lPKT2_lT1_lS5_lS6_lS2_lPT4_lS6_li,"axG",@progbits,_ZL20rocblas_gemvn_kernelILi32ELi16EiDF16_PKfDF16_EviiT3_lPKT2_lT1_lS5_lS6_lS2_lPT4_lS6_li,comdat
	.globl	_ZL20rocblas_gemvn_kernelILi32ELi16EiDF16_PKfDF16_EviiT3_lPKT2_lT1_lS5_lS6_lS2_lPT4_lS6_li ; -- Begin function _ZL20rocblas_gemvn_kernelILi32ELi16EiDF16_PKfDF16_EviiT3_lPKT2_lT1_lS5_lS6_lS2_lPT4_lS6_li
	.p2align	8
	.type	_ZL20rocblas_gemvn_kernelILi32ELi16EiDF16_PKfDF16_EviiT3_lPKT2_lT1_lS5_lS6_lS2_lPT4_lS6_li,@function
_ZL20rocblas_gemvn_kernelILi32ELi16EiDF16_PKfDF16_EviiT3_lPKT2_lT1_lS5_lS6_lS2_lPT4_lS6_li: ; @_ZL20rocblas_gemvn_kernelILi32ELi16EiDF16_PKfDF16_EviiT3_lPKT2_lT1_lS5_lS6_lS2_lPT4_lS6_li
; %bb.0:
	s_load_b64 s[2:3], s[0:1], 0x9c
	s_wait_kmcnt 0x0
	s_lshr_b32 s4, s2, 16
	s_and_b32 s2, s2, 0xffff
	s_and_b32 s3, s3, 0xffff
	s_mul_i32 s2, s4, s2
	s_delay_alu instid0(SALU_CYCLE_1) | instskip(NEXT) | instid1(SALU_CYCLE_1)
	s_mul_i32 s2, s2, s3
	s_cmp_lg_u32 s2, 0x200
	s_cbranch_scc1 .LBB386_53
; %bb.1:
	s_load_b32 s31, s[0:1], 0x88
	s_lshr_b32 s34, ttmp7, 16
	s_wait_kmcnt 0x0
	s_cmp_ge_u32 s34, s31
	s_cbranch_scc1 .LBB386_53
; %bb.2:
	s_clause 0x3
	s_load_b96 s[4:6], s[0:1], 0x70
	s_load_b256 s[8:15], s[0:1], 0x8
	s_load_b96 s[28:30], s[0:1], 0x40
	s_load_b64 s[36:37], s[0:1], 0x0
	v_and_b32_e32 v9, 0x3ff, v0
	v_bfe_u32 v8, v0, 10, 10
	s_clause 0x2
	s_load_b32 s33, s[0:1], 0x28
	s_load_b128 s[24:27], s[0:1], 0x30
	s_load_b256 s[16:23], s[0:1], 0x50
	s_lshl_b32 s42, ttmp9, 7
	v_mov_b32_e32 v1, 0
	v_add_nc_u32_e32 v21, s42, v9
	v_lshl_add_u32 v5, v8, 5, v9
	v_lshlrev_b32_e32 v22, 2, v8
	s_load_b64 s[38:39], s[0:1], 0x80
	s_mov_b32 s35, 0
	v_add_nc_u32_e32 v7, 64, v21
	v_add_nc_u32_e32 v0, s42, v5
	v_or_b32_e32 v11, s42, v5
	v_add_nc_u32_e32 v6, 32, v21
	v_add_nc_u32_e32 v10, 0x60, v21
	v_or_b32_e32 v12, 3, v22
	s_wait_kmcnt 0x0
	v_mad_co_u64_u32 v[2:3], null, s6, v0, 0
	s_ashr_i32 s1, s6, 31
	s_lshl_b64 s[2:3], s[14:15], 1
	s_ashr_i32 s7, s37, 31
	s_add_nc_u64 s[12:13], s[12:13], s[2:3]
	s_wait_alu 0xfffe
	s_lshr_b32 s2, s7, 26
	v_cmp_gt_i32_e64 s3, s36, v7
	v_mad_co_u64_u32 v[3:4], null, s1, v0, v[3:4]
	v_mul_lo_u32 v4, s6, v11
	v_mul_lo_u32 v7, s33, v22
	s_lshl_b64 s[4:5], s[4:5], 1
	s_add_co_i32 s43, s37, s2
	v_cmp_gt_i32_e64 s6, s36, v11
	v_mul_lo_u32 v11, v8, s33
	s_add_nc_u64 s[22:23], s[22:23], s[4:5]
	s_wait_alu 0xfffe
	s_and_not1_b32 s43, s43, 63
	v_cmp_gt_i32_e64 s2, s36, v6
	v_cmp_gt_i32_e64 s4, s36, v10
	v_lshlrev_b32_e32 v6, 2, v9
	v_or_b32_e32 v10, 2, v22
	s_wait_alu 0xfffe
	s_sub_co_i32 s5, s37, s43
	v_mul_lo_u32 v13, v8, s30
	s_lshl_b64 s[14:15], s[28:29], 1
	s_ashr_i32 s29, s36, 31
	s_mov_b32 s28, s36
	s_cmp_gt_i32 s5, 0
	v_cmp_gt_u32_e64 s5, 0x80, v5
	v_ashrrev_i32_e32 v5, 31, v4
	s_add_nc_u64 s[14:15], s[26:27], s[14:15]
	v_cmp_gt_i64_e32 vcc_lo, s[28:29], v[0:1]
	v_lshl_add_u32 v0, v8, 9, v6
	v_lshl_add_u32 v23, v8, 7, v6
	v_add3_u32 v24, v7, s33, v9
	v_mad_co_u64_u32 v[6:7], null, s33, v10, v[9:10]
	s_mov_b32 s26, s30
	v_mad_co_u64_u32 v[7:8], null, s33, v12, v[9:10]
	v_lshl_add_u32 v25, v11, 2, v9
	v_mad_co_u64_u32 v[8:9], null, s30, v22, s[26:27]
	v_mul_lo_u32 v26, s30, v10
	v_mul_lo_u32 v27, s30, v12
	v_lshlrev_b64_e32 v[9:10], 1, v[2:3]
	v_lshlrev_b64_e32 v[11:12], 1, v[4:5]
	v_cmp_gt_i32_e64 s0, s36, v21
	v_cmp_gt_i32_e64 s1, s43, v22
	v_lshlrev_b32_e32 v28, 2, v13
	s_cselect_b32 s36, -1, 0
	s_and_b32 s44, s5, vcc_lo
	s_lshl_b32 s45, s33, 6
	s_lshl_b32 s46, s30, 6
	s_branch .LBB386_5
.LBB386_3:                              ;   in Loop: Header=BB386_5 Depth=1
	s_wait_alu 0xfffe
	s_or_b32 exec_lo, exec_lo, s7
.LBB386_4:                              ;   in Loop: Header=BB386_5 Depth=1
	s_add_co_i32 s34, s34, 0x10000
	s_delay_alu instid0(SALU_CYCLE_1)
	s_cmp_lt_u32 s34, s31
	s_cbranch_scc0 .LBB386_53
.LBB386_5:                              ; =>This Loop Header: Depth=1
                                        ;     Child Loop BB386_21 Depth 2
	s_mul_u64 s[26:27], s[10:11], s[34:35]
	s_mul_u64 s[28:29], s[20:21], s[34:35]
	s_wait_alu 0xfffe
	s_lshl_b64 s[26:27], s[26:27], 2
	s_lshl_b64 s[28:29], s[28:29], 2
	s_wait_alu 0xfffe
	s_add_nc_u64 s[26:27], s[8:9], s[26:27]
	s_add_nc_u64 s[28:29], s[18:19], s[28:29]
	s_clause 0x1
	global_load_b32 v29, v1, s[26:27]
	global_load_b32 v13, v1, s[28:29]
	s_wait_loadcnt 0x1
	v_cmp_eq_f32_e32 vcc_lo, 0, v29
	s_wait_loadcnt 0x0
	v_cmp_eq_f32_e64 s7, 1.0, v13
	v_readfirstlane_b32 s48, v13
	s_and_b32 s7, vcc_lo, s7
	s_wait_alu 0xfffe
	s_and_b32 vcc_lo, exec_lo, s7
	s_wait_alu 0xfffe
	s_cbranch_vccnz .LBB386_4
; %bb.6:                                ;   in Loop: Header=BB386_5 Depth=1
	v_cmp_neq_f32_e32 vcc_lo, 0, v29
	s_mul_u64 s[26:27], s[38:39], s[34:35]
	s_wait_alu 0xfffe
	s_lshl_b64 s[26:27], s[26:27], 1
	s_wait_alu 0xfffe
	s_add_nc_u64 s[26:27], s[22:23], s[26:27]
	s_cbranch_vccnz .LBB386_10
; %bb.7:                                ;   in Loop: Header=BB386_5 Depth=1
	s_mov_b32 s7, 0
	s_mov_b32 s47, 0
                                        ; implicit-def: $vgpr15
	s_and_saveexec_b32 s28, s44
	s_cbranch_execz .LBB386_11
; %bb.8:                                ;   in Loop: Header=BB386_5 Depth=1
	s_cmp_eq_f32 s48, 0
	s_cbranch_scc1 .LBB386_13
; %bb.9:                                ;   in Loop: Header=BB386_5 Depth=1
	s_wait_alu 0xfffe
	v_add_co_u32 v13, vcc_lo, s26, v9
	s_wait_alu 0xfffd
	v_add_co_ci_u32_e64 v14, null, s27, v10, vcc_lo
	global_load_u16 v13, v[13:14], off
	s_wait_loadcnt 0x0
	v_fma_mixlo_f16 v15, s48, v13, 0 op_sel_hi:[0,1,0]
	s_branch .LBB386_14
.LBB386_10:                             ;   in Loop: Header=BB386_5 Depth=1
	s_mov_b32 s47, 0
                                        ; implicit-def: $vgpr15
	s_cbranch_execz .LBB386_12
	s_branch .LBB386_15
.LBB386_11:                             ;   in Loop: Header=BB386_5 Depth=1
	s_wait_alu 0xfffe
	s_or_b32 exec_lo, exec_lo, s28
	s_delay_alu instid0(SALU_CYCLE_1)
	s_and_b32 vcc_lo, exec_lo, s7
	s_wait_alu 0xfffe
	s_cbranch_vccnz .LBB386_15
.LBB386_12:                             ;   in Loop: Header=BB386_5 Depth=1
	v_dual_mov_b32 v14, v3 :: v_dual_mov_b32 v13, v2
	s_and_saveexec_b32 s7, s47
	s_cbranch_execz .LBB386_3
	s_branch .LBB386_52
.LBB386_13:                             ;   in Loop: Header=BB386_5 Depth=1
	v_mov_b32_e32 v15, 0
.LBB386_14:                             ;   in Loop: Header=BB386_5 Depth=1
	s_mov_b32 s47, exec_lo
	s_wait_alu 0xfffe
	s_or_b32 exec_lo, exec_lo, s28
	s_delay_alu instid0(SALU_CYCLE_1)
	s_and_b32 vcc_lo, exec_lo, s7
	s_wait_alu 0xfffe
	s_cbranch_vccz .LBB386_12
.LBB386_15:                             ;   in Loop: Header=BB386_5 Depth=1
	s_mul_u64 s[28:29], s[24:25], s[34:35]
	s_mul_u64 s[40:41], s[16:17], s[34:35]
	v_dual_mov_b32 v30, 0 :: v_dual_mov_b32 v31, 0
	v_dual_mov_b32 v34, v22 :: v_dual_mov_b32 v33, 0
	v_mov_b32_e32 v32, 0
	s_wait_alu 0xfffe
	s_lshl_b64 s[28:29], s[28:29], 1
	s_lshl_b64 s[40:41], s[40:41], 1
	s_wait_alu 0xfffe
	s_add_nc_u64 s[28:29], s[12:13], s[28:29]
	s_add_nc_u64 s[40:41], s[14:15], s[40:41]
	s_and_saveexec_b32 s7, s1
	s_cbranch_execz .LBB386_27
; %bb.16:                               ;   in Loop: Header=BB386_5 Depth=1
	v_dual_mov_b32 v30, 0 :: v_dual_mov_b32 v35, v25
	v_dual_mov_b32 v36, v7 :: v_dual_mov_b32 v37, v6
	;; [unrolled: 1-line block ×4, first 2 shown]
	v_mov_b32_e32 v32, 0
	s_mov_b32 s49, 0
	s_mov_b32 s50, 0
	s_branch .LBB386_21
.LBB386_17:                             ;   in Loop: Header=BB386_21 Depth=2
	s_or_b32 exec_lo, exec_lo, s54
	s_wait_loadcnt 0x3
	v_fma_mix_f32 v13, v51, v55, v32 op_sel_hi:[0,1,0]
	s_wait_loadcnt 0x2
	s_delay_alu instid0(VALU_DEP_1) | instskip(SKIP_1) | instid1(VALU_DEP_1)
	v_fma_mix_f32 v13, v52, v56, v13 op_sel_hi:[0,1,0]
	s_wait_loadcnt 0x1
	v_fma_mix_f32 v13, v53, v57, v13 op_sel_hi:[0,1,0]
	s_wait_loadcnt 0x0
	s_delay_alu instid0(VALU_DEP_1)
	v_fma_mix_f32 v32, v54, v58, v13 op_sel_hi:[0,1,0]
.LBB386_18:                             ;   in Loop: Header=BB386_21 Depth=2
	s_or_b32 exec_lo, exec_lo, s53
	s_wait_loadcnt 0x3
	v_fma_mix_f32 v13, v51, v47, v31 op_sel_hi:[0,1,0]
	s_wait_loadcnt 0x2
	s_delay_alu instid0(VALU_DEP_1) | instskip(SKIP_1) | instid1(VALU_DEP_1)
	v_fma_mix_f32 v13, v52, v48, v13 op_sel_hi:[0,1,0]
	s_wait_loadcnt 0x1
	v_fma_mix_f32 v13, v53, v49, v13 op_sel_hi:[0,1,0]
	s_wait_loadcnt 0x0
	s_delay_alu instid0(VALU_DEP_1)
	v_fma_mix_f32 v31, v54, v50, v13 op_sel_hi:[0,1,0]
.LBB386_19:                             ;   in Loop: Header=BB386_21 Depth=2
	s_or_b32 exec_lo, exec_lo, s52
	s_wait_loadcnt 0x3
	v_fma_mix_f32 v13, v39, v43, v30 op_sel_hi:[1,1,0]
	s_wait_loadcnt 0x2
	s_delay_alu instid0(VALU_DEP_1) | instskip(SKIP_1) | instid1(VALU_DEP_1)
	v_fma_mix_f32 v13, v40, v44, v13 op_sel_hi:[1,1,0]
	s_wait_loadcnt 0x1
	v_fma_mix_f32 v13, v41, v45, v13 op_sel_hi:[1,1,0]
	s_wait_loadcnt 0x0
	s_delay_alu instid0(VALU_DEP_1)
	v_fma_mix_f32 v30, v42, v46, v13 op_sel_hi:[1,1,0]
.LBB386_20:                             ;   in Loop: Header=BB386_21 Depth=2
	s_wait_alu 0xfffe
	s_or_b32 exec_lo, exec_lo, s51
	v_add_nc_u32_e32 v34, 64, v34
	v_add_nc_u32_e32 v38, s45, v38
	;; [unrolled: 1-line block ×5, first 2 shown]
	v_cmp_le_i32_e32 vcc_lo, s43, v34
	s_add_co_i32 s50, s50, s46
	s_or_b32 s49, vcc_lo, s49
	s_wait_alu 0xfffe
	s_and_not1_b32 exec_lo, exec_lo, s49
	s_cbranch_execz .LBB386_26
.LBB386_21:                             ;   Parent Loop BB386_5 Depth=1
                                        ; =>  This Inner Loop Header: Depth=2
	s_and_saveexec_b32 s51, s0
	s_cbranch_execz .LBB386_20
; %bb.22:                               ;   in Loop: Header=BB386_21 Depth=2
	s_wait_alu 0xfffe
	v_add_nc_u32_e32 v13, s50, v28
	v_add_nc_u32_e32 v15, s50, v8
	;; [unrolled: 1-line block ×5, first 2 shown]
	v_ashrrev_i32_e32 v14, 31, v13
	v_ashrrev_i32_e32 v16, 31, v15
	;; [unrolled: 1-line block ×5, first 2 shown]
	v_lshlrev_b64_e32 v[13:14], 1, v[13:14]
	v_lshlrev_b64_e32 v[15:16], 1, v[15:16]
	;; [unrolled: 1-line block ×3, first 2 shown]
	s_delay_alu instid0(VALU_DEP_3) | instskip(SKIP_1) | instid1(VALU_DEP_4)
	v_add_co_u32 v41, vcc_lo, s40, v13
	s_wait_alu 0xfffd
	v_add_co_ci_u32_e64 v42, null, s41, v14, vcc_lo
	s_delay_alu instid0(VALU_DEP_4)
	v_add_co_u32 v43, vcc_lo, s40, v15
	v_add_nc_u32_e32 v15, s42, v38
	s_wait_alu 0xfffd
	v_add_co_ci_u32_e64 v44, null, s41, v16, vcc_lo
	v_lshlrev_b64_e32 v[13:14], 1, v[19:20]
	v_add_co_u32 v45, vcc_lo, s40, v17
	v_add_nc_u32_e32 v19, s42, v37
	s_wait_alu 0xfffd
	v_add_co_ci_u32_e64 v46, null, s41, v18, vcc_lo
	v_lshlrev_b64_e32 v[17:18], 1, v[39:40]
	v_add_nc_u32_e32 v39, s42, v36
	v_ashrrev_i32_e32 v16, 31, v15
	v_ashrrev_i32_e32 v20, 31, v19
	v_add_co_u32 v47, vcc_lo, s40, v13
	s_delay_alu instid0(VALU_DEP_4)
	v_ashrrev_i32_e32 v40, 31, v39
	s_wait_alu 0xfffd
	v_add_co_ci_u32_e64 v48, null, s41, v14, vcc_lo
	v_lshlrev_b64_e32 v[15:16], 1, v[15:16]
	v_add_co_u32 v13, vcc_lo, s28, v17
	s_wait_alu 0xfffd
	v_add_co_ci_u32_e64 v14, null, s29, v18, vcc_lo
	v_lshlrev_b64_e32 v[17:18], 1, v[19:20]
	v_lshlrev_b64_e32 v[19:20], 1, v[39:40]
	v_add_co_u32 v15, vcc_lo, s28, v15
	s_wait_alu 0xfffd
	v_add_co_ci_u32_e64 v16, null, s29, v16, vcc_lo
	s_delay_alu instid0(VALU_DEP_4)
	v_add_co_u32 v17, vcc_lo, s28, v17
	s_wait_alu 0xfffd
	v_add_co_ci_u32_e64 v18, null, s29, v18, vcc_lo
	v_add_co_u32 v19, vcc_lo, s28, v19
	s_wait_alu 0xfffd
	v_add_co_ci_u32_e64 v20, null, s29, v20, vcc_lo
	s_clause 0x3
	global_load_u16 v39, v[41:42], off
	global_load_u16 v40, v[43:44], off
	;; [unrolled: 1-line block ×4, first 2 shown]
	s_clause 0x3
	global_load_u16 v43, v[13:14], off
	global_load_u16 v44, v[15:16], off
	;; [unrolled: 1-line block ×4, first 2 shown]
	s_and_saveexec_b32 s52, s2
	s_cbranch_execz .LBB386_19
; %bb.23:                               ;   in Loop: Header=BB386_21 Depth=2
	s_clause 0x3
	global_load_u16 v47, v[13:14], off offset:64
	global_load_u16 v48, v[15:16], off offset:64
	global_load_u16 v49, v[17:18], off offset:64
	global_load_u16 v50, v[19:20], off offset:64
	s_wait_loadcnt 0xb
	v_cvt_f32_f16_e32 v51, v39
	s_wait_loadcnt 0xa
	v_cvt_f32_f16_e32 v52, v40
	;; [unrolled: 2-line block ×4, first 2 shown]
	s_and_saveexec_b32 s53, s3
	s_cbranch_execz .LBB386_18
; %bb.24:                               ;   in Loop: Header=BB386_21 Depth=2
	s_clause 0x3
	global_load_u16 v55, v[13:14], off offset:128
	global_load_u16 v56, v[15:16], off offset:128
	global_load_u16 v57, v[17:18], off offset:128
	global_load_u16 v58, v[19:20], off offset:128
	s_and_saveexec_b32 s54, s4
	s_cbranch_execz .LBB386_17
; %bb.25:                               ;   in Loop: Header=BB386_21 Depth=2
	s_clause 0x3
	global_load_u16 v13, v[13:14], off offset:192
	global_load_u16 v14, v[15:16], off offset:192
	global_load_u16 v15, v[17:18], off offset:192
	global_load_u16 v16, v[19:20], off offset:192
	s_wait_loadcnt 0x3
	v_fma_mix_f32 v13, v51, v13, v33 op_sel_hi:[0,1,0]
	s_wait_loadcnt 0x2
	s_delay_alu instid0(VALU_DEP_1) | instskip(SKIP_1) | instid1(VALU_DEP_1)
	v_fma_mix_f32 v13, v52, v14, v13 op_sel_hi:[0,1,0]
	s_wait_loadcnt 0x1
	v_fma_mix_f32 v13, v53, v15, v13 op_sel_hi:[0,1,0]
	s_wait_loadcnt 0x0
	s_delay_alu instid0(VALU_DEP_1)
	v_fma_mix_f32 v33, v54, v16, v13 op_sel_hi:[0,1,0]
	s_branch .LBB386_17
.LBB386_26:                             ;   in Loop: Header=BB386_5 Depth=1
	s_or_b32 exec_lo, exec_lo, s49
.LBB386_27:                             ;   in Loop: Header=BB386_5 Depth=1
	s_wait_alu 0xfffe
	s_or_b32 exec_lo, exec_lo, s7
	s_delay_alu instid0(SALU_CYCLE_1)
	s_and_not1_b32 vcc_lo, exec_lo, s36
	s_wait_alu 0xfffe
	s_cbranch_vccnz .LBB386_45
; %bb.28:                               ;   in Loop: Header=BB386_5 Depth=1
	v_cmp_gt_i32_e32 vcc_lo, s37, v34
	v_dual_mov_b32 v35, 0 :: v_dual_mov_b32 v36, 0
	v_or_b32_e32 v13, 1, v34
	v_dual_mov_b32 v37, 0 :: v_dual_mov_b32 v38, 0
	s_and_saveexec_b32 s49, vcc_lo
	s_cbranch_execz .LBB386_36
; %bb.29:                               ;   in Loop: Header=BB386_5 Depth=1
	v_mul_lo_u32 v14, v34, s30
	v_dual_mov_b32 v37, 0 :: v_dual_mov_b32 v36, 0
	v_mov_b32_e32 v35, 0
	s_mov_b32 s50, exec_lo
	s_delay_alu instid0(VALU_DEP_3) | instskip(NEXT) | instid1(VALU_DEP_1)
	v_ashrrev_i32_e32 v15, 31, v14
	v_lshlrev_b64_e32 v[14:15], 1, v[14:15]
	s_delay_alu instid0(VALU_DEP_1) | instskip(SKIP_1) | instid1(VALU_DEP_2)
	v_add_co_u32 v14, s7, s40, v14
	s_wait_alu 0xf1ff
	v_add_co_ci_u32_e64 v15, null, s41, v15, s7
	global_load_u16 v14, v[14:15], off
	v_cmpx_gt_i32_e64 s37, v13
	s_cbranch_execz .LBB386_35
; %bb.30:                               ;   in Loop: Header=BB386_5 Depth=1
	v_mul_lo_u32 v15, v13, s30
	v_dual_mov_b32 v36, 0 :: v_dual_mov_b32 v35, 0
	s_mov_b32 s51, exec_lo
	s_delay_alu instid0(VALU_DEP_2) | instskip(NEXT) | instid1(VALU_DEP_1)
	v_ashrrev_i32_e32 v16, 31, v15
	v_lshlrev_b64_e32 v[15:16], 1, v[15:16]
	s_delay_alu instid0(VALU_DEP_1) | instskip(SKIP_1) | instid1(VALU_DEP_2)
	v_add_co_u32 v15, s7, s40, v15
	s_wait_alu 0xf1ff
	v_add_co_ci_u32_e64 v16, null, s41, v16, s7
	global_load_u16 v15, v[15:16], off
	v_or_b32_e32 v16, 2, v34
	s_delay_alu instid0(VALU_DEP_1)
	v_cmpx_gt_i32_e64 s37, v16
	s_cbranch_execz .LBB386_34
; %bb.31:                               ;   in Loop: Header=BB386_5 Depth=1
	v_mul_lo_u32 v16, v16, s30
	v_mov_b32_e32 v35, 0
	s_mov_b32 s52, exec_lo
	s_delay_alu instid0(VALU_DEP_2) | instskip(NEXT) | instid1(VALU_DEP_1)
	v_ashrrev_i32_e32 v17, 31, v16
	v_lshlrev_b64_e32 v[16:17], 1, v[16:17]
	s_delay_alu instid0(VALU_DEP_1) | instskip(SKIP_1) | instid1(VALU_DEP_2)
	v_add_co_u32 v16, s7, s40, v16
	s_wait_alu 0xf1ff
	v_add_co_ci_u32_e64 v17, null, s41, v17, s7
	global_load_u16 v16, v[16:17], off
	v_or_b32_e32 v17, 3, v34
	s_delay_alu instid0(VALU_DEP_1)
	v_cmpx_gt_i32_e64 s37, v17
	s_cbranch_execz .LBB386_33
; %bb.32:                               ;   in Loop: Header=BB386_5 Depth=1
	v_mul_lo_u32 v17, v17, s30
	s_delay_alu instid0(VALU_DEP_1) | instskip(NEXT) | instid1(VALU_DEP_1)
	v_ashrrev_i32_e32 v18, 31, v17
	v_lshlrev_b64_e32 v[17:18], 1, v[17:18]
	s_delay_alu instid0(VALU_DEP_1) | instskip(SKIP_1) | instid1(VALU_DEP_2)
	v_add_co_u32 v17, s7, s40, v17
	s_wait_alu 0xf1ff
	v_add_co_ci_u32_e64 v18, null, s41, v18, s7
	global_load_u16 v17, v[17:18], off
	s_wait_loadcnt 0x0
	v_cvt_f32_f16_e32 v35, v17
.LBB386_33:                             ;   in Loop: Header=BB386_5 Depth=1
	s_or_b32 exec_lo, exec_lo, s52
	s_wait_loadcnt 0x0
	v_cvt_f32_f16_e32 v36, v16
.LBB386_34:                             ;   in Loop: Header=BB386_5 Depth=1
	s_wait_alu 0xfffe
	s_or_b32 exec_lo, exec_lo, s51
	s_wait_loadcnt 0x0
	v_cvt_f32_f16_e32 v37, v15
.LBB386_35:                             ;   in Loop: Header=BB386_5 Depth=1
	s_wait_alu 0xfffe
	s_or_b32 exec_lo, exec_lo, s50
	s_wait_loadcnt 0x0
	v_cvt_f32_f16_e32 v38, v14
.LBB386_36:                             ;   in Loop: Header=BB386_5 Depth=1
	s_wait_alu 0xfffe
	s_or_b32 exec_lo, exec_lo, s49
	s_and_saveexec_b32 s7, s0
	s_cbranch_execz .LBB386_44
; %bb.37:                               ;   in Loop: Header=BB386_5 Depth=1
	v_mul_lo_u32 v15, v34, s33
	v_or_b32_e32 v14, 2, v34
	v_mul_lo_u32 v17, v13, s33
	v_or_b32_e32 v16, 3, v34
	s_delay_alu instid0(VALU_DEP_3) | instskip(NEXT) | instid1(VALU_DEP_2)
	v_mul_lo_u32 v18, v14, s33
	v_mul_lo_u32 v19, v16, s33
	v_cndmask_b32_e32 v15, 0, v15, vcc_lo
	v_cmp_gt_i32_e32 vcc_lo, s37, v13
	s_wait_alu 0xfffd
	v_cndmask_b32_e32 v17, 0, v17, vcc_lo
	v_cmp_gt_i32_e32 vcc_lo, s37, v14
	s_wait_alu 0xfffd
	;; [unrolled: 3-line block ×3, first 2 shown]
	v_dual_cndmask_b32 v16, 0, v19 :: v_dual_add_nc_u32 v13, v15, v21
	v_add_nc_u32_e32 v15, v17, v21
	v_add_nc_u32_e32 v17, v14, v21
	s_delay_alu instid0(VALU_DEP_3) | instskip(NEXT) | instid1(VALU_DEP_4)
	v_ashrrev_i32_e32 v14, 31, v13
	v_add_nc_u32_e32 v19, v16, v21
	s_delay_alu instid0(VALU_DEP_4) | instskip(NEXT) | instid1(VALU_DEP_4)
	v_ashrrev_i32_e32 v16, 31, v15
	v_ashrrev_i32_e32 v18, 31, v17
	s_delay_alu instid0(VALU_DEP_4) | instskip(NEXT) | instid1(VALU_DEP_4)
	v_lshlrev_b64_e32 v[13:14], 1, v[13:14]
	v_ashrrev_i32_e32 v20, 31, v19
	s_delay_alu instid0(VALU_DEP_4) | instskip(NEXT) | instid1(VALU_DEP_4)
	v_lshlrev_b64_e32 v[15:16], 1, v[15:16]
	v_lshlrev_b64_e32 v[17:18], 1, v[17:18]
	s_delay_alu instid0(VALU_DEP_4) | instskip(NEXT) | instid1(VALU_DEP_4)
	v_add_co_u32 v13, vcc_lo, s28, v13
	v_lshlrev_b64_e32 v[19:20], 1, v[19:20]
	s_wait_alu 0xfffd
	v_add_co_ci_u32_e64 v14, null, s29, v14, vcc_lo
	v_add_co_u32 v15, vcc_lo, s28, v15
	s_wait_alu 0xfffd
	v_add_co_ci_u32_e64 v16, null, s29, v16, vcc_lo
	v_add_co_u32 v17, vcc_lo, s28, v17
	s_wait_alu 0xfffd
	v_add_co_ci_u32_e64 v18, null, s29, v18, vcc_lo
	v_add_co_u32 v19, vcc_lo, s28, v19
	s_wait_alu 0xfffd
	v_add_co_ci_u32_e64 v20, null, s29, v20, vcc_lo
	s_clause 0x3
	global_load_u16 v34, v[13:14], off
	global_load_u16 v39, v[15:16], off
	;; [unrolled: 1-line block ×4, first 2 shown]
	s_and_saveexec_b32 s28, s2
	s_cbranch_execz .LBB386_43
; %bb.38:                               ;   in Loop: Header=BB386_5 Depth=1
	s_clause 0x3
	global_load_u16 v42, v[13:14], off offset:64
	global_load_u16 v43, v[15:16], off offset:64
	global_load_u16 v44, v[17:18], off offset:64
	global_load_u16 v45, v[19:20], off offset:64
	s_and_saveexec_b32 s29, s3
	s_cbranch_execz .LBB386_42
; %bb.39:                               ;   in Loop: Header=BB386_5 Depth=1
	s_clause 0x3
	global_load_u16 v46, v[13:14], off offset:128
	global_load_u16 v47, v[15:16], off offset:128
	global_load_u16 v48, v[17:18], off offset:128
	global_load_u16 v49, v[19:20], off offset:128
	;; [unrolled: 8-line block ×3, first 2 shown]
	s_wait_loadcnt 0x3
	v_fma_mix_f32 v13, v38, v13, v33 op_sel_hi:[0,1,0]
	s_wait_loadcnt 0x2
	s_delay_alu instid0(VALU_DEP_1) | instskip(SKIP_1) | instid1(VALU_DEP_1)
	v_fma_mix_f32 v13, v37, v14, v13 op_sel_hi:[0,1,0]
	s_wait_loadcnt 0x1
	v_fma_mix_f32 v13, v36, v15, v13 op_sel_hi:[0,1,0]
	s_wait_loadcnt 0x0
	s_delay_alu instid0(VALU_DEP_1)
	v_fma_mix_f32 v33, v35, v16, v13 op_sel_hi:[0,1,0]
.LBB386_41:                             ;   in Loop: Header=BB386_5 Depth=1
	s_wait_alu 0xfffe
	s_or_b32 exec_lo, exec_lo, s40
	s_wait_loadcnt 0x3
	v_fma_mix_f32 v13, v38, v46, v32 op_sel_hi:[0,1,0]
	s_wait_loadcnt 0x2
	s_delay_alu instid0(VALU_DEP_1) | instskip(SKIP_1) | instid1(VALU_DEP_1)
	v_fma_mix_f32 v13, v37, v47, v13 op_sel_hi:[0,1,0]
	s_wait_loadcnt 0x1
	v_fma_mix_f32 v13, v36, v48, v13 op_sel_hi:[0,1,0]
	s_wait_loadcnt 0x0
	s_delay_alu instid0(VALU_DEP_1)
	v_fma_mix_f32 v32, v35, v49, v13 op_sel_hi:[0,1,0]
.LBB386_42:                             ;   in Loop: Header=BB386_5 Depth=1
	s_wait_alu 0xfffe
	s_or_b32 exec_lo, exec_lo, s29
	s_wait_loadcnt 0x3
	v_fma_mix_f32 v13, v38, v42, v31 op_sel_hi:[0,1,0]
	s_wait_loadcnt 0x2
	s_delay_alu instid0(VALU_DEP_1) | instskip(SKIP_1) | instid1(VALU_DEP_1)
	v_fma_mix_f32 v13, v37, v43, v13 op_sel_hi:[0,1,0]
	s_wait_loadcnt 0x1
	v_fma_mix_f32 v13, v36, v44, v13 op_sel_hi:[0,1,0]
	s_wait_loadcnt 0x0
	s_delay_alu instid0(VALU_DEP_1)
	v_fma_mix_f32 v31, v35, v45, v13 op_sel_hi:[0,1,0]
.LBB386_43:                             ;   in Loop: Header=BB386_5 Depth=1
	s_wait_alu 0xfffe
	s_or_b32 exec_lo, exec_lo, s28
	s_wait_loadcnt 0x3
	v_fma_mix_f32 v13, v38, v34, v30 op_sel_hi:[0,1,0]
	s_wait_loadcnt 0x2
	s_delay_alu instid0(VALU_DEP_1) | instskip(SKIP_1) | instid1(VALU_DEP_1)
	v_fma_mix_f32 v13, v37, v39, v13 op_sel_hi:[0,1,0]
	s_wait_loadcnt 0x1
	v_fma_mix_f32 v13, v36, v40, v13 op_sel_hi:[0,1,0]
	s_wait_loadcnt 0x0
	s_delay_alu instid0(VALU_DEP_1)
	v_fma_mix_f32 v30, v35, v41, v13 op_sel_hi:[0,1,0]
.LBB386_44:                             ;   in Loop: Header=BB386_5 Depth=1
	s_wait_alu 0xfffe
	s_or_b32 exec_lo, exec_lo, s7
.LBB386_45:                             ;   in Loop: Header=BB386_5 Depth=1
	ds_store_2addr_b32 v0, v30, v31 offset1:32
	ds_store_2addr_b32 v0, v32, v33 offset0:64 offset1:96
	s_wait_dscnt 0x0
	s_barrier_signal -1
	s_barrier_wait -1
	global_inv scope:SCOPE_SE
                                        ; implicit-def: $vgpr15
	s_and_saveexec_b32 s7, s5
	s_cbranch_execz .LBB386_51
; %bb.46:                               ;   in Loop: Header=BB386_5 Depth=1
	ds_load_2addr_stride64_b32 v[13:14], v23 offset1:2
	ds_load_2addr_stride64_b32 v[15:16], v23 offset0:4 offset1:6
	ds_load_2addr_stride64_b32 v[17:18], v23 offset0:8 offset1:10
	s_mov_b32 s29, s47
	s_wait_dscnt 0x2
	v_add_f32_e32 v19, v13, v14
	ds_load_2addr_stride64_b32 v[13:14], v23 offset0:12 offset1:14
	s_wait_dscnt 0x2
	v_add_f32_e32 v15, v15, v19
	s_delay_alu instid0(VALU_DEP_1) | instskip(SKIP_3) | instid1(VALU_DEP_1)
	v_add_f32_e32 v19, v16, v15
	ds_load_2addr_stride64_b32 v[15:16], v23 offset0:16 offset1:18
	s_wait_dscnt 0x2
	v_add_f32_e32 v17, v17, v19
	v_add_f32_e32 v19, v18, v17
	ds_load_2addr_stride64_b32 v[17:18], v23 offset0:20 offset1:22
	s_wait_dscnt 0x2
	v_add_f32_e32 v13, v13, v19
	s_delay_alu instid0(VALU_DEP_1) | instskip(SKIP_1) | instid1(VALU_DEP_1)
	v_add_f32_e32 v13, v14, v13
	s_wait_dscnt 0x1
	v_add_f32_e32 v15, v15, v13
	ds_load_2addr_stride64_b32 v[13:14], v23 offset0:24 offset1:26
	v_add_f32_e32 v15, v16, v15
	s_wait_dscnt 0x1
	s_delay_alu instid0(VALU_DEP_1) | instskip(SKIP_3) | instid1(VALU_DEP_1)
	v_add_f32_e32 v17, v17, v15
	ds_load_2addr_stride64_b32 v[15:16], v23 offset0:28 offset1:30
	v_add_f32_e32 v17, v18, v17
	s_wait_dscnt 0x1
	v_add_f32_e32 v13, v13, v17
	s_delay_alu instid0(VALU_DEP_1) | instskip(SKIP_1) | instid1(VALU_DEP_1)
	v_add_f32_e32 v13, v14, v13
	s_wait_dscnt 0x0
	v_add_f32_e32 v13, v15, v13
                                        ; implicit-def: $vgpr15
	s_delay_alu instid0(VALU_DEP_1)
	v_add_f32_e32 v13, v16, v13
	ds_store_b32 v23, v13
	s_and_saveexec_b32 s28, s6
	s_cbranch_execz .LBB386_50
; %bb.47:                               ;   in Loop: Header=BB386_5 Depth=1
	v_mul_f32_e32 v13, v29, v13
	s_cmp_eq_f32 s48, 0
	s_cbranch_scc1 .LBB386_49
; %bb.48:                               ;   in Loop: Header=BB386_5 Depth=1
	v_add_co_u32 v14, vcc_lo, s26, v11
	s_wait_alu 0xfffd
	v_add_co_ci_u32_e64 v15, null, s27, v12, vcc_lo
	global_load_u16 v14, v[14:15], off
	s_wait_loadcnt 0x0
	v_fma_mix_f32 v13, s48, v14, v13 op_sel_hi:[0,1,0]
.LBB386_49:                             ;   in Loop: Header=BB386_5 Depth=1
	s_delay_alu instid0(VALU_DEP_1)
	v_cvt_f16_f32_e32 v15, v13
	s_or_b32 s29, s47, exec_lo
.LBB386_50:                             ;   in Loop: Header=BB386_5 Depth=1
	s_wait_alu 0xfffe
	s_or_b32 exec_lo, exec_lo, s28
	s_delay_alu instid0(SALU_CYCLE_1)
	s_and_not1_b32 s28, s47, exec_lo
	s_and_b32 s29, s29, exec_lo
	s_wait_alu 0xfffe
	s_or_b32 s47, s28, s29
.LBB386_51:                             ;   in Loop: Header=BB386_5 Depth=1
	s_wait_alu 0xfffe
	s_or_b32 exec_lo, exec_lo, s7
	v_dual_mov_b32 v14, v5 :: v_dual_mov_b32 v13, v4
	s_and_saveexec_b32 s7, s47
	s_cbranch_execz .LBB386_3
.LBB386_52:                             ;   in Loop: Header=BB386_5 Depth=1
	s_delay_alu instid0(VALU_DEP_1) | instskip(SKIP_1) | instid1(VALU_DEP_1)
	v_lshlrev_b64_e32 v[13:14], 1, v[13:14]
	s_wait_alu 0xfffe
	v_add_co_u32 v13, vcc_lo, s26, v13
	s_wait_alu 0xfffd
	s_delay_alu instid0(VALU_DEP_2)
	v_add_co_ci_u32_e64 v14, null, s27, v14, vcc_lo
	global_store_b16 v[13:14], v15, off
	s_branch .LBB386_3
.LBB386_53:
	s_endpgm
	.section	.rodata,"a",@progbits
	.p2align	6, 0x0
	.amdhsa_kernel _ZL20rocblas_gemvn_kernelILi32ELi16EiDF16_PKfDF16_EviiT3_lPKT2_lT1_lS5_lS6_lS2_lPT4_lS6_li
		.amdhsa_group_segment_fixed_size 8192
		.amdhsa_private_segment_fixed_size 0
		.amdhsa_kernarg_size 400
		.amdhsa_user_sgpr_count 2
		.amdhsa_user_sgpr_dispatch_ptr 0
		.amdhsa_user_sgpr_queue_ptr 0
		.amdhsa_user_sgpr_kernarg_segment_ptr 1
		.amdhsa_user_sgpr_dispatch_id 0
		.amdhsa_user_sgpr_private_segment_size 0
		.amdhsa_wavefront_size32 1
		.amdhsa_uses_dynamic_stack 0
		.amdhsa_enable_private_segment 0
		.amdhsa_system_sgpr_workgroup_id_x 1
		.amdhsa_system_sgpr_workgroup_id_y 0
		.amdhsa_system_sgpr_workgroup_id_z 1
		.amdhsa_system_sgpr_workgroup_info 0
		.amdhsa_system_vgpr_workitem_id 1
		.amdhsa_next_free_vgpr 59
		.amdhsa_next_free_sgpr 55
		.amdhsa_reserve_vcc 1
		.amdhsa_float_round_mode_32 0
		.amdhsa_float_round_mode_16_64 0
		.amdhsa_float_denorm_mode_32 3
		.amdhsa_float_denorm_mode_16_64 3
		.amdhsa_fp16_overflow 0
		.amdhsa_workgroup_processor_mode 1
		.amdhsa_memory_ordered 1
		.amdhsa_forward_progress 1
		.amdhsa_inst_pref_size 27
		.amdhsa_round_robin_scheduling 0
		.amdhsa_exception_fp_ieee_invalid_op 0
		.amdhsa_exception_fp_denorm_src 0
		.amdhsa_exception_fp_ieee_div_zero 0
		.amdhsa_exception_fp_ieee_overflow 0
		.amdhsa_exception_fp_ieee_underflow 0
		.amdhsa_exception_fp_ieee_inexact 0
		.amdhsa_exception_int_div_zero 0
	.end_amdhsa_kernel
	.section	.text._ZL20rocblas_gemvn_kernelILi32ELi16EiDF16_PKfDF16_EviiT3_lPKT2_lT1_lS5_lS6_lS2_lPT4_lS6_li,"axG",@progbits,_ZL20rocblas_gemvn_kernelILi32ELi16EiDF16_PKfDF16_EviiT3_lPKT2_lT1_lS5_lS6_lS2_lPT4_lS6_li,comdat
.Lfunc_end386:
	.size	_ZL20rocblas_gemvn_kernelILi32ELi16EiDF16_PKfDF16_EviiT3_lPKT2_lT1_lS5_lS6_lS2_lPT4_lS6_li, .Lfunc_end386-_ZL20rocblas_gemvn_kernelILi32ELi16EiDF16_PKfDF16_EviiT3_lPKT2_lT1_lS5_lS6_lS2_lPT4_lS6_li
                                        ; -- End function
	.set _ZL20rocblas_gemvn_kernelILi32ELi16EiDF16_PKfDF16_EviiT3_lPKT2_lT1_lS5_lS6_lS2_lPT4_lS6_li.num_vgpr, 59
	.set _ZL20rocblas_gemvn_kernelILi32ELi16EiDF16_PKfDF16_EviiT3_lPKT2_lT1_lS5_lS6_lS2_lPT4_lS6_li.num_agpr, 0
	.set _ZL20rocblas_gemvn_kernelILi32ELi16EiDF16_PKfDF16_EviiT3_lPKT2_lT1_lS5_lS6_lS2_lPT4_lS6_li.numbered_sgpr, 55
	.set _ZL20rocblas_gemvn_kernelILi32ELi16EiDF16_PKfDF16_EviiT3_lPKT2_lT1_lS5_lS6_lS2_lPT4_lS6_li.num_named_barrier, 0
	.set _ZL20rocblas_gemvn_kernelILi32ELi16EiDF16_PKfDF16_EviiT3_lPKT2_lT1_lS5_lS6_lS2_lPT4_lS6_li.private_seg_size, 0
	.set _ZL20rocblas_gemvn_kernelILi32ELi16EiDF16_PKfDF16_EviiT3_lPKT2_lT1_lS5_lS6_lS2_lPT4_lS6_li.uses_vcc, 1
	.set _ZL20rocblas_gemvn_kernelILi32ELi16EiDF16_PKfDF16_EviiT3_lPKT2_lT1_lS5_lS6_lS2_lPT4_lS6_li.uses_flat_scratch, 0
	.set _ZL20rocblas_gemvn_kernelILi32ELi16EiDF16_PKfDF16_EviiT3_lPKT2_lT1_lS5_lS6_lS2_lPT4_lS6_li.has_dyn_sized_stack, 0
	.set _ZL20rocblas_gemvn_kernelILi32ELi16EiDF16_PKfDF16_EviiT3_lPKT2_lT1_lS5_lS6_lS2_lPT4_lS6_li.has_recursion, 0
	.set _ZL20rocblas_gemvn_kernelILi32ELi16EiDF16_PKfDF16_EviiT3_lPKT2_lT1_lS5_lS6_lS2_lPT4_lS6_li.has_indirect_call, 0
	.section	.AMDGPU.csdata,"",@progbits
; Kernel info:
; codeLenInByte = 3436
; TotalNumSgprs: 57
; NumVgprs: 59
; ScratchSize: 0
; MemoryBound: 0
; FloatMode: 240
; IeeeMode: 1
; LDSByteSize: 8192 bytes/workgroup (compile time only)
; SGPRBlocks: 0
; VGPRBlocks: 7
; NumSGPRsForWavesPerEU: 57
; NumVGPRsForWavesPerEU: 59
; Occupancy: 16
; WaveLimiterHint : 1
; COMPUTE_PGM_RSRC2:SCRATCH_EN: 0
; COMPUTE_PGM_RSRC2:USER_SGPR: 2
; COMPUTE_PGM_RSRC2:TRAP_HANDLER: 0
; COMPUTE_PGM_RSRC2:TGID_X_EN: 1
; COMPUTE_PGM_RSRC2:TGID_Y_EN: 0
; COMPUTE_PGM_RSRC2:TGID_Z_EN: 1
; COMPUTE_PGM_RSRC2:TIDIG_COMP_CNT: 1
	.section	.text._ZL20rocblas_gemvn_kernelILi32ELi16ElDF16_PKfDF16_EviiT3_lPKT2_lT1_lS5_lS6_lS2_lPT4_lS6_li,"axG",@progbits,_ZL20rocblas_gemvn_kernelILi32ELi16ElDF16_PKfDF16_EviiT3_lPKT2_lT1_lS5_lS6_lS2_lPT4_lS6_li,comdat
	.globl	_ZL20rocblas_gemvn_kernelILi32ELi16ElDF16_PKfDF16_EviiT3_lPKT2_lT1_lS5_lS6_lS2_lPT4_lS6_li ; -- Begin function _ZL20rocblas_gemvn_kernelILi32ELi16ElDF16_PKfDF16_EviiT3_lPKT2_lT1_lS5_lS6_lS2_lPT4_lS6_li
	.p2align	8
	.type	_ZL20rocblas_gemvn_kernelILi32ELi16ElDF16_PKfDF16_EviiT3_lPKT2_lT1_lS5_lS6_lS2_lPT4_lS6_li,@function
_ZL20rocblas_gemvn_kernelILi32ELi16ElDF16_PKfDF16_EviiT3_lPKT2_lT1_lS5_lS6_lS2_lPT4_lS6_li: ; @_ZL20rocblas_gemvn_kernelILi32ELi16ElDF16_PKfDF16_EviiT3_lPKT2_lT1_lS5_lS6_lS2_lPT4_lS6_li
; %bb.0:
	s_load_b64 s[2:3], s[0:1], 0x9c
	s_wait_kmcnt 0x0
	s_lshr_b32 s4, s2, 16
	s_and_b32 s2, s2, 0xffff
	s_and_b32 s3, s3, 0xffff
	s_mul_i32 s2, s4, s2
	s_delay_alu instid0(SALU_CYCLE_1) | instskip(NEXT) | instid1(SALU_CYCLE_1)
	s_mul_i32 s2, s2, s3
	s_cmp_lg_u32 s2, 0x200
	s_cbranch_scc1 .LBB387_53
; %bb.1:
	s_load_b32 s33, s[0:1], 0x88
	s_lshr_b32 s10, ttmp7, 16
	s_wait_kmcnt 0x0
	s_cmp_ge_u32 s10, s33
	s_cbranch_scc1 .LBB387_53
; %bb.2:
	s_clause 0x2
	s_load_b512 s[12:27], s[0:1], 0x8
	s_load_b512 s[36:51], s[0:1], 0x48
	s_load_b64 s[8:9], s[0:1], 0x0
	v_and_b32_e32 v5, 0x3ff, v0
	v_bfe_u32 v17, v0, 10, 10
	s_lshl_b32 s34, ttmp9, 7
	s_mov_b32 s11, 0
	s_delay_alu instid0(VALU_DEP_2) | instskip(NEXT) | instid1(VALU_DEP_2)
	v_dual_mov_b32 v1, 0 :: v_dual_add_nc_u32 v6, s34, v5
	v_lshlrev_b32_e32 v18, 2, v17
	v_lshl_add_u32 v10, v17, 5, v5
	s_delay_alu instid0(VALU_DEP_3) | instskip(SKIP_1) | instid1(VALU_DEP_4)
	v_add_nc_u32_e32 v8, 64, v6
	v_add_nc_u32_e32 v9, 0x60, v6
	v_or_b32_e32 v20, 3, v18
	s_delay_alu instid0(VALU_DEP_4)
	v_add_nc_u32_e32 v0, s34, v10
	v_or_b32_e32 v21, s34, v10
	v_ashrrev_i32_e32 v7, 31, v6
	s_wait_kmcnt 0x0
	s_lshl_b64 s[4:5], s[18:19], 1
	s_lshl_b64 s[18:19], s[26:27], 1
	s_ashr_i32 s28, s9, 31
	s_add_nc_u64 s[16:17], s[16:17], s[4:5]
	s_lshr_b32 s4, s28, 26
	s_lshl_b64 s[6:7], s[46:47], 1
	s_add_co_i32 s52, s9, s4
	s_ashr_i32 s31, s8, 31
	s_and_not1_b32 s52, s52, 63
	v_cmp_gt_i32_e64 s2, s8, v8
	s_sub_co_i32 s5, s9, s52
	v_cmp_gt_i32_e64 s3, s8, v9
	s_cmp_gt_i32 s5, 0
	v_mad_co_u64_u32 v[8:9], null, s36, v17, 0
	v_cmp_gt_u32_e64 s5, 0x80, v10
	v_mad_co_u64_u32 v[10:11], null, s20, v20, 0
	s_mov_b32 s30, s8
	s_add_nc_u64 s[28:29], s[44:45], s[6:7]
	s_cselect_b32 s53, -1, 0
	v_mul_lo_u32 v22, s49, v21
	s_ashr_i32 s6, s34, 31
	v_cmp_gt_i32_e64 s0, s8, v6
	v_mad_co_u64_u32 v[12:13], null, s37, v17, v[9:10]
	v_mov_b32_e32 v9, v11
	v_mad_co_u64_u32 v[13:14], null, s36, v20, 0
	v_or_b32_e32 v24, 2, v18
	s_mul_i32 s7, s48, s6
	s_delay_alu instid0(VALU_DEP_3)
	v_mad_co_u64_u32 v[15:16], null, s21, v20, v[9:10]
	v_mov_b32_e32 v9, v12
	v_mad_co_u64_u32 v[2:3], null, s48, v0, 0
	v_add_nc_u32_e32 v4, 32, v6
	v_mov_b32_e32 v12, v14
	v_cmp_gt_i64_e32 vcc_lo, s[30:31], v[0:1]
	v_lshlrev_b64_e32 v[8:9], 3, v[8:9]
	v_mov_b32_e32 v11, v15
	v_cmp_gt_i32_e64 s1, s8, v4
	v_mad_co_u64_u32 v[3:4], null, s49, v0, v[3:4]
	v_lshlrev_b32_e32 v4, 2, v5
	v_mad_co_u64_u32 v[14:15], null, s37, v20, v[12:13]
	v_mad_co_u64_u32 v[15:16], null, s20, v17, 0
	s_delay_alu instid0(VALU_DEP_3)
	v_lshl_add_u32 v0, v17, 9, v4
	v_lshl_add_u32 v19, v17, 7, v4
	v_mad_co_u64_u32 v[4:5], null, s48, v21, 0
	s_and_b32 s54, s5, vcc_lo
	v_add_co_u32 v20, vcc_lo, s24, v8
	v_cmp_gt_i32_e64 s6, s8, v21
	v_add_co_ci_u32_e64 v21, null, s25, v9, vcc_lo
	v_lshlrev_b64_e32 v[8:9], 1, v[10:11]
	v_mad_co_u64_u32 v[11:12], null, s20, v24, 0
	v_mov_b32_e32 v10, v16
	v_add3_u32 v5, v5, s7, v22
	v_mad_co_u64_u32 v[28:29], null, s36, v24, 0
	v_add_co_u32 v22, vcc_lo, s16, v8
	s_delay_alu instid0(VALU_DEP_4)
	v_mad_co_u64_u32 v[16:17], null, s21, v17, v[10:11]
	s_wait_alu 0xfffd
	v_add_co_ci_u32_e64 v23, null, s17, v9, vcc_lo
	v_lshlrev_b64_e32 v[9:10], 1, v[13:14]
	v_mov_b32_e32 v8, v12
	v_mov_b32_e32 v12, v29
	v_mad_co_u64_u32 v[30:31], null, s36, v18, s[36:37]
	v_mad_co_u64_u32 v[32:33], null, s20, v18, s[20:21]
	s_delay_alu instid0(VALU_DEP_4)
	v_mad_co_u64_u32 v[13:14], null, s21, v24, v[8:9]
	v_lshlrev_b64_e32 v[6:7], 1, v[6:7]
	v_cmp_gt_i32_e64 s4, s52, v18
	v_mov_b32_e32 v8, v31
	s_add_nc_u64 s[26:27], s[24:25], s[18:19]
	s_lshl_b64 s[30:31], s[38:39], 1
	s_lshl_b64 s[34:35], s[22:23], 1
	v_mad_co_u64_u32 v[26:27], null, s37, v24, v[12:13]
	v_add_co_u32 v24, vcc_lo, s24, v9
	s_wait_alu 0xfffd
	v_add_co_ci_u32_e64 v25, null, s25, v10, vcc_lo
	v_lshlrev_b64_e32 v[9:10], 3, v[15:16]
	s_delay_alu instid0(VALU_DEP_4) | instskip(SKIP_1) | instid1(VALU_DEP_2)
	v_dual_mov_b32 v12, v13 :: v_dual_mov_b32 v29, v26
	s_lshl_b64 s[44:45], s[20:21], 7
	v_add_co_u32 v26, vcc_lo, s16, v9
	v_mad_co_u64_u32 v[13:14], null, s37, v18, v[8:9]
	s_wait_alu 0xfffd
	v_add_co_ci_u32_e64 v27, null, s17, v10, vcc_lo
	v_lshlrev_b64_e32 v[9:10], 1, v[11:12]
	v_mov_b32_e32 v8, v33
	v_lshlrev_b64_e32 v[14:15], 1, v[28:29]
	v_mov_b32_e32 v31, v13
	s_delay_alu instid0(VALU_DEP_3) | instskip(SKIP_1) | instid1(VALU_DEP_3)
	v_mad_co_u64_u32 v[11:12], null, s21, v18, v[8:9]
	v_add_co_u32 v28, vcc_lo, s16, v9
	v_lshlrev_b64_e32 v[8:9], 1, v[30:31]
	s_wait_alu 0xfffd
	v_add_co_ci_u32_e64 v29, null, s17, v10, vcc_lo
	v_add_co_u32 v30, vcc_lo, s24, v14
	v_mov_b32_e32 v33, v11
	s_wait_alu 0xfffd
	v_add_co_ci_u32_e64 v31, null, s25, v15, vcc_lo
	s_delay_alu instid0(VALU_DEP_2) | instskip(SKIP_4) | instid1(VALU_DEP_4)
	v_lshlrev_b64_e32 v[10:11], 1, v[32:33]
	v_add_co_u32 v32, vcc_lo, s24, v8
	s_wait_alu 0xfffd
	v_add_co_ci_u32_e64 v33, null, s25, v9, vcc_lo
	v_lshlrev_b64_e32 v[8:9], 1, v[2:3]
	v_add_co_u32 v34, vcc_lo, s16, v10
	s_wait_alu 0xfffd
	v_add_co_ci_u32_e64 v35, null, s17, v11, vcc_lo
	s_lshl_b64 s[24:25], s[36:37], 7
	s_branch .LBB387_5
.LBB387_3:                              ;   in Loop: Header=BB387_5 Depth=1
	s_wait_alu 0xfffe
	s_or_b32 exec_lo, exec_lo, s7
.LBB387_4:                              ;   in Loop: Header=BB387_5 Depth=1
	s_add_co_i32 s10, s10, 0x10000
	s_delay_alu instid0(SALU_CYCLE_1)
	s_cmp_lt_u32 s10, s33
	s_cbranch_scc0 .LBB387_53
.LBB387_5:                              ; =>This Loop Header: Depth=1
                                        ;     Child Loop BB387_21 Depth 2
	s_mul_u64 s[46:47], s[14:15], s[10:11]
	s_mul_u64 s[48:49], s[42:43], s[10:11]
	s_wait_alu 0xfffe
	s_lshl_b64 s[46:47], s[46:47], 2
	s_lshl_b64 s[48:49], s[48:49], 2
	s_wait_alu 0xfffe
	s_add_nc_u64 s[46:47], s[12:13], s[46:47]
	s_add_nc_u64 s[48:49], s[40:41], s[48:49]
	s_clause 0x1
	global_load_b32 v36, v1, s[46:47]
	global_load_b32 v10, v1, s[48:49]
	s_wait_loadcnt 0x1
	v_cmp_eq_f32_e32 vcc_lo, 0, v36
	s_wait_loadcnt 0x0
	v_cmp_eq_f32_e64 s7, 1.0, v10
	v_readfirstlane_b32 s56, v10
	s_and_b32 s7, vcc_lo, s7
	s_wait_alu 0xfffe
	s_and_b32 vcc_lo, exec_lo, s7
	s_wait_alu 0xfffe
	s_cbranch_vccnz .LBB387_4
; %bb.6:                                ;   in Loop: Header=BB387_5 Depth=1
	v_cmp_neq_f32_e32 vcc_lo, 0, v36
	s_mul_u64 s[46:47], s[50:51], s[10:11]
	s_wait_alu 0xfffe
	s_lshl_b64 s[46:47], s[46:47], 1
	s_wait_alu 0xfffe
	s_add_nc_u64 s[46:47], s[28:29], s[46:47]
	s_cbranch_vccnz .LBB387_10
; %bb.7:                                ;   in Loop: Header=BB387_5 Depth=1
	s_mov_b32 s7, 0
	s_mov_b32 s55, 0
                                        ; implicit-def: $vgpr12
	s_and_saveexec_b32 s8, s54
	s_cbranch_execz .LBB387_11
; %bb.8:                                ;   in Loop: Header=BB387_5 Depth=1
	s_cmp_eq_f32 s56, 0
	s_cbranch_scc1 .LBB387_13
; %bb.9:                                ;   in Loop: Header=BB387_5 Depth=1
	s_wait_alu 0xfffe
	v_add_co_u32 v10, vcc_lo, s46, v8
	s_wait_alu 0xfffd
	v_add_co_ci_u32_e64 v11, null, s47, v9, vcc_lo
	global_load_u16 v10, v[10:11], off
	s_wait_loadcnt 0x0
	v_fma_mixlo_f16 v12, s56, v10, 0 op_sel_hi:[0,1,0]
	s_branch .LBB387_14
.LBB387_10:                             ;   in Loop: Header=BB387_5 Depth=1
	s_mov_b32 s55, 0
                                        ; implicit-def: $vgpr12
	s_cbranch_execz .LBB387_12
	s_branch .LBB387_15
.LBB387_11:                             ;   in Loop: Header=BB387_5 Depth=1
	s_wait_alu 0xfffe
	s_or_b32 exec_lo, exec_lo, s8
	s_delay_alu instid0(SALU_CYCLE_1)
	s_and_b32 vcc_lo, exec_lo, s7
	s_wait_alu 0xfffe
	s_cbranch_vccnz .LBB387_15
.LBB387_12:                             ;   in Loop: Header=BB387_5 Depth=1
	v_dual_mov_b32 v11, v3 :: v_dual_mov_b32 v10, v2
	s_and_saveexec_b32 s7, s55
	s_cbranch_execz .LBB387_3
	s_branch .LBB387_52
.LBB387_13:                             ;   in Loop: Header=BB387_5 Depth=1
	v_mov_b32_e32 v12, 0
.LBB387_14:                             ;   in Loop: Header=BB387_5 Depth=1
	s_mov_b32 s55, exec_lo
	s_wait_alu 0xfffe
	s_or_b32 exec_lo, exec_lo, s8
	s_delay_alu instid0(SALU_CYCLE_1)
	s_and_b32 vcc_lo, exec_lo, s7
	s_wait_alu 0xfffe
	s_cbranch_vccz .LBB387_12
.LBB387_15:                             ;   in Loop: Header=BB387_5 Depth=1
	v_dual_mov_b32 v37, 0 :: v_dual_mov_b32 v38, 0
	v_dual_mov_b32 v41, v18 :: v_dual_mov_b32 v40, 0
	v_mov_b32_e32 v39, 0
	s_and_saveexec_b32 s8, s4
	s_cbranch_execz .LBB387_27
; %bb.16:                               ;   in Loop: Header=BB387_5 Depth=1
	s_mul_u64 s[48:49], s[30:31], s[10:11]
	s_mul_u64 s[58:59], s[34:35], s[10:11]
	s_wait_alu 0xfffe
	v_add_co_u32 v42, vcc_lo, v20, s48
	s_wait_alu 0xfffd
	v_add_co_ci_u32_e64 v43, null, s49, v21, vcc_lo
	v_add_co_u32 v44, vcc_lo, v22, s58
	s_wait_alu 0xfffd
	v_add_co_ci_u32_e64 v45, null, s59, v23, vcc_lo
	;; [unrolled: 3-line block ×8, first 2 shown]
	v_dual_mov_b32 v37, 0 :: v_dual_mov_b32 v38, 0
	v_dual_mov_b32 v41, v18 :: v_dual_mov_b32 v40, 0
	v_mov_b32_e32 v39, 0
	s_mov_b32 s48, 0
	s_branch .LBB387_21
.LBB387_17:                             ;   in Loop: Header=BB387_21 Depth=2
	s_wait_alu 0xfffe
	s_or_b32 exec_lo, exec_lo, s58
	s_wait_loadcnt 0x3
	v_fma_mix_f32 v10, v70, v74, v39 op_sel_hi:[0,1,0]
	s_wait_loadcnt 0x2
	s_delay_alu instid0(VALU_DEP_1) | instskip(SKIP_1) | instid1(VALU_DEP_1)
	v_fma_mix_f32 v10, v71, v75, v10 op_sel_hi:[0,1,0]
	s_wait_loadcnt 0x1
	v_fma_mix_f32 v10, v72, v76, v10 op_sel_hi:[0,1,0]
	s_wait_loadcnt 0x0
	s_delay_alu instid0(VALU_DEP_1)
	v_fma_mix_f32 v39, v73, v77, v10 op_sel_hi:[0,1,0]
.LBB387_18:                             ;   in Loop: Header=BB387_21 Depth=2
	s_wait_alu 0xfffe
	s_or_b32 exec_lo, exec_lo, s57
	s_wait_loadcnt 0x3
	v_fma_mix_f32 v10, v70, v66, v38 op_sel_hi:[0,1,0]
	s_wait_loadcnt 0x2
	s_delay_alu instid0(VALU_DEP_1) | instskip(SKIP_1) | instid1(VALU_DEP_1)
	v_fma_mix_f32 v10, v71, v67, v10 op_sel_hi:[0,1,0]
	s_wait_loadcnt 0x1
	v_fma_mix_f32 v10, v72, v68, v10 op_sel_hi:[0,1,0]
	s_wait_loadcnt 0x0
	s_delay_alu instid0(VALU_DEP_1)
	v_fma_mix_f32 v38, v73, v69, v10 op_sel_hi:[0,1,0]
.LBB387_19:                             ;   in Loop: Header=BB387_21 Depth=2
	s_wait_alu 0xfffe
	s_or_b32 exec_lo, exec_lo, s49
	s_wait_loadcnt 0x3
	v_fma_mix_f32 v10, v58, v62, v37 op_sel_hi:[1,1,0]
	s_wait_loadcnt 0x2
	s_delay_alu instid0(VALU_DEP_1) | instskip(SKIP_1) | instid1(VALU_DEP_1)
	v_fma_mix_f32 v10, v59, v63, v10 op_sel_hi:[1,1,0]
	s_wait_loadcnt 0x1
	v_fma_mix_f32 v10, v60, v64, v10 op_sel_hi:[1,1,0]
	s_wait_loadcnt 0x0
	s_delay_alu instid0(VALU_DEP_1)
	v_fma_mix_f32 v37, v61, v65, v10 op_sel_hi:[1,1,0]
.LBB387_20:                             ;   in Loop: Header=BB387_21 Depth=2
	s_wait_alu 0xfffe
	s_or_b32 exec_lo, exec_lo, s7
	v_add_co_u32 v42, vcc_lo, v42, s24
	s_wait_alu 0xfffd
	v_add_co_ci_u32_e64 v43, null, s25, v43, vcc_lo
	v_add_co_u32 v44, vcc_lo, v44, s44
	s_wait_alu 0xfffd
	v_add_co_ci_u32_e64 v45, null, s45, v45, vcc_lo
	;; [unrolled: 3-line block ×4, first 2 shown]
	v_add_co_u32 v50, vcc_lo, v50, s44
	v_add_nc_u32_e32 v41, 64, v41
	s_wait_alu 0xfffd
	v_add_co_ci_u32_e64 v51, null, s45, v51, vcc_lo
	v_add_co_u32 v52, vcc_lo, v52, s24
	s_wait_alu 0xfffd
	v_add_co_ci_u32_e64 v53, null, s25, v53, vcc_lo
	v_add_co_u32 v54, vcc_lo, v54, s24
	s_wait_alu 0xfffd
	v_add_co_ci_u32_e64 v55, null, s25, v55, vcc_lo
	v_cmp_le_i32_e32 vcc_lo, s52, v41
	v_add_co_u32 v56, s7, v56, s44
	s_wait_alu 0xf1ff
	v_add_co_ci_u32_e64 v57, null, s45, v57, s7
	s_or_b32 s48, vcc_lo, s48
	s_wait_alu 0xfffe
	s_and_not1_b32 exec_lo, exec_lo, s48
	s_cbranch_execz .LBB387_26
.LBB387_21:                             ;   Parent Loop BB387_5 Depth=1
                                        ; =>  This Inner Loop Header: Depth=2
	s_and_saveexec_b32 s7, s0
	s_cbranch_execz .LBB387_20
; %bb.22:                               ;   in Loop: Header=BB387_21 Depth=2
	v_add_co_u32 v10, vcc_lo, v42, s18
	s_wait_alu 0xfffd
	v_add_co_ci_u32_e64 v11, null, s19, v43, vcc_lo
	v_add_co_u32 v12, vcc_lo, v54, s18
	s_wait_alu 0xfffd
	v_add_co_ci_u32_e64 v13, null, s19, v55, vcc_lo
	v_add_co_u32 v14, vcc_lo, v52, s18
	s_wait_alu 0xfffd
	v_add_co_ci_u32_e64 v15, null, s19, v53, vcc_lo
	v_add_co_u32 v61, vcc_lo, v46, s18
	global_load_u16 v58, v[10:11], off
	global_load_u16 v59, v[12:13], off
	;; [unrolled: 1-line block ×3, first 2 shown]
	s_wait_alu 0xfffd
	v_add_co_ci_u32_e64 v62, null, s19, v47, vcc_lo
	v_add_co_u32 v10, vcc_lo, v48, v6
	s_wait_alu 0xfffd
	v_add_co_ci_u32_e64 v11, null, v49, v7, vcc_lo
	v_add_co_u32 v12, vcc_lo, v56, v6
	;; [unrolled: 3-line block ×4, first 2 shown]
	s_wait_alu 0xfffd
	v_add_co_ci_u32_e64 v17, null, v45, v7, vcc_lo
	global_load_u16 v61, v[61:62], off
	global_load_u16 v62, v[10:11], off
	;; [unrolled: 1-line block ×5, first 2 shown]
	s_and_saveexec_b32 s49, s1
	s_cbranch_execz .LBB387_19
; %bb.23:                               ;   in Loop: Header=BB387_21 Depth=2
	global_load_u16 v66, v[10:11], off offset:64
	global_load_u16 v67, v[12:13], off offset:64
	;; [unrolled: 1-line block ×4, first 2 shown]
	s_wait_loadcnt 0xb
	v_cvt_f32_f16_e32 v70, v58
	s_wait_loadcnt 0xa
	v_cvt_f32_f16_e32 v71, v59
	;; [unrolled: 2-line block ×4, first 2 shown]
	s_and_saveexec_b32 s57, s2
	s_cbranch_execz .LBB387_18
; %bb.24:                               ;   in Loop: Header=BB387_21 Depth=2
	global_load_u16 v74, v[10:11], off offset:128
	global_load_u16 v75, v[12:13], off offset:128
	;; [unrolled: 1-line block ×4, first 2 shown]
	s_and_saveexec_b32 s58, s3
	s_cbranch_execz .LBB387_17
; %bb.25:                               ;   in Loop: Header=BB387_21 Depth=2
	global_load_u16 v10, v[10:11], off offset:192
	global_load_u16 v11, v[12:13], off offset:192
	;; [unrolled: 1-line block ×4, first 2 shown]
	s_wait_loadcnt 0x3
	v_fma_mix_f32 v10, v70, v10, v40 op_sel_hi:[0,1,0]
	s_wait_loadcnt 0x2
	s_delay_alu instid0(VALU_DEP_1) | instskip(SKIP_1) | instid1(VALU_DEP_1)
	v_fma_mix_f32 v10, v71, v11, v10 op_sel_hi:[0,1,0]
	s_wait_loadcnt 0x1
	v_fma_mix_f32 v10, v72, v12, v10 op_sel_hi:[0,1,0]
	s_wait_loadcnt 0x0
	s_delay_alu instid0(VALU_DEP_1)
	v_fma_mix_f32 v40, v73, v13, v10 op_sel_hi:[0,1,0]
	s_branch .LBB387_17
.LBB387_26:                             ;   in Loop: Header=BB387_5 Depth=1
	s_or_b32 exec_lo, exec_lo, s48
.LBB387_27:                             ;   in Loop: Header=BB387_5 Depth=1
	s_wait_alu 0xfffe
	s_or_b32 exec_lo, exec_lo, s8
	s_delay_alu instid0(SALU_CYCLE_1)
	s_and_not1_b32 vcc_lo, exec_lo, s53
	s_wait_alu 0xfffe
	s_cbranch_vccnz .LBB387_45
; %bb.28:                               ;   in Loop: Header=BB387_5 Depth=1
	v_cmp_gt_i32_e32 vcc_lo, s9, v41
	v_dual_mov_b32 v42, 0 :: v_dual_mov_b32 v43, 0
	v_or_b32_e32 v10, 1, v41
	v_dual_mov_b32 v44, 0 :: v_dual_mov_b32 v45, 0
	s_and_saveexec_b32 s8, vcc_lo
	s_cbranch_execz .LBB387_36
; %bb.29:                               ;   in Loop: Header=BB387_5 Depth=1
	v_mad_co_u64_u32 v[11:12], null, s36, v41, 0
	s_mul_u64 s[48:49], s[38:39], s[10:11]
	v_dual_mov_b32 v44, 0 :: v_dual_mov_b32 v43, 0
	s_wait_alu 0xfffe
	s_lshl_b64 s[48:49], s[48:49], 1
	v_mov_b32_e32 v42, 0
	s_wait_alu 0xfffe
	s_add_nc_u64 s[48:49], s[26:27], s[48:49]
	v_mad_co_u64_u32 v[12:13], null, s37, v41, v[12:13]
	s_mov_b32 s57, exec_lo
	v_lshlrev_b64_e32 v[11:12], 1, v[11:12]
	s_wait_alu 0xfffe
	s_delay_alu instid0(VALU_DEP_1) | instskip(SKIP_1) | instid1(VALU_DEP_2)
	v_add_co_u32 v11, s7, s48, v11
	s_wait_alu 0xf1ff
	v_add_co_ci_u32_e64 v12, null, s49, v12, s7
	global_load_u16 v11, v[11:12], off
	v_cmpx_gt_i32_e64 s9, v10
	s_cbranch_execz .LBB387_35
; %bb.30:                               ;   in Loop: Header=BB387_5 Depth=1
	v_mad_co_u64_u32 v[12:13], null, s36, v10, 0
	v_dual_mov_b32 v43, 0 :: v_dual_mov_b32 v42, 0
	s_mov_b32 s58, exec_lo
	s_delay_alu instid0(VALU_DEP_2) | instskip(NEXT) | instid1(VALU_DEP_1)
	v_mad_co_u64_u32 v[13:14], null, s37, v10, v[13:14]
	v_lshlrev_b64_e32 v[12:13], 1, v[12:13]
	s_delay_alu instid0(VALU_DEP_1) | instskip(SKIP_1) | instid1(VALU_DEP_2)
	v_add_co_u32 v12, s7, s48, v12
	s_wait_alu 0xf1ff
	v_add_co_ci_u32_e64 v13, null, s49, v13, s7
	global_load_u16 v12, v[12:13], off
	v_or_b32_e32 v13, 2, v41
	s_delay_alu instid0(VALU_DEP_1)
	v_cmpx_gt_i32_e64 s9, v13
	s_cbranch_execz .LBB387_34
; %bb.31:                               ;   in Loop: Header=BB387_5 Depth=1
	v_mad_co_u64_u32 v[14:15], null, s36, v13, 0
	v_mov_b32_e32 v42, 0
	s_mov_b32 s59, exec_lo
	s_delay_alu instid0(VALU_DEP_2) | instskip(NEXT) | instid1(VALU_DEP_1)
	v_mad_co_u64_u32 v[15:16], null, s37, v13, v[15:16]
	v_lshlrev_b64_e32 v[13:14], 1, v[14:15]
	s_delay_alu instid0(VALU_DEP_1) | instskip(SKIP_1) | instid1(VALU_DEP_2)
	v_add_co_u32 v13, s7, s48, v13
	s_wait_alu 0xf1ff
	v_add_co_ci_u32_e64 v14, null, s49, v14, s7
	global_load_u16 v13, v[13:14], off
	v_or_b32_e32 v14, 3, v41
	s_delay_alu instid0(VALU_DEP_1)
	v_cmpx_gt_i32_e64 s9, v14
	s_cbranch_execz .LBB387_33
; %bb.32:                               ;   in Loop: Header=BB387_5 Depth=1
	v_mad_co_u64_u32 v[15:16], null, s36, v14, 0
	s_delay_alu instid0(VALU_DEP_1) | instskip(NEXT) | instid1(VALU_DEP_1)
	v_mad_co_u64_u32 v[16:17], null, s37, v14, v[16:17]
	v_lshlrev_b64_e32 v[14:15], 1, v[15:16]
	s_delay_alu instid0(VALU_DEP_1) | instskip(SKIP_1) | instid1(VALU_DEP_2)
	v_add_co_u32 v14, s7, s48, v14
	s_wait_alu 0xf1ff
	v_add_co_ci_u32_e64 v15, null, s49, v15, s7
	global_load_u16 v14, v[14:15], off
	s_wait_loadcnt 0x0
	v_cvt_f32_f16_e32 v42, v14
.LBB387_33:                             ;   in Loop: Header=BB387_5 Depth=1
	s_wait_alu 0xfffe
	s_or_b32 exec_lo, exec_lo, s59
	s_wait_loadcnt 0x0
	v_cvt_f32_f16_e32 v43, v13
.LBB387_34:                             ;   in Loop: Header=BB387_5 Depth=1
	s_wait_alu 0xfffe
	s_or_b32 exec_lo, exec_lo, s58
	s_wait_loadcnt 0x0
	v_cvt_f32_f16_e32 v44, v12
.LBB387_35:                             ;   in Loop: Header=BB387_5 Depth=1
	s_or_b32 exec_lo, exec_lo, s57
	s_wait_loadcnt 0x0
	v_cvt_f32_f16_e32 v45, v11
.LBB387_36:                             ;   in Loop: Header=BB387_5 Depth=1
	s_wait_alu 0xfffe
	s_or_b32 exec_lo, exec_lo, s8
	s_and_saveexec_b32 s48, s0
	s_cbranch_execz .LBB387_44
; %bb.37:                               ;   in Loop: Header=BB387_5 Depth=1
	v_mad_co_u64_u32 v[11:12], null, s20, v41, 0
	v_mad_co_u64_u32 v[13:14], null, s20, v10, 0
	v_or_b32_e32 v50, 2, v41
	v_or_b32_e32 v51, 3, v41
	s_mul_u64 s[58:59], s[22:23], s[10:11]
	s_wait_alu 0xfffe
	s_lshl_b64 s[58:59], s[58:59], 1
	v_cmp_gt_i32_e64 s7, s9, v50
	s_delay_alu instid0(VALU_DEP_4) | instskip(SKIP_4) | instid1(VALU_DEP_2)
	v_mad_co_u64_u32 v[15:16], null, s21, v41, v[12:13]
	v_mad_co_u64_u32 v[16:17], null, s20, v50, 0
	;; [unrolled: 1-line block ×3, first 2 shown]
	s_wait_alu 0xfffe
	s_add_nc_u64 s[58:59], s[16:17], s[58:59]
	v_dual_cndmask_b32 v12, 0, v15 :: v_dual_mov_b32 v15, v17
	s_delay_alu instid0(VALU_DEP_2) | instskip(NEXT) | instid1(VALU_DEP_2)
	v_mov_b32_e32 v17, v47
	v_mad_co_u64_u32 v[48:49], null, s21, v10, v[14:15]
	v_cndmask_b32_e32 v11, 0, v11, vcc_lo
	v_cmp_gt_i32_e32 vcc_lo, s9, v10
	s_wait_alu 0xfffd
	s_delay_alu instid0(VALU_DEP_3) | instskip(NEXT) | instid1(VALU_DEP_3)
	v_dual_cndmask_b32 v13, 0, v13 :: v_dual_cndmask_b32 v14, 0, v48
	v_lshlrev_b64_e32 v[11:12], 1, v[11:12]
	s_wait_alu 0xfffe
	s_delay_alu instid0(VALU_DEP_1) | instskip(SKIP_1) | instid1(VALU_DEP_2)
	v_add_co_u32 v10, s8, s58, v11
	s_wait_alu 0xf1ff
	v_add_co_ci_u32_e64 v11, null, s59, v12, s8
	v_lshlrev_b64_e32 v[12:13], 1, v[13:14]
	s_delay_alu instid0(VALU_DEP_3) | instskip(SKIP_1) | instid1(VALU_DEP_3)
	v_add_co_u32 v10, vcc_lo, v10, v6
	s_wait_alu 0xfffd
	v_add_co_ci_u32_e64 v11, null, v11, v7, vcc_lo
	v_cmp_gt_i32_e32 vcc_lo, s9, v51
	v_cndmask_b32_e64 v14, 0, v16, s7
	s_wait_alu 0xfffd
	v_cndmask_b32_e32 v46, 0, v46, vcc_lo
	v_mad_co_u64_u32 v[49:50], null, s21, v50, v[15:16]
	v_mad_co_u64_u32 v[16:17], null, s21, v51, v[17:18]
	s_delay_alu instid0(VALU_DEP_2) | instskip(SKIP_1) | instid1(VALU_DEP_3)
	v_cndmask_b32_e64 v15, 0, v49, s7
	v_add_co_u32 v12, s7, s58, v12
	v_cndmask_b32_e32 v47, 0, v16, vcc_lo
	s_wait_alu 0xf1ff
	v_add_co_ci_u32_e64 v13, null, s59, v13, s7
	v_lshlrev_b64_e32 v[14:15], 1, v[14:15]
	v_add_co_u32 v12, vcc_lo, v12, v6
	v_lshlrev_b64_e32 v[16:17], 1, v[46:47]
	s_wait_alu 0xfffd
	v_add_co_ci_u32_e64 v13, null, v13, v7, vcc_lo
	s_delay_alu instid0(VALU_DEP_4)
	v_add_co_u32 v14, vcc_lo, s58, v14
	s_wait_alu 0xfffd
	v_add_co_ci_u32_e64 v15, null, s59, v15, vcc_lo
	v_add_co_u32 v16, vcc_lo, s58, v16
	s_wait_alu 0xfffd
	v_add_co_ci_u32_e64 v17, null, s59, v17, vcc_lo
	;; [unrolled: 3-line block ×4, first 2 shown]
	s_clause 0x3
	global_load_u16 v41, v[10:11], off
	global_load_u16 v46, v[12:13], off
	;; [unrolled: 1-line block ×4, first 2 shown]
	s_and_saveexec_b32 s7, s1
	s_cbranch_execz .LBB387_43
; %bb.38:                               ;   in Loop: Header=BB387_5 Depth=1
	s_clause 0x3
	global_load_u16 v49, v[10:11], off offset:64
	global_load_u16 v50, v[12:13], off offset:64
	global_load_u16 v51, v[14:15], off offset:64
	global_load_u16 v52, v[16:17], off offset:64
	s_and_saveexec_b32 s8, s2
	s_cbranch_execz .LBB387_42
; %bb.39:                               ;   in Loop: Header=BB387_5 Depth=1
	s_clause 0x3
	global_load_u16 v53, v[10:11], off offset:128
	global_load_u16 v54, v[12:13], off offset:128
	global_load_u16 v55, v[14:15], off offset:128
	global_load_u16 v56, v[16:17], off offset:128
	;; [unrolled: 8-line block ×3, first 2 shown]
	s_wait_loadcnt 0x3
	v_fma_mix_f32 v10, v45, v10, v40 op_sel_hi:[0,1,0]
	s_wait_loadcnt 0x2
	s_delay_alu instid0(VALU_DEP_1) | instskip(SKIP_1) | instid1(VALU_DEP_1)
	v_fma_mix_f32 v10, v44, v11, v10 op_sel_hi:[0,1,0]
	s_wait_loadcnt 0x1
	v_fma_mix_f32 v10, v43, v12, v10 op_sel_hi:[0,1,0]
	s_wait_loadcnt 0x0
	s_delay_alu instid0(VALU_DEP_1)
	v_fma_mix_f32 v40, v42, v13, v10 op_sel_hi:[0,1,0]
.LBB387_41:                             ;   in Loop: Header=BB387_5 Depth=1
	s_wait_alu 0xfffe
	s_or_b32 exec_lo, exec_lo, s49
	s_wait_loadcnt 0x3
	v_fma_mix_f32 v10, v45, v53, v39 op_sel_hi:[0,1,0]
	s_wait_loadcnt 0x2
	s_delay_alu instid0(VALU_DEP_1) | instskip(SKIP_1) | instid1(VALU_DEP_1)
	v_fma_mix_f32 v10, v44, v54, v10 op_sel_hi:[0,1,0]
	s_wait_loadcnt 0x1
	v_fma_mix_f32 v10, v43, v55, v10 op_sel_hi:[0,1,0]
	s_wait_loadcnt 0x0
	s_delay_alu instid0(VALU_DEP_1)
	v_fma_mix_f32 v39, v42, v56, v10 op_sel_hi:[0,1,0]
.LBB387_42:                             ;   in Loop: Header=BB387_5 Depth=1
	s_wait_alu 0xfffe
	s_or_b32 exec_lo, exec_lo, s8
	s_wait_loadcnt 0x3
	v_fma_mix_f32 v10, v45, v49, v38 op_sel_hi:[0,1,0]
	s_wait_loadcnt 0x2
	s_delay_alu instid0(VALU_DEP_1) | instskip(SKIP_1) | instid1(VALU_DEP_1)
	v_fma_mix_f32 v10, v44, v50, v10 op_sel_hi:[0,1,0]
	s_wait_loadcnt 0x1
	v_fma_mix_f32 v10, v43, v51, v10 op_sel_hi:[0,1,0]
	s_wait_loadcnt 0x0
	s_delay_alu instid0(VALU_DEP_1)
	v_fma_mix_f32 v38, v42, v52, v10 op_sel_hi:[0,1,0]
.LBB387_43:                             ;   in Loop: Header=BB387_5 Depth=1
	s_wait_alu 0xfffe
	s_or_b32 exec_lo, exec_lo, s7
	s_wait_loadcnt 0x3
	v_fma_mix_f32 v10, v45, v41, v37 op_sel_hi:[0,1,0]
	s_wait_loadcnt 0x2
	s_delay_alu instid0(VALU_DEP_1) | instskip(SKIP_1) | instid1(VALU_DEP_1)
	v_fma_mix_f32 v10, v44, v46, v10 op_sel_hi:[0,1,0]
	s_wait_loadcnt 0x1
	v_fma_mix_f32 v10, v43, v47, v10 op_sel_hi:[0,1,0]
	s_wait_loadcnt 0x0
	s_delay_alu instid0(VALU_DEP_1)
	v_fma_mix_f32 v37, v42, v48, v10 op_sel_hi:[0,1,0]
.LBB387_44:                             ;   in Loop: Header=BB387_5 Depth=1
	s_wait_alu 0xfffe
	s_or_b32 exec_lo, exec_lo, s48
.LBB387_45:                             ;   in Loop: Header=BB387_5 Depth=1
	ds_store_2addr_b32 v0, v37, v38 offset1:32
	ds_store_2addr_b32 v0, v39, v40 offset0:64 offset1:96
	s_wait_dscnt 0x0
	s_barrier_signal -1
	s_barrier_wait -1
	global_inv scope:SCOPE_SE
                                        ; implicit-def: $vgpr12
	s_and_saveexec_b32 s7, s5
	s_cbranch_execz .LBB387_51
; %bb.46:                               ;   in Loop: Header=BB387_5 Depth=1
	ds_load_2addr_stride64_b32 v[10:11], v19 offset1:2
	ds_load_2addr_stride64_b32 v[12:13], v19 offset0:4 offset1:6
	ds_load_2addr_stride64_b32 v[14:15], v19 offset0:8 offset1:10
	s_mov_b32 s48, s55
	s_wait_dscnt 0x2
	v_add_f32_e32 v16, v10, v11
	ds_load_2addr_stride64_b32 v[10:11], v19 offset0:12 offset1:14
	s_wait_dscnt 0x2
	v_add_f32_e32 v12, v12, v16
	s_delay_alu instid0(VALU_DEP_1) | instskip(SKIP_3) | instid1(VALU_DEP_1)
	v_add_f32_e32 v16, v13, v12
	ds_load_2addr_stride64_b32 v[12:13], v19 offset0:16 offset1:18
	s_wait_dscnt 0x2
	v_add_f32_e32 v14, v14, v16
	v_add_f32_e32 v16, v15, v14
	ds_load_2addr_stride64_b32 v[14:15], v19 offset0:20 offset1:22
	s_wait_dscnt 0x2
	v_add_f32_e32 v10, v10, v16
	s_delay_alu instid0(VALU_DEP_1) | instskip(SKIP_1) | instid1(VALU_DEP_1)
	v_add_f32_e32 v10, v11, v10
	s_wait_dscnt 0x1
	v_add_f32_e32 v12, v12, v10
	ds_load_2addr_stride64_b32 v[10:11], v19 offset0:24 offset1:26
	v_add_f32_e32 v12, v13, v12
	s_wait_dscnt 0x1
	s_delay_alu instid0(VALU_DEP_1) | instskip(SKIP_3) | instid1(VALU_DEP_1)
	v_add_f32_e32 v14, v14, v12
	ds_load_2addr_stride64_b32 v[12:13], v19 offset0:28 offset1:30
	v_add_f32_e32 v14, v15, v14
	s_wait_dscnt 0x1
	v_add_f32_e32 v10, v10, v14
	s_delay_alu instid0(VALU_DEP_1) | instskip(SKIP_1) | instid1(VALU_DEP_1)
	v_add_f32_e32 v10, v11, v10
	s_wait_dscnt 0x0
	v_add_f32_e32 v10, v12, v10
                                        ; implicit-def: $vgpr12
	s_delay_alu instid0(VALU_DEP_1)
	v_add_f32_e32 v10, v13, v10
	ds_store_b32 v19, v10
	s_and_saveexec_b32 s8, s6
	s_cbranch_execz .LBB387_50
; %bb.47:                               ;   in Loop: Header=BB387_5 Depth=1
	v_mul_f32_e32 v10, v36, v10
	s_cmp_eq_f32 s56, 0
	s_cbranch_scc1 .LBB387_49
; %bb.48:                               ;   in Loop: Header=BB387_5 Depth=1
	v_lshlrev_b64_e32 v[11:12], 1, v[4:5]
	s_delay_alu instid0(VALU_DEP_1) | instskip(SKIP_1) | instid1(VALU_DEP_2)
	v_add_co_u32 v11, vcc_lo, s46, v11
	s_wait_alu 0xfffd
	v_add_co_ci_u32_e64 v12, null, s47, v12, vcc_lo
	global_load_u16 v11, v[11:12], off
	s_wait_loadcnt 0x0
	v_fma_mix_f32 v10, s56, v11, v10 op_sel_hi:[0,1,0]
.LBB387_49:                             ;   in Loop: Header=BB387_5 Depth=1
	s_delay_alu instid0(VALU_DEP_1)
	v_cvt_f16_f32_e32 v12, v10
	s_or_b32 s48, s55, exec_lo
.LBB387_50:                             ;   in Loop: Header=BB387_5 Depth=1
	s_wait_alu 0xfffe
	s_or_b32 exec_lo, exec_lo, s8
	s_delay_alu instid0(SALU_CYCLE_1)
	s_and_not1_b32 s8, s55, exec_lo
	s_and_b32 s48, s48, exec_lo
	s_wait_alu 0xfffe
	s_or_b32 s55, s8, s48
.LBB387_51:                             ;   in Loop: Header=BB387_5 Depth=1
	s_wait_alu 0xfffe
	s_or_b32 exec_lo, exec_lo, s7
	v_dual_mov_b32 v11, v5 :: v_dual_mov_b32 v10, v4
	s_and_saveexec_b32 s7, s55
	s_cbranch_execz .LBB387_3
.LBB387_52:                             ;   in Loop: Header=BB387_5 Depth=1
	s_delay_alu instid0(VALU_DEP_1) | instskip(SKIP_1) | instid1(VALU_DEP_1)
	v_lshlrev_b64_e32 v[10:11], 1, v[10:11]
	s_wait_alu 0xfffe
	v_add_co_u32 v10, vcc_lo, s46, v10
	s_wait_alu 0xfffd
	s_delay_alu instid0(VALU_DEP_2)
	v_add_co_ci_u32_e64 v11, null, s47, v11, vcc_lo
	global_store_b16 v[10:11], v12, off
	s_branch .LBB387_3
.LBB387_53:
	s_endpgm
	.section	.rodata,"a",@progbits
	.p2align	6, 0x0
	.amdhsa_kernel _ZL20rocblas_gemvn_kernelILi32ELi16ElDF16_PKfDF16_EviiT3_lPKT2_lT1_lS5_lS6_lS2_lPT4_lS6_li
		.amdhsa_group_segment_fixed_size 8192
		.amdhsa_private_segment_fixed_size 0
		.amdhsa_kernarg_size 400
		.amdhsa_user_sgpr_count 2
		.amdhsa_user_sgpr_dispatch_ptr 0
		.amdhsa_user_sgpr_queue_ptr 0
		.amdhsa_user_sgpr_kernarg_segment_ptr 1
		.amdhsa_user_sgpr_dispatch_id 0
		.amdhsa_user_sgpr_private_segment_size 0
		.amdhsa_wavefront_size32 1
		.amdhsa_uses_dynamic_stack 0
		.amdhsa_enable_private_segment 0
		.amdhsa_system_sgpr_workgroup_id_x 1
		.amdhsa_system_sgpr_workgroup_id_y 0
		.amdhsa_system_sgpr_workgroup_id_z 1
		.amdhsa_system_sgpr_workgroup_info 0
		.amdhsa_system_vgpr_workitem_id 1
		.amdhsa_next_free_vgpr 78
		.amdhsa_next_free_sgpr 60
		.amdhsa_reserve_vcc 1
		.amdhsa_float_round_mode_32 0
		.amdhsa_float_round_mode_16_64 0
		.amdhsa_float_denorm_mode_32 3
		.amdhsa_float_denorm_mode_16_64 3
		.amdhsa_fp16_overflow 0
		.amdhsa_workgroup_processor_mode 1
		.amdhsa_memory_ordered 1
		.amdhsa_forward_progress 1
		.amdhsa_inst_pref_size 32
		.amdhsa_round_robin_scheduling 0
		.amdhsa_exception_fp_ieee_invalid_op 0
		.amdhsa_exception_fp_denorm_src 0
		.amdhsa_exception_fp_ieee_div_zero 0
		.amdhsa_exception_fp_ieee_overflow 0
		.amdhsa_exception_fp_ieee_underflow 0
		.amdhsa_exception_fp_ieee_inexact 0
		.amdhsa_exception_int_div_zero 0
	.end_amdhsa_kernel
	.section	.text._ZL20rocblas_gemvn_kernelILi32ELi16ElDF16_PKfDF16_EviiT3_lPKT2_lT1_lS5_lS6_lS2_lPT4_lS6_li,"axG",@progbits,_ZL20rocblas_gemvn_kernelILi32ELi16ElDF16_PKfDF16_EviiT3_lPKT2_lT1_lS5_lS6_lS2_lPT4_lS6_li,comdat
.Lfunc_end387:
	.size	_ZL20rocblas_gemvn_kernelILi32ELi16ElDF16_PKfDF16_EviiT3_lPKT2_lT1_lS5_lS6_lS2_lPT4_lS6_li, .Lfunc_end387-_ZL20rocblas_gemvn_kernelILi32ELi16ElDF16_PKfDF16_EviiT3_lPKT2_lT1_lS5_lS6_lS2_lPT4_lS6_li
                                        ; -- End function
	.set _ZL20rocblas_gemvn_kernelILi32ELi16ElDF16_PKfDF16_EviiT3_lPKT2_lT1_lS5_lS6_lS2_lPT4_lS6_li.num_vgpr, 78
	.set _ZL20rocblas_gemvn_kernelILi32ELi16ElDF16_PKfDF16_EviiT3_lPKT2_lT1_lS5_lS6_lS2_lPT4_lS6_li.num_agpr, 0
	.set _ZL20rocblas_gemvn_kernelILi32ELi16ElDF16_PKfDF16_EviiT3_lPKT2_lT1_lS5_lS6_lS2_lPT4_lS6_li.numbered_sgpr, 60
	.set _ZL20rocblas_gemvn_kernelILi32ELi16ElDF16_PKfDF16_EviiT3_lPKT2_lT1_lS5_lS6_lS2_lPT4_lS6_li.num_named_barrier, 0
	.set _ZL20rocblas_gemvn_kernelILi32ELi16ElDF16_PKfDF16_EviiT3_lPKT2_lT1_lS5_lS6_lS2_lPT4_lS6_li.private_seg_size, 0
	.set _ZL20rocblas_gemvn_kernelILi32ELi16ElDF16_PKfDF16_EviiT3_lPKT2_lT1_lS5_lS6_lS2_lPT4_lS6_li.uses_vcc, 1
	.set _ZL20rocblas_gemvn_kernelILi32ELi16ElDF16_PKfDF16_EviiT3_lPKT2_lT1_lS5_lS6_lS2_lPT4_lS6_li.uses_flat_scratch, 0
	.set _ZL20rocblas_gemvn_kernelILi32ELi16ElDF16_PKfDF16_EviiT3_lPKT2_lT1_lS5_lS6_lS2_lPT4_lS6_li.has_dyn_sized_stack, 0
	.set _ZL20rocblas_gemvn_kernelILi32ELi16ElDF16_PKfDF16_EviiT3_lPKT2_lT1_lS5_lS6_lS2_lPT4_lS6_li.has_recursion, 0
	.set _ZL20rocblas_gemvn_kernelILi32ELi16ElDF16_PKfDF16_EviiT3_lPKT2_lT1_lS5_lS6_lS2_lPT4_lS6_li.has_indirect_call, 0
	.section	.AMDGPU.csdata,"",@progbits
; Kernel info:
; codeLenInByte = 4048
; TotalNumSgprs: 62
; NumVgprs: 78
; ScratchSize: 0
; MemoryBound: 0
; FloatMode: 240
; IeeeMode: 1
; LDSByteSize: 8192 bytes/workgroup (compile time only)
; SGPRBlocks: 0
; VGPRBlocks: 9
; NumSGPRsForWavesPerEU: 62
; NumVGPRsForWavesPerEU: 78
; Occupancy: 16
; WaveLimiterHint : 1
; COMPUTE_PGM_RSRC2:SCRATCH_EN: 0
; COMPUTE_PGM_RSRC2:USER_SGPR: 2
; COMPUTE_PGM_RSRC2:TRAP_HANDLER: 0
; COMPUTE_PGM_RSRC2:TGID_X_EN: 1
; COMPUTE_PGM_RSRC2:TGID_Y_EN: 0
; COMPUTE_PGM_RSRC2:TGID_Z_EN: 1
; COMPUTE_PGM_RSRC2:TIDIG_COMP_CNT: 1
	.section	.text._ZL20rocblas_gemvn_kernelILi32ELi16EiDF16_fDF16_EviiT3_lPKT2_lT1_lS3_lS4_lS0_lPT4_lS4_li,"axG",@progbits,_ZL20rocblas_gemvn_kernelILi32ELi16EiDF16_fDF16_EviiT3_lPKT2_lT1_lS3_lS4_lS0_lPT4_lS4_li,comdat
	.globl	_ZL20rocblas_gemvn_kernelILi32ELi16EiDF16_fDF16_EviiT3_lPKT2_lT1_lS3_lS4_lS0_lPT4_lS4_li ; -- Begin function _ZL20rocblas_gemvn_kernelILi32ELi16EiDF16_fDF16_EviiT3_lPKT2_lT1_lS3_lS4_lS0_lPT4_lS4_li
	.p2align	8
	.type	_ZL20rocblas_gemvn_kernelILi32ELi16EiDF16_fDF16_EviiT3_lPKT2_lT1_lS3_lS4_lS0_lPT4_lS4_li,@function
_ZL20rocblas_gemvn_kernelILi32ELi16EiDF16_fDF16_EviiT3_lPKT2_lT1_lS3_lS4_lS0_lPT4_lS4_li: ; @_ZL20rocblas_gemvn_kernelILi32ELi16EiDF16_fDF16_EviiT3_lPKT2_lT1_lS3_lS4_lS0_lPT4_lS4_li
; %bb.0:
	s_load_b64 s[2:3], s[0:1], 0x9c
	s_wait_kmcnt 0x0
	s_lshr_b32 s4, s2, 16
	s_and_b32 s2, s2, 0xffff
	s_and_b32 s3, s3, 0xffff
	s_mul_i32 s2, s4, s2
	s_delay_alu instid0(SALU_CYCLE_1) | instskip(NEXT) | instid1(SALU_CYCLE_1)
	s_mul_i32 s2, s2, s3
	s_cmp_lg_u32 s2, 0x200
	s_cbranch_scc1 .LBB388_53
; %bb.1:
	s_load_b32 s19, s[0:1], 0x88
	s_lshr_b32 s28, ttmp7, 16
	s_wait_kmcnt 0x0
	s_cmp_ge_u32 s28, s19
	s_cbranch_scc1 .LBB388_53
; %bb.2:
	s_clause 0x8
	s_load_b128 s[4:7], s[0:1], 0x18
	s_load_b96 s[16:18], s[0:1], 0x40
	s_load_b128 s[12:15], s[0:1], 0x68
	s_load_b32 s34, s[0:1], 0x78
	s_load_b96 s[20:22], s[0:1], 0x0
	s_load_b32 s23, s[0:1], 0x28
	s_load_b128 s[8:11], s[0:1], 0x30
	s_load_b96 s[24:26], s[0:1], 0x50
	s_load_b64 s[30:31], s[0:1], 0x80
	v_dual_mov_b32 v4, 0 :: v_dual_and_b32 v7, 0x3ff, v0
	v_bfe_u32 v6, v0, 10, 10
	s_mov_b32 s29, 0
	s_delay_alu instid0(VALU_DEP_2) | instskip(NEXT) | instid1(VALU_DEP_2)
	v_lshlrev_b32_e32 v5, 2, v7
	v_lshl_add_u32 v8, v6, 5, v7
	v_lshlrev_b32_e32 v19, 2, v6
	s_delay_alu instid0(VALU_DEP_3)
	v_lshl_add_u32 v20, v6, 9, v5
	s_wait_kmcnt 0x0
	s_lshl_b64 s[0:1], s[6:7], 1
	s_lshl_b64 s[2:3], s[16:17], 1
	;; [unrolled: 1-line block ×3, first 2 shown]
	s_ashr_i32 s35, s34, 31
	s_cmp_eq_f32 s22, 0
	s_add_nc_u64 s[14:15], s[4:5], s[0:1]
	v_mul_lo_u32 v9, s23, v19
	s_mov_b32 s16, s20
	s_cselect_b32 s27, -1, 0
	s_cmp_neq_f32 s22, 0
	s_add_nc_u64 s[12:13], s[12:13], s[6:7]
	v_lshl_add_u32 v22, v6, 7, v5
	s_add_nc_u64 s[10:11], s[10:11], s[2:3]
	s_cselect_b32 s36, -1, 0
	s_cmp_neq_f32 s26, 1.0
	v_add3_u32 v23, v9, s23, v7
	v_or_b32_e32 v9, 3, v19
	s_cselect_b32 s0, -1, 0
	s_lshl_b32 s33, ttmp9, 7
	s_ashr_i32 s17, s20, 31
	v_add_nc_u32_e32 v3, s33, v8
	v_or_b32_e32 v10, s33, v8
	s_or_b32 s38, s36, s0
	s_cmp_neq_f32 s26, 0
	v_add_nc_u32_e32 v21, s33, v7
	v_mad_co_u64_u32 v[0:1], null, s34, v3, 0
	v_mul_lo_u32 v2, s34, v10
	s_cselect_b32 s39, -1, 0
	s_ashr_i32 s1, s21, 31
	v_cmp_gt_i64_e32 vcc_lo, s[16:17], v[3:4]
	s_lshr_b32 s1, s1, 26
	v_add_nc_u32_e32 v11, 32, v21
	s_add_co_i32 s40, s21, s1
	v_cmp_gt_i32_e64 s6, s20, v10
	v_mad_co_u64_u32 v[3:4], null, s35, v3, v[1:2]
	s_and_not1_b32 s40, s40, 63
	v_mul_lo_u32 v10, v6, s23
	s_sub_co_i32 s5, s21, s40
	v_cmp_gt_i32_e64 s1, s20, v11
	s_cmp_gt_i32 s5, 0
	v_cmp_gt_u32_e64 s5, 0x80, v8
	v_or_b32_e32 v8, 2, v19
	v_mul_lo_u32 v11, v6, s18
	v_dual_mov_b32 v1, v3 :: v_dual_add_nc_u32 v12, 64, v21
	v_ashrrev_i32_e32 v3, 31, v2
	v_add_nc_u32_e32 v13, 0x60, v21
	v_mad_co_u64_u32 v[4:5], null, s23, v8, v[7:8]
	s_mov_b32 s16, s18
	v_mad_co_u64_u32 v[5:6], null, s23, v9, v[7:8]
	v_lshl_add_u32 v24, v10, 2, v7
	s_wait_alu 0xfffe
	v_mad_co_u64_u32 v[6:7], null, s18, v19, s[16:17]
	v_mul_lo_u32 v25, s18, v8
	v_mul_lo_u32 v26, s18, v9
	v_lshlrev_b64_e32 v[7:8], 1, v[0:1]
	v_lshlrev_b64_e32 v[9:10], 1, v[2:3]
	v_cmp_gt_i32_e64 s0, s20, v21
	v_cmp_gt_i32_e64 s2, s20, v12
	;; [unrolled: 1-line block ×4, first 2 shown]
	v_lshlrev_b32_e32 v27, 2, v11
	s_cselect_b32 s20, -1, 0
	s_and_b32 s41, s5, vcc_lo
	s_lshl_b32 s42, s23, 6
	s_lshl_b32 s43, s18, 6
	s_branch .LBB388_5
.LBB388_3:                              ;   in Loop: Header=BB388_5 Depth=1
	s_wait_alu 0xfffe
	s_or_b32 exec_lo, exec_lo, s7
.LBB388_4:                              ;   in Loop: Header=BB388_5 Depth=1
	s_add_co_i32 s28, s28, 0x10000
	s_delay_alu instid0(SALU_CYCLE_1)
	s_cmp_lt_u32 s28, s19
	s_cbranch_scc0 .LBB388_53
.LBB388_5:                              ; =>This Loop Header: Depth=1
                                        ;     Child Loop BB388_21 Depth 2
	s_and_not1_b32 vcc_lo, exec_lo, s38
	s_wait_alu 0xfffe
	s_cbranch_vccnz .LBB388_4
; %bb.6:                                ;   in Loop: Header=BB388_5 Depth=1
	s_mul_u64 s[16:17], s[30:31], s[28:29]
	s_and_not1_b32 vcc_lo, exec_lo, s27
	s_wait_alu 0xfffe
	s_lshl_b64 s[16:17], s[16:17], 1
	s_wait_alu 0xfffe
	s_add_nc_u64 s[16:17], s[12:13], s[16:17]
	s_cbranch_vccnz .LBB388_10
; %bb.7:                                ;   in Loop: Header=BB388_5 Depth=1
	s_mov_b32 s7, 0
	s_mov_b32 s44, 0
                                        ; implicit-def: $vgpr13
	s_and_saveexec_b32 s34, s41
	s_cbranch_execz .LBB388_11
; %bb.8:                                ;   in Loop: Header=BB388_5 Depth=1
	s_and_not1_b32 vcc_lo, exec_lo, s39
	s_wait_alu 0xfffe
	s_cbranch_vccnz .LBB388_13
; %bb.9:                                ;   in Loop: Header=BB388_5 Depth=1
	v_add_co_u32 v11, vcc_lo, s16, v7
	s_wait_alu 0xfffd
	v_add_co_ci_u32_e64 v12, null, s17, v8, vcc_lo
	global_load_u16 v11, v[11:12], off
	s_wait_loadcnt 0x0
	v_fma_mixlo_f16 v13, s26, v11, 0 op_sel_hi:[0,1,0]
	s_branch .LBB388_14
.LBB388_10:                             ;   in Loop: Header=BB388_5 Depth=1
	s_mov_b32 s44, 0
                                        ; implicit-def: $vgpr13
	s_cbranch_execz .LBB388_12
	s_branch .LBB388_15
.LBB388_11:                             ;   in Loop: Header=BB388_5 Depth=1
	s_wait_alu 0xfffe
	s_or_b32 exec_lo, exec_lo, s34
	s_delay_alu instid0(SALU_CYCLE_1)
	s_and_b32 vcc_lo, exec_lo, s7
	s_wait_alu 0xfffe
	s_cbranch_vccnz .LBB388_15
.LBB388_12:                             ;   in Loop: Header=BB388_5 Depth=1
	v_dual_mov_b32 v12, v1 :: v_dual_mov_b32 v11, v0
	s_and_saveexec_b32 s7, s44
	s_cbranch_execz .LBB388_3
	s_branch .LBB388_52
.LBB388_13:                             ;   in Loop: Header=BB388_5 Depth=1
	v_mov_b32_e32 v13, 0
.LBB388_14:                             ;   in Loop: Header=BB388_5 Depth=1
	s_mov_b32 s44, exec_lo
	s_wait_alu 0xfffe
	s_or_b32 exec_lo, exec_lo, s34
	s_delay_alu instid0(SALU_CYCLE_1)
	s_and_b32 vcc_lo, exec_lo, s7
	s_wait_alu 0xfffe
	s_cbranch_vccz .LBB388_12
.LBB388_15:                             ;   in Loop: Header=BB388_5 Depth=1
	s_mul_u64 s[34:35], s[8:9], s[28:29]
	s_mul_u64 s[36:37], s[24:25], s[28:29]
	v_dual_mov_b32 v28, 0 :: v_dual_mov_b32 v29, 0
	v_dual_mov_b32 v32, v19 :: v_dual_mov_b32 v31, 0
	v_mov_b32_e32 v30, 0
	s_wait_alu 0xfffe
	s_lshl_b64 s[34:35], s[34:35], 1
	s_lshl_b64 s[36:37], s[36:37], 1
	s_wait_alu 0xfffe
	s_add_nc_u64 s[34:35], s[14:15], s[34:35]
	s_add_nc_u64 s[36:37], s[10:11], s[36:37]
	s_and_saveexec_b32 s7, s4
	s_cbranch_execz .LBB388_27
; %bb.16:                               ;   in Loop: Header=BB388_5 Depth=1
	v_dual_mov_b32 v28, 0 :: v_dual_mov_b32 v33, v24
	v_dual_mov_b32 v34, v5 :: v_dual_mov_b32 v35, v4
	;; [unrolled: 1-line block ×4, first 2 shown]
	v_mov_b32_e32 v30, 0
	s_mov_b32 s45, 0
	s_mov_b32 s46, 0
	s_branch .LBB388_21
.LBB388_17:                             ;   in Loop: Header=BB388_21 Depth=2
	s_or_b32 exec_lo, exec_lo, s50
	s_wait_loadcnt 0x3
	v_fma_mix_f32 v11, v49, v53, v30 op_sel_hi:[0,1,0]
	s_wait_loadcnt 0x2
	s_delay_alu instid0(VALU_DEP_1) | instskip(SKIP_1) | instid1(VALU_DEP_1)
	v_fma_mix_f32 v11, v50, v54, v11 op_sel_hi:[0,1,0]
	s_wait_loadcnt 0x1
	v_fma_mix_f32 v11, v51, v55, v11 op_sel_hi:[0,1,0]
	s_wait_loadcnt 0x0
	s_delay_alu instid0(VALU_DEP_1)
	v_fma_mix_f32 v30, v52, v56, v11 op_sel_hi:[0,1,0]
.LBB388_18:                             ;   in Loop: Header=BB388_21 Depth=2
	s_or_b32 exec_lo, exec_lo, s49
	s_wait_loadcnt 0x3
	v_fma_mix_f32 v11, v49, v45, v29 op_sel_hi:[0,1,0]
	s_wait_loadcnt 0x2
	s_delay_alu instid0(VALU_DEP_1) | instskip(SKIP_1) | instid1(VALU_DEP_1)
	v_fma_mix_f32 v11, v50, v46, v11 op_sel_hi:[0,1,0]
	s_wait_loadcnt 0x1
	v_fma_mix_f32 v11, v51, v47, v11 op_sel_hi:[0,1,0]
	s_wait_loadcnt 0x0
	s_delay_alu instid0(VALU_DEP_1)
	v_fma_mix_f32 v29, v52, v48, v11 op_sel_hi:[0,1,0]
.LBB388_19:                             ;   in Loop: Header=BB388_21 Depth=2
	s_or_b32 exec_lo, exec_lo, s48
	s_wait_loadcnt 0x3
	v_fma_mix_f32 v11, v37, v41, v28 op_sel_hi:[1,1,0]
	s_wait_loadcnt 0x2
	s_delay_alu instid0(VALU_DEP_1) | instskip(SKIP_1) | instid1(VALU_DEP_1)
	v_fma_mix_f32 v11, v38, v42, v11 op_sel_hi:[1,1,0]
	s_wait_loadcnt 0x1
	v_fma_mix_f32 v11, v39, v43, v11 op_sel_hi:[1,1,0]
	s_wait_loadcnt 0x0
	s_delay_alu instid0(VALU_DEP_1)
	v_fma_mix_f32 v28, v40, v44, v11 op_sel_hi:[1,1,0]
.LBB388_20:                             ;   in Loop: Header=BB388_21 Depth=2
	s_wait_alu 0xfffe
	s_or_b32 exec_lo, exec_lo, s47
	v_add_nc_u32_e32 v32, 64, v32
	v_add_nc_u32_e32 v36, s42, v36
	;; [unrolled: 1-line block ×5, first 2 shown]
	v_cmp_le_i32_e32 vcc_lo, s40, v32
	s_add_co_i32 s46, s46, s43
	s_or_b32 s45, vcc_lo, s45
	s_delay_alu instid0(SALU_CYCLE_1)
	s_and_not1_b32 exec_lo, exec_lo, s45
	s_cbranch_execz .LBB388_26
.LBB388_21:                             ;   Parent Loop BB388_5 Depth=1
                                        ; =>  This Inner Loop Header: Depth=2
	s_and_saveexec_b32 s47, s0
	s_cbranch_execz .LBB388_20
; %bb.22:                               ;   in Loop: Header=BB388_21 Depth=2
	s_wait_alu 0xfffe
	v_add_nc_u32_e32 v11, s46, v27
	v_add_nc_u32_e32 v13, s46, v6
	;; [unrolled: 1-line block ×5, first 2 shown]
	v_ashrrev_i32_e32 v12, 31, v11
	v_ashrrev_i32_e32 v14, 31, v13
	;; [unrolled: 1-line block ×5, first 2 shown]
	v_lshlrev_b64_e32 v[11:12], 1, v[11:12]
	v_lshlrev_b64_e32 v[13:14], 1, v[13:14]
	;; [unrolled: 1-line block ×3, first 2 shown]
	s_delay_alu instid0(VALU_DEP_3) | instskip(SKIP_1) | instid1(VALU_DEP_4)
	v_add_co_u32 v39, vcc_lo, s36, v11
	s_wait_alu 0xfffd
	v_add_co_ci_u32_e64 v40, null, s37, v12, vcc_lo
	s_delay_alu instid0(VALU_DEP_4)
	v_add_co_u32 v41, vcc_lo, s36, v13
	v_add_nc_u32_e32 v13, s33, v36
	s_wait_alu 0xfffd
	v_add_co_ci_u32_e64 v42, null, s37, v14, vcc_lo
	v_lshlrev_b64_e32 v[11:12], 1, v[17:18]
	v_add_co_u32 v43, vcc_lo, s36, v15
	v_add_nc_u32_e32 v17, s33, v35
	s_wait_alu 0xfffd
	v_add_co_ci_u32_e64 v44, null, s37, v16, vcc_lo
	v_lshlrev_b64_e32 v[15:16], 1, v[37:38]
	v_add_nc_u32_e32 v37, s33, v34
	v_ashrrev_i32_e32 v14, 31, v13
	v_ashrrev_i32_e32 v18, 31, v17
	v_add_co_u32 v45, vcc_lo, s36, v11
	s_delay_alu instid0(VALU_DEP_4)
	v_ashrrev_i32_e32 v38, 31, v37
	s_wait_alu 0xfffd
	v_add_co_ci_u32_e64 v46, null, s37, v12, vcc_lo
	v_lshlrev_b64_e32 v[13:14], 1, v[13:14]
	v_add_co_u32 v11, vcc_lo, s34, v15
	s_wait_alu 0xfffd
	v_add_co_ci_u32_e64 v12, null, s35, v16, vcc_lo
	v_lshlrev_b64_e32 v[15:16], 1, v[17:18]
	v_lshlrev_b64_e32 v[17:18], 1, v[37:38]
	v_add_co_u32 v13, vcc_lo, s34, v13
	s_wait_alu 0xfffd
	v_add_co_ci_u32_e64 v14, null, s35, v14, vcc_lo
	s_delay_alu instid0(VALU_DEP_4)
	v_add_co_u32 v15, vcc_lo, s34, v15
	s_wait_alu 0xfffd
	v_add_co_ci_u32_e64 v16, null, s35, v16, vcc_lo
	v_add_co_u32 v17, vcc_lo, s34, v17
	s_wait_alu 0xfffd
	v_add_co_ci_u32_e64 v18, null, s35, v18, vcc_lo
	s_clause 0x3
	global_load_u16 v37, v[39:40], off
	global_load_u16 v38, v[41:42], off
	;; [unrolled: 1-line block ×4, first 2 shown]
	s_clause 0x3
	global_load_u16 v41, v[11:12], off
	global_load_u16 v42, v[13:14], off
	;; [unrolled: 1-line block ×4, first 2 shown]
	s_and_saveexec_b32 s48, s1
	s_cbranch_execz .LBB388_19
; %bb.23:                               ;   in Loop: Header=BB388_21 Depth=2
	s_clause 0x3
	global_load_u16 v45, v[11:12], off offset:64
	global_load_u16 v46, v[13:14], off offset:64
	;; [unrolled: 1-line block ×4, first 2 shown]
	s_wait_loadcnt 0xb
	v_cvt_f32_f16_e32 v49, v37
	s_wait_loadcnt 0xa
	v_cvt_f32_f16_e32 v50, v38
	;; [unrolled: 2-line block ×4, first 2 shown]
	s_and_saveexec_b32 s49, s2
	s_cbranch_execz .LBB388_18
; %bb.24:                               ;   in Loop: Header=BB388_21 Depth=2
	s_clause 0x3
	global_load_u16 v53, v[11:12], off offset:128
	global_load_u16 v54, v[13:14], off offset:128
	;; [unrolled: 1-line block ×4, first 2 shown]
	s_and_saveexec_b32 s50, s3
	s_cbranch_execz .LBB388_17
; %bb.25:                               ;   in Loop: Header=BB388_21 Depth=2
	s_clause 0x3
	global_load_u16 v11, v[11:12], off offset:192
	global_load_u16 v12, v[13:14], off offset:192
	;; [unrolled: 1-line block ×4, first 2 shown]
	s_wait_loadcnt 0x3
	v_fma_mix_f32 v11, v49, v11, v31 op_sel_hi:[0,1,0]
	s_wait_loadcnt 0x2
	s_delay_alu instid0(VALU_DEP_1) | instskip(SKIP_1) | instid1(VALU_DEP_1)
	v_fma_mix_f32 v11, v50, v12, v11 op_sel_hi:[0,1,0]
	s_wait_loadcnt 0x1
	v_fma_mix_f32 v11, v51, v13, v11 op_sel_hi:[0,1,0]
	s_wait_loadcnt 0x0
	s_delay_alu instid0(VALU_DEP_1)
	v_fma_mix_f32 v31, v52, v14, v11 op_sel_hi:[0,1,0]
	s_branch .LBB388_17
.LBB388_26:                             ;   in Loop: Header=BB388_5 Depth=1
	s_or_b32 exec_lo, exec_lo, s45
.LBB388_27:                             ;   in Loop: Header=BB388_5 Depth=1
	s_wait_alu 0xfffe
	s_or_b32 exec_lo, exec_lo, s7
	s_delay_alu instid0(SALU_CYCLE_1)
	s_and_not1_b32 vcc_lo, exec_lo, s20
	s_wait_alu 0xfffe
	s_cbranch_vccnz .LBB388_45
; %bb.28:                               ;   in Loop: Header=BB388_5 Depth=1
	v_cmp_gt_i32_e32 vcc_lo, s21, v32
	v_dual_mov_b32 v33, 0 :: v_dual_mov_b32 v34, 0
	v_or_b32_e32 v11, 1, v32
	v_dual_mov_b32 v35, 0 :: v_dual_mov_b32 v36, 0
	s_and_saveexec_b32 s45, vcc_lo
	s_cbranch_execz .LBB388_36
; %bb.29:                               ;   in Loop: Header=BB388_5 Depth=1
	v_mul_lo_u32 v12, v32, s18
	v_dual_mov_b32 v35, 0 :: v_dual_mov_b32 v34, 0
	v_mov_b32_e32 v33, 0
	s_mov_b32 s46, exec_lo
	s_delay_alu instid0(VALU_DEP_3) | instskip(NEXT) | instid1(VALU_DEP_1)
	v_ashrrev_i32_e32 v13, 31, v12
	v_lshlrev_b64_e32 v[12:13], 1, v[12:13]
	s_delay_alu instid0(VALU_DEP_1) | instskip(SKIP_1) | instid1(VALU_DEP_2)
	v_add_co_u32 v12, s7, s36, v12
	s_wait_alu 0xf1ff
	v_add_co_ci_u32_e64 v13, null, s37, v13, s7
	global_load_u16 v12, v[12:13], off
	v_cmpx_gt_i32_e64 s21, v11
	s_cbranch_execz .LBB388_35
; %bb.30:                               ;   in Loop: Header=BB388_5 Depth=1
	v_mul_lo_u32 v13, v11, s18
	v_dual_mov_b32 v34, 0 :: v_dual_mov_b32 v33, 0
	s_mov_b32 s47, exec_lo
	s_delay_alu instid0(VALU_DEP_2) | instskip(NEXT) | instid1(VALU_DEP_1)
	v_ashrrev_i32_e32 v14, 31, v13
	v_lshlrev_b64_e32 v[13:14], 1, v[13:14]
	s_delay_alu instid0(VALU_DEP_1) | instskip(SKIP_1) | instid1(VALU_DEP_2)
	v_add_co_u32 v13, s7, s36, v13
	s_wait_alu 0xf1ff
	v_add_co_ci_u32_e64 v14, null, s37, v14, s7
	global_load_u16 v13, v[13:14], off
	v_or_b32_e32 v14, 2, v32
	s_delay_alu instid0(VALU_DEP_1)
	v_cmpx_gt_i32_e64 s21, v14
	s_cbranch_execz .LBB388_34
; %bb.31:                               ;   in Loop: Header=BB388_5 Depth=1
	v_mul_lo_u32 v14, v14, s18
	v_mov_b32_e32 v33, 0
	s_mov_b32 s48, exec_lo
	s_delay_alu instid0(VALU_DEP_2) | instskip(NEXT) | instid1(VALU_DEP_1)
	v_ashrrev_i32_e32 v15, 31, v14
	v_lshlrev_b64_e32 v[14:15], 1, v[14:15]
	s_delay_alu instid0(VALU_DEP_1) | instskip(SKIP_1) | instid1(VALU_DEP_2)
	v_add_co_u32 v14, s7, s36, v14
	s_wait_alu 0xf1ff
	v_add_co_ci_u32_e64 v15, null, s37, v15, s7
	global_load_u16 v14, v[14:15], off
	v_or_b32_e32 v15, 3, v32
	s_delay_alu instid0(VALU_DEP_1)
	v_cmpx_gt_i32_e64 s21, v15
	s_cbranch_execz .LBB388_33
; %bb.32:                               ;   in Loop: Header=BB388_5 Depth=1
	v_mul_lo_u32 v15, v15, s18
	s_delay_alu instid0(VALU_DEP_1) | instskip(NEXT) | instid1(VALU_DEP_1)
	v_ashrrev_i32_e32 v16, 31, v15
	v_lshlrev_b64_e32 v[15:16], 1, v[15:16]
	s_delay_alu instid0(VALU_DEP_1) | instskip(SKIP_1) | instid1(VALU_DEP_2)
	v_add_co_u32 v15, s7, s36, v15
	s_wait_alu 0xf1ff
	v_add_co_ci_u32_e64 v16, null, s37, v16, s7
	global_load_u16 v15, v[15:16], off
	s_wait_loadcnt 0x0
	v_cvt_f32_f16_e32 v33, v15
.LBB388_33:                             ;   in Loop: Header=BB388_5 Depth=1
	s_or_b32 exec_lo, exec_lo, s48
	s_wait_loadcnt 0x0
	v_cvt_f32_f16_e32 v34, v14
.LBB388_34:                             ;   in Loop: Header=BB388_5 Depth=1
	s_wait_alu 0xfffe
	s_or_b32 exec_lo, exec_lo, s47
	s_wait_loadcnt 0x0
	v_cvt_f32_f16_e32 v35, v13
.LBB388_35:                             ;   in Loop: Header=BB388_5 Depth=1
	s_wait_alu 0xfffe
	s_or_b32 exec_lo, exec_lo, s46
	s_wait_loadcnt 0x0
	v_cvt_f32_f16_e32 v36, v12
.LBB388_36:                             ;   in Loop: Header=BB388_5 Depth=1
	s_or_b32 exec_lo, exec_lo, s45
	s_and_saveexec_b32 s7, s0
	s_cbranch_execz .LBB388_44
; %bb.37:                               ;   in Loop: Header=BB388_5 Depth=1
	v_mul_lo_u32 v13, v32, s23
	v_or_b32_e32 v12, 2, v32
	v_mul_lo_u32 v15, v11, s23
	v_or_b32_e32 v14, 3, v32
	s_delay_alu instid0(VALU_DEP_3) | instskip(NEXT) | instid1(VALU_DEP_2)
	v_mul_lo_u32 v16, v12, s23
	v_mul_lo_u32 v17, v14, s23
	v_cndmask_b32_e32 v13, 0, v13, vcc_lo
	v_cmp_gt_i32_e32 vcc_lo, s21, v11
	s_wait_alu 0xfffd
	v_cndmask_b32_e32 v15, 0, v15, vcc_lo
	v_cmp_gt_i32_e32 vcc_lo, s21, v12
	s_wait_alu 0xfffd
	v_cndmask_b32_e32 v12, 0, v16, vcc_lo
	v_cmp_gt_i32_e32 vcc_lo, s21, v14
	v_add_nc_u32_e32 v11, v13, v21
	s_wait_alu 0xfffd
	v_cndmask_b32_e32 v14, 0, v17, vcc_lo
	v_add_nc_u32_e32 v13, v15, v21
	v_add_nc_u32_e32 v15, v12, v21
	v_ashrrev_i32_e32 v12, 31, v11
	s_delay_alu instid0(VALU_DEP_4) | instskip(NEXT) | instid1(VALU_DEP_4)
	v_add_nc_u32_e32 v17, v14, v21
	v_ashrrev_i32_e32 v14, 31, v13
	s_delay_alu instid0(VALU_DEP_4) | instskip(NEXT) | instid1(VALU_DEP_4)
	v_ashrrev_i32_e32 v16, 31, v15
	v_lshlrev_b64_e32 v[11:12], 1, v[11:12]
	s_delay_alu instid0(VALU_DEP_4) | instskip(NEXT) | instid1(VALU_DEP_4)
	v_ashrrev_i32_e32 v18, 31, v17
	v_lshlrev_b64_e32 v[13:14], 1, v[13:14]
	s_delay_alu instid0(VALU_DEP_4) | instskip(NEXT) | instid1(VALU_DEP_4)
	v_lshlrev_b64_e32 v[15:16], 1, v[15:16]
	v_add_co_u32 v11, vcc_lo, s34, v11
	s_delay_alu instid0(VALU_DEP_4)
	v_lshlrev_b64_e32 v[17:18], 1, v[17:18]
	s_wait_alu 0xfffd
	v_add_co_ci_u32_e64 v12, null, s35, v12, vcc_lo
	v_add_co_u32 v13, vcc_lo, s34, v13
	s_wait_alu 0xfffd
	v_add_co_ci_u32_e64 v14, null, s35, v14, vcc_lo
	v_add_co_u32 v15, vcc_lo, s34, v15
	;; [unrolled: 3-line block ×3, first 2 shown]
	s_wait_alu 0xfffd
	v_add_co_ci_u32_e64 v18, null, s35, v18, vcc_lo
	s_clause 0x3
	global_load_u16 v32, v[11:12], off
	global_load_u16 v37, v[13:14], off
	;; [unrolled: 1-line block ×4, first 2 shown]
	s_and_saveexec_b32 s34, s1
	s_cbranch_execz .LBB388_43
; %bb.38:                               ;   in Loop: Header=BB388_5 Depth=1
	s_clause 0x3
	global_load_u16 v40, v[11:12], off offset:64
	global_load_u16 v41, v[13:14], off offset:64
	global_load_u16 v42, v[15:16], off offset:64
	global_load_u16 v43, v[17:18], off offset:64
	s_and_saveexec_b32 s35, s2
	s_cbranch_execz .LBB388_42
; %bb.39:                               ;   in Loop: Header=BB388_5 Depth=1
	s_clause 0x3
	global_load_u16 v44, v[11:12], off offset:128
	global_load_u16 v45, v[13:14], off offset:128
	global_load_u16 v46, v[15:16], off offset:128
	global_load_u16 v47, v[17:18], off offset:128
	;; [unrolled: 8-line block ×3, first 2 shown]
	s_wait_loadcnt 0x3
	v_fma_mix_f32 v11, v36, v11, v31 op_sel_hi:[0,1,0]
	s_wait_loadcnt 0x2
	s_delay_alu instid0(VALU_DEP_1) | instskip(SKIP_1) | instid1(VALU_DEP_1)
	v_fma_mix_f32 v11, v35, v12, v11 op_sel_hi:[0,1,0]
	s_wait_loadcnt 0x1
	v_fma_mix_f32 v11, v34, v13, v11 op_sel_hi:[0,1,0]
	s_wait_loadcnt 0x0
	s_delay_alu instid0(VALU_DEP_1)
	v_fma_mix_f32 v31, v33, v14, v11 op_sel_hi:[0,1,0]
.LBB388_41:                             ;   in Loop: Header=BB388_5 Depth=1
	s_wait_alu 0xfffe
	s_or_b32 exec_lo, exec_lo, s36
	s_wait_loadcnt 0x3
	v_fma_mix_f32 v11, v36, v44, v30 op_sel_hi:[0,1,0]
	s_wait_loadcnt 0x2
	s_delay_alu instid0(VALU_DEP_1) | instskip(SKIP_1) | instid1(VALU_DEP_1)
	v_fma_mix_f32 v11, v35, v45, v11 op_sel_hi:[0,1,0]
	s_wait_loadcnt 0x1
	v_fma_mix_f32 v11, v34, v46, v11 op_sel_hi:[0,1,0]
	s_wait_loadcnt 0x0
	s_delay_alu instid0(VALU_DEP_1)
	v_fma_mix_f32 v30, v33, v47, v11 op_sel_hi:[0,1,0]
.LBB388_42:                             ;   in Loop: Header=BB388_5 Depth=1
	s_wait_alu 0xfffe
	s_or_b32 exec_lo, exec_lo, s35
	s_wait_loadcnt 0x3
	v_fma_mix_f32 v11, v36, v40, v29 op_sel_hi:[0,1,0]
	s_wait_loadcnt 0x2
	s_delay_alu instid0(VALU_DEP_1) | instskip(SKIP_1) | instid1(VALU_DEP_1)
	v_fma_mix_f32 v11, v35, v41, v11 op_sel_hi:[0,1,0]
	s_wait_loadcnt 0x1
	v_fma_mix_f32 v11, v34, v42, v11 op_sel_hi:[0,1,0]
	s_wait_loadcnt 0x0
	s_delay_alu instid0(VALU_DEP_1)
	v_fma_mix_f32 v29, v33, v43, v11 op_sel_hi:[0,1,0]
.LBB388_43:                             ;   in Loop: Header=BB388_5 Depth=1
	s_wait_alu 0xfffe
	s_or_b32 exec_lo, exec_lo, s34
	s_wait_loadcnt 0x3
	v_fma_mix_f32 v11, v36, v32, v28 op_sel_hi:[0,1,0]
	s_wait_loadcnt 0x2
	s_delay_alu instid0(VALU_DEP_1) | instskip(SKIP_1) | instid1(VALU_DEP_1)
	v_fma_mix_f32 v11, v35, v37, v11 op_sel_hi:[0,1,0]
	s_wait_loadcnt 0x1
	v_fma_mix_f32 v11, v34, v38, v11 op_sel_hi:[0,1,0]
	s_wait_loadcnt 0x0
	s_delay_alu instid0(VALU_DEP_1)
	v_fma_mix_f32 v28, v33, v39, v11 op_sel_hi:[0,1,0]
.LBB388_44:                             ;   in Loop: Header=BB388_5 Depth=1
	s_wait_alu 0xfffe
	s_or_b32 exec_lo, exec_lo, s7
.LBB388_45:                             ;   in Loop: Header=BB388_5 Depth=1
	ds_store_2addr_b32 v20, v28, v29 offset1:32
	ds_store_2addr_b32 v20, v30, v31 offset0:64 offset1:96
	s_wait_dscnt 0x0
	s_barrier_signal -1
	s_barrier_wait -1
	global_inv scope:SCOPE_SE
                                        ; implicit-def: $vgpr13
	s_and_saveexec_b32 s7, s5
	s_cbranch_execz .LBB388_51
; %bb.46:                               ;   in Loop: Header=BB388_5 Depth=1
	ds_load_2addr_stride64_b32 v[11:12], v22 offset1:2
	ds_load_2addr_stride64_b32 v[13:14], v22 offset0:4 offset1:6
	ds_load_2addr_stride64_b32 v[15:16], v22 offset0:8 offset1:10
	s_mov_b32 s35, s44
	s_wait_dscnt 0x2
	v_add_f32_e32 v17, v11, v12
	ds_load_2addr_stride64_b32 v[11:12], v22 offset0:12 offset1:14
	s_wait_dscnt 0x2
	v_add_f32_e32 v13, v13, v17
	s_delay_alu instid0(VALU_DEP_1) | instskip(SKIP_3) | instid1(VALU_DEP_1)
	v_add_f32_e32 v17, v14, v13
	ds_load_2addr_stride64_b32 v[13:14], v22 offset0:16 offset1:18
	s_wait_dscnt 0x2
	v_add_f32_e32 v15, v15, v17
	v_add_f32_e32 v17, v16, v15
	ds_load_2addr_stride64_b32 v[15:16], v22 offset0:20 offset1:22
	s_wait_dscnt 0x2
	v_add_f32_e32 v11, v11, v17
	s_delay_alu instid0(VALU_DEP_1) | instskip(SKIP_1) | instid1(VALU_DEP_1)
	v_add_f32_e32 v11, v12, v11
	s_wait_dscnt 0x1
	v_add_f32_e32 v13, v13, v11
	ds_load_2addr_stride64_b32 v[11:12], v22 offset0:24 offset1:26
	v_add_f32_e32 v13, v14, v13
	s_wait_dscnt 0x1
	s_delay_alu instid0(VALU_DEP_1) | instskip(SKIP_3) | instid1(VALU_DEP_1)
	v_add_f32_e32 v15, v15, v13
	ds_load_2addr_stride64_b32 v[13:14], v22 offset0:28 offset1:30
	v_add_f32_e32 v15, v16, v15
	s_wait_dscnt 0x1
	v_add_f32_e32 v11, v11, v15
	s_delay_alu instid0(VALU_DEP_1) | instskip(SKIP_1) | instid1(VALU_DEP_1)
	v_add_f32_e32 v11, v12, v11
	s_wait_dscnt 0x0
	v_add_f32_e32 v11, v13, v11
                                        ; implicit-def: $vgpr13
	s_delay_alu instid0(VALU_DEP_1)
	v_add_f32_e32 v11, v14, v11
	ds_store_b32 v22, v11
	s_and_saveexec_b32 s34, s6
	s_cbranch_execz .LBB388_50
; %bb.47:                               ;   in Loop: Header=BB388_5 Depth=1
	v_mul_f32_e32 v11, s22, v11
	s_and_not1_b32 vcc_lo, exec_lo, s39
	s_wait_alu 0xfffe
	s_cbranch_vccnz .LBB388_49
; %bb.48:                               ;   in Loop: Header=BB388_5 Depth=1
	v_add_co_u32 v12, vcc_lo, s16, v9
	s_wait_alu 0xfffd
	v_add_co_ci_u32_e64 v13, null, s17, v10, vcc_lo
	global_load_u16 v12, v[12:13], off
	s_wait_loadcnt 0x0
	v_fma_mix_f32 v11, s26, v12, v11 op_sel_hi:[0,1,0]
.LBB388_49:                             ;   in Loop: Header=BB388_5 Depth=1
	s_delay_alu instid0(VALU_DEP_1)
	v_cvt_f16_f32_e32 v13, v11
	s_or_b32 s35, s44, exec_lo
.LBB388_50:                             ;   in Loop: Header=BB388_5 Depth=1
	s_wait_alu 0xfffe
	s_or_b32 exec_lo, exec_lo, s34
	s_delay_alu instid0(SALU_CYCLE_1)
	s_and_not1_b32 s34, s44, exec_lo
	s_and_b32 s35, s35, exec_lo
	s_wait_alu 0xfffe
	s_or_b32 s44, s34, s35
.LBB388_51:                             ;   in Loop: Header=BB388_5 Depth=1
	s_wait_alu 0xfffe
	s_or_b32 exec_lo, exec_lo, s7
	v_dual_mov_b32 v12, v3 :: v_dual_mov_b32 v11, v2
	s_and_saveexec_b32 s7, s44
	s_cbranch_execz .LBB388_3
.LBB388_52:                             ;   in Loop: Header=BB388_5 Depth=1
	s_delay_alu instid0(VALU_DEP_1) | instskip(SKIP_1) | instid1(VALU_DEP_1)
	v_lshlrev_b64_e32 v[11:12], 1, v[11:12]
	s_wait_alu 0xfffe
	v_add_co_u32 v11, vcc_lo, s16, v11
	s_wait_alu 0xfffd
	s_delay_alu instid0(VALU_DEP_2)
	v_add_co_ci_u32_e64 v12, null, s17, v12, vcc_lo
	global_store_b16 v[11:12], v13, off
	s_branch .LBB388_3
.LBB388_53:
	s_endpgm
	.section	.rodata,"a",@progbits
	.p2align	6, 0x0
	.amdhsa_kernel _ZL20rocblas_gemvn_kernelILi32ELi16EiDF16_fDF16_EviiT3_lPKT2_lT1_lS3_lS4_lS0_lPT4_lS4_li
		.amdhsa_group_segment_fixed_size 8192
		.amdhsa_private_segment_fixed_size 0
		.amdhsa_kernarg_size 400
		.amdhsa_user_sgpr_count 2
		.amdhsa_user_sgpr_dispatch_ptr 0
		.amdhsa_user_sgpr_queue_ptr 0
		.amdhsa_user_sgpr_kernarg_segment_ptr 1
		.amdhsa_user_sgpr_dispatch_id 0
		.amdhsa_user_sgpr_private_segment_size 0
		.amdhsa_wavefront_size32 1
		.amdhsa_uses_dynamic_stack 0
		.amdhsa_enable_private_segment 0
		.amdhsa_system_sgpr_workgroup_id_x 1
		.amdhsa_system_sgpr_workgroup_id_y 0
		.amdhsa_system_sgpr_workgroup_id_z 1
		.amdhsa_system_sgpr_workgroup_info 0
		.amdhsa_system_vgpr_workitem_id 1
		.amdhsa_next_free_vgpr 57
		.amdhsa_next_free_sgpr 51
		.amdhsa_reserve_vcc 1
		.amdhsa_float_round_mode_32 0
		.amdhsa_float_round_mode_16_64 0
		.amdhsa_float_denorm_mode_32 3
		.amdhsa_float_denorm_mode_16_64 3
		.amdhsa_fp16_overflow 0
		.amdhsa_workgroup_processor_mode 1
		.amdhsa_memory_ordered 1
		.amdhsa_forward_progress 1
		.amdhsa_inst_pref_size 27
		.amdhsa_round_robin_scheduling 0
		.amdhsa_exception_fp_ieee_invalid_op 0
		.amdhsa_exception_fp_denorm_src 0
		.amdhsa_exception_fp_ieee_div_zero 0
		.amdhsa_exception_fp_ieee_overflow 0
		.amdhsa_exception_fp_ieee_underflow 0
		.amdhsa_exception_fp_ieee_inexact 0
		.amdhsa_exception_int_div_zero 0
	.end_amdhsa_kernel
	.section	.text._ZL20rocblas_gemvn_kernelILi32ELi16EiDF16_fDF16_EviiT3_lPKT2_lT1_lS3_lS4_lS0_lPT4_lS4_li,"axG",@progbits,_ZL20rocblas_gemvn_kernelILi32ELi16EiDF16_fDF16_EviiT3_lPKT2_lT1_lS3_lS4_lS0_lPT4_lS4_li,comdat
.Lfunc_end388:
	.size	_ZL20rocblas_gemvn_kernelILi32ELi16EiDF16_fDF16_EviiT3_lPKT2_lT1_lS3_lS4_lS0_lPT4_lS4_li, .Lfunc_end388-_ZL20rocblas_gemvn_kernelILi32ELi16EiDF16_fDF16_EviiT3_lPKT2_lT1_lS3_lS4_lS0_lPT4_lS4_li
                                        ; -- End function
	.set _ZL20rocblas_gemvn_kernelILi32ELi16EiDF16_fDF16_EviiT3_lPKT2_lT1_lS3_lS4_lS0_lPT4_lS4_li.num_vgpr, 57
	.set _ZL20rocblas_gemvn_kernelILi32ELi16EiDF16_fDF16_EviiT3_lPKT2_lT1_lS3_lS4_lS0_lPT4_lS4_li.num_agpr, 0
	.set _ZL20rocblas_gemvn_kernelILi32ELi16EiDF16_fDF16_EviiT3_lPKT2_lT1_lS3_lS4_lS0_lPT4_lS4_li.numbered_sgpr, 51
	.set _ZL20rocblas_gemvn_kernelILi32ELi16EiDF16_fDF16_EviiT3_lPKT2_lT1_lS3_lS4_lS0_lPT4_lS4_li.num_named_barrier, 0
	.set _ZL20rocblas_gemvn_kernelILi32ELi16EiDF16_fDF16_EviiT3_lPKT2_lT1_lS3_lS4_lS0_lPT4_lS4_li.private_seg_size, 0
	.set _ZL20rocblas_gemvn_kernelILi32ELi16EiDF16_fDF16_EviiT3_lPKT2_lT1_lS3_lS4_lS0_lPT4_lS4_li.uses_vcc, 1
	.set _ZL20rocblas_gemvn_kernelILi32ELi16EiDF16_fDF16_EviiT3_lPKT2_lT1_lS3_lS4_lS0_lPT4_lS4_li.uses_flat_scratch, 0
	.set _ZL20rocblas_gemvn_kernelILi32ELi16EiDF16_fDF16_EviiT3_lPKT2_lT1_lS3_lS4_lS0_lPT4_lS4_li.has_dyn_sized_stack, 0
	.set _ZL20rocblas_gemvn_kernelILi32ELi16EiDF16_fDF16_EviiT3_lPKT2_lT1_lS3_lS4_lS0_lPT4_lS4_li.has_recursion, 0
	.set _ZL20rocblas_gemvn_kernelILi32ELi16EiDF16_fDF16_EviiT3_lPKT2_lT1_lS3_lS4_lS0_lPT4_lS4_li.has_indirect_call, 0
	.section	.AMDGPU.csdata,"",@progbits
; Kernel info:
; codeLenInByte = 3388
; TotalNumSgprs: 53
; NumVgprs: 57
; ScratchSize: 0
; MemoryBound: 0
; FloatMode: 240
; IeeeMode: 1
; LDSByteSize: 8192 bytes/workgroup (compile time only)
; SGPRBlocks: 0
; VGPRBlocks: 7
; NumSGPRsForWavesPerEU: 53
; NumVGPRsForWavesPerEU: 57
; Occupancy: 16
; WaveLimiterHint : 1
; COMPUTE_PGM_RSRC2:SCRATCH_EN: 0
; COMPUTE_PGM_RSRC2:USER_SGPR: 2
; COMPUTE_PGM_RSRC2:TRAP_HANDLER: 0
; COMPUTE_PGM_RSRC2:TGID_X_EN: 1
; COMPUTE_PGM_RSRC2:TGID_Y_EN: 0
; COMPUTE_PGM_RSRC2:TGID_Z_EN: 1
; COMPUTE_PGM_RSRC2:TIDIG_COMP_CNT: 1
	.section	.text._ZL20rocblas_gemvn_kernelILi32ELi16ElDF16_fDF16_EviiT3_lPKT2_lT1_lS3_lS4_lS0_lPT4_lS4_li,"axG",@progbits,_ZL20rocblas_gemvn_kernelILi32ELi16ElDF16_fDF16_EviiT3_lPKT2_lT1_lS3_lS4_lS0_lPT4_lS4_li,comdat
	.globl	_ZL20rocblas_gemvn_kernelILi32ELi16ElDF16_fDF16_EviiT3_lPKT2_lT1_lS3_lS4_lS0_lPT4_lS4_li ; -- Begin function _ZL20rocblas_gemvn_kernelILi32ELi16ElDF16_fDF16_EviiT3_lPKT2_lT1_lS3_lS4_lS0_lPT4_lS4_li
	.p2align	8
	.type	_ZL20rocblas_gemvn_kernelILi32ELi16ElDF16_fDF16_EviiT3_lPKT2_lT1_lS3_lS4_lS0_lPT4_lS4_li,@function
_ZL20rocblas_gemvn_kernelILi32ELi16ElDF16_fDF16_EviiT3_lPKT2_lT1_lS3_lS4_lS0_lPT4_lS4_li: ; @_ZL20rocblas_gemvn_kernelILi32ELi16ElDF16_fDF16_EviiT3_lPKT2_lT1_lS3_lS4_lS0_lPT4_lS4_li
; %bb.0:
	s_load_b64 s[2:3], s[0:1], 0x9c
	s_wait_kmcnt 0x0
	s_lshr_b32 s4, s2, 16
	s_and_b32 s2, s2, 0xffff
	s_and_b32 s3, s3, 0xffff
	s_mul_i32 s2, s4, s2
	s_delay_alu instid0(SALU_CYCLE_1) | instskip(NEXT) | instid1(SALU_CYCLE_1)
	s_mul_i32 s2, s2, s3
	s_cmp_lg_u32 s2, 0x200
	s_cbranch_scc1 .LBB389_53
; %bb.1:
	s_load_b32 s33, s[0:1], 0x88
	s_lshr_b32 s34, ttmp7, 16
	s_wait_kmcnt 0x0
	s_cmp_ge_u32 s34, s33
	s_cbranch_scc1 .LBB389_53
; %bb.2:
	s_clause 0x3
	s_load_b512 s[8:23], s[0:1], 0x18
	s_load_b256 s[24:31], s[0:1], 0x68
	s_load_b96 s[36:38], s[0:1], 0x0
	s_load_b32 s39, s[0:1], 0x58
	v_bfe_u32 v15, v0, 10, 10
	v_and_b32_e32 v1, 0x3ff, v0
	s_mov_b32 s35, 0
	s_delay_alu instid0(VALU_DEP_2) | instskip(NEXT) | instid1(VALU_DEP_2)
	v_dual_mov_b32 v3, 0 :: v_dual_lshlrev_b32 v16, 2, v15
	v_lshlrev_b32_e32 v10, 2, v1
	s_delay_alu instid0(VALU_DEP_2) | instskip(NEXT) | instid1(VALU_DEP_2)
	v_or_b32_e32 v19, 3, v16
	v_lshl_add_u32 v17, v15, 9, v10
	v_lshl_add_u32 v18, v15, 7, v10
	s_wait_kmcnt 0x0
	s_lshl_b64 s[2:3], s[10:11], 1
	s_lshl_b64 s[10:11], s[18:19], 1
	;; [unrolled: 1-line block ×3, first 2 shown]
	s_cmp_eq_f32 s38, 0
	s_add_nc_u64 s[18:19], s[8:9], s[2:3]
	v_mad_co_u64_u32 v[4:5], null, s20, v15, 0
	s_cselect_b32 s46, -1, 0
	s_cmp_neq_f32 s38, 0
	v_mad_co_u64_u32 v[6:7], null, s12, v19, 0
	s_add_nc_u64 s[24:25], s[24:25], s[4:5]
	s_cselect_b32 s1, -1, 0
	s_cmp_neq_f32 s39, 1.0
	s_mov_b32 s6, s36
	s_add_nc_u64 s[26:27], s[16:17], s[10:11]
	s_cselect_b32 s2, -1, 0
	s_lshl_b32 s8, ttmp9, 7
	s_ashr_i32 s7, s36, 31
	v_add_nc_u32_e32 v8, s8, v1
	s_or_b32 s47, s1, s2
	s_cmp_neq_f32 s39, 0
	s_delay_alu instid0(VALU_DEP_1) | instskip(SKIP_2) | instid1(SALU_CYCLE_1)
	v_add_nc_u32_e32 v11, 64, v8
	s_cselect_b32 s48, -1, 0
	s_ashr_i32 s2, s37, 31
	s_lshr_b32 s2, s2, 26
	s_delay_alu instid0(VALU_DEP_1)
	v_cmp_gt_i32_e64 s3, s36, v11
	v_mad_co_u64_u32 v[10:11], null, s21, v15, v[5:6]
	v_mov_b32_e32 v5, v7
	s_add_co_i32 s49, s37, s2
	v_or_b32_e32 v23, 2, v16
	s_and_not1_b32 s49, s49, 63
	v_mad_co_u64_u32 v[29:30], null, s20, v16, s[20:21]
	v_mad_co_u64_u32 v[13:14], null, s13, v19, v[5:6]
	v_dual_mov_b32 v5, v10 :: v_dual_add_nc_u32 v12, 0x60, v8
	s_sub_co_i32 s5, s37, s49
	v_ashrrev_i32_e32 v9, 31, v8
	s_cmp_gt_i32 s5, 0
	s_delay_alu instid0(VALU_DEP_2)
	v_lshlrev_b64_e32 v[4:5], 3, v[4:5]
	v_cmp_gt_i32_e64 s4, s36, v12
	v_mad_co_u64_u32 v[11:12], null, s20, v19, 0
	s_cselect_b32 s50, -1, 0
	v_cmp_gt_i32_e64 s1, s36, v8
	v_mov_b32_e32 v7, v13
	v_mad_co_u64_u32 v[27:28], null, s20, v23, 0
	v_mad_co_u64_u32 v[31:32], null, s12, v16, s[12:13]
	v_mov_b32_e32 v10, v12
	v_lshl_add_u32 v0, v15, 5, v1
	v_lshlrev_b64_e32 v[6:7], 1, v[6:7]
	v_cmp_gt_i32_e64 s5, s49, v16
	s_lshl_b64 s[40:41], s[14:15], 1
	v_mad_co_u64_u32 v[12:13], null, s21, v19, v[10:11]
	v_add_nc_u32_e32 v2, s8, v0
	v_cmp_gt_u32_e64 s0, 0x80, v0
	v_or_b32_e32 v20, s8, v0
	v_mad_co_u64_u32 v[13:14], null, s12, v15, 0
	s_delay_alu instid0(VALU_DEP_4)
	v_mad_co_u64_u32 v[0:1], null, s28, v2, 0
	v_cmp_gt_i64_e32 vcc_lo, s[6:7], v[2:3]
	v_add_nc_u32_e32 v3, 32, v8
	s_ashr_i32 s6, s8, 31
	v_mul_lo_u32 v21, s29, v20
	s_wait_alu 0xfffe
	s_mul_i32 s7, s28, s6
	v_cmp_gt_i32_e64 s6, s36, v20
	v_mad_co_u64_u32 v[1:2], null, s29, v2, v[1:2]
	v_cmp_gt_i32_e64 s2, s36, v3
	v_mad_co_u64_u32 v[2:3], null, s28, v20, 0
	s_and_b32 s36, s0, vcc_lo
	v_add_co_u32 v19, vcc_lo, s16, v4
	s_delay_alu instid0(VALU_DEP_1)
	v_add_co_ci_u32_e64 v20, null, s17, v5, vcc_lo
	v_lshlrev_b64_e32 v[4:5], 1, v[8:9]
	v_mad_co_u64_u32 v[9:10], null, s12, v23, 0
	v_mov_b32_e32 v8, v14
	s_wait_alu 0xfffe
	v_add3_u32 v3, v3, s7, v21
	v_add_co_u32 v21, vcc_lo, s18, v6
	s_wait_alu 0xfffd
	v_add_co_ci_u32_e64 v22, null, s19, v7, vcc_lo
	v_mad_co_u64_u32 v[14:15], null, s13, v15, v[8:9]
	v_lshlrev_b64_e32 v[7:8], 1, v[11:12]
	v_mov_b32_e32 v6, v10
	v_mov_b32_e32 v10, v28
	s_lshl_b64 s[28:29], s[22:23], 1
	s_lshl_b64 s[42:43], s[12:13], 7
	s_delay_alu instid0(VALU_DEP_2) | instskip(SKIP_1) | instid1(VALU_DEP_2)
	v_mad_co_u64_u32 v[11:12], null, s13, v23, v[6:7]
	v_mov_b32_e32 v6, v30
	v_mad_co_u64_u32 v[25:26], null, s21, v23, v[10:11]
	v_add_co_u32 v23, vcc_lo, s16, v7
	s_wait_alu 0xfffd
	v_add_co_ci_u32_e64 v24, null, s17, v8, vcc_lo
	v_lshlrev_b64_e32 v[7:8], 3, v[13:14]
	v_mov_b32_e32 v10, v11
	v_mov_b32_e32 v28, v25
	s_delay_alu instid0(VALU_DEP_3)
	v_add_co_u32 v25, vcc_lo, s18, v7
	v_mad_co_u64_u32 v[11:12], null, s21, v16, v[6:7]
	s_wait_alu 0xfffd
	v_add_co_ci_u32_e64 v26, null, s19, v8, vcc_lo
	v_lshlrev_b64_e32 v[7:8], 1, v[9:10]
	v_mov_b32_e32 v6, v32
	v_lshlrev_b64_e32 v[12:13], 1, v[27:28]
	v_mov_b32_e32 v30, v11
	s_delay_alu instid0(VALU_DEP_3) | instskip(SKIP_1) | instid1(VALU_DEP_3)
	v_mad_co_u64_u32 v[9:10], null, s13, v16, v[6:7]
	v_add_co_u32 v27, vcc_lo, s18, v7
	v_lshlrev_b64_e32 v[6:7], 1, v[29:30]
	s_wait_alu 0xfffd
	v_add_co_ci_u32_e64 v28, null, s19, v8, vcc_lo
	v_add_co_u32 v29, vcc_lo, s16, v12
	v_mov_b32_e32 v32, v9
	s_wait_alu 0xfffd
	v_add_co_ci_u32_e64 v30, null, s17, v13, vcc_lo
	s_delay_alu instid0(VALU_DEP_2) | instskip(SKIP_4) | instid1(VALU_DEP_4)
	v_lshlrev_b64_e32 v[8:9], 1, v[31:32]
	v_add_co_u32 v31, vcc_lo, s16, v6
	s_wait_alu 0xfffd
	v_add_co_ci_u32_e64 v32, null, s17, v7, vcc_lo
	v_lshlrev_b64_e32 v[6:7], 1, v[0:1]
	v_add_co_u32 v33, vcc_lo, s18, v8
	s_wait_alu 0xfffd
	v_add_co_ci_u32_e64 v34, null, s19, v9, vcc_lo
	s_lshl_b64 s[16:17], s[20:21], 7
	s_branch .LBB389_5
.LBB389_3:                              ;   in Loop: Header=BB389_5 Depth=1
	s_wait_alu 0xfffe
	s_or_b32 exec_lo, exec_lo, s7
.LBB389_4:                              ;   in Loop: Header=BB389_5 Depth=1
	s_add_co_i32 s34, s34, 0x10000
	s_delay_alu instid0(SALU_CYCLE_1)
	s_cmp_lt_u32 s34, s33
	s_cbranch_scc0 .LBB389_53
.LBB389_5:                              ; =>This Loop Header: Depth=1
                                        ;     Child Loop BB389_21 Depth 2
	s_and_not1_b32 vcc_lo, exec_lo, s47
	s_wait_alu 0xfffe
	s_cbranch_vccnz .LBB389_4
; %bb.6:                                ;   in Loop: Header=BB389_5 Depth=1
	s_mul_u64 s[8:9], s[30:31], s[34:35]
	s_and_not1_b32 vcc_lo, exec_lo, s46
	s_wait_alu 0xfffe
	s_lshl_b64 s[8:9], s[8:9], 1
	s_wait_alu 0xfffe
	s_add_nc_u64 s[44:45], s[24:25], s[8:9]
	s_cbranch_vccnz .LBB389_10
; %bb.7:                                ;   in Loop: Header=BB389_5 Depth=1
	s_mov_b32 s7, 0
	s_mov_b32 s51, 0
                                        ; implicit-def: $vgpr10
	s_and_saveexec_b32 s8, s36
	s_cbranch_execz .LBB389_11
; %bb.8:                                ;   in Loop: Header=BB389_5 Depth=1
	s_and_not1_b32 vcc_lo, exec_lo, s48
	s_wait_alu 0xfffe
	s_cbranch_vccnz .LBB389_13
; %bb.9:                                ;   in Loop: Header=BB389_5 Depth=1
	v_add_co_u32 v8, vcc_lo, s44, v6
	s_wait_alu 0xfffd
	v_add_co_ci_u32_e64 v9, null, s45, v7, vcc_lo
	global_load_u16 v8, v[8:9], off
	s_wait_loadcnt 0x0
	v_fma_mixlo_f16 v10, s39, v8, 0 op_sel_hi:[0,1,0]
	s_branch .LBB389_14
.LBB389_10:                             ;   in Loop: Header=BB389_5 Depth=1
	s_mov_b32 s51, 0
                                        ; implicit-def: $vgpr10
	s_cbranch_execz .LBB389_12
	s_branch .LBB389_15
.LBB389_11:                             ;   in Loop: Header=BB389_5 Depth=1
	s_wait_alu 0xfffe
	s_or_b32 exec_lo, exec_lo, s8
	s_delay_alu instid0(SALU_CYCLE_1)
	s_and_b32 vcc_lo, exec_lo, s7
	s_wait_alu 0xfffe
	s_cbranch_vccnz .LBB389_15
.LBB389_12:                             ;   in Loop: Header=BB389_5 Depth=1
	v_dual_mov_b32 v9, v1 :: v_dual_mov_b32 v8, v0
	s_and_saveexec_b32 s7, s51
	s_cbranch_execz .LBB389_3
	s_branch .LBB389_52
.LBB389_13:                             ;   in Loop: Header=BB389_5 Depth=1
	v_mov_b32_e32 v10, 0
.LBB389_14:                             ;   in Loop: Header=BB389_5 Depth=1
	s_mov_b32 s51, exec_lo
	s_or_b32 exec_lo, exec_lo, s8
	s_delay_alu instid0(SALU_CYCLE_1)
	s_and_b32 vcc_lo, exec_lo, s7
	s_wait_alu 0xfffe
	s_cbranch_vccz .LBB389_12
.LBB389_15:                             ;   in Loop: Header=BB389_5 Depth=1
	v_dual_mov_b32 v35, 0 :: v_dual_mov_b32 v36, 0
	v_dual_mov_b32 v39, v16 :: v_dual_mov_b32 v38, 0
	v_mov_b32_e32 v37, 0
	s_and_saveexec_b32 s8, s5
	s_cbranch_execz .LBB389_27
; %bb.16:                               ;   in Loop: Header=BB389_5 Depth=1
	s_mul_u64 s[52:53], s[28:29], s[34:35]
	s_mul_u64 s[54:55], s[40:41], s[34:35]
	s_wait_alu 0xfffe
	v_add_co_u32 v40, vcc_lo, v19, s52
	s_wait_alu 0xfffd
	v_add_co_ci_u32_e64 v41, null, s53, v20, vcc_lo
	v_add_co_u32 v42, vcc_lo, v21, s54
	s_wait_alu 0xfffd
	v_add_co_ci_u32_e64 v43, null, s55, v22, vcc_lo
	;; [unrolled: 3-line block ×8, first 2 shown]
	v_dual_mov_b32 v35, 0 :: v_dual_mov_b32 v36, 0
	v_dual_mov_b32 v39, v16 :: v_dual_mov_b32 v38, 0
	v_mov_b32_e32 v37, 0
	s_mov_b32 s9, 0
	s_branch .LBB389_21
.LBB389_17:                             ;   in Loop: Header=BB389_21 Depth=2
	s_wait_alu 0xfffe
	s_or_b32 exec_lo, exec_lo, s54
	s_wait_loadcnt 0x3
	v_fma_mix_f32 v8, v68, v72, v37 op_sel_hi:[0,1,0]
	s_wait_loadcnt 0x2
	s_delay_alu instid0(VALU_DEP_1) | instskip(SKIP_1) | instid1(VALU_DEP_1)
	v_fma_mix_f32 v8, v69, v73, v8 op_sel_hi:[0,1,0]
	s_wait_loadcnt 0x1
	v_fma_mix_f32 v8, v70, v74, v8 op_sel_hi:[0,1,0]
	s_wait_loadcnt 0x0
	s_delay_alu instid0(VALU_DEP_1)
	v_fma_mix_f32 v37, v71, v75, v8 op_sel_hi:[0,1,0]
.LBB389_18:                             ;   in Loop: Header=BB389_21 Depth=2
	s_wait_alu 0xfffe
	s_or_b32 exec_lo, exec_lo, s53
	s_wait_loadcnt 0x3
	v_fma_mix_f32 v8, v68, v64, v36 op_sel_hi:[0,1,0]
	s_wait_loadcnt 0x2
	s_delay_alu instid0(VALU_DEP_1) | instskip(SKIP_1) | instid1(VALU_DEP_1)
	v_fma_mix_f32 v8, v69, v65, v8 op_sel_hi:[0,1,0]
	s_wait_loadcnt 0x1
	v_fma_mix_f32 v8, v70, v66, v8 op_sel_hi:[0,1,0]
	s_wait_loadcnt 0x0
	s_delay_alu instid0(VALU_DEP_1)
	v_fma_mix_f32 v36, v71, v67, v8 op_sel_hi:[0,1,0]
.LBB389_19:                             ;   in Loop: Header=BB389_21 Depth=2
	s_wait_alu 0xfffe
	s_or_b32 exec_lo, exec_lo, s52
	s_wait_loadcnt 0x3
	v_fma_mix_f32 v8, v56, v60, v35 op_sel_hi:[1,1,0]
	s_wait_loadcnt 0x2
	s_delay_alu instid0(VALU_DEP_1) | instskip(SKIP_1) | instid1(VALU_DEP_1)
	v_fma_mix_f32 v8, v57, v61, v8 op_sel_hi:[1,1,0]
	s_wait_loadcnt 0x1
	v_fma_mix_f32 v8, v58, v62, v8 op_sel_hi:[1,1,0]
	s_wait_loadcnt 0x0
	s_delay_alu instid0(VALU_DEP_1)
	v_fma_mix_f32 v35, v59, v63, v8 op_sel_hi:[1,1,0]
.LBB389_20:                             ;   in Loop: Header=BB389_21 Depth=2
	s_wait_alu 0xfffe
	s_or_b32 exec_lo, exec_lo, s7
	v_add_co_u32 v40, vcc_lo, v40, s16
	s_wait_alu 0xfffd
	v_add_co_ci_u32_e64 v41, null, s17, v41, vcc_lo
	v_add_co_u32 v42, vcc_lo, v42, s42
	s_wait_alu 0xfffd
	v_add_co_ci_u32_e64 v43, null, s43, v43, vcc_lo
	;; [unrolled: 3-line block ×4, first 2 shown]
	v_add_co_u32 v48, vcc_lo, v48, s42
	v_add_nc_u32_e32 v39, 64, v39
	s_wait_alu 0xfffd
	v_add_co_ci_u32_e64 v49, null, s43, v49, vcc_lo
	v_add_co_u32 v50, vcc_lo, v50, s16
	s_wait_alu 0xfffd
	v_add_co_ci_u32_e64 v51, null, s17, v51, vcc_lo
	v_add_co_u32 v52, vcc_lo, v52, s16
	s_wait_alu 0xfffd
	v_add_co_ci_u32_e64 v53, null, s17, v53, vcc_lo
	v_cmp_le_i32_e32 vcc_lo, s49, v39
	v_add_co_u32 v54, s7, v54, s42
	s_wait_alu 0xf1ff
	v_add_co_ci_u32_e64 v55, null, s43, v55, s7
	s_or_b32 s9, vcc_lo, s9
	s_wait_alu 0xfffe
	s_and_not1_b32 exec_lo, exec_lo, s9
	s_cbranch_execz .LBB389_26
.LBB389_21:                             ;   Parent Loop BB389_5 Depth=1
                                        ; =>  This Inner Loop Header: Depth=2
	s_and_saveexec_b32 s7, s1
	s_cbranch_execz .LBB389_20
; %bb.22:                               ;   in Loop: Header=BB389_21 Depth=2
	v_add_co_u32 v8, vcc_lo, v40, s10
	s_wait_alu 0xfffd
	v_add_co_ci_u32_e64 v9, null, s11, v41, vcc_lo
	v_add_co_u32 v10, vcc_lo, v52, s10
	s_wait_alu 0xfffd
	v_add_co_ci_u32_e64 v11, null, s11, v53, vcc_lo
	;; [unrolled: 3-line block ×3, first 2 shown]
	v_add_co_u32 v59, vcc_lo, v44, s10
	global_load_u16 v56, v[8:9], off
	global_load_u16 v57, v[10:11], off
	;; [unrolled: 1-line block ×3, first 2 shown]
	s_wait_alu 0xfffd
	v_add_co_ci_u32_e64 v60, null, s11, v45, vcc_lo
	v_add_co_u32 v8, vcc_lo, v46, v4
	s_wait_alu 0xfffd
	v_add_co_ci_u32_e64 v9, null, v47, v5, vcc_lo
	v_add_co_u32 v10, vcc_lo, v54, v4
	;; [unrolled: 3-line block ×4, first 2 shown]
	s_wait_alu 0xfffd
	v_add_co_ci_u32_e64 v15, null, v43, v5, vcc_lo
	global_load_u16 v59, v[59:60], off
	global_load_u16 v60, v[8:9], off
	global_load_u16 v61, v[10:11], off
	global_load_u16 v62, v[12:13], off
	global_load_u16 v63, v[14:15], off
	s_and_saveexec_b32 s52, s2
	s_cbranch_execz .LBB389_19
; %bb.23:                               ;   in Loop: Header=BB389_21 Depth=2
	global_load_u16 v64, v[8:9], off offset:64
	global_load_u16 v65, v[10:11], off offset:64
	;; [unrolled: 1-line block ×4, first 2 shown]
	s_wait_loadcnt 0xb
	v_cvt_f32_f16_e32 v68, v56
	s_wait_loadcnt 0xa
	v_cvt_f32_f16_e32 v69, v57
	;; [unrolled: 2-line block ×4, first 2 shown]
	s_and_saveexec_b32 s53, s3
	s_cbranch_execz .LBB389_18
; %bb.24:                               ;   in Loop: Header=BB389_21 Depth=2
	global_load_u16 v72, v[8:9], off offset:128
	global_load_u16 v73, v[10:11], off offset:128
	;; [unrolled: 1-line block ×4, first 2 shown]
	s_and_saveexec_b32 s54, s4
	s_cbranch_execz .LBB389_17
; %bb.25:                               ;   in Loop: Header=BB389_21 Depth=2
	global_load_u16 v8, v[8:9], off offset:192
	global_load_u16 v9, v[10:11], off offset:192
	;; [unrolled: 1-line block ×4, first 2 shown]
	s_wait_loadcnt 0x3
	v_fma_mix_f32 v8, v68, v8, v38 op_sel_hi:[0,1,0]
	s_wait_loadcnt 0x2
	s_delay_alu instid0(VALU_DEP_1) | instskip(SKIP_1) | instid1(VALU_DEP_1)
	v_fma_mix_f32 v8, v69, v9, v8 op_sel_hi:[0,1,0]
	s_wait_loadcnt 0x1
	v_fma_mix_f32 v8, v70, v10, v8 op_sel_hi:[0,1,0]
	s_wait_loadcnt 0x0
	s_delay_alu instid0(VALU_DEP_1)
	v_fma_mix_f32 v38, v71, v11, v8 op_sel_hi:[0,1,0]
	s_branch .LBB389_17
.LBB389_26:                             ;   in Loop: Header=BB389_5 Depth=1
	s_or_b32 exec_lo, exec_lo, s9
.LBB389_27:                             ;   in Loop: Header=BB389_5 Depth=1
	s_wait_alu 0xfffe
	s_or_b32 exec_lo, exec_lo, s8
	s_delay_alu instid0(SALU_CYCLE_1)
	s_and_not1_b32 vcc_lo, exec_lo, s50
	s_wait_alu 0xfffe
	s_cbranch_vccnz .LBB389_45
; %bb.28:                               ;   in Loop: Header=BB389_5 Depth=1
	v_cmp_gt_i32_e32 vcc_lo, s37, v39
	v_dual_mov_b32 v40, 0 :: v_dual_mov_b32 v41, 0
	v_or_b32_e32 v8, 1, v39
	v_dual_mov_b32 v42, 0 :: v_dual_mov_b32 v43, 0
	s_and_saveexec_b32 s52, vcc_lo
	s_cbranch_execz .LBB389_36
; %bb.29:                               ;   in Loop: Header=BB389_5 Depth=1
	v_mad_co_u64_u32 v[9:10], null, s20, v39, 0
	s_mul_u64 s[8:9], s[22:23], s[34:35]
	v_dual_mov_b32 v42, 0 :: v_dual_mov_b32 v41, 0
	s_wait_alu 0xfffe
	s_lshl_b64 s[8:9], s[8:9], 1
	v_mov_b32_e32 v40, 0
	s_wait_alu 0xfffe
	s_add_nc_u64 s[8:9], s[26:27], s[8:9]
	v_mad_co_u64_u32 v[10:11], null, s21, v39, v[10:11]
	s_mov_b32 s53, exec_lo
	v_lshlrev_b64_e32 v[9:10], 1, v[9:10]
	s_wait_alu 0xfffe
	s_delay_alu instid0(VALU_DEP_1) | instskip(SKIP_1) | instid1(VALU_DEP_2)
	v_add_co_u32 v9, s7, s8, v9
	s_wait_alu 0xf1ff
	v_add_co_ci_u32_e64 v10, null, s9, v10, s7
	global_load_u16 v9, v[9:10], off
	v_cmpx_gt_i32_e64 s37, v8
	s_cbranch_execz .LBB389_35
; %bb.30:                               ;   in Loop: Header=BB389_5 Depth=1
	v_mad_co_u64_u32 v[10:11], null, s20, v8, 0
	v_dual_mov_b32 v41, 0 :: v_dual_mov_b32 v40, 0
	s_mov_b32 s54, exec_lo
	s_delay_alu instid0(VALU_DEP_2) | instskip(NEXT) | instid1(VALU_DEP_1)
	v_mad_co_u64_u32 v[11:12], null, s21, v8, v[11:12]
	v_lshlrev_b64_e32 v[10:11], 1, v[10:11]
	s_delay_alu instid0(VALU_DEP_1) | instskip(SKIP_1) | instid1(VALU_DEP_2)
	v_add_co_u32 v10, s7, s8, v10
	s_wait_alu 0xf1ff
	v_add_co_ci_u32_e64 v11, null, s9, v11, s7
	global_load_u16 v10, v[10:11], off
	v_or_b32_e32 v11, 2, v39
	s_delay_alu instid0(VALU_DEP_1)
	v_cmpx_gt_i32_e64 s37, v11
	s_cbranch_execz .LBB389_34
; %bb.31:                               ;   in Loop: Header=BB389_5 Depth=1
	v_mad_co_u64_u32 v[12:13], null, s20, v11, 0
	v_mov_b32_e32 v40, 0
	s_mov_b32 s55, exec_lo
	s_delay_alu instid0(VALU_DEP_2) | instskip(NEXT) | instid1(VALU_DEP_1)
	v_mad_co_u64_u32 v[13:14], null, s21, v11, v[13:14]
	v_lshlrev_b64_e32 v[11:12], 1, v[12:13]
	s_delay_alu instid0(VALU_DEP_1) | instskip(SKIP_1) | instid1(VALU_DEP_2)
	v_add_co_u32 v11, s7, s8, v11
	s_wait_alu 0xf1ff
	v_add_co_ci_u32_e64 v12, null, s9, v12, s7
	global_load_u16 v11, v[11:12], off
	v_or_b32_e32 v12, 3, v39
	s_delay_alu instid0(VALU_DEP_1)
	v_cmpx_gt_i32_e64 s37, v12
	s_cbranch_execz .LBB389_33
; %bb.32:                               ;   in Loop: Header=BB389_5 Depth=1
	v_mad_co_u64_u32 v[13:14], null, s20, v12, 0
	s_delay_alu instid0(VALU_DEP_1) | instskip(NEXT) | instid1(VALU_DEP_1)
	v_mad_co_u64_u32 v[14:15], null, s21, v12, v[14:15]
	v_lshlrev_b64_e32 v[12:13], 1, v[13:14]
	s_delay_alu instid0(VALU_DEP_1) | instskip(SKIP_1) | instid1(VALU_DEP_2)
	v_add_co_u32 v12, s7, s8, v12
	s_wait_alu 0xf1ff
	v_add_co_ci_u32_e64 v13, null, s9, v13, s7
	global_load_u16 v12, v[12:13], off
	s_wait_loadcnt 0x0
	v_cvt_f32_f16_e32 v40, v12
.LBB389_33:                             ;   in Loop: Header=BB389_5 Depth=1
	s_wait_alu 0xfffe
	s_or_b32 exec_lo, exec_lo, s55
	s_wait_loadcnt 0x0
	v_cvt_f32_f16_e32 v41, v11
.LBB389_34:                             ;   in Loop: Header=BB389_5 Depth=1
	s_wait_alu 0xfffe
	s_or_b32 exec_lo, exec_lo, s54
	s_wait_loadcnt 0x0
	v_cvt_f32_f16_e32 v42, v10
.LBB389_35:                             ;   in Loop: Header=BB389_5 Depth=1
	s_or_b32 exec_lo, exec_lo, s53
	s_wait_loadcnt 0x0
	v_cvt_f32_f16_e32 v43, v9
.LBB389_36:                             ;   in Loop: Header=BB389_5 Depth=1
	s_wait_alu 0xfffe
	s_or_b32 exec_lo, exec_lo, s52
	s_and_saveexec_b32 s9, s1
	s_cbranch_execz .LBB389_44
; %bb.37:                               ;   in Loop: Header=BB389_5 Depth=1
	v_mad_co_u64_u32 v[9:10], null, s12, v39, 0
	v_mad_co_u64_u32 v[11:12], null, s12, v8, 0
	v_or_b32_e32 v48, 2, v39
	v_or_b32_e32 v49, 3, v39
	s_mul_u64 s[52:53], s[14:15], s[34:35]
	s_wait_alu 0xfffe
	s_lshl_b64 s[52:53], s[52:53], 1
	v_cmp_gt_i32_e64 s7, s37, v48
	s_delay_alu instid0(VALU_DEP_4) | instskip(SKIP_4) | instid1(VALU_DEP_2)
	v_mad_co_u64_u32 v[13:14], null, s13, v39, v[10:11]
	v_mad_co_u64_u32 v[14:15], null, s12, v48, 0
	;; [unrolled: 1-line block ×3, first 2 shown]
	s_wait_alu 0xfffe
	s_add_nc_u64 s[52:53], s[18:19], s[52:53]
	v_dual_cndmask_b32 v10, 0, v13 :: v_dual_mov_b32 v13, v15
	s_delay_alu instid0(VALU_DEP_2) | instskip(NEXT) | instid1(VALU_DEP_2)
	v_mov_b32_e32 v15, v45
	v_mad_co_u64_u32 v[46:47], null, s13, v8, v[12:13]
	v_cndmask_b32_e32 v9, 0, v9, vcc_lo
	v_cmp_gt_i32_e32 vcc_lo, s37, v8
	s_wait_alu 0xfffd
	s_delay_alu instid0(VALU_DEP_3) | instskip(NEXT) | instid1(VALU_DEP_3)
	v_dual_cndmask_b32 v11, 0, v11 :: v_dual_cndmask_b32 v12, 0, v46
	v_lshlrev_b64_e32 v[9:10], 1, v[9:10]
	s_wait_alu 0xfffe
	s_delay_alu instid0(VALU_DEP_1) | instskip(SKIP_1) | instid1(VALU_DEP_2)
	v_add_co_u32 v8, s8, s52, v9
	s_wait_alu 0xf1ff
	v_add_co_ci_u32_e64 v9, null, s53, v10, s8
	v_lshlrev_b64_e32 v[10:11], 1, v[11:12]
	s_delay_alu instid0(VALU_DEP_3) | instskip(SKIP_1) | instid1(VALU_DEP_3)
	v_add_co_u32 v8, vcc_lo, v8, v4
	s_wait_alu 0xfffd
	v_add_co_ci_u32_e64 v9, null, v9, v5, vcc_lo
	v_cmp_gt_i32_e32 vcc_lo, s37, v49
	v_cndmask_b32_e64 v12, 0, v14, s7
	s_wait_alu 0xfffd
	v_cndmask_b32_e32 v44, 0, v44, vcc_lo
	v_mad_co_u64_u32 v[47:48], null, s13, v48, v[13:14]
	v_mad_co_u64_u32 v[14:15], null, s13, v49, v[15:16]
	s_delay_alu instid0(VALU_DEP_2) | instskip(SKIP_1) | instid1(VALU_DEP_3)
	v_cndmask_b32_e64 v13, 0, v47, s7
	v_add_co_u32 v10, s7, s52, v10
	v_cndmask_b32_e32 v45, 0, v14, vcc_lo
	s_wait_alu 0xf1ff
	v_add_co_ci_u32_e64 v11, null, s53, v11, s7
	v_lshlrev_b64_e32 v[12:13], 1, v[12:13]
	v_add_co_u32 v10, vcc_lo, v10, v4
	v_lshlrev_b64_e32 v[14:15], 1, v[44:45]
	s_wait_alu 0xfffd
	v_add_co_ci_u32_e64 v11, null, v11, v5, vcc_lo
	s_delay_alu instid0(VALU_DEP_4)
	v_add_co_u32 v12, vcc_lo, s52, v12
	s_wait_alu 0xfffd
	v_add_co_ci_u32_e64 v13, null, s53, v13, vcc_lo
	v_add_co_u32 v14, vcc_lo, s52, v14
	s_wait_alu 0xfffd
	v_add_co_ci_u32_e64 v15, null, s53, v15, vcc_lo
	;; [unrolled: 3-line block ×4, first 2 shown]
	s_clause 0x3
	global_load_u16 v39, v[8:9], off
	global_load_u16 v44, v[10:11], off
	;; [unrolled: 1-line block ×4, first 2 shown]
	s_and_saveexec_b32 s7, s2
	s_cbranch_execz .LBB389_43
; %bb.38:                               ;   in Loop: Header=BB389_5 Depth=1
	s_clause 0x3
	global_load_u16 v47, v[8:9], off offset:64
	global_load_u16 v48, v[10:11], off offset:64
	global_load_u16 v49, v[12:13], off offset:64
	global_load_u16 v50, v[14:15], off offset:64
	s_and_saveexec_b32 s8, s3
	s_cbranch_execz .LBB389_42
; %bb.39:                               ;   in Loop: Header=BB389_5 Depth=1
	s_clause 0x3
	global_load_u16 v51, v[8:9], off offset:128
	global_load_u16 v52, v[10:11], off offset:128
	global_load_u16 v53, v[12:13], off offset:128
	global_load_u16 v54, v[14:15], off offset:128
	;; [unrolled: 8-line block ×3, first 2 shown]
	s_wait_loadcnt 0x3
	v_fma_mix_f32 v8, v43, v8, v38 op_sel_hi:[0,1,0]
	s_wait_loadcnt 0x2
	s_delay_alu instid0(VALU_DEP_1) | instskip(SKIP_1) | instid1(VALU_DEP_1)
	v_fma_mix_f32 v8, v42, v9, v8 op_sel_hi:[0,1,0]
	s_wait_loadcnt 0x1
	v_fma_mix_f32 v8, v41, v10, v8 op_sel_hi:[0,1,0]
	s_wait_loadcnt 0x0
	s_delay_alu instid0(VALU_DEP_1)
	v_fma_mix_f32 v38, v40, v11, v8 op_sel_hi:[0,1,0]
.LBB389_41:                             ;   in Loop: Header=BB389_5 Depth=1
	s_wait_alu 0xfffe
	s_or_b32 exec_lo, exec_lo, s52
	s_wait_loadcnt 0x3
	v_fma_mix_f32 v8, v43, v51, v37 op_sel_hi:[0,1,0]
	s_wait_loadcnt 0x2
	s_delay_alu instid0(VALU_DEP_1) | instskip(SKIP_1) | instid1(VALU_DEP_1)
	v_fma_mix_f32 v8, v42, v52, v8 op_sel_hi:[0,1,0]
	s_wait_loadcnt 0x1
	v_fma_mix_f32 v8, v41, v53, v8 op_sel_hi:[0,1,0]
	s_wait_loadcnt 0x0
	s_delay_alu instid0(VALU_DEP_1)
	v_fma_mix_f32 v37, v40, v54, v8 op_sel_hi:[0,1,0]
.LBB389_42:                             ;   in Loop: Header=BB389_5 Depth=1
	s_wait_alu 0xfffe
	s_or_b32 exec_lo, exec_lo, s8
	s_wait_loadcnt 0x3
	v_fma_mix_f32 v8, v43, v47, v36 op_sel_hi:[0,1,0]
	s_wait_loadcnt 0x2
	s_delay_alu instid0(VALU_DEP_1) | instskip(SKIP_1) | instid1(VALU_DEP_1)
	v_fma_mix_f32 v8, v42, v48, v8 op_sel_hi:[0,1,0]
	s_wait_loadcnt 0x1
	v_fma_mix_f32 v8, v41, v49, v8 op_sel_hi:[0,1,0]
	s_wait_loadcnt 0x0
	s_delay_alu instid0(VALU_DEP_1)
	v_fma_mix_f32 v36, v40, v50, v8 op_sel_hi:[0,1,0]
.LBB389_43:                             ;   in Loop: Header=BB389_5 Depth=1
	s_wait_alu 0xfffe
	s_or_b32 exec_lo, exec_lo, s7
	s_wait_loadcnt 0x3
	v_fma_mix_f32 v8, v43, v39, v35 op_sel_hi:[0,1,0]
	s_wait_loadcnt 0x2
	s_delay_alu instid0(VALU_DEP_1) | instskip(SKIP_1) | instid1(VALU_DEP_1)
	v_fma_mix_f32 v8, v42, v44, v8 op_sel_hi:[0,1,0]
	s_wait_loadcnt 0x1
	v_fma_mix_f32 v8, v41, v45, v8 op_sel_hi:[0,1,0]
	s_wait_loadcnt 0x0
	s_delay_alu instid0(VALU_DEP_1)
	v_fma_mix_f32 v35, v40, v46, v8 op_sel_hi:[0,1,0]
.LBB389_44:                             ;   in Loop: Header=BB389_5 Depth=1
	s_wait_alu 0xfffe
	s_or_b32 exec_lo, exec_lo, s9
.LBB389_45:                             ;   in Loop: Header=BB389_5 Depth=1
	ds_store_2addr_b32 v17, v35, v36 offset1:32
	ds_store_2addr_b32 v17, v37, v38 offset0:64 offset1:96
	s_wait_dscnt 0x0
	s_barrier_signal -1
	s_barrier_wait -1
	global_inv scope:SCOPE_SE
                                        ; implicit-def: $vgpr10
	s_and_saveexec_b32 s7, s0
	s_cbranch_execz .LBB389_51
; %bb.46:                               ;   in Loop: Header=BB389_5 Depth=1
	ds_load_2addr_stride64_b32 v[8:9], v18 offset1:2
	ds_load_2addr_stride64_b32 v[10:11], v18 offset0:4 offset1:6
	ds_load_2addr_stride64_b32 v[12:13], v18 offset0:8 offset1:10
	s_mov_b32 s9, s51
	s_wait_dscnt 0x2
	v_add_f32_e32 v14, v8, v9
	ds_load_2addr_stride64_b32 v[8:9], v18 offset0:12 offset1:14
	s_wait_dscnt 0x2
	v_add_f32_e32 v10, v10, v14
	s_delay_alu instid0(VALU_DEP_1) | instskip(SKIP_3) | instid1(VALU_DEP_1)
	v_add_f32_e32 v14, v11, v10
	ds_load_2addr_stride64_b32 v[10:11], v18 offset0:16 offset1:18
	s_wait_dscnt 0x2
	v_add_f32_e32 v12, v12, v14
	v_add_f32_e32 v14, v13, v12
	ds_load_2addr_stride64_b32 v[12:13], v18 offset0:20 offset1:22
	s_wait_dscnt 0x2
	v_add_f32_e32 v8, v8, v14
	s_delay_alu instid0(VALU_DEP_1) | instskip(SKIP_1) | instid1(VALU_DEP_1)
	v_add_f32_e32 v8, v9, v8
	s_wait_dscnt 0x1
	v_add_f32_e32 v10, v10, v8
	ds_load_2addr_stride64_b32 v[8:9], v18 offset0:24 offset1:26
	v_add_f32_e32 v10, v11, v10
	s_wait_dscnt 0x1
	s_delay_alu instid0(VALU_DEP_1) | instskip(SKIP_3) | instid1(VALU_DEP_1)
	v_add_f32_e32 v12, v12, v10
	ds_load_2addr_stride64_b32 v[10:11], v18 offset0:28 offset1:30
	v_add_f32_e32 v12, v13, v12
	s_wait_dscnt 0x1
	v_add_f32_e32 v8, v8, v12
	s_delay_alu instid0(VALU_DEP_1) | instskip(SKIP_1) | instid1(VALU_DEP_1)
	v_add_f32_e32 v8, v9, v8
	s_wait_dscnt 0x0
	v_add_f32_e32 v8, v10, v8
                                        ; implicit-def: $vgpr10
	s_delay_alu instid0(VALU_DEP_1)
	v_add_f32_e32 v8, v11, v8
	ds_store_b32 v18, v8
	s_and_saveexec_b32 s8, s6
	s_cbranch_execz .LBB389_50
; %bb.47:                               ;   in Loop: Header=BB389_5 Depth=1
	v_mul_f32_e32 v8, s38, v8
	s_and_not1_b32 vcc_lo, exec_lo, s48
	s_wait_alu 0xfffe
	s_cbranch_vccnz .LBB389_49
; %bb.48:                               ;   in Loop: Header=BB389_5 Depth=1
	v_lshlrev_b64_e32 v[9:10], 1, v[2:3]
	s_delay_alu instid0(VALU_DEP_1) | instskip(SKIP_1) | instid1(VALU_DEP_2)
	v_add_co_u32 v9, vcc_lo, s44, v9
	s_wait_alu 0xfffd
	v_add_co_ci_u32_e64 v10, null, s45, v10, vcc_lo
	global_load_u16 v9, v[9:10], off
	s_wait_loadcnt 0x0
	v_fma_mix_f32 v8, s39, v9, v8 op_sel_hi:[0,1,0]
.LBB389_49:                             ;   in Loop: Header=BB389_5 Depth=1
	s_delay_alu instid0(VALU_DEP_1)
	v_cvt_f16_f32_e32 v10, v8
	s_or_b32 s9, s51, exec_lo
.LBB389_50:                             ;   in Loop: Header=BB389_5 Depth=1
	s_wait_alu 0xfffe
	s_or_b32 exec_lo, exec_lo, s8
	s_delay_alu instid0(SALU_CYCLE_1)
	s_and_not1_b32 s8, s51, exec_lo
	s_and_b32 s9, s9, exec_lo
	s_wait_alu 0xfffe
	s_or_b32 s51, s8, s9
.LBB389_51:                             ;   in Loop: Header=BB389_5 Depth=1
	s_wait_alu 0xfffe
	s_or_b32 exec_lo, exec_lo, s7
	v_dual_mov_b32 v9, v3 :: v_dual_mov_b32 v8, v2
	s_and_saveexec_b32 s7, s51
	s_cbranch_execz .LBB389_3
.LBB389_52:                             ;   in Loop: Header=BB389_5 Depth=1
	s_delay_alu instid0(VALU_DEP_1) | instskip(SKIP_1) | instid1(VALU_DEP_1)
	v_lshlrev_b64_e32 v[8:9], 1, v[8:9]
	s_wait_alu 0xfffe
	v_add_co_u32 v8, vcc_lo, s44, v8
	s_wait_alu 0xfffd
	s_delay_alu instid0(VALU_DEP_2)
	v_add_co_ci_u32_e64 v9, null, s45, v9, vcc_lo
	global_store_b16 v[8:9], v10, off
	s_branch .LBB389_3
.LBB389_53:
	s_endpgm
	.section	.rodata,"a",@progbits
	.p2align	6, 0x0
	.amdhsa_kernel _ZL20rocblas_gemvn_kernelILi32ELi16ElDF16_fDF16_EviiT3_lPKT2_lT1_lS3_lS4_lS0_lPT4_lS4_li
		.amdhsa_group_segment_fixed_size 8192
		.amdhsa_private_segment_fixed_size 0
		.amdhsa_kernarg_size 400
		.amdhsa_user_sgpr_count 2
		.amdhsa_user_sgpr_dispatch_ptr 0
		.amdhsa_user_sgpr_queue_ptr 0
		.amdhsa_user_sgpr_kernarg_segment_ptr 1
		.amdhsa_user_sgpr_dispatch_id 0
		.amdhsa_user_sgpr_private_segment_size 0
		.amdhsa_wavefront_size32 1
		.amdhsa_uses_dynamic_stack 0
		.amdhsa_enable_private_segment 0
		.amdhsa_system_sgpr_workgroup_id_x 1
		.amdhsa_system_sgpr_workgroup_id_y 0
		.amdhsa_system_sgpr_workgroup_id_z 1
		.amdhsa_system_sgpr_workgroup_info 0
		.amdhsa_system_vgpr_workitem_id 1
		.amdhsa_next_free_vgpr 76
		.amdhsa_next_free_sgpr 56
		.amdhsa_reserve_vcc 1
		.amdhsa_float_round_mode_32 0
		.amdhsa_float_round_mode_16_64 0
		.amdhsa_float_denorm_mode_32 3
		.amdhsa_float_denorm_mode_16_64 3
		.amdhsa_fp16_overflow 0
		.amdhsa_workgroup_processor_mode 1
		.amdhsa_memory_ordered 1
		.amdhsa_forward_progress 1
		.amdhsa_inst_pref_size 32
		.amdhsa_round_robin_scheduling 0
		.amdhsa_exception_fp_ieee_invalid_op 0
		.amdhsa_exception_fp_denorm_src 0
		.amdhsa_exception_fp_ieee_div_zero 0
		.amdhsa_exception_fp_ieee_overflow 0
		.amdhsa_exception_fp_ieee_underflow 0
		.amdhsa_exception_fp_ieee_inexact 0
		.amdhsa_exception_int_div_zero 0
	.end_amdhsa_kernel
	.section	.text._ZL20rocblas_gemvn_kernelILi32ELi16ElDF16_fDF16_EviiT3_lPKT2_lT1_lS3_lS4_lS0_lPT4_lS4_li,"axG",@progbits,_ZL20rocblas_gemvn_kernelILi32ELi16ElDF16_fDF16_EviiT3_lPKT2_lT1_lS3_lS4_lS0_lPT4_lS4_li,comdat
.Lfunc_end389:
	.size	_ZL20rocblas_gemvn_kernelILi32ELi16ElDF16_fDF16_EviiT3_lPKT2_lT1_lS3_lS4_lS0_lPT4_lS4_li, .Lfunc_end389-_ZL20rocblas_gemvn_kernelILi32ELi16ElDF16_fDF16_EviiT3_lPKT2_lT1_lS3_lS4_lS0_lPT4_lS4_li
                                        ; -- End function
	.set _ZL20rocblas_gemvn_kernelILi32ELi16ElDF16_fDF16_EviiT3_lPKT2_lT1_lS3_lS4_lS0_lPT4_lS4_li.num_vgpr, 76
	.set _ZL20rocblas_gemvn_kernelILi32ELi16ElDF16_fDF16_EviiT3_lPKT2_lT1_lS3_lS4_lS0_lPT4_lS4_li.num_agpr, 0
	.set _ZL20rocblas_gemvn_kernelILi32ELi16ElDF16_fDF16_EviiT3_lPKT2_lT1_lS3_lS4_lS0_lPT4_lS4_li.numbered_sgpr, 56
	.set _ZL20rocblas_gemvn_kernelILi32ELi16ElDF16_fDF16_EviiT3_lPKT2_lT1_lS3_lS4_lS0_lPT4_lS4_li.num_named_barrier, 0
	.set _ZL20rocblas_gemvn_kernelILi32ELi16ElDF16_fDF16_EviiT3_lPKT2_lT1_lS3_lS4_lS0_lPT4_lS4_li.private_seg_size, 0
	.set _ZL20rocblas_gemvn_kernelILi32ELi16ElDF16_fDF16_EviiT3_lPKT2_lT1_lS3_lS4_lS0_lPT4_lS4_li.uses_vcc, 1
	.set _ZL20rocblas_gemvn_kernelILi32ELi16ElDF16_fDF16_EviiT3_lPKT2_lT1_lS3_lS4_lS0_lPT4_lS4_li.uses_flat_scratch, 0
	.set _ZL20rocblas_gemvn_kernelILi32ELi16ElDF16_fDF16_EviiT3_lPKT2_lT1_lS3_lS4_lS0_lPT4_lS4_li.has_dyn_sized_stack, 0
	.set _ZL20rocblas_gemvn_kernelILi32ELi16ElDF16_fDF16_EviiT3_lPKT2_lT1_lS3_lS4_lS0_lPT4_lS4_li.has_recursion, 0
	.set _ZL20rocblas_gemvn_kernelILi32ELi16ElDF16_fDF16_EviiT3_lPKT2_lT1_lS3_lS4_lS0_lPT4_lS4_li.has_indirect_call, 0
	.section	.AMDGPU.csdata,"",@progbits
; Kernel info:
; codeLenInByte = 4012
; TotalNumSgprs: 58
; NumVgprs: 76
; ScratchSize: 0
; MemoryBound: 0
; FloatMode: 240
; IeeeMode: 1
; LDSByteSize: 8192 bytes/workgroup (compile time only)
; SGPRBlocks: 0
; VGPRBlocks: 9
; NumSGPRsForWavesPerEU: 58
; NumVGPRsForWavesPerEU: 76
; Occupancy: 16
; WaveLimiterHint : 1
; COMPUTE_PGM_RSRC2:SCRATCH_EN: 0
; COMPUTE_PGM_RSRC2:USER_SGPR: 2
; COMPUTE_PGM_RSRC2:TRAP_HANDLER: 0
; COMPUTE_PGM_RSRC2:TGID_X_EN: 1
; COMPUTE_PGM_RSRC2:TGID_Y_EN: 0
; COMPUTE_PGM_RSRC2:TGID_Z_EN: 1
; COMPUTE_PGM_RSRC2:TIDIG_COMP_CNT: 1
	.section	.text._ZL20rocblas_gemvn_kernelILi64ELi16EiDF16_PKfDF16_EviiT3_lPKT2_lT1_lS5_lS6_lS2_lPT4_lS6_li,"axG",@progbits,_ZL20rocblas_gemvn_kernelILi64ELi16EiDF16_PKfDF16_EviiT3_lPKT2_lT1_lS5_lS6_lS2_lPT4_lS6_li,comdat
	.globl	_ZL20rocblas_gemvn_kernelILi64ELi16EiDF16_PKfDF16_EviiT3_lPKT2_lT1_lS5_lS6_lS2_lPT4_lS6_li ; -- Begin function _ZL20rocblas_gemvn_kernelILi64ELi16EiDF16_PKfDF16_EviiT3_lPKT2_lT1_lS5_lS6_lS2_lPT4_lS6_li
	.p2align	8
	.type	_ZL20rocblas_gemvn_kernelILi64ELi16EiDF16_PKfDF16_EviiT3_lPKT2_lT1_lS5_lS6_lS2_lPT4_lS6_li,@function
_ZL20rocblas_gemvn_kernelILi64ELi16EiDF16_PKfDF16_EviiT3_lPKT2_lT1_lS5_lS6_lS2_lPT4_lS6_li: ; @_ZL20rocblas_gemvn_kernelILi64ELi16EiDF16_PKfDF16_EviiT3_lPKT2_lT1_lS5_lS6_lS2_lPT4_lS6_li
; %bb.0:
	s_load_b64 s[2:3], s[0:1], 0x9c
	s_wait_kmcnt 0x0
	s_lshr_b32 s4, s2, 16
	s_and_b32 s2, s2, 0xffff
	s_and_b32 s3, s3, 0xffff
	s_mul_i32 s2, s4, s2
	s_delay_alu instid0(SALU_CYCLE_1) | instskip(NEXT) | instid1(SALU_CYCLE_1)
	s_mul_i32 s2, s2, s3
	s_cmp_lg_u32 s2, 0x400
	s_cbranch_scc1 .LBB390_53
; %bb.1:
	s_load_b32 s31, s[0:1], 0x88
	s_lshr_b32 s34, ttmp7, 16
	s_wait_kmcnt 0x0
	s_cmp_ge_u32 s34, s31
	s_cbranch_scc1 .LBB390_53
; %bb.2:
	s_clause 0x3
	s_load_b96 s[4:6], s[0:1], 0x70
	s_load_b256 s[8:15], s[0:1], 0x8
	s_load_b96 s[28:30], s[0:1], 0x40
	s_load_b64 s[36:37], s[0:1], 0x0
	v_and_b32_e32 v9, 0x3ff, v0
	v_bfe_u32 v8, v0, 10, 10
	s_clause 0x2
	s_load_b32 s33, s[0:1], 0x28
	s_load_b128 s[24:27], s[0:1], 0x30
	s_load_b256 s[16:23], s[0:1], 0x50
	s_lshl_b32 s42, ttmp9, 8
	v_mov_b32_e32 v1, 0
	v_add_nc_u32_e32 v19, s42, v9
	v_lshl_add_u32 v5, v8, 6, v9
	v_lshlrev_b32_e32 v20, 2, v8
	s_load_b64 s[38:39], s[0:1], 0x80
	s_mov_b32 s35, 0
	v_add_nc_u32_e32 v7, 0x80, v19
	v_add_nc_u32_e32 v0, s42, v5
	v_or_b32_e32 v11, s42, v5
	v_add_nc_u32_e32 v6, 64, v19
	v_add_nc_u32_e32 v10, 0xc0, v19
	v_or_b32_e32 v12, 3, v20
	s_wait_kmcnt 0x0
	v_mad_co_u64_u32 v[2:3], null, s6, v0, 0
	s_lshl_b64 s[2:3], s[14:15], 1
	s_ashr_i32 s1, s6, 31
	s_ashr_i32 s7, s37, 31
	s_add_nc_u64 s[12:13], s[12:13], s[2:3]
	v_cmp_gt_i32_e64 s3, s36, v7
	v_mul_lo_u32 v7, s33, v20
	s_lshl_b64 s[4:5], s[4:5], 1
	s_wait_alu 0xfffe
	s_lshr_b32 s2, s7, 26
	v_mad_co_u64_u32 v[3:4], null, s1, v0, v[3:4]
	v_mul_lo_u32 v4, s6, v11
	v_cmp_gt_i32_e64 s6, s36, v11
	v_mul_lo_u32 v11, v8, s33
	s_add_co_i32 s43, s37, s2
	s_add_nc_u64 s[22:23], s[22:23], s[4:5]
	v_cmp_gt_i32_e64 s2, s36, v6
	v_cmp_gt_i32_e64 s4, s36, v10
	v_lshlrev_b32_e32 v6, 2, v9
	v_or_b32_e32 v10, 2, v20
	v_mul_lo_u32 v13, v8, s30
	s_lshl_b64 s[14:15], s[28:29], 1
	s_ashr_i32 s29, s36, 31
	s_mov_b32 s28, s36
	s_wait_alu 0xfffe
	s_and_not1_b32 s43, s43, 63
	s_add_nc_u64 s[14:15], s[26:27], s[14:15]
	v_cmp_gt_i64_e32 vcc_lo, s[28:29], v[0:1]
	v_lshl_add_u32 v0, v8, 10, v6
	v_lshl_add_u32 v21, v8, 8, v6
	v_add3_u32 v22, v7, s33, v9
	v_mad_co_u64_u32 v[6:7], null, s33, v10, v[9:10]
	s_mov_b32 s26, s30
	s_wait_alu 0xfffe
	s_sub_co_i32 s5, s37, s43
	v_mad_co_u64_u32 v[7:8], null, s33, v12, v[9:10]
	v_lshl_add_u32 v23, v11, 2, v9
	v_mad_co_u64_u32 v[8:9], null, s30, v20, s[26:27]
	v_mul_lo_u32 v24, s30, v10
	v_mul_lo_u32 v25, s30, v12
	s_cmp_gt_i32 s5, 0
	v_cmp_gt_u32_e64 s5, 0x100, v5
	v_lshlrev_b64_e32 v[9:10], 1, v[2:3]
	v_cmp_gt_i32_e64 s0, s36, v19
	v_cmp_gt_i32_e64 s1, s43, v20
	v_ashrrev_i32_e32 v5, 31, v4
	v_lshlrev_b32_e32 v26, 2, v13
	s_cselect_b32 s36, -1, 0
	s_and_b32 s44, s5, vcc_lo
	s_lshl_b32 s45, s33, 6
	s_lshl_b32 s46, s30, 6
	s_branch .LBB390_5
.LBB390_3:                              ;   in Loop: Header=BB390_5 Depth=1
	s_wait_alu 0xfffe
	s_or_b32 exec_lo, exec_lo, s7
.LBB390_4:                              ;   in Loop: Header=BB390_5 Depth=1
	s_add_co_i32 s34, s34, 0x10000
	s_delay_alu instid0(SALU_CYCLE_1)
	s_cmp_lt_u32 s34, s31
	s_cbranch_scc0 .LBB390_53
.LBB390_5:                              ; =>This Loop Header: Depth=1
                                        ;     Child Loop BB390_21 Depth 2
	s_mul_u64 s[26:27], s[10:11], s[34:35]
	s_mul_u64 s[28:29], s[20:21], s[34:35]
	s_wait_alu 0xfffe
	s_lshl_b64 s[26:27], s[26:27], 2
	s_lshl_b64 s[28:29], s[28:29], 2
	s_wait_alu 0xfffe
	s_add_nc_u64 s[26:27], s[8:9], s[26:27]
	s_add_nc_u64 s[28:29], s[18:19], s[28:29]
	s_clause 0x1
	global_load_b32 v27, v1, s[26:27]
	global_load_b32 v11, v1, s[28:29]
	s_wait_loadcnt 0x1
	v_cmp_eq_f32_e32 vcc_lo, 0, v27
	s_wait_loadcnt 0x0
	v_cmp_eq_f32_e64 s7, 1.0, v11
	v_readfirstlane_b32 s48, v11
	s_and_b32 s7, vcc_lo, s7
	s_wait_alu 0xfffe
	s_and_b32 vcc_lo, exec_lo, s7
	s_wait_alu 0xfffe
	s_cbranch_vccnz .LBB390_4
; %bb.6:                                ;   in Loop: Header=BB390_5 Depth=1
	v_cmp_neq_f32_e32 vcc_lo, 0, v27
	s_mul_u64 s[26:27], s[38:39], s[34:35]
	s_wait_alu 0xfffe
	s_lshl_b64 s[26:27], s[26:27], 1
	s_wait_alu 0xfffe
	s_add_nc_u64 s[26:27], s[22:23], s[26:27]
	s_cbranch_vccnz .LBB390_10
; %bb.7:                                ;   in Loop: Header=BB390_5 Depth=1
	s_mov_b32 s7, 0
	s_mov_b32 s47, 0
                                        ; implicit-def: $vgpr13
	s_and_saveexec_b32 s28, s44
	s_cbranch_execz .LBB390_11
; %bb.8:                                ;   in Loop: Header=BB390_5 Depth=1
	s_cmp_eq_f32 s48, 0
	s_cbranch_scc1 .LBB390_13
; %bb.9:                                ;   in Loop: Header=BB390_5 Depth=1
	s_wait_alu 0xfffe
	v_add_co_u32 v11, vcc_lo, s26, v9
	s_wait_alu 0xfffd
	v_add_co_ci_u32_e64 v12, null, s27, v10, vcc_lo
	global_load_u16 v11, v[11:12], off
	s_wait_loadcnt 0x0
	v_fma_mixlo_f16 v13, s48, v11, 0 op_sel_hi:[0,1,0]
	s_branch .LBB390_14
.LBB390_10:                             ;   in Loop: Header=BB390_5 Depth=1
	s_mov_b32 s47, 0
                                        ; implicit-def: $vgpr13
	s_cbranch_execz .LBB390_12
	s_branch .LBB390_15
.LBB390_11:                             ;   in Loop: Header=BB390_5 Depth=1
	s_wait_alu 0xfffe
	s_or_b32 exec_lo, exec_lo, s28
	s_delay_alu instid0(SALU_CYCLE_1)
	s_and_b32 vcc_lo, exec_lo, s7
	s_wait_alu 0xfffe
	s_cbranch_vccnz .LBB390_15
.LBB390_12:                             ;   in Loop: Header=BB390_5 Depth=1
	v_dual_mov_b32 v12, v3 :: v_dual_mov_b32 v11, v2
	s_and_saveexec_b32 s7, s47
	s_cbranch_execz .LBB390_3
	s_branch .LBB390_52
.LBB390_13:                             ;   in Loop: Header=BB390_5 Depth=1
	v_mov_b32_e32 v13, 0
.LBB390_14:                             ;   in Loop: Header=BB390_5 Depth=1
	s_mov_b32 s47, exec_lo
	s_wait_alu 0xfffe
	s_or_b32 exec_lo, exec_lo, s28
	s_delay_alu instid0(SALU_CYCLE_1)
	s_and_b32 vcc_lo, exec_lo, s7
	s_wait_alu 0xfffe
	s_cbranch_vccz .LBB390_12
.LBB390_15:                             ;   in Loop: Header=BB390_5 Depth=1
	s_mul_u64 s[28:29], s[24:25], s[34:35]
	s_mul_u64 s[40:41], s[16:17], s[34:35]
	v_dual_mov_b32 v28, 0 :: v_dual_mov_b32 v29, 0
	v_dual_mov_b32 v32, v20 :: v_dual_mov_b32 v31, 0
	v_mov_b32_e32 v30, 0
	s_wait_alu 0xfffe
	s_lshl_b64 s[28:29], s[28:29], 1
	s_lshl_b64 s[40:41], s[40:41], 1
	s_wait_alu 0xfffe
	s_add_nc_u64 s[28:29], s[12:13], s[28:29]
	s_add_nc_u64 s[40:41], s[14:15], s[40:41]
	s_and_saveexec_b32 s7, s1
	s_cbranch_execz .LBB390_27
; %bb.16:                               ;   in Loop: Header=BB390_5 Depth=1
	v_dual_mov_b32 v28, 0 :: v_dual_mov_b32 v33, v23
	v_dual_mov_b32 v34, v7 :: v_dual_mov_b32 v35, v6
	;; [unrolled: 1-line block ×4, first 2 shown]
	v_mov_b32_e32 v30, 0
	s_mov_b32 s49, 0
	s_mov_b32 s50, 0
	s_branch .LBB390_21
.LBB390_17:                             ;   in Loop: Header=BB390_21 Depth=2
	s_or_b32 exec_lo, exec_lo, s54
	s_wait_loadcnt 0x3
	v_fma_mix_f32 v11, v49, v53, v30 op_sel_hi:[0,1,0]
	s_wait_loadcnt 0x2
	s_delay_alu instid0(VALU_DEP_1) | instskip(SKIP_1) | instid1(VALU_DEP_1)
	v_fma_mix_f32 v11, v50, v54, v11 op_sel_hi:[0,1,0]
	s_wait_loadcnt 0x1
	v_fma_mix_f32 v11, v51, v55, v11 op_sel_hi:[0,1,0]
	s_wait_loadcnt 0x0
	s_delay_alu instid0(VALU_DEP_1)
	v_fma_mix_f32 v30, v52, v56, v11 op_sel_hi:[0,1,0]
.LBB390_18:                             ;   in Loop: Header=BB390_21 Depth=2
	s_or_b32 exec_lo, exec_lo, s53
	s_wait_loadcnt 0x3
	v_fma_mix_f32 v11, v49, v45, v29 op_sel_hi:[0,1,0]
	s_wait_loadcnt 0x2
	s_delay_alu instid0(VALU_DEP_1) | instskip(SKIP_1) | instid1(VALU_DEP_1)
	v_fma_mix_f32 v11, v50, v46, v11 op_sel_hi:[0,1,0]
	s_wait_loadcnt 0x1
	v_fma_mix_f32 v11, v51, v47, v11 op_sel_hi:[0,1,0]
	s_wait_loadcnt 0x0
	s_delay_alu instid0(VALU_DEP_1)
	v_fma_mix_f32 v29, v52, v48, v11 op_sel_hi:[0,1,0]
.LBB390_19:                             ;   in Loop: Header=BB390_21 Depth=2
	s_or_b32 exec_lo, exec_lo, s52
	s_wait_loadcnt 0x3
	v_fma_mix_f32 v11, v37, v41, v28 op_sel_hi:[1,1,0]
	s_wait_loadcnt 0x2
	s_delay_alu instid0(VALU_DEP_1) | instskip(SKIP_1) | instid1(VALU_DEP_1)
	v_fma_mix_f32 v11, v38, v42, v11 op_sel_hi:[1,1,0]
	s_wait_loadcnt 0x1
	v_fma_mix_f32 v11, v39, v43, v11 op_sel_hi:[1,1,0]
	s_wait_loadcnt 0x0
	s_delay_alu instid0(VALU_DEP_1)
	v_fma_mix_f32 v28, v40, v44, v11 op_sel_hi:[1,1,0]
.LBB390_20:                             ;   in Loop: Header=BB390_21 Depth=2
	s_wait_alu 0xfffe
	s_or_b32 exec_lo, exec_lo, s51
	v_add_nc_u32_e32 v32, 64, v32
	v_add_nc_u32_e32 v36, s45, v36
	;; [unrolled: 1-line block ×5, first 2 shown]
	v_cmp_le_i32_e32 vcc_lo, s43, v32
	s_add_co_i32 s50, s50, s46
	s_or_b32 s49, vcc_lo, s49
	s_wait_alu 0xfffe
	s_and_not1_b32 exec_lo, exec_lo, s49
	s_cbranch_execz .LBB390_26
.LBB390_21:                             ;   Parent Loop BB390_5 Depth=1
                                        ; =>  This Inner Loop Header: Depth=2
	s_and_saveexec_b32 s51, s0
	s_cbranch_execz .LBB390_20
; %bb.22:                               ;   in Loop: Header=BB390_21 Depth=2
	s_wait_alu 0xfffe
	v_add_nc_u32_e32 v11, s50, v26
	v_add_nc_u32_e32 v13, s50, v8
	;; [unrolled: 1-line block ×5, first 2 shown]
	v_ashrrev_i32_e32 v12, 31, v11
	v_ashrrev_i32_e32 v14, 31, v13
	;; [unrolled: 1-line block ×5, first 2 shown]
	v_lshlrev_b64_e32 v[11:12], 1, v[11:12]
	v_lshlrev_b64_e32 v[13:14], 1, v[13:14]
	;; [unrolled: 1-line block ×3, first 2 shown]
	s_delay_alu instid0(VALU_DEP_3) | instskip(SKIP_1) | instid1(VALU_DEP_4)
	v_add_co_u32 v39, vcc_lo, s40, v11
	s_wait_alu 0xfffd
	v_add_co_ci_u32_e64 v40, null, s41, v12, vcc_lo
	s_delay_alu instid0(VALU_DEP_4)
	v_add_co_u32 v41, vcc_lo, s40, v13
	v_add_nc_u32_e32 v13, s42, v36
	s_wait_alu 0xfffd
	v_add_co_ci_u32_e64 v42, null, s41, v14, vcc_lo
	v_lshlrev_b64_e32 v[11:12], 1, v[17:18]
	v_add_co_u32 v43, vcc_lo, s40, v15
	v_add_nc_u32_e32 v17, s42, v35
	s_wait_alu 0xfffd
	v_add_co_ci_u32_e64 v44, null, s41, v16, vcc_lo
	v_lshlrev_b64_e32 v[15:16], 1, v[37:38]
	v_add_nc_u32_e32 v37, s42, v34
	v_ashrrev_i32_e32 v14, 31, v13
	v_ashrrev_i32_e32 v18, 31, v17
	v_add_co_u32 v45, vcc_lo, s40, v11
	s_delay_alu instid0(VALU_DEP_4)
	v_ashrrev_i32_e32 v38, 31, v37
	s_wait_alu 0xfffd
	v_add_co_ci_u32_e64 v46, null, s41, v12, vcc_lo
	v_lshlrev_b64_e32 v[13:14], 1, v[13:14]
	v_add_co_u32 v11, vcc_lo, s28, v15
	s_wait_alu 0xfffd
	v_add_co_ci_u32_e64 v12, null, s29, v16, vcc_lo
	v_lshlrev_b64_e32 v[15:16], 1, v[17:18]
	v_lshlrev_b64_e32 v[17:18], 1, v[37:38]
	v_add_co_u32 v13, vcc_lo, s28, v13
	s_wait_alu 0xfffd
	v_add_co_ci_u32_e64 v14, null, s29, v14, vcc_lo
	s_delay_alu instid0(VALU_DEP_4)
	v_add_co_u32 v15, vcc_lo, s28, v15
	s_wait_alu 0xfffd
	v_add_co_ci_u32_e64 v16, null, s29, v16, vcc_lo
	v_add_co_u32 v17, vcc_lo, s28, v17
	s_wait_alu 0xfffd
	v_add_co_ci_u32_e64 v18, null, s29, v18, vcc_lo
	s_clause 0x3
	global_load_u16 v37, v[39:40], off
	global_load_u16 v38, v[41:42], off
	;; [unrolled: 1-line block ×4, first 2 shown]
	s_clause 0x3
	global_load_u16 v41, v[11:12], off
	global_load_u16 v42, v[13:14], off
	;; [unrolled: 1-line block ×4, first 2 shown]
	s_and_saveexec_b32 s52, s2
	s_cbranch_execz .LBB390_19
; %bb.23:                               ;   in Loop: Header=BB390_21 Depth=2
	s_clause 0x3
	global_load_u16 v45, v[11:12], off offset:128
	global_load_u16 v46, v[13:14], off offset:128
	;; [unrolled: 1-line block ×4, first 2 shown]
	s_wait_loadcnt 0xb
	v_cvt_f32_f16_e32 v49, v37
	s_wait_loadcnt 0xa
	v_cvt_f32_f16_e32 v50, v38
	;; [unrolled: 2-line block ×4, first 2 shown]
	s_and_saveexec_b32 s53, s3
	s_cbranch_execz .LBB390_18
; %bb.24:                               ;   in Loop: Header=BB390_21 Depth=2
	s_clause 0x3
	global_load_u16 v53, v[11:12], off offset:256
	global_load_u16 v54, v[13:14], off offset:256
	;; [unrolled: 1-line block ×4, first 2 shown]
	s_and_saveexec_b32 s54, s4
	s_cbranch_execz .LBB390_17
; %bb.25:                               ;   in Loop: Header=BB390_21 Depth=2
	s_clause 0x3
	global_load_u16 v11, v[11:12], off offset:384
	global_load_u16 v12, v[13:14], off offset:384
	;; [unrolled: 1-line block ×4, first 2 shown]
	s_wait_loadcnt 0x3
	v_fma_mix_f32 v11, v49, v11, v31 op_sel_hi:[0,1,0]
	s_wait_loadcnt 0x2
	s_delay_alu instid0(VALU_DEP_1) | instskip(SKIP_1) | instid1(VALU_DEP_1)
	v_fma_mix_f32 v11, v50, v12, v11 op_sel_hi:[0,1,0]
	s_wait_loadcnt 0x1
	v_fma_mix_f32 v11, v51, v13, v11 op_sel_hi:[0,1,0]
	s_wait_loadcnt 0x0
	s_delay_alu instid0(VALU_DEP_1)
	v_fma_mix_f32 v31, v52, v14, v11 op_sel_hi:[0,1,0]
	s_branch .LBB390_17
.LBB390_26:                             ;   in Loop: Header=BB390_5 Depth=1
	s_or_b32 exec_lo, exec_lo, s49
.LBB390_27:                             ;   in Loop: Header=BB390_5 Depth=1
	s_wait_alu 0xfffe
	s_or_b32 exec_lo, exec_lo, s7
	s_delay_alu instid0(SALU_CYCLE_1)
	s_and_not1_b32 vcc_lo, exec_lo, s36
	s_wait_alu 0xfffe
	s_cbranch_vccnz .LBB390_45
; %bb.28:                               ;   in Loop: Header=BB390_5 Depth=1
	v_cmp_gt_i32_e32 vcc_lo, s37, v32
	v_dual_mov_b32 v33, 0 :: v_dual_mov_b32 v34, 0
	v_or_b32_e32 v11, 1, v32
	v_dual_mov_b32 v35, 0 :: v_dual_mov_b32 v36, 0
	s_and_saveexec_b32 s49, vcc_lo
	s_cbranch_execz .LBB390_36
; %bb.29:                               ;   in Loop: Header=BB390_5 Depth=1
	v_mul_lo_u32 v12, v32, s30
	v_dual_mov_b32 v35, 0 :: v_dual_mov_b32 v34, 0
	v_mov_b32_e32 v33, 0
	s_mov_b32 s50, exec_lo
	s_delay_alu instid0(VALU_DEP_3) | instskip(NEXT) | instid1(VALU_DEP_1)
	v_ashrrev_i32_e32 v13, 31, v12
	v_lshlrev_b64_e32 v[12:13], 1, v[12:13]
	s_delay_alu instid0(VALU_DEP_1) | instskip(SKIP_1) | instid1(VALU_DEP_2)
	v_add_co_u32 v12, s7, s40, v12
	s_wait_alu 0xf1ff
	v_add_co_ci_u32_e64 v13, null, s41, v13, s7
	global_load_u16 v12, v[12:13], off
	v_cmpx_gt_i32_e64 s37, v11
	s_cbranch_execz .LBB390_35
; %bb.30:                               ;   in Loop: Header=BB390_5 Depth=1
	v_mul_lo_u32 v13, v11, s30
	v_dual_mov_b32 v34, 0 :: v_dual_mov_b32 v33, 0
	s_mov_b32 s51, exec_lo
	s_delay_alu instid0(VALU_DEP_2) | instskip(NEXT) | instid1(VALU_DEP_1)
	v_ashrrev_i32_e32 v14, 31, v13
	v_lshlrev_b64_e32 v[13:14], 1, v[13:14]
	s_delay_alu instid0(VALU_DEP_1) | instskip(SKIP_1) | instid1(VALU_DEP_2)
	v_add_co_u32 v13, s7, s40, v13
	s_wait_alu 0xf1ff
	v_add_co_ci_u32_e64 v14, null, s41, v14, s7
	global_load_u16 v13, v[13:14], off
	v_or_b32_e32 v14, 2, v32
	s_delay_alu instid0(VALU_DEP_1)
	v_cmpx_gt_i32_e64 s37, v14
	s_cbranch_execz .LBB390_34
; %bb.31:                               ;   in Loop: Header=BB390_5 Depth=1
	v_mul_lo_u32 v14, v14, s30
	v_mov_b32_e32 v33, 0
	s_mov_b32 s52, exec_lo
	s_delay_alu instid0(VALU_DEP_2) | instskip(NEXT) | instid1(VALU_DEP_1)
	v_ashrrev_i32_e32 v15, 31, v14
	v_lshlrev_b64_e32 v[14:15], 1, v[14:15]
	s_delay_alu instid0(VALU_DEP_1) | instskip(SKIP_1) | instid1(VALU_DEP_2)
	v_add_co_u32 v14, s7, s40, v14
	s_wait_alu 0xf1ff
	v_add_co_ci_u32_e64 v15, null, s41, v15, s7
	global_load_u16 v14, v[14:15], off
	v_or_b32_e32 v15, 3, v32
	s_delay_alu instid0(VALU_DEP_1)
	v_cmpx_gt_i32_e64 s37, v15
	s_cbranch_execz .LBB390_33
; %bb.32:                               ;   in Loop: Header=BB390_5 Depth=1
	v_mul_lo_u32 v15, v15, s30
	s_delay_alu instid0(VALU_DEP_1) | instskip(NEXT) | instid1(VALU_DEP_1)
	v_ashrrev_i32_e32 v16, 31, v15
	v_lshlrev_b64_e32 v[15:16], 1, v[15:16]
	s_delay_alu instid0(VALU_DEP_1) | instskip(SKIP_1) | instid1(VALU_DEP_2)
	v_add_co_u32 v15, s7, s40, v15
	s_wait_alu 0xf1ff
	v_add_co_ci_u32_e64 v16, null, s41, v16, s7
	global_load_u16 v15, v[15:16], off
	s_wait_loadcnt 0x0
	v_cvt_f32_f16_e32 v33, v15
.LBB390_33:                             ;   in Loop: Header=BB390_5 Depth=1
	s_or_b32 exec_lo, exec_lo, s52
	s_wait_loadcnt 0x0
	v_cvt_f32_f16_e32 v34, v14
.LBB390_34:                             ;   in Loop: Header=BB390_5 Depth=1
	s_wait_alu 0xfffe
	s_or_b32 exec_lo, exec_lo, s51
	s_wait_loadcnt 0x0
	v_cvt_f32_f16_e32 v35, v13
.LBB390_35:                             ;   in Loop: Header=BB390_5 Depth=1
	s_wait_alu 0xfffe
	s_or_b32 exec_lo, exec_lo, s50
	s_wait_loadcnt 0x0
	v_cvt_f32_f16_e32 v36, v12
.LBB390_36:                             ;   in Loop: Header=BB390_5 Depth=1
	s_wait_alu 0xfffe
	s_or_b32 exec_lo, exec_lo, s49
	s_and_saveexec_b32 s7, s0
	s_cbranch_execz .LBB390_44
; %bb.37:                               ;   in Loop: Header=BB390_5 Depth=1
	v_mul_lo_u32 v13, v32, s33
	v_or_b32_e32 v12, 2, v32
	v_mul_lo_u32 v15, v11, s33
	v_or_b32_e32 v14, 3, v32
	s_delay_alu instid0(VALU_DEP_3) | instskip(NEXT) | instid1(VALU_DEP_2)
	v_mul_lo_u32 v16, v12, s33
	v_mul_lo_u32 v17, v14, s33
	v_cndmask_b32_e32 v13, 0, v13, vcc_lo
	v_cmp_gt_i32_e32 vcc_lo, s37, v11
	s_wait_alu 0xfffd
	v_cndmask_b32_e32 v15, 0, v15, vcc_lo
	v_cmp_gt_i32_e32 vcc_lo, s37, v12
	s_wait_alu 0xfffd
	;; [unrolled: 3-line block ×3, first 2 shown]
	v_dual_cndmask_b32 v14, 0, v17 :: v_dual_add_nc_u32 v11, v13, v19
	v_add_nc_u32_e32 v13, v15, v19
	v_add_nc_u32_e32 v15, v12, v19
	s_delay_alu instid0(VALU_DEP_3) | instskip(NEXT) | instid1(VALU_DEP_4)
	v_ashrrev_i32_e32 v12, 31, v11
	v_add_nc_u32_e32 v17, v14, v19
	s_delay_alu instid0(VALU_DEP_4) | instskip(NEXT) | instid1(VALU_DEP_4)
	v_ashrrev_i32_e32 v14, 31, v13
	v_ashrrev_i32_e32 v16, 31, v15
	s_delay_alu instid0(VALU_DEP_4) | instskip(NEXT) | instid1(VALU_DEP_4)
	v_lshlrev_b64_e32 v[11:12], 1, v[11:12]
	v_ashrrev_i32_e32 v18, 31, v17
	s_delay_alu instid0(VALU_DEP_4) | instskip(NEXT) | instid1(VALU_DEP_4)
	v_lshlrev_b64_e32 v[13:14], 1, v[13:14]
	v_lshlrev_b64_e32 v[15:16], 1, v[15:16]
	s_delay_alu instid0(VALU_DEP_4) | instskip(NEXT) | instid1(VALU_DEP_4)
	v_add_co_u32 v11, vcc_lo, s28, v11
	v_lshlrev_b64_e32 v[17:18], 1, v[17:18]
	s_wait_alu 0xfffd
	v_add_co_ci_u32_e64 v12, null, s29, v12, vcc_lo
	v_add_co_u32 v13, vcc_lo, s28, v13
	s_wait_alu 0xfffd
	v_add_co_ci_u32_e64 v14, null, s29, v14, vcc_lo
	v_add_co_u32 v15, vcc_lo, s28, v15
	;; [unrolled: 3-line block ×3, first 2 shown]
	s_wait_alu 0xfffd
	v_add_co_ci_u32_e64 v18, null, s29, v18, vcc_lo
	s_clause 0x3
	global_load_u16 v32, v[11:12], off
	global_load_u16 v37, v[13:14], off
	;; [unrolled: 1-line block ×4, first 2 shown]
	s_and_saveexec_b32 s28, s2
	s_cbranch_execz .LBB390_43
; %bb.38:                               ;   in Loop: Header=BB390_5 Depth=1
	s_clause 0x3
	global_load_u16 v40, v[11:12], off offset:128
	global_load_u16 v41, v[13:14], off offset:128
	global_load_u16 v42, v[15:16], off offset:128
	global_load_u16 v43, v[17:18], off offset:128
	s_and_saveexec_b32 s29, s3
	s_cbranch_execz .LBB390_42
; %bb.39:                               ;   in Loop: Header=BB390_5 Depth=1
	s_clause 0x3
	global_load_u16 v44, v[11:12], off offset:256
	global_load_u16 v45, v[13:14], off offset:256
	global_load_u16 v46, v[15:16], off offset:256
	global_load_u16 v47, v[17:18], off offset:256
	;; [unrolled: 8-line block ×3, first 2 shown]
	s_wait_loadcnt 0x3
	v_fma_mix_f32 v11, v36, v11, v31 op_sel_hi:[0,1,0]
	s_wait_loadcnt 0x2
	s_delay_alu instid0(VALU_DEP_1) | instskip(SKIP_1) | instid1(VALU_DEP_1)
	v_fma_mix_f32 v11, v35, v12, v11 op_sel_hi:[0,1,0]
	s_wait_loadcnt 0x1
	v_fma_mix_f32 v11, v34, v13, v11 op_sel_hi:[0,1,0]
	s_wait_loadcnt 0x0
	s_delay_alu instid0(VALU_DEP_1)
	v_fma_mix_f32 v31, v33, v14, v11 op_sel_hi:[0,1,0]
.LBB390_41:                             ;   in Loop: Header=BB390_5 Depth=1
	s_wait_alu 0xfffe
	s_or_b32 exec_lo, exec_lo, s40
	s_wait_loadcnt 0x3
	v_fma_mix_f32 v11, v36, v44, v30 op_sel_hi:[0,1,0]
	s_wait_loadcnt 0x2
	s_delay_alu instid0(VALU_DEP_1) | instskip(SKIP_1) | instid1(VALU_DEP_1)
	v_fma_mix_f32 v11, v35, v45, v11 op_sel_hi:[0,1,0]
	s_wait_loadcnt 0x1
	v_fma_mix_f32 v11, v34, v46, v11 op_sel_hi:[0,1,0]
	s_wait_loadcnt 0x0
	s_delay_alu instid0(VALU_DEP_1)
	v_fma_mix_f32 v30, v33, v47, v11 op_sel_hi:[0,1,0]
.LBB390_42:                             ;   in Loop: Header=BB390_5 Depth=1
	s_wait_alu 0xfffe
	s_or_b32 exec_lo, exec_lo, s29
	s_wait_loadcnt 0x3
	v_fma_mix_f32 v11, v36, v40, v29 op_sel_hi:[0,1,0]
	s_wait_loadcnt 0x2
	s_delay_alu instid0(VALU_DEP_1) | instskip(SKIP_1) | instid1(VALU_DEP_1)
	v_fma_mix_f32 v11, v35, v41, v11 op_sel_hi:[0,1,0]
	s_wait_loadcnt 0x1
	v_fma_mix_f32 v11, v34, v42, v11 op_sel_hi:[0,1,0]
	s_wait_loadcnt 0x0
	s_delay_alu instid0(VALU_DEP_1)
	v_fma_mix_f32 v29, v33, v43, v11 op_sel_hi:[0,1,0]
.LBB390_43:                             ;   in Loop: Header=BB390_5 Depth=1
	s_wait_alu 0xfffe
	s_or_b32 exec_lo, exec_lo, s28
	s_wait_loadcnt 0x3
	v_fma_mix_f32 v11, v36, v32, v28 op_sel_hi:[0,1,0]
	s_wait_loadcnt 0x2
	s_delay_alu instid0(VALU_DEP_1) | instskip(SKIP_1) | instid1(VALU_DEP_1)
	v_fma_mix_f32 v11, v35, v37, v11 op_sel_hi:[0,1,0]
	s_wait_loadcnt 0x1
	v_fma_mix_f32 v11, v34, v38, v11 op_sel_hi:[0,1,0]
	s_wait_loadcnt 0x0
	s_delay_alu instid0(VALU_DEP_1)
	v_fma_mix_f32 v28, v33, v39, v11 op_sel_hi:[0,1,0]
.LBB390_44:                             ;   in Loop: Header=BB390_5 Depth=1
	s_wait_alu 0xfffe
	s_or_b32 exec_lo, exec_lo, s7
.LBB390_45:                             ;   in Loop: Header=BB390_5 Depth=1
	ds_store_2addr_stride64_b32 v0, v28, v29 offset1:1
	ds_store_2addr_stride64_b32 v0, v30, v31 offset0:2 offset1:3
	s_wait_dscnt 0x0
	s_barrier_signal -1
	s_barrier_wait -1
	global_inv scope:SCOPE_SE
                                        ; implicit-def: $vgpr13
	s_and_saveexec_b32 s7, s5
	s_cbranch_execz .LBB390_51
; %bb.46:                               ;   in Loop: Header=BB390_5 Depth=1
	ds_load_2addr_stride64_b32 v[11:12], v21 offset1:4
	ds_load_2addr_stride64_b32 v[13:14], v21 offset0:8 offset1:12
	ds_load_2addr_stride64_b32 v[15:16], v21 offset0:16 offset1:20
	s_mov_b32 s29, s47
	s_wait_dscnt 0x2
	v_add_f32_e32 v17, v11, v12
	ds_load_2addr_stride64_b32 v[11:12], v21 offset0:24 offset1:28
	s_wait_dscnt 0x2
	v_add_f32_e32 v13, v13, v17
	s_delay_alu instid0(VALU_DEP_1) | instskip(SKIP_3) | instid1(VALU_DEP_1)
	v_add_f32_e32 v17, v14, v13
	ds_load_2addr_stride64_b32 v[13:14], v21 offset0:32 offset1:36
	s_wait_dscnt 0x2
	v_add_f32_e32 v15, v15, v17
	v_add_f32_e32 v17, v16, v15
	ds_load_2addr_stride64_b32 v[15:16], v21 offset0:40 offset1:44
	s_wait_dscnt 0x2
	v_add_f32_e32 v11, v11, v17
	s_delay_alu instid0(VALU_DEP_1) | instskip(SKIP_1) | instid1(VALU_DEP_1)
	v_add_f32_e32 v11, v12, v11
	s_wait_dscnt 0x1
	v_add_f32_e32 v13, v13, v11
	ds_load_2addr_stride64_b32 v[11:12], v21 offset0:48 offset1:52
	v_add_f32_e32 v13, v14, v13
	s_wait_dscnt 0x1
	s_delay_alu instid0(VALU_DEP_1) | instskip(SKIP_3) | instid1(VALU_DEP_1)
	v_add_f32_e32 v15, v15, v13
	ds_load_2addr_stride64_b32 v[13:14], v21 offset0:56 offset1:60
	v_add_f32_e32 v15, v16, v15
	s_wait_dscnt 0x1
	v_add_f32_e32 v11, v11, v15
	s_delay_alu instid0(VALU_DEP_1) | instskip(SKIP_1) | instid1(VALU_DEP_1)
	v_add_f32_e32 v11, v12, v11
	s_wait_dscnt 0x0
	v_add_f32_e32 v11, v13, v11
                                        ; implicit-def: $vgpr13
	s_delay_alu instid0(VALU_DEP_1)
	v_add_f32_e32 v11, v14, v11
	ds_store_b32 v21, v11
	s_and_saveexec_b32 s28, s6
	s_cbranch_execz .LBB390_50
; %bb.47:                               ;   in Loop: Header=BB390_5 Depth=1
	v_mul_f32_e32 v11, v27, v11
	s_cmp_eq_f32 s48, 0
	s_cbranch_scc1 .LBB390_49
; %bb.48:                               ;   in Loop: Header=BB390_5 Depth=1
	v_lshlrev_b64_e32 v[12:13], 1, v[4:5]
	s_delay_alu instid0(VALU_DEP_1) | instskip(SKIP_1) | instid1(VALU_DEP_2)
	v_add_co_u32 v12, vcc_lo, s26, v12
	s_wait_alu 0xfffd
	v_add_co_ci_u32_e64 v13, null, s27, v13, vcc_lo
	global_load_u16 v12, v[12:13], off
	s_wait_loadcnt 0x0
	v_fma_mix_f32 v11, s48, v12, v11 op_sel_hi:[0,1,0]
.LBB390_49:                             ;   in Loop: Header=BB390_5 Depth=1
	s_delay_alu instid0(VALU_DEP_1)
	v_cvt_f16_f32_e32 v13, v11
	s_or_b32 s29, s47, exec_lo
.LBB390_50:                             ;   in Loop: Header=BB390_5 Depth=1
	s_wait_alu 0xfffe
	s_or_b32 exec_lo, exec_lo, s28
	s_delay_alu instid0(SALU_CYCLE_1)
	s_and_not1_b32 s28, s47, exec_lo
	s_and_b32 s29, s29, exec_lo
	s_wait_alu 0xfffe
	s_or_b32 s47, s28, s29
.LBB390_51:                             ;   in Loop: Header=BB390_5 Depth=1
	s_wait_alu 0xfffe
	s_or_b32 exec_lo, exec_lo, s7
	v_dual_mov_b32 v12, v5 :: v_dual_mov_b32 v11, v4
	s_and_saveexec_b32 s7, s47
	s_cbranch_execz .LBB390_3
.LBB390_52:                             ;   in Loop: Header=BB390_5 Depth=1
	s_delay_alu instid0(VALU_DEP_1) | instskip(SKIP_1) | instid1(VALU_DEP_1)
	v_lshlrev_b64_e32 v[11:12], 1, v[11:12]
	s_wait_alu 0xfffe
	v_add_co_u32 v11, vcc_lo, s26, v11
	s_wait_alu 0xfffd
	s_delay_alu instid0(VALU_DEP_2)
	v_add_co_ci_u32_e64 v12, null, s27, v12, vcc_lo
	global_store_b16 v[11:12], v13, off
	s_branch .LBB390_3
.LBB390_53:
	s_endpgm
	.section	.rodata,"a",@progbits
	.p2align	6, 0x0
	.amdhsa_kernel _ZL20rocblas_gemvn_kernelILi64ELi16EiDF16_PKfDF16_EviiT3_lPKT2_lT1_lS5_lS6_lS2_lPT4_lS6_li
		.amdhsa_group_segment_fixed_size 16384
		.amdhsa_private_segment_fixed_size 0
		.amdhsa_kernarg_size 400
		.amdhsa_user_sgpr_count 2
		.amdhsa_user_sgpr_dispatch_ptr 0
		.amdhsa_user_sgpr_queue_ptr 0
		.amdhsa_user_sgpr_kernarg_segment_ptr 1
		.amdhsa_user_sgpr_dispatch_id 0
		.amdhsa_user_sgpr_private_segment_size 0
		.amdhsa_wavefront_size32 1
		.amdhsa_uses_dynamic_stack 0
		.amdhsa_enable_private_segment 0
		.amdhsa_system_sgpr_workgroup_id_x 1
		.amdhsa_system_sgpr_workgroup_id_y 0
		.amdhsa_system_sgpr_workgroup_id_z 1
		.amdhsa_system_sgpr_workgroup_info 0
		.amdhsa_system_vgpr_workitem_id 1
		.amdhsa_next_free_vgpr 57
		.amdhsa_next_free_sgpr 55
		.amdhsa_reserve_vcc 1
		.amdhsa_float_round_mode_32 0
		.amdhsa_float_round_mode_16_64 0
		.amdhsa_float_denorm_mode_32 3
		.amdhsa_float_denorm_mode_16_64 3
		.amdhsa_fp16_overflow 0
		.amdhsa_workgroup_processor_mode 1
		.amdhsa_memory_ordered 1
		.amdhsa_forward_progress 1
		.amdhsa_inst_pref_size 27
		.amdhsa_round_robin_scheduling 0
		.amdhsa_exception_fp_ieee_invalid_op 0
		.amdhsa_exception_fp_denorm_src 0
		.amdhsa_exception_fp_ieee_div_zero 0
		.amdhsa_exception_fp_ieee_overflow 0
		.amdhsa_exception_fp_ieee_underflow 0
		.amdhsa_exception_fp_ieee_inexact 0
		.amdhsa_exception_int_div_zero 0
	.end_amdhsa_kernel
	.section	.text._ZL20rocblas_gemvn_kernelILi64ELi16EiDF16_PKfDF16_EviiT3_lPKT2_lT1_lS5_lS6_lS2_lPT4_lS6_li,"axG",@progbits,_ZL20rocblas_gemvn_kernelILi64ELi16EiDF16_PKfDF16_EviiT3_lPKT2_lT1_lS5_lS6_lS2_lPT4_lS6_li,comdat
.Lfunc_end390:
	.size	_ZL20rocblas_gemvn_kernelILi64ELi16EiDF16_PKfDF16_EviiT3_lPKT2_lT1_lS5_lS6_lS2_lPT4_lS6_li, .Lfunc_end390-_ZL20rocblas_gemvn_kernelILi64ELi16EiDF16_PKfDF16_EviiT3_lPKT2_lT1_lS5_lS6_lS2_lPT4_lS6_li
                                        ; -- End function
	.set _ZL20rocblas_gemvn_kernelILi64ELi16EiDF16_PKfDF16_EviiT3_lPKT2_lT1_lS5_lS6_lS2_lPT4_lS6_li.num_vgpr, 57
	.set _ZL20rocblas_gemvn_kernelILi64ELi16EiDF16_PKfDF16_EviiT3_lPKT2_lT1_lS5_lS6_lS2_lPT4_lS6_li.num_agpr, 0
	.set _ZL20rocblas_gemvn_kernelILi64ELi16EiDF16_PKfDF16_EviiT3_lPKT2_lT1_lS5_lS6_lS2_lPT4_lS6_li.numbered_sgpr, 55
	.set _ZL20rocblas_gemvn_kernelILi64ELi16EiDF16_PKfDF16_EviiT3_lPKT2_lT1_lS5_lS6_lS2_lPT4_lS6_li.num_named_barrier, 0
	.set _ZL20rocblas_gemvn_kernelILi64ELi16EiDF16_PKfDF16_EviiT3_lPKT2_lT1_lS5_lS6_lS2_lPT4_lS6_li.private_seg_size, 0
	.set _ZL20rocblas_gemvn_kernelILi64ELi16EiDF16_PKfDF16_EviiT3_lPKT2_lT1_lS5_lS6_lS2_lPT4_lS6_li.uses_vcc, 1
	.set _ZL20rocblas_gemvn_kernelILi64ELi16EiDF16_PKfDF16_EviiT3_lPKT2_lT1_lS5_lS6_lS2_lPT4_lS6_li.uses_flat_scratch, 0
	.set _ZL20rocblas_gemvn_kernelILi64ELi16EiDF16_PKfDF16_EviiT3_lPKT2_lT1_lS5_lS6_lS2_lPT4_lS6_li.has_dyn_sized_stack, 0
	.set _ZL20rocblas_gemvn_kernelILi64ELi16EiDF16_PKfDF16_EviiT3_lPKT2_lT1_lS5_lS6_lS2_lPT4_lS6_li.has_recursion, 0
	.set _ZL20rocblas_gemvn_kernelILi64ELi16EiDF16_PKfDF16_EviiT3_lPKT2_lT1_lS5_lS6_lS2_lPT4_lS6_li.has_indirect_call, 0
	.section	.AMDGPU.csdata,"",@progbits
; Kernel info:
; codeLenInByte = 3444
; TotalNumSgprs: 57
; NumVgprs: 57
; ScratchSize: 0
; MemoryBound: 0
; FloatMode: 240
; IeeeMode: 1
; LDSByteSize: 16384 bytes/workgroup (compile time only)
; SGPRBlocks: 0
; VGPRBlocks: 7
; NumSGPRsForWavesPerEU: 57
; NumVGPRsForWavesPerEU: 57
; Occupancy: 16
; WaveLimiterHint : 1
; COMPUTE_PGM_RSRC2:SCRATCH_EN: 0
; COMPUTE_PGM_RSRC2:USER_SGPR: 2
; COMPUTE_PGM_RSRC2:TRAP_HANDLER: 0
; COMPUTE_PGM_RSRC2:TGID_X_EN: 1
; COMPUTE_PGM_RSRC2:TGID_Y_EN: 0
; COMPUTE_PGM_RSRC2:TGID_Z_EN: 1
; COMPUTE_PGM_RSRC2:TIDIG_COMP_CNT: 1
	.section	.text._ZL20rocblas_gemvn_kernelILi64ELi16ElDF16_PKfDF16_EviiT3_lPKT2_lT1_lS5_lS6_lS2_lPT4_lS6_li,"axG",@progbits,_ZL20rocblas_gemvn_kernelILi64ELi16ElDF16_PKfDF16_EviiT3_lPKT2_lT1_lS5_lS6_lS2_lPT4_lS6_li,comdat
	.globl	_ZL20rocblas_gemvn_kernelILi64ELi16ElDF16_PKfDF16_EviiT3_lPKT2_lT1_lS5_lS6_lS2_lPT4_lS6_li ; -- Begin function _ZL20rocblas_gemvn_kernelILi64ELi16ElDF16_PKfDF16_EviiT3_lPKT2_lT1_lS5_lS6_lS2_lPT4_lS6_li
	.p2align	8
	.type	_ZL20rocblas_gemvn_kernelILi64ELi16ElDF16_PKfDF16_EviiT3_lPKT2_lT1_lS5_lS6_lS2_lPT4_lS6_li,@function
_ZL20rocblas_gemvn_kernelILi64ELi16ElDF16_PKfDF16_EviiT3_lPKT2_lT1_lS5_lS6_lS2_lPT4_lS6_li: ; @_ZL20rocblas_gemvn_kernelILi64ELi16ElDF16_PKfDF16_EviiT3_lPKT2_lT1_lS5_lS6_lS2_lPT4_lS6_li
; %bb.0:
	s_load_b64 s[2:3], s[0:1], 0x9c
	s_wait_kmcnt 0x0
	s_lshr_b32 s4, s2, 16
	s_and_b32 s2, s2, 0xffff
	s_and_b32 s3, s3, 0xffff
	s_mul_i32 s2, s4, s2
	s_delay_alu instid0(SALU_CYCLE_1) | instskip(NEXT) | instid1(SALU_CYCLE_1)
	s_mul_i32 s2, s2, s3
	s_cmp_lg_u32 s2, 0x400
	s_cbranch_scc1 .LBB391_53
; %bb.1:
	s_load_b32 s33, s[0:1], 0x88
	s_lshr_b32 s10, ttmp7, 16
	s_wait_kmcnt 0x0
	s_cmp_ge_u32 s10, s33
	s_cbranch_scc1 .LBB391_53
; %bb.2:
	s_clause 0x2
	s_load_b512 s[12:27], s[0:1], 0x8
	s_load_b512 s[36:51], s[0:1], 0x48
	s_load_b64 s[8:9], s[0:1], 0x0
	v_and_b32_e32 v5, 0x3ff, v0
	v_bfe_u32 v17, v0, 10, 10
	s_lshl_b32 s34, ttmp9, 8
	s_mov_b32 s11, 0
	s_delay_alu instid0(VALU_DEP_2) | instskip(NEXT) | instid1(VALU_DEP_2)
	v_dual_mov_b32 v1, 0 :: v_dual_add_nc_u32 v6, s34, v5
	v_lshlrev_b32_e32 v18, 2, v17
	v_lshl_add_u32 v10, v17, 6, v5
	s_delay_alu instid0(VALU_DEP_3) | instskip(SKIP_1) | instid1(VALU_DEP_4)
	v_add_nc_u32_e32 v8, 0x80, v6
	v_add_nc_u32_e32 v9, 0xc0, v6
	v_or_b32_e32 v20, 3, v18
	s_delay_alu instid0(VALU_DEP_4)
	v_add_nc_u32_e32 v0, s34, v10
	v_or_b32_e32 v21, s34, v10
	v_ashrrev_i32_e32 v7, 31, v6
	s_wait_kmcnt 0x0
	s_lshl_b64 s[4:5], s[18:19], 1
	s_lshl_b64 s[18:19], s[26:27], 1
	s_ashr_i32 s28, s9, 31
	s_add_nc_u64 s[16:17], s[16:17], s[4:5]
	s_lshr_b32 s4, s28, 26
	s_lshl_b64 s[6:7], s[46:47], 1
	s_add_co_i32 s52, s9, s4
	s_ashr_i32 s31, s8, 31
	s_and_not1_b32 s52, s52, 63
	v_cmp_gt_i32_e64 s2, s8, v8
	s_sub_co_i32 s5, s9, s52
	v_cmp_gt_i32_e64 s3, s8, v9
	s_cmp_gt_i32 s5, 0
	v_mad_co_u64_u32 v[8:9], null, s36, v17, 0
	v_cmp_gt_u32_e64 s5, 0x100, v10
	v_mad_co_u64_u32 v[10:11], null, s20, v20, 0
	s_mov_b32 s30, s8
	s_add_nc_u64 s[28:29], s[44:45], s[6:7]
	s_cselect_b32 s53, -1, 0
	v_mul_lo_u32 v22, s49, v21
	s_ashr_i32 s6, s34, 31
	v_cmp_gt_i32_e64 s0, s8, v6
	v_mad_co_u64_u32 v[12:13], null, s37, v17, v[9:10]
	v_mov_b32_e32 v9, v11
	v_mad_co_u64_u32 v[13:14], null, s36, v20, 0
	v_or_b32_e32 v24, 2, v18
	s_mul_i32 s7, s48, s6
	s_delay_alu instid0(VALU_DEP_3)
	v_mad_co_u64_u32 v[15:16], null, s21, v20, v[9:10]
	v_mov_b32_e32 v9, v12
	v_mad_co_u64_u32 v[2:3], null, s48, v0, 0
	v_add_nc_u32_e32 v4, 64, v6
	v_mov_b32_e32 v12, v14
	v_cmp_gt_i64_e32 vcc_lo, s[30:31], v[0:1]
	v_lshlrev_b64_e32 v[8:9], 3, v[8:9]
	v_mov_b32_e32 v11, v15
	v_cmp_gt_i32_e64 s1, s8, v4
	v_mad_co_u64_u32 v[3:4], null, s49, v0, v[3:4]
	v_lshlrev_b32_e32 v4, 2, v5
	v_mad_co_u64_u32 v[14:15], null, s37, v20, v[12:13]
	v_mad_co_u64_u32 v[15:16], null, s20, v17, 0
	s_delay_alu instid0(VALU_DEP_3)
	v_lshl_add_u32 v0, v17, 10, v4
	v_lshl_add_u32 v19, v17, 8, v4
	v_mad_co_u64_u32 v[4:5], null, s48, v21, 0
	s_and_b32 s54, s5, vcc_lo
	v_add_co_u32 v20, vcc_lo, s24, v8
	v_cmp_gt_i32_e64 s6, s8, v21
	v_add_co_ci_u32_e64 v21, null, s25, v9, vcc_lo
	v_lshlrev_b64_e32 v[8:9], 1, v[10:11]
	v_mad_co_u64_u32 v[11:12], null, s20, v24, 0
	v_mov_b32_e32 v10, v16
	v_add3_u32 v5, v5, s7, v22
	v_mad_co_u64_u32 v[28:29], null, s36, v24, 0
	v_add_co_u32 v22, vcc_lo, s16, v8
	s_delay_alu instid0(VALU_DEP_4)
	v_mad_co_u64_u32 v[16:17], null, s21, v17, v[10:11]
	s_wait_alu 0xfffd
	v_add_co_ci_u32_e64 v23, null, s17, v9, vcc_lo
	v_lshlrev_b64_e32 v[9:10], 1, v[13:14]
	v_mov_b32_e32 v8, v12
	v_mov_b32_e32 v12, v29
	v_mad_co_u64_u32 v[30:31], null, s36, v18, s[36:37]
	v_mad_co_u64_u32 v[32:33], null, s20, v18, s[20:21]
	s_delay_alu instid0(VALU_DEP_4)
	v_mad_co_u64_u32 v[13:14], null, s21, v24, v[8:9]
	v_lshlrev_b64_e32 v[6:7], 1, v[6:7]
	v_cmp_gt_i32_e64 s4, s52, v18
	v_mov_b32_e32 v8, v31
	s_add_nc_u64 s[26:27], s[24:25], s[18:19]
	s_lshl_b64 s[30:31], s[38:39], 1
	s_lshl_b64 s[34:35], s[22:23], 1
	v_mad_co_u64_u32 v[26:27], null, s37, v24, v[12:13]
	v_add_co_u32 v24, vcc_lo, s24, v9
	s_wait_alu 0xfffd
	v_add_co_ci_u32_e64 v25, null, s25, v10, vcc_lo
	v_lshlrev_b64_e32 v[9:10], 3, v[15:16]
	s_delay_alu instid0(VALU_DEP_4) | instskip(SKIP_1) | instid1(VALU_DEP_2)
	v_dual_mov_b32 v12, v13 :: v_dual_mov_b32 v29, v26
	s_lshl_b64 s[44:45], s[20:21], 7
	v_add_co_u32 v26, vcc_lo, s16, v9
	v_mad_co_u64_u32 v[13:14], null, s37, v18, v[8:9]
	s_wait_alu 0xfffd
	v_add_co_ci_u32_e64 v27, null, s17, v10, vcc_lo
	v_lshlrev_b64_e32 v[9:10], 1, v[11:12]
	v_mov_b32_e32 v8, v33
	v_lshlrev_b64_e32 v[14:15], 1, v[28:29]
	v_mov_b32_e32 v31, v13
	s_delay_alu instid0(VALU_DEP_3) | instskip(SKIP_1) | instid1(VALU_DEP_3)
	v_mad_co_u64_u32 v[11:12], null, s21, v18, v[8:9]
	v_add_co_u32 v28, vcc_lo, s16, v9
	v_lshlrev_b64_e32 v[8:9], 1, v[30:31]
	s_wait_alu 0xfffd
	v_add_co_ci_u32_e64 v29, null, s17, v10, vcc_lo
	v_add_co_u32 v30, vcc_lo, s24, v14
	v_mov_b32_e32 v33, v11
	s_wait_alu 0xfffd
	v_add_co_ci_u32_e64 v31, null, s25, v15, vcc_lo
	s_delay_alu instid0(VALU_DEP_2) | instskip(SKIP_4) | instid1(VALU_DEP_4)
	v_lshlrev_b64_e32 v[10:11], 1, v[32:33]
	v_add_co_u32 v32, vcc_lo, s24, v8
	s_wait_alu 0xfffd
	v_add_co_ci_u32_e64 v33, null, s25, v9, vcc_lo
	v_lshlrev_b64_e32 v[8:9], 1, v[2:3]
	v_add_co_u32 v34, vcc_lo, s16, v10
	s_wait_alu 0xfffd
	v_add_co_ci_u32_e64 v35, null, s17, v11, vcc_lo
	s_lshl_b64 s[24:25], s[36:37], 7
	s_branch .LBB391_5
.LBB391_3:                              ;   in Loop: Header=BB391_5 Depth=1
	s_wait_alu 0xfffe
	s_or_b32 exec_lo, exec_lo, s7
.LBB391_4:                              ;   in Loop: Header=BB391_5 Depth=1
	s_add_co_i32 s10, s10, 0x10000
	s_delay_alu instid0(SALU_CYCLE_1)
	s_cmp_lt_u32 s10, s33
	s_cbranch_scc0 .LBB391_53
.LBB391_5:                              ; =>This Loop Header: Depth=1
                                        ;     Child Loop BB391_21 Depth 2
	s_mul_u64 s[46:47], s[14:15], s[10:11]
	s_mul_u64 s[48:49], s[42:43], s[10:11]
	s_wait_alu 0xfffe
	s_lshl_b64 s[46:47], s[46:47], 2
	s_lshl_b64 s[48:49], s[48:49], 2
	s_wait_alu 0xfffe
	s_add_nc_u64 s[46:47], s[12:13], s[46:47]
	s_add_nc_u64 s[48:49], s[40:41], s[48:49]
	s_clause 0x1
	global_load_b32 v36, v1, s[46:47]
	global_load_b32 v10, v1, s[48:49]
	s_wait_loadcnt 0x1
	v_cmp_eq_f32_e32 vcc_lo, 0, v36
	s_wait_loadcnt 0x0
	v_cmp_eq_f32_e64 s7, 1.0, v10
	v_readfirstlane_b32 s56, v10
	s_and_b32 s7, vcc_lo, s7
	s_wait_alu 0xfffe
	s_and_b32 vcc_lo, exec_lo, s7
	s_wait_alu 0xfffe
	s_cbranch_vccnz .LBB391_4
; %bb.6:                                ;   in Loop: Header=BB391_5 Depth=1
	v_cmp_neq_f32_e32 vcc_lo, 0, v36
	s_mul_u64 s[46:47], s[50:51], s[10:11]
	s_wait_alu 0xfffe
	s_lshl_b64 s[46:47], s[46:47], 1
	s_wait_alu 0xfffe
	s_add_nc_u64 s[46:47], s[28:29], s[46:47]
	s_cbranch_vccnz .LBB391_10
; %bb.7:                                ;   in Loop: Header=BB391_5 Depth=1
	s_mov_b32 s7, 0
	s_mov_b32 s55, 0
                                        ; implicit-def: $vgpr12
	s_and_saveexec_b32 s8, s54
	s_cbranch_execz .LBB391_11
; %bb.8:                                ;   in Loop: Header=BB391_5 Depth=1
	s_cmp_eq_f32 s56, 0
	s_cbranch_scc1 .LBB391_13
; %bb.9:                                ;   in Loop: Header=BB391_5 Depth=1
	s_wait_alu 0xfffe
	v_add_co_u32 v10, vcc_lo, s46, v8
	s_wait_alu 0xfffd
	v_add_co_ci_u32_e64 v11, null, s47, v9, vcc_lo
	global_load_u16 v10, v[10:11], off
	s_wait_loadcnt 0x0
	v_fma_mixlo_f16 v12, s56, v10, 0 op_sel_hi:[0,1,0]
	s_branch .LBB391_14
.LBB391_10:                             ;   in Loop: Header=BB391_5 Depth=1
	s_mov_b32 s55, 0
                                        ; implicit-def: $vgpr12
	s_cbranch_execz .LBB391_12
	s_branch .LBB391_15
.LBB391_11:                             ;   in Loop: Header=BB391_5 Depth=1
	s_wait_alu 0xfffe
	s_or_b32 exec_lo, exec_lo, s8
	s_delay_alu instid0(SALU_CYCLE_1)
	s_and_b32 vcc_lo, exec_lo, s7
	s_wait_alu 0xfffe
	s_cbranch_vccnz .LBB391_15
.LBB391_12:                             ;   in Loop: Header=BB391_5 Depth=1
	v_dual_mov_b32 v11, v3 :: v_dual_mov_b32 v10, v2
	s_and_saveexec_b32 s7, s55
	s_cbranch_execz .LBB391_3
	s_branch .LBB391_52
.LBB391_13:                             ;   in Loop: Header=BB391_5 Depth=1
	v_mov_b32_e32 v12, 0
.LBB391_14:                             ;   in Loop: Header=BB391_5 Depth=1
	s_mov_b32 s55, exec_lo
	s_wait_alu 0xfffe
	s_or_b32 exec_lo, exec_lo, s8
	s_delay_alu instid0(SALU_CYCLE_1)
	s_and_b32 vcc_lo, exec_lo, s7
	s_wait_alu 0xfffe
	s_cbranch_vccz .LBB391_12
.LBB391_15:                             ;   in Loop: Header=BB391_5 Depth=1
	v_dual_mov_b32 v37, 0 :: v_dual_mov_b32 v38, 0
	v_dual_mov_b32 v41, v18 :: v_dual_mov_b32 v40, 0
	v_mov_b32_e32 v39, 0
	s_and_saveexec_b32 s8, s4
	s_cbranch_execz .LBB391_27
; %bb.16:                               ;   in Loop: Header=BB391_5 Depth=1
	s_mul_u64 s[48:49], s[30:31], s[10:11]
	s_mul_u64 s[58:59], s[34:35], s[10:11]
	s_wait_alu 0xfffe
	v_add_co_u32 v42, vcc_lo, v20, s48
	s_wait_alu 0xfffd
	v_add_co_ci_u32_e64 v43, null, s49, v21, vcc_lo
	v_add_co_u32 v44, vcc_lo, v22, s58
	s_wait_alu 0xfffd
	v_add_co_ci_u32_e64 v45, null, s59, v23, vcc_lo
	;; [unrolled: 3-line block ×8, first 2 shown]
	v_dual_mov_b32 v37, 0 :: v_dual_mov_b32 v38, 0
	v_dual_mov_b32 v41, v18 :: v_dual_mov_b32 v40, 0
	v_mov_b32_e32 v39, 0
	s_mov_b32 s48, 0
	s_branch .LBB391_21
.LBB391_17:                             ;   in Loop: Header=BB391_21 Depth=2
	s_wait_alu 0xfffe
	s_or_b32 exec_lo, exec_lo, s58
	s_wait_loadcnt 0x3
	v_fma_mix_f32 v10, v70, v74, v39 op_sel_hi:[0,1,0]
	s_wait_loadcnt 0x2
	s_delay_alu instid0(VALU_DEP_1) | instskip(SKIP_1) | instid1(VALU_DEP_1)
	v_fma_mix_f32 v10, v71, v75, v10 op_sel_hi:[0,1,0]
	s_wait_loadcnt 0x1
	v_fma_mix_f32 v10, v72, v76, v10 op_sel_hi:[0,1,0]
	s_wait_loadcnt 0x0
	s_delay_alu instid0(VALU_DEP_1)
	v_fma_mix_f32 v39, v73, v77, v10 op_sel_hi:[0,1,0]
.LBB391_18:                             ;   in Loop: Header=BB391_21 Depth=2
	s_wait_alu 0xfffe
	s_or_b32 exec_lo, exec_lo, s57
	s_wait_loadcnt 0x3
	v_fma_mix_f32 v10, v70, v66, v38 op_sel_hi:[0,1,0]
	s_wait_loadcnt 0x2
	s_delay_alu instid0(VALU_DEP_1) | instskip(SKIP_1) | instid1(VALU_DEP_1)
	v_fma_mix_f32 v10, v71, v67, v10 op_sel_hi:[0,1,0]
	s_wait_loadcnt 0x1
	v_fma_mix_f32 v10, v72, v68, v10 op_sel_hi:[0,1,0]
	s_wait_loadcnt 0x0
	s_delay_alu instid0(VALU_DEP_1)
	v_fma_mix_f32 v38, v73, v69, v10 op_sel_hi:[0,1,0]
.LBB391_19:                             ;   in Loop: Header=BB391_21 Depth=2
	s_wait_alu 0xfffe
	s_or_b32 exec_lo, exec_lo, s49
	s_wait_loadcnt 0x3
	v_fma_mix_f32 v10, v58, v62, v37 op_sel_hi:[1,1,0]
	s_wait_loadcnt 0x2
	s_delay_alu instid0(VALU_DEP_1) | instskip(SKIP_1) | instid1(VALU_DEP_1)
	v_fma_mix_f32 v10, v59, v63, v10 op_sel_hi:[1,1,0]
	s_wait_loadcnt 0x1
	v_fma_mix_f32 v10, v60, v64, v10 op_sel_hi:[1,1,0]
	s_wait_loadcnt 0x0
	s_delay_alu instid0(VALU_DEP_1)
	v_fma_mix_f32 v37, v61, v65, v10 op_sel_hi:[1,1,0]
.LBB391_20:                             ;   in Loop: Header=BB391_21 Depth=2
	s_wait_alu 0xfffe
	s_or_b32 exec_lo, exec_lo, s7
	v_add_co_u32 v42, vcc_lo, v42, s24
	s_wait_alu 0xfffd
	v_add_co_ci_u32_e64 v43, null, s25, v43, vcc_lo
	v_add_co_u32 v44, vcc_lo, v44, s44
	s_wait_alu 0xfffd
	v_add_co_ci_u32_e64 v45, null, s45, v45, vcc_lo
	;; [unrolled: 3-line block ×4, first 2 shown]
	v_add_co_u32 v50, vcc_lo, v50, s44
	v_add_nc_u32_e32 v41, 64, v41
	s_wait_alu 0xfffd
	v_add_co_ci_u32_e64 v51, null, s45, v51, vcc_lo
	v_add_co_u32 v52, vcc_lo, v52, s24
	s_wait_alu 0xfffd
	v_add_co_ci_u32_e64 v53, null, s25, v53, vcc_lo
	v_add_co_u32 v54, vcc_lo, v54, s24
	s_wait_alu 0xfffd
	v_add_co_ci_u32_e64 v55, null, s25, v55, vcc_lo
	v_cmp_le_i32_e32 vcc_lo, s52, v41
	v_add_co_u32 v56, s7, v56, s44
	s_wait_alu 0xf1ff
	v_add_co_ci_u32_e64 v57, null, s45, v57, s7
	s_or_b32 s48, vcc_lo, s48
	s_wait_alu 0xfffe
	s_and_not1_b32 exec_lo, exec_lo, s48
	s_cbranch_execz .LBB391_26
.LBB391_21:                             ;   Parent Loop BB391_5 Depth=1
                                        ; =>  This Inner Loop Header: Depth=2
	s_and_saveexec_b32 s7, s0
	s_cbranch_execz .LBB391_20
; %bb.22:                               ;   in Loop: Header=BB391_21 Depth=2
	v_add_co_u32 v10, vcc_lo, v42, s18
	s_wait_alu 0xfffd
	v_add_co_ci_u32_e64 v11, null, s19, v43, vcc_lo
	v_add_co_u32 v12, vcc_lo, v54, s18
	s_wait_alu 0xfffd
	v_add_co_ci_u32_e64 v13, null, s19, v55, vcc_lo
	;; [unrolled: 3-line block ×3, first 2 shown]
	v_add_co_u32 v61, vcc_lo, v46, s18
	global_load_u16 v58, v[10:11], off
	global_load_u16 v59, v[12:13], off
	;; [unrolled: 1-line block ×3, first 2 shown]
	s_wait_alu 0xfffd
	v_add_co_ci_u32_e64 v62, null, s19, v47, vcc_lo
	v_add_co_u32 v10, vcc_lo, v48, v6
	s_wait_alu 0xfffd
	v_add_co_ci_u32_e64 v11, null, v49, v7, vcc_lo
	v_add_co_u32 v12, vcc_lo, v56, v6
	s_wait_alu 0xfffd
	v_add_co_ci_u32_e64 v13, null, v57, v7, vcc_lo
	v_add_co_u32 v14, vcc_lo, v50, v6
	s_wait_alu 0xfffd
	v_add_co_ci_u32_e64 v15, null, v51, v7, vcc_lo
	v_add_co_u32 v16, vcc_lo, v44, v6
	s_wait_alu 0xfffd
	v_add_co_ci_u32_e64 v17, null, v45, v7, vcc_lo
	global_load_u16 v61, v[61:62], off
	global_load_u16 v62, v[10:11], off
	;; [unrolled: 1-line block ×5, first 2 shown]
	s_and_saveexec_b32 s49, s1
	s_cbranch_execz .LBB391_19
; %bb.23:                               ;   in Loop: Header=BB391_21 Depth=2
	global_load_u16 v66, v[10:11], off offset:128
	global_load_u16 v67, v[12:13], off offset:128
	;; [unrolled: 1-line block ×4, first 2 shown]
	s_wait_loadcnt 0xb
	v_cvt_f32_f16_e32 v70, v58
	s_wait_loadcnt 0xa
	v_cvt_f32_f16_e32 v71, v59
	;; [unrolled: 2-line block ×4, first 2 shown]
	s_and_saveexec_b32 s57, s2
	s_cbranch_execz .LBB391_18
; %bb.24:                               ;   in Loop: Header=BB391_21 Depth=2
	global_load_u16 v74, v[10:11], off offset:256
	global_load_u16 v75, v[12:13], off offset:256
	;; [unrolled: 1-line block ×4, first 2 shown]
	s_and_saveexec_b32 s58, s3
	s_cbranch_execz .LBB391_17
; %bb.25:                               ;   in Loop: Header=BB391_21 Depth=2
	global_load_u16 v10, v[10:11], off offset:384
	global_load_u16 v11, v[12:13], off offset:384
	;; [unrolled: 1-line block ×4, first 2 shown]
	s_wait_loadcnt 0x3
	v_fma_mix_f32 v10, v70, v10, v40 op_sel_hi:[0,1,0]
	s_wait_loadcnt 0x2
	s_delay_alu instid0(VALU_DEP_1) | instskip(SKIP_1) | instid1(VALU_DEP_1)
	v_fma_mix_f32 v10, v71, v11, v10 op_sel_hi:[0,1,0]
	s_wait_loadcnt 0x1
	v_fma_mix_f32 v10, v72, v12, v10 op_sel_hi:[0,1,0]
	s_wait_loadcnt 0x0
	s_delay_alu instid0(VALU_DEP_1)
	v_fma_mix_f32 v40, v73, v13, v10 op_sel_hi:[0,1,0]
	s_branch .LBB391_17
.LBB391_26:                             ;   in Loop: Header=BB391_5 Depth=1
	s_or_b32 exec_lo, exec_lo, s48
.LBB391_27:                             ;   in Loop: Header=BB391_5 Depth=1
	s_wait_alu 0xfffe
	s_or_b32 exec_lo, exec_lo, s8
	s_delay_alu instid0(SALU_CYCLE_1)
	s_and_not1_b32 vcc_lo, exec_lo, s53
	s_wait_alu 0xfffe
	s_cbranch_vccnz .LBB391_45
; %bb.28:                               ;   in Loop: Header=BB391_5 Depth=1
	v_cmp_gt_i32_e32 vcc_lo, s9, v41
	v_dual_mov_b32 v42, 0 :: v_dual_mov_b32 v43, 0
	v_or_b32_e32 v10, 1, v41
	v_dual_mov_b32 v44, 0 :: v_dual_mov_b32 v45, 0
	s_and_saveexec_b32 s8, vcc_lo
	s_cbranch_execz .LBB391_36
; %bb.29:                               ;   in Loop: Header=BB391_5 Depth=1
	v_mad_co_u64_u32 v[11:12], null, s36, v41, 0
	s_mul_u64 s[48:49], s[38:39], s[10:11]
	v_dual_mov_b32 v44, 0 :: v_dual_mov_b32 v43, 0
	s_wait_alu 0xfffe
	s_lshl_b64 s[48:49], s[48:49], 1
	v_mov_b32_e32 v42, 0
	s_wait_alu 0xfffe
	s_add_nc_u64 s[48:49], s[26:27], s[48:49]
	v_mad_co_u64_u32 v[12:13], null, s37, v41, v[12:13]
	s_mov_b32 s57, exec_lo
	v_lshlrev_b64_e32 v[11:12], 1, v[11:12]
	s_wait_alu 0xfffe
	s_delay_alu instid0(VALU_DEP_1) | instskip(SKIP_1) | instid1(VALU_DEP_2)
	v_add_co_u32 v11, s7, s48, v11
	s_wait_alu 0xf1ff
	v_add_co_ci_u32_e64 v12, null, s49, v12, s7
	global_load_u16 v11, v[11:12], off
	v_cmpx_gt_i32_e64 s9, v10
	s_cbranch_execz .LBB391_35
; %bb.30:                               ;   in Loop: Header=BB391_5 Depth=1
	v_mad_co_u64_u32 v[12:13], null, s36, v10, 0
	v_dual_mov_b32 v43, 0 :: v_dual_mov_b32 v42, 0
	s_mov_b32 s58, exec_lo
	s_delay_alu instid0(VALU_DEP_2) | instskip(NEXT) | instid1(VALU_DEP_1)
	v_mad_co_u64_u32 v[13:14], null, s37, v10, v[13:14]
	v_lshlrev_b64_e32 v[12:13], 1, v[12:13]
	s_delay_alu instid0(VALU_DEP_1) | instskip(SKIP_1) | instid1(VALU_DEP_2)
	v_add_co_u32 v12, s7, s48, v12
	s_wait_alu 0xf1ff
	v_add_co_ci_u32_e64 v13, null, s49, v13, s7
	global_load_u16 v12, v[12:13], off
	v_or_b32_e32 v13, 2, v41
	s_delay_alu instid0(VALU_DEP_1)
	v_cmpx_gt_i32_e64 s9, v13
	s_cbranch_execz .LBB391_34
; %bb.31:                               ;   in Loop: Header=BB391_5 Depth=1
	v_mad_co_u64_u32 v[14:15], null, s36, v13, 0
	v_mov_b32_e32 v42, 0
	s_mov_b32 s59, exec_lo
	s_delay_alu instid0(VALU_DEP_2) | instskip(NEXT) | instid1(VALU_DEP_1)
	v_mad_co_u64_u32 v[15:16], null, s37, v13, v[15:16]
	v_lshlrev_b64_e32 v[13:14], 1, v[14:15]
	s_delay_alu instid0(VALU_DEP_1) | instskip(SKIP_1) | instid1(VALU_DEP_2)
	v_add_co_u32 v13, s7, s48, v13
	s_wait_alu 0xf1ff
	v_add_co_ci_u32_e64 v14, null, s49, v14, s7
	global_load_u16 v13, v[13:14], off
	v_or_b32_e32 v14, 3, v41
	s_delay_alu instid0(VALU_DEP_1)
	v_cmpx_gt_i32_e64 s9, v14
	s_cbranch_execz .LBB391_33
; %bb.32:                               ;   in Loop: Header=BB391_5 Depth=1
	v_mad_co_u64_u32 v[15:16], null, s36, v14, 0
	s_delay_alu instid0(VALU_DEP_1) | instskip(NEXT) | instid1(VALU_DEP_1)
	v_mad_co_u64_u32 v[16:17], null, s37, v14, v[16:17]
	v_lshlrev_b64_e32 v[14:15], 1, v[15:16]
	s_delay_alu instid0(VALU_DEP_1) | instskip(SKIP_1) | instid1(VALU_DEP_2)
	v_add_co_u32 v14, s7, s48, v14
	s_wait_alu 0xf1ff
	v_add_co_ci_u32_e64 v15, null, s49, v15, s7
	global_load_u16 v14, v[14:15], off
	s_wait_loadcnt 0x0
	v_cvt_f32_f16_e32 v42, v14
.LBB391_33:                             ;   in Loop: Header=BB391_5 Depth=1
	s_wait_alu 0xfffe
	s_or_b32 exec_lo, exec_lo, s59
	s_wait_loadcnt 0x0
	v_cvt_f32_f16_e32 v43, v13
.LBB391_34:                             ;   in Loop: Header=BB391_5 Depth=1
	s_wait_alu 0xfffe
	s_or_b32 exec_lo, exec_lo, s58
	s_wait_loadcnt 0x0
	v_cvt_f32_f16_e32 v44, v12
.LBB391_35:                             ;   in Loop: Header=BB391_5 Depth=1
	s_or_b32 exec_lo, exec_lo, s57
	s_wait_loadcnt 0x0
	v_cvt_f32_f16_e32 v45, v11
.LBB391_36:                             ;   in Loop: Header=BB391_5 Depth=1
	s_wait_alu 0xfffe
	s_or_b32 exec_lo, exec_lo, s8
	s_and_saveexec_b32 s48, s0
	s_cbranch_execz .LBB391_44
; %bb.37:                               ;   in Loop: Header=BB391_5 Depth=1
	v_mad_co_u64_u32 v[11:12], null, s20, v41, 0
	v_mad_co_u64_u32 v[13:14], null, s20, v10, 0
	v_or_b32_e32 v50, 2, v41
	v_or_b32_e32 v51, 3, v41
	s_mul_u64 s[58:59], s[22:23], s[10:11]
	s_wait_alu 0xfffe
	s_lshl_b64 s[58:59], s[58:59], 1
	v_cmp_gt_i32_e64 s7, s9, v50
	s_delay_alu instid0(VALU_DEP_4) | instskip(SKIP_4) | instid1(VALU_DEP_2)
	v_mad_co_u64_u32 v[15:16], null, s21, v41, v[12:13]
	v_mad_co_u64_u32 v[16:17], null, s20, v50, 0
	;; [unrolled: 1-line block ×3, first 2 shown]
	s_wait_alu 0xfffe
	s_add_nc_u64 s[58:59], s[16:17], s[58:59]
	v_dual_cndmask_b32 v12, 0, v15 :: v_dual_mov_b32 v15, v17
	s_delay_alu instid0(VALU_DEP_2) | instskip(NEXT) | instid1(VALU_DEP_2)
	v_mov_b32_e32 v17, v47
	v_mad_co_u64_u32 v[48:49], null, s21, v10, v[14:15]
	v_cndmask_b32_e32 v11, 0, v11, vcc_lo
	v_cmp_gt_i32_e32 vcc_lo, s9, v10
	s_wait_alu 0xfffd
	s_delay_alu instid0(VALU_DEP_3) | instskip(NEXT) | instid1(VALU_DEP_3)
	v_dual_cndmask_b32 v13, 0, v13 :: v_dual_cndmask_b32 v14, 0, v48
	v_lshlrev_b64_e32 v[11:12], 1, v[11:12]
	s_wait_alu 0xfffe
	s_delay_alu instid0(VALU_DEP_1) | instskip(SKIP_1) | instid1(VALU_DEP_2)
	v_add_co_u32 v10, s8, s58, v11
	s_wait_alu 0xf1ff
	v_add_co_ci_u32_e64 v11, null, s59, v12, s8
	v_lshlrev_b64_e32 v[12:13], 1, v[13:14]
	s_delay_alu instid0(VALU_DEP_3) | instskip(SKIP_1) | instid1(VALU_DEP_3)
	v_add_co_u32 v10, vcc_lo, v10, v6
	s_wait_alu 0xfffd
	v_add_co_ci_u32_e64 v11, null, v11, v7, vcc_lo
	v_cmp_gt_i32_e32 vcc_lo, s9, v51
	v_cndmask_b32_e64 v14, 0, v16, s7
	s_wait_alu 0xfffd
	v_cndmask_b32_e32 v46, 0, v46, vcc_lo
	v_mad_co_u64_u32 v[49:50], null, s21, v50, v[15:16]
	v_mad_co_u64_u32 v[16:17], null, s21, v51, v[17:18]
	s_delay_alu instid0(VALU_DEP_2) | instskip(SKIP_1) | instid1(VALU_DEP_3)
	v_cndmask_b32_e64 v15, 0, v49, s7
	v_add_co_u32 v12, s7, s58, v12
	v_cndmask_b32_e32 v47, 0, v16, vcc_lo
	s_wait_alu 0xf1ff
	v_add_co_ci_u32_e64 v13, null, s59, v13, s7
	v_lshlrev_b64_e32 v[14:15], 1, v[14:15]
	v_add_co_u32 v12, vcc_lo, v12, v6
	v_lshlrev_b64_e32 v[16:17], 1, v[46:47]
	s_wait_alu 0xfffd
	v_add_co_ci_u32_e64 v13, null, v13, v7, vcc_lo
	s_delay_alu instid0(VALU_DEP_4)
	v_add_co_u32 v14, vcc_lo, s58, v14
	s_wait_alu 0xfffd
	v_add_co_ci_u32_e64 v15, null, s59, v15, vcc_lo
	v_add_co_u32 v16, vcc_lo, s58, v16
	s_wait_alu 0xfffd
	v_add_co_ci_u32_e64 v17, null, s59, v17, vcc_lo
	;; [unrolled: 3-line block ×4, first 2 shown]
	s_clause 0x3
	global_load_u16 v41, v[10:11], off
	global_load_u16 v46, v[12:13], off
	;; [unrolled: 1-line block ×4, first 2 shown]
	s_and_saveexec_b32 s7, s1
	s_cbranch_execz .LBB391_43
; %bb.38:                               ;   in Loop: Header=BB391_5 Depth=1
	s_clause 0x3
	global_load_u16 v49, v[10:11], off offset:128
	global_load_u16 v50, v[12:13], off offset:128
	global_load_u16 v51, v[14:15], off offset:128
	global_load_u16 v52, v[16:17], off offset:128
	s_and_saveexec_b32 s8, s2
	s_cbranch_execz .LBB391_42
; %bb.39:                               ;   in Loop: Header=BB391_5 Depth=1
	s_clause 0x3
	global_load_u16 v53, v[10:11], off offset:256
	global_load_u16 v54, v[12:13], off offset:256
	global_load_u16 v55, v[14:15], off offset:256
	global_load_u16 v56, v[16:17], off offset:256
	;; [unrolled: 8-line block ×3, first 2 shown]
	s_wait_loadcnt 0x3
	v_fma_mix_f32 v10, v45, v10, v40 op_sel_hi:[0,1,0]
	s_wait_loadcnt 0x2
	s_delay_alu instid0(VALU_DEP_1) | instskip(SKIP_1) | instid1(VALU_DEP_1)
	v_fma_mix_f32 v10, v44, v11, v10 op_sel_hi:[0,1,0]
	s_wait_loadcnt 0x1
	v_fma_mix_f32 v10, v43, v12, v10 op_sel_hi:[0,1,0]
	s_wait_loadcnt 0x0
	s_delay_alu instid0(VALU_DEP_1)
	v_fma_mix_f32 v40, v42, v13, v10 op_sel_hi:[0,1,0]
.LBB391_41:                             ;   in Loop: Header=BB391_5 Depth=1
	s_wait_alu 0xfffe
	s_or_b32 exec_lo, exec_lo, s49
	s_wait_loadcnt 0x3
	v_fma_mix_f32 v10, v45, v53, v39 op_sel_hi:[0,1,0]
	s_wait_loadcnt 0x2
	s_delay_alu instid0(VALU_DEP_1) | instskip(SKIP_1) | instid1(VALU_DEP_1)
	v_fma_mix_f32 v10, v44, v54, v10 op_sel_hi:[0,1,0]
	s_wait_loadcnt 0x1
	v_fma_mix_f32 v10, v43, v55, v10 op_sel_hi:[0,1,0]
	s_wait_loadcnt 0x0
	s_delay_alu instid0(VALU_DEP_1)
	v_fma_mix_f32 v39, v42, v56, v10 op_sel_hi:[0,1,0]
.LBB391_42:                             ;   in Loop: Header=BB391_5 Depth=1
	s_wait_alu 0xfffe
	s_or_b32 exec_lo, exec_lo, s8
	s_wait_loadcnt 0x3
	v_fma_mix_f32 v10, v45, v49, v38 op_sel_hi:[0,1,0]
	s_wait_loadcnt 0x2
	s_delay_alu instid0(VALU_DEP_1) | instskip(SKIP_1) | instid1(VALU_DEP_1)
	v_fma_mix_f32 v10, v44, v50, v10 op_sel_hi:[0,1,0]
	s_wait_loadcnt 0x1
	v_fma_mix_f32 v10, v43, v51, v10 op_sel_hi:[0,1,0]
	s_wait_loadcnt 0x0
	s_delay_alu instid0(VALU_DEP_1)
	v_fma_mix_f32 v38, v42, v52, v10 op_sel_hi:[0,1,0]
.LBB391_43:                             ;   in Loop: Header=BB391_5 Depth=1
	s_wait_alu 0xfffe
	s_or_b32 exec_lo, exec_lo, s7
	s_wait_loadcnt 0x3
	v_fma_mix_f32 v10, v45, v41, v37 op_sel_hi:[0,1,0]
	s_wait_loadcnt 0x2
	s_delay_alu instid0(VALU_DEP_1) | instskip(SKIP_1) | instid1(VALU_DEP_1)
	v_fma_mix_f32 v10, v44, v46, v10 op_sel_hi:[0,1,0]
	s_wait_loadcnt 0x1
	v_fma_mix_f32 v10, v43, v47, v10 op_sel_hi:[0,1,0]
	s_wait_loadcnt 0x0
	s_delay_alu instid0(VALU_DEP_1)
	v_fma_mix_f32 v37, v42, v48, v10 op_sel_hi:[0,1,0]
.LBB391_44:                             ;   in Loop: Header=BB391_5 Depth=1
	s_wait_alu 0xfffe
	s_or_b32 exec_lo, exec_lo, s48
.LBB391_45:                             ;   in Loop: Header=BB391_5 Depth=1
	ds_store_2addr_stride64_b32 v0, v37, v38 offset1:1
	ds_store_2addr_stride64_b32 v0, v39, v40 offset0:2 offset1:3
	s_wait_dscnt 0x0
	s_barrier_signal -1
	s_barrier_wait -1
	global_inv scope:SCOPE_SE
                                        ; implicit-def: $vgpr12
	s_and_saveexec_b32 s7, s5
	s_cbranch_execz .LBB391_51
; %bb.46:                               ;   in Loop: Header=BB391_5 Depth=1
	ds_load_2addr_stride64_b32 v[10:11], v19 offset1:4
	ds_load_2addr_stride64_b32 v[12:13], v19 offset0:8 offset1:12
	ds_load_2addr_stride64_b32 v[14:15], v19 offset0:16 offset1:20
	s_mov_b32 s48, s55
	s_wait_dscnt 0x2
	v_add_f32_e32 v16, v10, v11
	ds_load_2addr_stride64_b32 v[10:11], v19 offset0:24 offset1:28
	s_wait_dscnt 0x2
	v_add_f32_e32 v12, v12, v16
	s_delay_alu instid0(VALU_DEP_1) | instskip(SKIP_3) | instid1(VALU_DEP_1)
	v_add_f32_e32 v16, v13, v12
	ds_load_2addr_stride64_b32 v[12:13], v19 offset0:32 offset1:36
	s_wait_dscnt 0x2
	v_add_f32_e32 v14, v14, v16
	v_add_f32_e32 v16, v15, v14
	ds_load_2addr_stride64_b32 v[14:15], v19 offset0:40 offset1:44
	s_wait_dscnt 0x2
	v_add_f32_e32 v10, v10, v16
	s_delay_alu instid0(VALU_DEP_1) | instskip(SKIP_1) | instid1(VALU_DEP_1)
	v_add_f32_e32 v10, v11, v10
	s_wait_dscnt 0x1
	v_add_f32_e32 v12, v12, v10
	ds_load_2addr_stride64_b32 v[10:11], v19 offset0:48 offset1:52
	v_add_f32_e32 v12, v13, v12
	s_wait_dscnt 0x1
	s_delay_alu instid0(VALU_DEP_1) | instskip(SKIP_3) | instid1(VALU_DEP_1)
	v_add_f32_e32 v14, v14, v12
	ds_load_2addr_stride64_b32 v[12:13], v19 offset0:56 offset1:60
	v_add_f32_e32 v14, v15, v14
	s_wait_dscnt 0x1
	v_add_f32_e32 v10, v10, v14
	s_delay_alu instid0(VALU_DEP_1) | instskip(SKIP_1) | instid1(VALU_DEP_1)
	v_add_f32_e32 v10, v11, v10
	s_wait_dscnt 0x0
	v_add_f32_e32 v10, v12, v10
                                        ; implicit-def: $vgpr12
	s_delay_alu instid0(VALU_DEP_1)
	v_add_f32_e32 v10, v13, v10
	ds_store_b32 v19, v10
	s_and_saveexec_b32 s8, s6
	s_cbranch_execz .LBB391_50
; %bb.47:                               ;   in Loop: Header=BB391_5 Depth=1
	v_mul_f32_e32 v10, v36, v10
	s_cmp_eq_f32 s56, 0
	s_cbranch_scc1 .LBB391_49
; %bb.48:                               ;   in Loop: Header=BB391_5 Depth=1
	v_lshlrev_b64_e32 v[11:12], 1, v[4:5]
	s_delay_alu instid0(VALU_DEP_1) | instskip(SKIP_1) | instid1(VALU_DEP_2)
	v_add_co_u32 v11, vcc_lo, s46, v11
	s_wait_alu 0xfffd
	v_add_co_ci_u32_e64 v12, null, s47, v12, vcc_lo
	global_load_u16 v11, v[11:12], off
	s_wait_loadcnt 0x0
	v_fma_mix_f32 v10, s56, v11, v10 op_sel_hi:[0,1,0]
.LBB391_49:                             ;   in Loop: Header=BB391_5 Depth=1
	s_delay_alu instid0(VALU_DEP_1)
	v_cvt_f16_f32_e32 v12, v10
	s_or_b32 s48, s55, exec_lo
.LBB391_50:                             ;   in Loop: Header=BB391_5 Depth=1
	s_wait_alu 0xfffe
	s_or_b32 exec_lo, exec_lo, s8
	s_delay_alu instid0(SALU_CYCLE_1)
	s_and_not1_b32 s8, s55, exec_lo
	s_and_b32 s48, s48, exec_lo
	s_wait_alu 0xfffe
	s_or_b32 s55, s8, s48
.LBB391_51:                             ;   in Loop: Header=BB391_5 Depth=1
	s_wait_alu 0xfffe
	s_or_b32 exec_lo, exec_lo, s7
	v_dual_mov_b32 v11, v5 :: v_dual_mov_b32 v10, v4
	s_and_saveexec_b32 s7, s55
	s_cbranch_execz .LBB391_3
.LBB391_52:                             ;   in Loop: Header=BB391_5 Depth=1
	s_delay_alu instid0(VALU_DEP_1) | instskip(SKIP_1) | instid1(VALU_DEP_1)
	v_lshlrev_b64_e32 v[10:11], 1, v[10:11]
	s_wait_alu 0xfffe
	v_add_co_u32 v10, vcc_lo, s46, v10
	s_wait_alu 0xfffd
	s_delay_alu instid0(VALU_DEP_2)
	v_add_co_ci_u32_e64 v11, null, s47, v11, vcc_lo
	global_store_b16 v[10:11], v12, off
	s_branch .LBB391_3
.LBB391_53:
	s_endpgm
	.section	.rodata,"a",@progbits
	.p2align	6, 0x0
	.amdhsa_kernel _ZL20rocblas_gemvn_kernelILi64ELi16ElDF16_PKfDF16_EviiT3_lPKT2_lT1_lS5_lS6_lS2_lPT4_lS6_li
		.amdhsa_group_segment_fixed_size 16384
		.amdhsa_private_segment_fixed_size 0
		.amdhsa_kernarg_size 400
		.amdhsa_user_sgpr_count 2
		.amdhsa_user_sgpr_dispatch_ptr 0
		.amdhsa_user_sgpr_queue_ptr 0
		.amdhsa_user_sgpr_kernarg_segment_ptr 1
		.amdhsa_user_sgpr_dispatch_id 0
		.amdhsa_user_sgpr_private_segment_size 0
		.amdhsa_wavefront_size32 1
		.amdhsa_uses_dynamic_stack 0
		.amdhsa_enable_private_segment 0
		.amdhsa_system_sgpr_workgroup_id_x 1
		.amdhsa_system_sgpr_workgroup_id_y 0
		.amdhsa_system_sgpr_workgroup_id_z 1
		.amdhsa_system_sgpr_workgroup_info 0
		.amdhsa_system_vgpr_workitem_id 1
		.amdhsa_next_free_vgpr 78
		.amdhsa_next_free_sgpr 60
		.amdhsa_reserve_vcc 1
		.amdhsa_float_round_mode_32 0
		.amdhsa_float_round_mode_16_64 0
		.amdhsa_float_denorm_mode_32 3
		.amdhsa_float_denorm_mode_16_64 3
		.amdhsa_fp16_overflow 0
		.amdhsa_workgroup_processor_mode 1
		.amdhsa_memory_ordered 1
		.amdhsa_forward_progress 1
		.amdhsa_inst_pref_size 32
		.amdhsa_round_robin_scheduling 0
		.amdhsa_exception_fp_ieee_invalid_op 0
		.amdhsa_exception_fp_denorm_src 0
		.amdhsa_exception_fp_ieee_div_zero 0
		.amdhsa_exception_fp_ieee_overflow 0
		.amdhsa_exception_fp_ieee_underflow 0
		.amdhsa_exception_fp_ieee_inexact 0
		.amdhsa_exception_int_div_zero 0
	.end_amdhsa_kernel
	.section	.text._ZL20rocblas_gemvn_kernelILi64ELi16ElDF16_PKfDF16_EviiT3_lPKT2_lT1_lS5_lS6_lS2_lPT4_lS6_li,"axG",@progbits,_ZL20rocblas_gemvn_kernelILi64ELi16ElDF16_PKfDF16_EviiT3_lPKT2_lT1_lS5_lS6_lS2_lPT4_lS6_li,comdat
.Lfunc_end391:
	.size	_ZL20rocblas_gemvn_kernelILi64ELi16ElDF16_PKfDF16_EviiT3_lPKT2_lT1_lS5_lS6_lS2_lPT4_lS6_li, .Lfunc_end391-_ZL20rocblas_gemvn_kernelILi64ELi16ElDF16_PKfDF16_EviiT3_lPKT2_lT1_lS5_lS6_lS2_lPT4_lS6_li
                                        ; -- End function
	.set _ZL20rocblas_gemvn_kernelILi64ELi16ElDF16_PKfDF16_EviiT3_lPKT2_lT1_lS5_lS6_lS2_lPT4_lS6_li.num_vgpr, 78
	.set _ZL20rocblas_gemvn_kernelILi64ELi16ElDF16_PKfDF16_EviiT3_lPKT2_lT1_lS5_lS6_lS2_lPT4_lS6_li.num_agpr, 0
	.set _ZL20rocblas_gemvn_kernelILi64ELi16ElDF16_PKfDF16_EviiT3_lPKT2_lT1_lS5_lS6_lS2_lPT4_lS6_li.numbered_sgpr, 60
	.set _ZL20rocblas_gemvn_kernelILi64ELi16ElDF16_PKfDF16_EviiT3_lPKT2_lT1_lS5_lS6_lS2_lPT4_lS6_li.num_named_barrier, 0
	.set _ZL20rocblas_gemvn_kernelILi64ELi16ElDF16_PKfDF16_EviiT3_lPKT2_lT1_lS5_lS6_lS2_lPT4_lS6_li.private_seg_size, 0
	.set _ZL20rocblas_gemvn_kernelILi64ELi16ElDF16_PKfDF16_EviiT3_lPKT2_lT1_lS5_lS6_lS2_lPT4_lS6_li.uses_vcc, 1
	.set _ZL20rocblas_gemvn_kernelILi64ELi16ElDF16_PKfDF16_EviiT3_lPKT2_lT1_lS5_lS6_lS2_lPT4_lS6_li.uses_flat_scratch, 0
	.set _ZL20rocblas_gemvn_kernelILi64ELi16ElDF16_PKfDF16_EviiT3_lPKT2_lT1_lS5_lS6_lS2_lPT4_lS6_li.has_dyn_sized_stack, 0
	.set _ZL20rocblas_gemvn_kernelILi64ELi16ElDF16_PKfDF16_EviiT3_lPKT2_lT1_lS5_lS6_lS2_lPT4_lS6_li.has_recursion, 0
	.set _ZL20rocblas_gemvn_kernelILi64ELi16ElDF16_PKfDF16_EviiT3_lPKT2_lT1_lS5_lS6_lS2_lPT4_lS6_li.has_indirect_call, 0
	.section	.AMDGPU.csdata,"",@progbits
; Kernel info:
; codeLenInByte = 4052
; TotalNumSgprs: 62
; NumVgprs: 78
; ScratchSize: 0
; MemoryBound: 0
; FloatMode: 240
; IeeeMode: 1
; LDSByteSize: 16384 bytes/workgroup (compile time only)
; SGPRBlocks: 0
; VGPRBlocks: 9
; NumSGPRsForWavesPerEU: 62
; NumVGPRsForWavesPerEU: 78
; Occupancy: 16
; WaveLimiterHint : 1
; COMPUTE_PGM_RSRC2:SCRATCH_EN: 0
; COMPUTE_PGM_RSRC2:USER_SGPR: 2
; COMPUTE_PGM_RSRC2:TRAP_HANDLER: 0
; COMPUTE_PGM_RSRC2:TGID_X_EN: 1
; COMPUTE_PGM_RSRC2:TGID_Y_EN: 0
; COMPUTE_PGM_RSRC2:TGID_Z_EN: 1
; COMPUTE_PGM_RSRC2:TIDIG_COMP_CNT: 1
	.section	.text._ZL20rocblas_gemvn_kernelILi64ELi16EiDF16_fDF16_EviiT3_lPKT2_lT1_lS3_lS4_lS0_lPT4_lS4_li,"axG",@progbits,_ZL20rocblas_gemvn_kernelILi64ELi16EiDF16_fDF16_EviiT3_lPKT2_lT1_lS3_lS4_lS0_lPT4_lS4_li,comdat
	.globl	_ZL20rocblas_gemvn_kernelILi64ELi16EiDF16_fDF16_EviiT3_lPKT2_lT1_lS3_lS4_lS0_lPT4_lS4_li ; -- Begin function _ZL20rocblas_gemvn_kernelILi64ELi16EiDF16_fDF16_EviiT3_lPKT2_lT1_lS3_lS4_lS0_lPT4_lS4_li
	.p2align	8
	.type	_ZL20rocblas_gemvn_kernelILi64ELi16EiDF16_fDF16_EviiT3_lPKT2_lT1_lS3_lS4_lS0_lPT4_lS4_li,@function
_ZL20rocblas_gemvn_kernelILi64ELi16EiDF16_fDF16_EviiT3_lPKT2_lT1_lS3_lS4_lS0_lPT4_lS4_li: ; @_ZL20rocblas_gemvn_kernelILi64ELi16EiDF16_fDF16_EviiT3_lPKT2_lT1_lS3_lS4_lS0_lPT4_lS4_li
; %bb.0:
	s_load_b64 s[2:3], s[0:1], 0x9c
	s_wait_kmcnt 0x0
	s_lshr_b32 s4, s2, 16
	s_and_b32 s2, s2, 0xffff
	s_and_b32 s3, s3, 0xffff
	s_mul_i32 s2, s4, s2
	s_delay_alu instid0(SALU_CYCLE_1) | instskip(NEXT) | instid1(SALU_CYCLE_1)
	s_mul_i32 s2, s2, s3
	s_cmp_lg_u32 s2, 0x400
	s_cbranch_scc1 .LBB392_53
; %bb.1:
	s_load_b32 s19, s[0:1], 0x88
	s_lshr_b32 s28, ttmp7, 16
	s_wait_kmcnt 0x0
	s_cmp_ge_u32 s28, s19
	s_cbranch_scc1 .LBB392_53
; %bb.2:
	s_clause 0x8
	s_load_b128 s[4:7], s[0:1], 0x18
	s_load_b96 s[16:18], s[0:1], 0x40
	s_load_b128 s[12:15], s[0:1], 0x68
	s_load_b32 s34, s[0:1], 0x78
	s_load_b96 s[20:22], s[0:1], 0x0
	s_load_b32 s23, s[0:1], 0x28
	s_load_b128 s[8:11], s[0:1], 0x30
	s_load_b96 s[24:26], s[0:1], 0x50
	s_load_b64 s[30:31], s[0:1], 0x80
	v_dual_mov_b32 v4, 0 :: v_dual_and_b32 v7, 0x3ff, v0
	v_bfe_u32 v6, v0, 10, 10
	s_mov_b32 s29, 0
	s_delay_alu instid0(VALU_DEP_2) | instskip(NEXT) | instid1(VALU_DEP_2)
	v_lshlrev_b32_e32 v5, 2, v7
	v_lshl_add_u32 v8, v6, 6, v7
	v_lshlrev_b32_e32 v17, 2, v6
	s_delay_alu instid0(VALU_DEP_3)
	v_lshl_add_u32 v18, v6, 10, v5
	s_wait_kmcnt 0x0
	s_lshl_b64 s[0:1], s[6:7], 1
	s_lshl_b64 s[2:3], s[16:17], 1
	;; [unrolled: 1-line block ×3, first 2 shown]
	s_ashr_i32 s35, s34, 31
	s_cmp_eq_f32 s22, 0
	s_add_nc_u64 s[14:15], s[4:5], s[0:1]
	v_mul_lo_u32 v9, s23, v17
	s_mov_b32 s16, s20
	s_cselect_b32 s27, -1, 0
	s_cmp_neq_f32 s22, 0
	s_add_nc_u64 s[12:13], s[12:13], s[6:7]
	v_lshl_add_u32 v20, v6, 8, v5
	s_add_nc_u64 s[10:11], s[10:11], s[2:3]
	s_cselect_b32 s36, -1, 0
	s_cmp_neq_f32 s26, 1.0
	v_add3_u32 v21, v9, s23, v7
	v_or_b32_e32 v9, 3, v17
	s_cselect_b32 s0, -1, 0
	s_lshl_b32 s33, ttmp9, 8
	s_ashr_i32 s17, s20, 31
	v_add_nc_u32_e32 v3, s33, v8
	v_or_b32_e32 v10, s33, v8
	s_or_b32 s38, s36, s0
	s_cmp_neq_f32 s26, 0
	v_add_nc_u32_e32 v19, s33, v7
	v_mad_co_u64_u32 v[0:1], null, s34, v3, 0
	v_mul_lo_u32 v2, s34, v10
	s_cselect_b32 s39, -1, 0
	s_ashr_i32 s1, s21, 31
	v_cmp_gt_i64_e32 vcc_lo, s[16:17], v[3:4]
	s_lshr_b32 s1, s1, 26
	v_add_nc_u32_e32 v11, 64, v19
	s_add_co_i32 s40, s21, s1
	v_cmp_gt_i32_e64 s6, s20, v10
	v_mad_co_u64_u32 v[3:4], null, s35, v3, v[1:2]
	s_and_not1_b32 s40, s40, 63
	v_mul_lo_u32 v10, v6, s23
	s_sub_co_i32 s5, s21, s40
	v_cmp_gt_i32_e64 s1, s20, v11
	s_cmp_gt_i32 s5, 0
	v_cmp_gt_u32_e64 s5, 0x100, v8
	v_or_b32_e32 v8, 2, v17
	v_mul_lo_u32 v11, v6, s18
	v_dual_mov_b32 v1, v3 :: v_dual_add_nc_u32 v12, 0x80, v19
	v_add_nc_u32_e32 v13, 0xc0, v19
	s_delay_alu instid0(VALU_DEP_4)
	v_mad_co_u64_u32 v[4:5], null, s23, v8, v[7:8]
	s_mov_b32 s16, s18
	v_mad_co_u64_u32 v[5:6], null, s23, v9, v[7:8]
	v_lshl_add_u32 v22, v10, 2, v7
	s_wait_alu 0xfffe
	v_mad_co_u64_u32 v[6:7], null, s18, v17, s[16:17]
	v_mul_lo_u32 v23, s18, v8
	v_mul_lo_u32 v24, s18, v9
	v_lshlrev_b64_e32 v[7:8], 1, v[0:1]
	v_cmp_gt_i32_e64 s0, s20, v19
	v_cmp_gt_i32_e64 s2, s20, v12
	;; [unrolled: 1-line block ×4, first 2 shown]
	v_ashrrev_i32_e32 v3, 31, v2
	v_lshlrev_b32_e32 v25, 2, v11
	s_cselect_b32 s20, -1, 0
	s_and_b32 s41, s5, vcc_lo
	s_lshl_b32 s42, s23, 6
	s_lshl_b32 s43, s18, 6
	s_branch .LBB392_5
.LBB392_3:                              ;   in Loop: Header=BB392_5 Depth=1
	s_wait_alu 0xfffe
	s_or_b32 exec_lo, exec_lo, s7
.LBB392_4:                              ;   in Loop: Header=BB392_5 Depth=1
	s_add_co_i32 s28, s28, 0x10000
	s_delay_alu instid0(SALU_CYCLE_1)
	s_cmp_lt_u32 s28, s19
	s_cbranch_scc0 .LBB392_53
.LBB392_5:                              ; =>This Loop Header: Depth=1
                                        ;     Child Loop BB392_21 Depth 2
	s_and_not1_b32 vcc_lo, exec_lo, s38
	s_wait_alu 0xfffe
	s_cbranch_vccnz .LBB392_4
; %bb.6:                                ;   in Loop: Header=BB392_5 Depth=1
	s_mul_u64 s[16:17], s[30:31], s[28:29]
	s_and_not1_b32 vcc_lo, exec_lo, s27
	s_wait_alu 0xfffe
	s_lshl_b64 s[16:17], s[16:17], 1
	s_wait_alu 0xfffe
	s_add_nc_u64 s[16:17], s[12:13], s[16:17]
	s_cbranch_vccnz .LBB392_10
; %bb.7:                                ;   in Loop: Header=BB392_5 Depth=1
	s_mov_b32 s7, 0
	s_mov_b32 s44, 0
                                        ; implicit-def: $vgpr11
	s_and_saveexec_b32 s34, s41
	s_cbranch_execz .LBB392_11
; %bb.8:                                ;   in Loop: Header=BB392_5 Depth=1
	s_and_not1_b32 vcc_lo, exec_lo, s39
	s_wait_alu 0xfffe
	s_cbranch_vccnz .LBB392_13
; %bb.9:                                ;   in Loop: Header=BB392_5 Depth=1
	v_add_co_u32 v9, vcc_lo, s16, v7
	s_wait_alu 0xfffd
	v_add_co_ci_u32_e64 v10, null, s17, v8, vcc_lo
	global_load_u16 v9, v[9:10], off
	s_wait_loadcnt 0x0
	v_fma_mixlo_f16 v11, s26, v9, 0 op_sel_hi:[0,1,0]
	s_branch .LBB392_14
.LBB392_10:                             ;   in Loop: Header=BB392_5 Depth=1
	s_mov_b32 s44, 0
                                        ; implicit-def: $vgpr11
	s_cbranch_execz .LBB392_12
	s_branch .LBB392_15
.LBB392_11:                             ;   in Loop: Header=BB392_5 Depth=1
	s_wait_alu 0xfffe
	s_or_b32 exec_lo, exec_lo, s34
	s_delay_alu instid0(SALU_CYCLE_1)
	s_and_b32 vcc_lo, exec_lo, s7
	s_wait_alu 0xfffe
	s_cbranch_vccnz .LBB392_15
.LBB392_12:                             ;   in Loop: Header=BB392_5 Depth=1
	v_dual_mov_b32 v10, v1 :: v_dual_mov_b32 v9, v0
	s_and_saveexec_b32 s7, s44
	s_cbranch_execz .LBB392_3
	s_branch .LBB392_52
.LBB392_13:                             ;   in Loop: Header=BB392_5 Depth=1
	v_mov_b32_e32 v11, 0
.LBB392_14:                             ;   in Loop: Header=BB392_5 Depth=1
	s_mov_b32 s44, exec_lo
	s_wait_alu 0xfffe
	s_or_b32 exec_lo, exec_lo, s34
	s_delay_alu instid0(SALU_CYCLE_1)
	s_and_b32 vcc_lo, exec_lo, s7
	s_wait_alu 0xfffe
	s_cbranch_vccz .LBB392_12
.LBB392_15:                             ;   in Loop: Header=BB392_5 Depth=1
	s_mul_u64 s[34:35], s[8:9], s[28:29]
	s_mul_u64 s[36:37], s[24:25], s[28:29]
	v_dual_mov_b32 v26, 0 :: v_dual_mov_b32 v27, 0
	v_dual_mov_b32 v30, v17 :: v_dual_mov_b32 v29, 0
	v_mov_b32_e32 v28, 0
	s_wait_alu 0xfffe
	s_lshl_b64 s[34:35], s[34:35], 1
	s_lshl_b64 s[36:37], s[36:37], 1
	s_wait_alu 0xfffe
	s_add_nc_u64 s[34:35], s[14:15], s[34:35]
	s_add_nc_u64 s[36:37], s[10:11], s[36:37]
	s_and_saveexec_b32 s7, s4
	s_cbranch_execz .LBB392_27
; %bb.16:                               ;   in Loop: Header=BB392_5 Depth=1
	v_dual_mov_b32 v26, 0 :: v_dual_mov_b32 v31, v22
	v_dual_mov_b32 v32, v5 :: v_dual_mov_b32 v33, v4
	;; [unrolled: 1-line block ×4, first 2 shown]
	v_mov_b32_e32 v28, 0
	s_mov_b32 s45, 0
	s_mov_b32 s46, 0
	s_branch .LBB392_21
.LBB392_17:                             ;   in Loop: Header=BB392_21 Depth=2
	s_or_b32 exec_lo, exec_lo, s50
	s_wait_loadcnt 0x3
	v_fma_mix_f32 v9, v47, v51, v28 op_sel_hi:[0,1,0]
	s_wait_loadcnt 0x2
	s_delay_alu instid0(VALU_DEP_1) | instskip(SKIP_1) | instid1(VALU_DEP_1)
	v_fma_mix_f32 v9, v48, v52, v9 op_sel_hi:[0,1,0]
	s_wait_loadcnt 0x1
	v_fma_mix_f32 v9, v49, v53, v9 op_sel_hi:[0,1,0]
	s_wait_loadcnt 0x0
	s_delay_alu instid0(VALU_DEP_1)
	v_fma_mix_f32 v28, v50, v54, v9 op_sel_hi:[0,1,0]
.LBB392_18:                             ;   in Loop: Header=BB392_21 Depth=2
	s_or_b32 exec_lo, exec_lo, s49
	s_wait_loadcnt 0x3
	v_fma_mix_f32 v9, v47, v43, v27 op_sel_hi:[0,1,0]
	s_wait_loadcnt 0x2
	s_delay_alu instid0(VALU_DEP_1) | instskip(SKIP_1) | instid1(VALU_DEP_1)
	v_fma_mix_f32 v9, v48, v44, v9 op_sel_hi:[0,1,0]
	s_wait_loadcnt 0x1
	v_fma_mix_f32 v9, v49, v45, v9 op_sel_hi:[0,1,0]
	s_wait_loadcnt 0x0
	s_delay_alu instid0(VALU_DEP_1)
	v_fma_mix_f32 v27, v50, v46, v9 op_sel_hi:[0,1,0]
.LBB392_19:                             ;   in Loop: Header=BB392_21 Depth=2
	s_or_b32 exec_lo, exec_lo, s48
	s_wait_loadcnt 0x3
	v_fma_mix_f32 v9, v35, v39, v26 op_sel_hi:[1,1,0]
	s_wait_loadcnt 0x2
	s_delay_alu instid0(VALU_DEP_1) | instskip(SKIP_1) | instid1(VALU_DEP_1)
	v_fma_mix_f32 v9, v36, v40, v9 op_sel_hi:[1,1,0]
	s_wait_loadcnt 0x1
	v_fma_mix_f32 v9, v37, v41, v9 op_sel_hi:[1,1,0]
	s_wait_loadcnt 0x0
	s_delay_alu instid0(VALU_DEP_1)
	v_fma_mix_f32 v26, v38, v42, v9 op_sel_hi:[1,1,0]
.LBB392_20:                             ;   in Loop: Header=BB392_21 Depth=2
	s_wait_alu 0xfffe
	s_or_b32 exec_lo, exec_lo, s47
	v_add_nc_u32_e32 v30, 64, v30
	v_add_nc_u32_e32 v34, s42, v34
	;; [unrolled: 1-line block ×5, first 2 shown]
	v_cmp_le_i32_e32 vcc_lo, s40, v30
	s_add_co_i32 s46, s46, s43
	s_or_b32 s45, vcc_lo, s45
	s_delay_alu instid0(SALU_CYCLE_1)
	s_and_not1_b32 exec_lo, exec_lo, s45
	s_cbranch_execz .LBB392_26
.LBB392_21:                             ;   Parent Loop BB392_5 Depth=1
                                        ; =>  This Inner Loop Header: Depth=2
	s_and_saveexec_b32 s47, s0
	s_cbranch_execz .LBB392_20
; %bb.22:                               ;   in Loop: Header=BB392_21 Depth=2
	s_wait_alu 0xfffe
	v_add_nc_u32_e32 v9, s46, v25
	v_add_nc_u32_e32 v11, s46, v6
	;; [unrolled: 1-line block ×5, first 2 shown]
	v_ashrrev_i32_e32 v10, 31, v9
	v_ashrrev_i32_e32 v12, 31, v11
	;; [unrolled: 1-line block ×5, first 2 shown]
	v_lshlrev_b64_e32 v[9:10], 1, v[9:10]
	v_lshlrev_b64_e32 v[11:12], 1, v[11:12]
	;; [unrolled: 1-line block ×3, first 2 shown]
	s_delay_alu instid0(VALU_DEP_3) | instskip(SKIP_1) | instid1(VALU_DEP_4)
	v_add_co_u32 v37, vcc_lo, s36, v9
	s_wait_alu 0xfffd
	v_add_co_ci_u32_e64 v38, null, s37, v10, vcc_lo
	s_delay_alu instid0(VALU_DEP_4)
	v_add_co_u32 v39, vcc_lo, s36, v11
	v_add_nc_u32_e32 v11, s33, v34
	s_wait_alu 0xfffd
	v_add_co_ci_u32_e64 v40, null, s37, v12, vcc_lo
	v_lshlrev_b64_e32 v[9:10], 1, v[15:16]
	v_add_co_u32 v41, vcc_lo, s36, v13
	v_add_nc_u32_e32 v15, s33, v33
	s_wait_alu 0xfffd
	v_add_co_ci_u32_e64 v42, null, s37, v14, vcc_lo
	v_lshlrev_b64_e32 v[13:14], 1, v[35:36]
	v_add_nc_u32_e32 v35, s33, v32
	v_ashrrev_i32_e32 v12, 31, v11
	v_ashrrev_i32_e32 v16, 31, v15
	v_add_co_u32 v43, vcc_lo, s36, v9
	s_delay_alu instid0(VALU_DEP_4)
	v_ashrrev_i32_e32 v36, 31, v35
	s_wait_alu 0xfffd
	v_add_co_ci_u32_e64 v44, null, s37, v10, vcc_lo
	v_lshlrev_b64_e32 v[11:12], 1, v[11:12]
	v_add_co_u32 v9, vcc_lo, s34, v13
	s_wait_alu 0xfffd
	v_add_co_ci_u32_e64 v10, null, s35, v14, vcc_lo
	v_lshlrev_b64_e32 v[13:14], 1, v[15:16]
	v_lshlrev_b64_e32 v[15:16], 1, v[35:36]
	v_add_co_u32 v11, vcc_lo, s34, v11
	s_wait_alu 0xfffd
	v_add_co_ci_u32_e64 v12, null, s35, v12, vcc_lo
	s_delay_alu instid0(VALU_DEP_4)
	v_add_co_u32 v13, vcc_lo, s34, v13
	s_wait_alu 0xfffd
	v_add_co_ci_u32_e64 v14, null, s35, v14, vcc_lo
	v_add_co_u32 v15, vcc_lo, s34, v15
	s_wait_alu 0xfffd
	v_add_co_ci_u32_e64 v16, null, s35, v16, vcc_lo
	s_clause 0x3
	global_load_u16 v35, v[37:38], off
	global_load_u16 v36, v[39:40], off
	;; [unrolled: 1-line block ×4, first 2 shown]
	s_clause 0x3
	global_load_u16 v39, v[9:10], off
	global_load_u16 v40, v[11:12], off
	;; [unrolled: 1-line block ×4, first 2 shown]
	s_and_saveexec_b32 s48, s1
	s_cbranch_execz .LBB392_19
; %bb.23:                               ;   in Loop: Header=BB392_21 Depth=2
	s_clause 0x3
	global_load_u16 v43, v[9:10], off offset:128
	global_load_u16 v44, v[11:12], off offset:128
	;; [unrolled: 1-line block ×4, first 2 shown]
	s_wait_loadcnt 0xb
	v_cvt_f32_f16_e32 v47, v35
	s_wait_loadcnt 0xa
	v_cvt_f32_f16_e32 v48, v36
	;; [unrolled: 2-line block ×4, first 2 shown]
	s_and_saveexec_b32 s49, s2
	s_cbranch_execz .LBB392_18
; %bb.24:                               ;   in Loop: Header=BB392_21 Depth=2
	s_clause 0x3
	global_load_u16 v51, v[9:10], off offset:256
	global_load_u16 v52, v[11:12], off offset:256
	;; [unrolled: 1-line block ×4, first 2 shown]
	s_and_saveexec_b32 s50, s3
	s_cbranch_execz .LBB392_17
; %bb.25:                               ;   in Loop: Header=BB392_21 Depth=2
	s_clause 0x3
	global_load_u16 v9, v[9:10], off offset:384
	global_load_u16 v10, v[11:12], off offset:384
	;; [unrolled: 1-line block ×4, first 2 shown]
	s_wait_loadcnt 0x3
	v_fma_mix_f32 v9, v47, v9, v29 op_sel_hi:[0,1,0]
	s_wait_loadcnt 0x2
	s_delay_alu instid0(VALU_DEP_1) | instskip(SKIP_1) | instid1(VALU_DEP_1)
	v_fma_mix_f32 v9, v48, v10, v9 op_sel_hi:[0,1,0]
	s_wait_loadcnt 0x1
	v_fma_mix_f32 v9, v49, v11, v9 op_sel_hi:[0,1,0]
	s_wait_loadcnt 0x0
	s_delay_alu instid0(VALU_DEP_1)
	v_fma_mix_f32 v29, v50, v12, v9 op_sel_hi:[0,1,0]
	s_branch .LBB392_17
.LBB392_26:                             ;   in Loop: Header=BB392_5 Depth=1
	s_or_b32 exec_lo, exec_lo, s45
.LBB392_27:                             ;   in Loop: Header=BB392_5 Depth=1
	s_wait_alu 0xfffe
	s_or_b32 exec_lo, exec_lo, s7
	s_delay_alu instid0(SALU_CYCLE_1)
	s_and_not1_b32 vcc_lo, exec_lo, s20
	s_wait_alu 0xfffe
	s_cbranch_vccnz .LBB392_45
; %bb.28:                               ;   in Loop: Header=BB392_5 Depth=1
	v_cmp_gt_i32_e32 vcc_lo, s21, v30
	v_dual_mov_b32 v31, 0 :: v_dual_mov_b32 v32, 0
	v_or_b32_e32 v9, 1, v30
	v_dual_mov_b32 v33, 0 :: v_dual_mov_b32 v34, 0
	s_and_saveexec_b32 s45, vcc_lo
	s_cbranch_execz .LBB392_36
; %bb.29:                               ;   in Loop: Header=BB392_5 Depth=1
	v_mul_lo_u32 v10, v30, s18
	v_dual_mov_b32 v33, 0 :: v_dual_mov_b32 v32, 0
	v_mov_b32_e32 v31, 0
	s_mov_b32 s46, exec_lo
	s_delay_alu instid0(VALU_DEP_3) | instskip(NEXT) | instid1(VALU_DEP_1)
	v_ashrrev_i32_e32 v11, 31, v10
	v_lshlrev_b64_e32 v[10:11], 1, v[10:11]
	s_delay_alu instid0(VALU_DEP_1) | instskip(SKIP_1) | instid1(VALU_DEP_2)
	v_add_co_u32 v10, s7, s36, v10
	s_wait_alu 0xf1ff
	v_add_co_ci_u32_e64 v11, null, s37, v11, s7
	global_load_u16 v10, v[10:11], off
	v_cmpx_gt_i32_e64 s21, v9
	s_cbranch_execz .LBB392_35
; %bb.30:                               ;   in Loop: Header=BB392_5 Depth=1
	v_mul_lo_u32 v11, v9, s18
	v_dual_mov_b32 v32, 0 :: v_dual_mov_b32 v31, 0
	s_mov_b32 s47, exec_lo
	s_delay_alu instid0(VALU_DEP_2) | instskip(NEXT) | instid1(VALU_DEP_1)
	v_ashrrev_i32_e32 v12, 31, v11
	v_lshlrev_b64_e32 v[11:12], 1, v[11:12]
	s_delay_alu instid0(VALU_DEP_1) | instskip(SKIP_1) | instid1(VALU_DEP_2)
	v_add_co_u32 v11, s7, s36, v11
	s_wait_alu 0xf1ff
	v_add_co_ci_u32_e64 v12, null, s37, v12, s7
	global_load_u16 v11, v[11:12], off
	v_or_b32_e32 v12, 2, v30
	s_delay_alu instid0(VALU_DEP_1)
	v_cmpx_gt_i32_e64 s21, v12
	s_cbranch_execz .LBB392_34
; %bb.31:                               ;   in Loop: Header=BB392_5 Depth=1
	v_mul_lo_u32 v12, v12, s18
	v_mov_b32_e32 v31, 0
	s_mov_b32 s48, exec_lo
	s_delay_alu instid0(VALU_DEP_2) | instskip(NEXT) | instid1(VALU_DEP_1)
	v_ashrrev_i32_e32 v13, 31, v12
	v_lshlrev_b64_e32 v[12:13], 1, v[12:13]
	s_delay_alu instid0(VALU_DEP_1) | instskip(SKIP_1) | instid1(VALU_DEP_2)
	v_add_co_u32 v12, s7, s36, v12
	s_wait_alu 0xf1ff
	v_add_co_ci_u32_e64 v13, null, s37, v13, s7
	global_load_u16 v12, v[12:13], off
	v_or_b32_e32 v13, 3, v30
	s_delay_alu instid0(VALU_DEP_1)
	v_cmpx_gt_i32_e64 s21, v13
	s_cbranch_execz .LBB392_33
; %bb.32:                               ;   in Loop: Header=BB392_5 Depth=1
	v_mul_lo_u32 v13, v13, s18
	s_delay_alu instid0(VALU_DEP_1) | instskip(NEXT) | instid1(VALU_DEP_1)
	v_ashrrev_i32_e32 v14, 31, v13
	v_lshlrev_b64_e32 v[13:14], 1, v[13:14]
	s_delay_alu instid0(VALU_DEP_1) | instskip(SKIP_1) | instid1(VALU_DEP_2)
	v_add_co_u32 v13, s7, s36, v13
	s_wait_alu 0xf1ff
	v_add_co_ci_u32_e64 v14, null, s37, v14, s7
	global_load_u16 v13, v[13:14], off
	s_wait_loadcnt 0x0
	v_cvt_f32_f16_e32 v31, v13
.LBB392_33:                             ;   in Loop: Header=BB392_5 Depth=1
	s_or_b32 exec_lo, exec_lo, s48
	s_wait_loadcnt 0x0
	v_cvt_f32_f16_e32 v32, v12
.LBB392_34:                             ;   in Loop: Header=BB392_5 Depth=1
	s_wait_alu 0xfffe
	s_or_b32 exec_lo, exec_lo, s47
	s_wait_loadcnt 0x0
	v_cvt_f32_f16_e32 v33, v11
.LBB392_35:                             ;   in Loop: Header=BB392_5 Depth=1
	s_wait_alu 0xfffe
	s_or_b32 exec_lo, exec_lo, s46
	s_wait_loadcnt 0x0
	v_cvt_f32_f16_e32 v34, v10
.LBB392_36:                             ;   in Loop: Header=BB392_5 Depth=1
	s_or_b32 exec_lo, exec_lo, s45
	s_and_saveexec_b32 s7, s0
	s_cbranch_execz .LBB392_44
; %bb.37:                               ;   in Loop: Header=BB392_5 Depth=1
	v_mul_lo_u32 v11, v30, s23
	v_or_b32_e32 v10, 2, v30
	v_mul_lo_u32 v13, v9, s23
	v_or_b32_e32 v12, 3, v30
	s_delay_alu instid0(VALU_DEP_3) | instskip(NEXT) | instid1(VALU_DEP_2)
	v_mul_lo_u32 v14, v10, s23
	v_mul_lo_u32 v15, v12, s23
	v_cndmask_b32_e32 v11, 0, v11, vcc_lo
	v_cmp_gt_i32_e32 vcc_lo, s21, v9
	s_wait_alu 0xfffd
	v_cndmask_b32_e32 v13, 0, v13, vcc_lo
	v_cmp_gt_i32_e32 vcc_lo, s21, v10
	s_wait_alu 0xfffd
	v_cndmask_b32_e32 v10, 0, v14, vcc_lo
	v_cmp_gt_i32_e32 vcc_lo, s21, v12
	v_add_nc_u32_e32 v9, v11, v19
	s_wait_alu 0xfffd
	v_cndmask_b32_e32 v12, 0, v15, vcc_lo
	v_add_nc_u32_e32 v11, v13, v19
	v_add_nc_u32_e32 v13, v10, v19
	v_ashrrev_i32_e32 v10, 31, v9
	s_delay_alu instid0(VALU_DEP_4) | instskip(NEXT) | instid1(VALU_DEP_4)
	v_add_nc_u32_e32 v15, v12, v19
	v_ashrrev_i32_e32 v12, 31, v11
	s_delay_alu instid0(VALU_DEP_4) | instskip(NEXT) | instid1(VALU_DEP_4)
	v_ashrrev_i32_e32 v14, 31, v13
	v_lshlrev_b64_e32 v[9:10], 1, v[9:10]
	s_delay_alu instid0(VALU_DEP_4) | instskip(NEXT) | instid1(VALU_DEP_4)
	v_ashrrev_i32_e32 v16, 31, v15
	v_lshlrev_b64_e32 v[11:12], 1, v[11:12]
	s_delay_alu instid0(VALU_DEP_4) | instskip(NEXT) | instid1(VALU_DEP_4)
	v_lshlrev_b64_e32 v[13:14], 1, v[13:14]
	v_add_co_u32 v9, vcc_lo, s34, v9
	s_delay_alu instid0(VALU_DEP_4)
	v_lshlrev_b64_e32 v[15:16], 1, v[15:16]
	s_wait_alu 0xfffd
	v_add_co_ci_u32_e64 v10, null, s35, v10, vcc_lo
	v_add_co_u32 v11, vcc_lo, s34, v11
	s_wait_alu 0xfffd
	v_add_co_ci_u32_e64 v12, null, s35, v12, vcc_lo
	v_add_co_u32 v13, vcc_lo, s34, v13
	;; [unrolled: 3-line block ×3, first 2 shown]
	s_wait_alu 0xfffd
	v_add_co_ci_u32_e64 v16, null, s35, v16, vcc_lo
	s_clause 0x3
	global_load_u16 v30, v[9:10], off
	global_load_u16 v35, v[11:12], off
	;; [unrolled: 1-line block ×4, first 2 shown]
	s_and_saveexec_b32 s34, s1
	s_cbranch_execz .LBB392_43
; %bb.38:                               ;   in Loop: Header=BB392_5 Depth=1
	s_clause 0x3
	global_load_u16 v38, v[9:10], off offset:128
	global_load_u16 v39, v[11:12], off offset:128
	global_load_u16 v40, v[13:14], off offset:128
	global_load_u16 v41, v[15:16], off offset:128
	s_and_saveexec_b32 s35, s2
	s_cbranch_execz .LBB392_42
; %bb.39:                               ;   in Loop: Header=BB392_5 Depth=1
	s_clause 0x3
	global_load_u16 v42, v[9:10], off offset:256
	global_load_u16 v43, v[11:12], off offset:256
	global_load_u16 v44, v[13:14], off offset:256
	global_load_u16 v45, v[15:16], off offset:256
	;; [unrolled: 8-line block ×3, first 2 shown]
	s_wait_loadcnt 0x3
	v_fma_mix_f32 v9, v34, v9, v29 op_sel_hi:[0,1,0]
	s_wait_loadcnt 0x2
	s_delay_alu instid0(VALU_DEP_1) | instskip(SKIP_1) | instid1(VALU_DEP_1)
	v_fma_mix_f32 v9, v33, v10, v9 op_sel_hi:[0,1,0]
	s_wait_loadcnt 0x1
	v_fma_mix_f32 v9, v32, v11, v9 op_sel_hi:[0,1,0]
	s_wait_loadcnt 0x0
	s_delay_alu instid0(VALU_DEP_1)
	v_fma_mix_f32 v29, v31, v12, v9 op_sel_hi:[0,1,0]
.LBB392_41:                             ;   in Loop: Header=BB392_5 Depth=1
	s_wait_alu 0xfffe
	s_or_b32 exec_lo, exec_lo, s36
	s_wait_loadcnt 0x3
	v_fma_mix_f32 v9, v34, v42, v28 op_sel_hi:[0,1,0]
	s_wait_loadcnt 0x2
	s_delay_alu instid0(VALU_DEP_1) | instskip(SKIP_1) | instid1(VALU_DEP_1)
	v_fma_mix_f32 v9, v33, v43, v9 op_sel_hi:[0,1,0]
	s_wait_loadcnt 0x1
	v_fma_mix_f32 v9, v32, v44, v9 op_sel_hi:[0,1,0]
	s_wait_loadcnt 0x0
	s_delay_alu instid0(VALU_DEP_1)
	v_fma_mix_f32 v28, v31, v45, v9 op_sel_hi:[0,1,0]
.LBB392_42:                             ;   in Loop: Header=BB392_5 Depth=1
	s_wait_alu 0xfffe
	s_or_b32 exec_lo, exec_lo, s35
	s_wait_loadcnt 0x3
	v_fma_mix_f32 v9, v34, v38, v27 op_sel_hi:[0,1,0]
	s_wait_loadcnt 0x2
	s_delay_alu instid0(VALU_DEP_1) | instskip(SKIP_1) | instid1(VALU_DEP_1)
	v_fma_mix_f32 v9, v33, v39, v9 op_sel_hi:[0,1,0]
	s_wait_loadcnt 0x1
	v_fma_mix_f32 v9, v32, v40, v9 op_sel_hi:[0,1,0]
	s_wait_loadcnt 0x0
	s_delay_alu instid0(VALU_DEP_1)
	v_fma_mix_f32 v27, v31, v41, v9 op_sel_hi:[0,1,0]
.LBB392_43:                             ;   in Loop: Header=BB392_5 Depth=1
	s_wait_alu 0xfffe
	s_or_b32 exec_lo, exec_lo, s34
	s_wait_loadcnt 0x3
	v_fma_mix_f32 v9, v34, v30, v26 op_sel_hi:[0,1,0]
	s_wait_loadcnt 0x2
	s_delay_alu instid0(VALU_DEP_1) | instskip(SKIP_1) | instid1(VALU_DEP_1)
	v_fma_mix_f32 v9, v33, v35, v9 op_sel_hi:[0,1,0]
	s_wait_loadcnt 0x1
	v_fma_mix_f32 v9, v32, v36, v9 op_sel_hi:[0,1,0]
	s_wait_loadcnt 0x0
	s_delay_alu instid0(VALU_DEP_1)
	v_fma_mix_f32 v26, v31, v37, v9 op_sel_hi:[0,1,0]
.LBB392_44:                             ;   in Loop: Header=BB392_5 Depth=1
	s_wait_alu 0xfffe
	s_or_b32 exec_lo, exec_lo, s7
.LBB392_45:                             ;   in Loop: Header=BB392_5 Depth=1
	ds_store_2addr_stride64_b32 v18, v26, v27 offset1:1
	ds_store_2addr_stride64_b32 v18, v28, v29 offset0:2 offset1:3
	s_wait_dscnt 0x0
	s_barrier_signal -1
	s_barrier_wait -1
	global_inv scope:SCOPE_SE
                                        ; implicit-def: $vgpr11
	s_and_saveexec_b32 s7, s5
	s_cbranch_execz .LBB392_51
; %bb.46:                               ;   in Loop: Header=BB392_5 Depth=1
	ds_load_2addr_stride64_b32 v[9:10], v20 offset1:4
	ds_load_2addr_stride64_b32 v[11:12], v20 offset0:8 offset1:12
	ds_load_2addr_stride64_b32 v[13:14], v20 offset0:16 offset1:20
	s_mov_b32 s35, s44
	s_wait_dscnt 0x2
	v_add_f32_e32 v15, v9, v10
	ds_load_2addr_stride64_b32 v[9:10], v20 offset0:24 offset1:28
	s_wait_dscnt 0x2
	v_add_f32_e32 v11, v11, v15
	s_delay_alu instid0(VALU_DEP_1) | instskip(SKIP_3) | instid1(VALU_DEP_1)
	v_add_f32_e32 v15, v12, v11
	ds_load_2addr_stride64_b32 v[11:12], v20 offset0:32 offset1:36
	s_wait_dscnt 0x2
	v_add_f32_e32 v13, v13, v15
	v_add_f32_e32 v15, v14, v13
	ds_load_2addr_stride64_b32 v[13:14], v20 offset0:40 offset1:44
	s_wait_dscnt 0x2
	v_add_f32_e32 v9, v9, v15
	s_delay_alu instid0(VALU_DEP_1) | instskip(SKIP_1) | instid1(VALU_DEP_1)
	v_add_f32_e32 v9, v10, v9
	s_wait_dscnt 0x1
	v_add_f32_e32 v11, v11, v9
	ds_load_2addr_stride64_b32 v[9:10], v20 offset0:48 offset1:52
	v_add_f32_e32 v11, v12, v11
	s_wait_dscnt 0x1
	s_delay_alu instid0(VALU_DEP_1) | instskip(SKIP_3) | instid1(VALU_DEP_1)
	v_add_f32_e32 v13, v13, v11
	ds_load_2addr_stride64_b32 v[11:12], v20 offset0:56 offset1:60
	v_add_f32_e32 v13, v14, v13
	s_wait_dscnt 0x1
	v_add_f32_e32 v9, v9, v13
	s_delay_alu instid0(VALU_DEP_1) | instskip(SKIP_1) | instid1(VALU_DEP_1)
	v_add_f32_e32 v9, v10, v9
	s_wait_dscnt 0x0
	v_add_f32_e32 v9, v11, v9
                                        ; implicit-def: $vgpr11
	s_delay_alu instid0(VALU_DEP_1)
	v_add_f32_e32 v9, v12, v9
	ds_store_b32 v20, v9
	s_and_saveexec_b32 s34, s6
	s_cbranch_execz .LBB392_50
; %bb.47:                               ;   in Loop: Header=BB392_5 Depth=1
	v_mul_f32_e32 v9, s22, v9
	s_and_not1_b32 vcc_lo, exec_lo, s39
	s_wait_alu 0xfffe
	s_cbranch_vccnz .LBB392_49
; %bb.48:                               ;   in Loop: Header=BB392_5 Depth=1
	v_lshlrev_b64_e32 v[10:11], 1, v[2:3]
	s_delay_alu instid0(VALU_DEP_1) | instskip(SKIP_1) | instid1(VALU_DEP_2)
	v_add_co_u32 v10, vcc_lo, s16, v10
	s_wait_alu 0xfffd
	v_add_co_ci_u32_e64 v11, null, s17, v11, vcc_lo
	global_load_u16 v10, v[10:11], off
	s_wait_loadcnt 0x0
	v_fma_mix_f32 v9, s26, v10, v9 op_sel_hi:[0,1,0]
.LBB392_49:                             ;   in Loop: Header=BB392_5 Depth=1
	s_delay_alu instid0(VALU_DEP_1)
	v_cvt_f16_f32_e32 v11, v9
	s_or_b32 s35, s44, exec_lo
.LBB392_50:                             ;   in Loop: Header=BB392_5 Depth=1
	s_wait_alu 0xfffe
	s_or_b32 exec_lo, exec_lo, s34
	s_delay_alu instid0(SALU_CYCLE_1)
	s_and_not1_b32 s34, s44, exec_lo
	s_and_b32 s35, s35, exec_lo
	s_wait_alu 0xfffe
	s_or_b32 s44, s34, s35
.LBB392_51:                             ;   in Loop: Header=BB392_5 Depth=1
	s_wait_alu 0xfffe
	s_or_b32 exec_lo, exec_lo, s7
	v_dual_mov_b32 v10, v3 :: v_dual_mov_b32 v9, v2
	s_and_saveexec_b32 s7, s44
	s_cbranch_execz .LBB392_3
.LBB392_52:                             ;   in Loop: Header=BB392_5 Depth=1
	s_delay_alu instid0(VALU_DEP_1) | instskip(SKIP_1) | instid1(VALU_DEP_1)
	v_lshlrev_b64_e32 v[9:10], 1, v[9:10]
	s_wait_alu 0xfffe
	v_add_co_u32 v9, vcc_lo, s16, v9
	s_wait_alu 0xfffd
	s_delay_alu instid0(VALU_DEP_2)
	v_add_co_ci_u32_e64 v10, null, s17, v10, vcc_lo
	global_store_b16 v[9:10], v11, off
	s_branch .LBB392_3
.LBB392_53:
	s_endpgm
	.section	.rodata,"a",@progbits
	.p2align	6, 0x0
	.amdhsa_kernel _ZL20rocblas_gemvn_kernelILi64ELi16EiDF16_fDF16_EviiT3_lPKT2_lT1_lS3_lS4_lS0_lPT4_lS4_li
		.amdhsa_group_segment_fixed_size 16384
		.amdhsa_private_segment_fixed_size 0
		.amdhsa_kernarg_size 400
		.amdhsa_user_sgpr_count 2
		.amdhsa_user_sgpr_dispatch_ptr 0
		.amdhsa_user_sgpr_queue_ptr 0
		.amdhsa_user_sgpr_kernarg_segment_ptr 1
		.amdhsa_user_sgpr_dispatch_id 0
		.amdhsa_user_sgpr_private_segment_size 0
		.amdhsa_wavefront_size32 1
		.amdhsa_uses_dynamic_stack 0
		.amdhsa_enable_private_segment 0
		.amdhsa_system_sgpr_workgroup_id_x 1
		.amdhsa_system_sgpr_workgroup_id_y 0
		.amdhsa_system_sgpr_workgroup_id_z 1
		.amdhsa_system_sgpr_workgroup_info 0
		.amdhsa_system_vgpr_workitem_id 1
		.amdhsa_next_free_vgpr 55
		.amdhsa_next_free_sgpr 51
		.amdhsa_reserve_vcc 1
		.amdhsa_float_round_mode_32 0
		.amdhsa_float_round_mode_16_64 0
		.amdhsa_float_denorm_mode_32 3
		.amdhsa_float_denorm_mode_16_64 3
		.amdhsa_fp16_overflow 0
		.amdhsa_workgroup_processor_mode 1
		.amdhsa_memory_ordered 1
		.amdhsa_forward_progress 1
		.amdhsa_inst_pref_size 27
		.amdhsa_round_robin_scheduling 0
		.amdhsa_exception_fp_ieee_invalid_op 0
		.amdhsa_exception_fp_denorm_src 0
		.amdhsa_exception_fp_ieee_div_zero 0
		.amdhsa_exception_fp_ieee_overflow 0
		.amdhsa_exception_fp_ieee_underflow 0
		.amdhsa_exception_fp_ieee_inexact 0
		.amdhsa_exception_int_div_zero 0
	.end_amdhsa_kernel
	.section	.text._ZL20rocblas_gemvn_kernelILi64ELi16EiDF16_fDF16_EviiT3_lPKT2_lT1_lS3_lS4_lS0_lPT4_lS4_li,"axG",@progbits,_ZL20rocblas_gemvn_kernelILi64ELi16EiDF16_fDF16_EviiT3_lPKT2_lT1_lS3_lS4_lS0_lPT4_lS4_li,comdat
.Lfunc_end392:
	.size	_ZL20rocblas_gemvn_kernelILi64ELi16EiDF16_fDF16_EviiT3_lPKT2_lT1_lS3_lS4_lS0_lPT4_lS4_li, .Lfunc_end392-_ZL20rocblas_gemvn_kernelILi64ELi16EiDF16_fDF16_EviiT3_lPKT2_lT1_lS3_lS4_lS0_lPT4_lS4_li
                                        ; -- End function
	.set _ZL20rocblas_gemvn_kernelILi64ELi16EiDF16_fDF16_EviiT3_lPKT2_lT1_lS3_lS4_lS0_lPT4_lS4_li.num_vgpr, 55
	.set _ZL20rocblas_gemvn_kernelILi64ELi16EiDF16_fDF16_EviiT3_lPKT2_lT1_lS3_lS4_lS0_lPT4_lS4_li.num_agpr, 0
	.set _ZL20rocblas_gemvn_kernelILi64ELi16EiDF16_fDF16_EviiT3_lPKT2_lT1_lS3_lS4_lS0_lPT4_lS4_li.numbered_sgpr, 51
	.set _ZL20rocblas_gemvn_kernelILi64ELi16EiDF16_fDF16_EviiT3_lPKT2_lT1_lS3_lS4_lS0_lPT4_lS4_li.num_named_barrier, 0
	.set _ZL20rocblas_gemvn_kernelILi64ELi16EiDF16_fDF16_EviiT3_lPKT2_lT1_lS3_lS4_lS0_lPT4_lS4_li.private_seg_size, 0
	.set _ZL20rocblas_gemvn_kernelILi64ELi16EiDF16_fDF16_EviiT3_lPKT2_lT1_lS3_lS4_lS0_lPT4_lS4_li.uses_vcc, 1
	.set _ZL20rocblas_gemvn_kernelILi64ELi16EiDF16_fDF16_EviiT3_lPKT2_lT1_lS3_lS4_lS0_lPT4_lS4_li.uses_flat_scratch, 0
	.set _ZL20rocblas_gemvn_kernelILi64ELi16EiDF16_fDF16_EviiT3_lPKT2_lT1_lS3_lS4_lS0_lPT4_lS4_li.has_dyn_sized_stack, 0
	.set _ZL20rocblas_gemvn_kernelILi64ELi16EiDF16_fDF16_EviiT3_lPKT2_lT1_lS3_lS4_lS0_lPT4_lS4_li.has_recursion, 0
	.set _ZL20rocblas_gemvn_kernelILi64ELi16EiDF16_fDF16_EviiT3_lPKT2_lT1_lS3_lS4_lS0_lPT4_lS4_li.has_indirect_call, 0
	.section	.AMDGPU.csdata,"",@progbits
; Kernel info:
; codeLenInByte = 3400
; TotalNumSgprs: 53
; NumVgprs: 55
; ScratchSize: 0
; MemoryBound: 0
; FloatMode: 240
; IeeeMode: 1
; LDSByteSize: 16384 bytes/workgroup (compile time only)
; SGPRBlocks: 0
; VGPRBlocks: 6
; NumSGPRsForWavesPerEU: 53
; NumVGPRsForWavesPerEU: 55
; Occupancy: 16
; WaveLimiterHint : 1
; COMPUTE_PGM_RSRC2:SCRATCH_EN: 0
; COMPUTE_PGM_RSRC2:USER_SGPR: 2
; COMPUTE_PGM_RSRC2:TRAP_HANDLER: 0
; COMPUTE_PGM_RSRC2:TGID_X_EN: 1
; COMPUTE_PGM_RSRC2:TGID_Y_EN: 0
; COMPUTE_PGM_RSRC2:TGID_Z_EN: 1
; COMPUTE_PGM_RSRC2:TIDIG_COMP_CNT: 1
	.section	.text._ZL20rocblas_gemvn_kernelILi64ELi16ElDF16_fDF16_EviiT3_lPKT2_lT1_lS3_lS4_lS0_lPT4_lS4_li,"axG",@progbits,_ZL20rocblas_gemvn_kernelILi64ELi16ElDF16_fDF16_EviiT3_lPKT2_lT1_lS3_lS4_lS0_lPT4_lS4_li,comdat
	.globl	_ZL20rocblas_gemvn_kernelILi64ELi16ElDF16_fDF16_EviiT3_lPKT2_lT1_lS3_lS4_lS0_lPT4_lS4_li ; -- Begin function _ZL20rocblas_gemvn_kernelILi64ELi16ElDF16_fDF16_EviiT3_lPKT2_lT1_lS3_lS4_lS0_lPT4_lS4_li
	.p2align	8
	.type	_ZL20rocblas_gemvn_kernelILi64ELi16ElDF16_fDF16_EviiT3_lPKT2_lT1_lS3_lS4_lS0_lPT4_lS4_li,@function
_ZL20rocblas_gemvn_kernelILi64ELi16ElDF16_fDF16_EviiT3_lPKT2_lT1_lS3_lS4_lS0_lPT4_lS4_li: ; @_ZL20rocblas_gemvn_kernelILi64ELi16ElDF16_fDF16_EviiT3_lPKT2_lT1_lS3_lS4_lS0_lPT4_lS4_li
; %bb.0:
	s_load_b64 s[2:3], s[0:1], 0x9c
	s_wait_kmcnt 0x0
	s_lshr_b32 s4, s2, 16
	s_and_b32 s2, s2, 0xffff
	s_and_b32 s3, s3, 0xffff
	s_mul_i32 s2, s4, s2
	s_delay_alu instid0(SALU_CYCLE_1) | instskip(NEXT) | instid1(SALU_CYCLE_1)
	s_mul_i32 s2, s2, s3
	s_cmp_lg_u32 s2, 0x400
	s_cbranch_scc1 .LBB393_53
; %bb.1:
	s_load_b32 s33, s[0:1], 0x88
	s_lshr_b32 s34, ttmp7, 16
	s_wait_kmcnt 0x0
	s_cmp_ge_u32 s34, s33
	s_cbranch_scc1 .LBB393_53
; %bb.2:
	s_clause 0x3
	s_load_b512 s[8:23], s[0:1], 0x18
	s_load_b256 s[24:31], s[0:1], 0x68
	s_load_b96 s[36:38], s[0:1], 0x0
	s_load_b32 s39, s[0:1], 0x58
	v_bfe_u32 v15, v0, 10, 10
	v_and_b32_e32 v1, 0x3ff, v0
	s_mov_b32 s35, 0
	s_delay_alu instid0(VALU_DEP_2) | instskip(NEXT) | instid1(VALU_DEP_2)
	v_dual_mov_b32 v3, 0 :: v_dual_lshlrev_b32 v16, 2, v15
	v_lshlrev_b32_e32 v10, 2, v1
	s_delay_alu instid0(VALU_DEP_2) | instskip(NEXT) | instid1(VALU_DEP_2)
	v_or_b32_e32 v19, 3, v16
	v_lshl_add_u32 v17, v15, 10, v10
	v_lshl_add_u32 v18, v15, 8, v10
	s_wait_kmcnt 0x0
	s_lshl_b64 s[2:3], s[10:11], 1
	s_lshl_b64 s[10:11], s[18:19], 1
	;; [unrolled: 1-line block ×3, first 2 shown]
	s_cmp_eq_f32 s38, 0
	s_add_nc_u64 s[18:19], s[8:9], s[2:3]
	v_mad_co_u64_u32 v[4:5], null, s20, v15, 0
	s_cselect_b32 s46, -1, 0
	s_cmp_neq_f32 s38, 0
	v_mad_co_u64_u32 v[6:7], null, s12, v19, 0
	s_add_nc_u64 s[24:25], s[24:25], s[4:5]
	s_cselect_b32 s1, -1, 0
	s_cmp_neq_f32 s39, 1.0
	s_mov_b32 s6, s36
	s_add_nc_u64 s[26:27], s[16:17], s[10:11]
	s_cselect_b32 s2, -1, 0
	s_lshl_b32 s8, ttmp9, 8
	s_ashr_i32 s7, s36, 31
	v_add_nc_u32_e32 v8, s8, v1
	s_or_b32 s47, s1, s2
	s_cmp_neq_f32 s39, 0
	s_delay_alu instid0(VALU_DEP_1) | instskip(SKIP_2) | instid1(SALU_CYCLE_1)
	v_add_nc_u32_e32 v11, 0x80, v8
	s_cselect_b32 s48, -1, 0
	s_ashr_i32 s2, s37, 31
	s_lshr_b32 s2, s2, 26
	s_delay_alu instid0(VALU_DEP_1)
	v_cmp_gt_i32_e64 s3, s36, v11
	v_mad_co_u64_u32 v[10:11], null, s21, v15, v[5:6]
	v_mov_b32_e32 v5, v7
	s_add_co_i32 s49, s37, s2
	v_or_b32_e32 v23, 2, v16
	s_and_not1_b32 s49, s49, 63
	v_mad_co_u64_u32 v[29:30], null, s20, v16, s[20:21]
	v_mad_co_u64_u32 v[13:14], null, s13, v19, v[5:6]
	v_dual_mov_b32 v5, v10 :: v_dual_add_nc_u32 v12, 0xc0, v8
	s_sub_co_i32 s5, s37, s49
	v_ashrrev_i32_e32 v9, 31, v8
	s_cmp_gt_i32 s5, 0
	s_delay_alu instid0(VALU_DEP_2)
	v_lshlrev_b64_e32 v[4:5], 3, v[4:5]
	v_cmp_gt_i32_e64 s4, s36, v12
	v_mad_co_u64_u32 v[11:12], null, s20, v19, 0
	s_cselect_b32 s50, -1, 0
	v_cmp_gt_i32_e64 s1, s36, v8
	v_mov_b32_e32 v7, v13
	v_mad_co_u64_u32 v[27:28], null, s20, v23, 0
	v_mad_co_u64_u32 v[31:32], null, s12, v16, s[12:13]
	v_mov_b32_e32 v10, v12
	v_lshl_add_u32 v0, v15, 6, v1
	v_lshlrev_b64_e32 v[6:7], 1, v[6:7]
	v_cmp_gt_i32_e64 s5, s49, v16
	s_lshl_b64 s[40:41], s[14:15], 1
	v_mad_co_u64_u32 v[12:13], null, s21, v19, v[10:11]
	v_add_nc_u32_e32 v2, s8, v0
	v_cmp_gt_u32_e64 s0, 0x100, v0
	v_or_b32_e32 v20, s8, v0
	v_mad_co_u64_u32 v[13:14], null, s12, v15, 0
	s_delay_alu instid0(VALU_DEP_4)
	v_mad_co_u64_u32 v[0:1], null, s28, v2, 0
	v_cmp_gt_i64_e32 vcc_lo, s[6:7], v[2:3]
	v_add_nc_u32_e32 v3, 64, v8
	s_ashr_i32 s6, s8, 31
	v_mul_lo_u32 v21, s29, v20
	s_wait_alu 0xfffe
	s_mul_i32 s7, s28, s6
	v_cmp_gt_i32_e64 s6, s36, v20
	v_mad_co_u64_u32 v[1:2], null, s29, v2, v[1:2]
	v_cmp_gt_i32_e64 s2, s36, v3
	v_mad_co_u64_u32 v[2:3], null, s28, v20, 0
	s_and_b32 s36, s0, vcc_lo
	v_add_co_u32 v19, vcc_lo, s16, v4
	s_delay_alu instid0(VALU_DEP_1)
	v_add_co_ci_u32_e64 v20, null, s17, v5, vcc_lo
	v_lshlrev_b64_e32 v[4:5], 1, v[8:9]
	v_mad_co_u64_u32 v[9:10], null, s12, v23, 0
	v_mov_b32_e32 v8, v14
	s_wait_alu 0xfffe
	v_add3_u32 v3, v3, s7, v21
	v_add_co_u32 v21, vcc_lo, s18, v6
	s_wait_alu 0xfffd
	v_add_co_ci_u32_e64 v22, null, s19, v7, vcc_lo
	v_mad_co_u64_u32 v[14:15], null, s13, v15, v[8:9]
	v_lshlrev_b64_e32 v[7:8], 1, v[11:12]
	v_mov_b32_e32 v6, v10
	v_mov_b32_e32 v10, v28
	s_lshl_b64 s[28:29], s[22:23], 1
	s_lshl_b64 s[42:43], s[12:13], 7
	s_delay_alu instid0(VALU_DEP_2) | instskip(SKIP_1) | instid1(VALU_DEP_2)
	v_mad_co_u64_u32 v[11:12], null, s13, v23, v[6:7]
	v_mov_b32_e32 v6, v30
	v_mad_co_u64_u32 v[25:26], null, s21, v23, v[10:11]
	v_add_co_u32 v23, vcc_lo, s16, v7
	s_wait_alu 0xfffd
	v_add_co_ci_u32_e64 v24, null, s17, v8, vcc_lo
	v_lshlrev_b64_e32 v[7:8], 3, v[13:14]
	v_mov_b32_e32 v10, v11
	v_mov_b32_e32 v28, v25
	s_delay_alu instid0(VALU_DEP_3)
	v_add_co_u32 v25, vcc_lo, s18, v7
	v_mad_co_u64_u32 v[11:12], null, s21, v16, v[6:7]
	s_wait_alu 0xfffd
	v_add_co_ci_u32_e64 v26, null, s19, v8, vcc_lo
	v_lshlrev_b64_e32 v[7:8], 1, v[9:10]
	v_mov_b32_e32 v6, v32
	v_lshlrev_b64_e32 v[12:13], 1, v[27:28]
	v_mov_b32_e32 v30, v11
	s_delay_alu instid0(VALU_DEP_3) | instskip(SKIP_1) | instid1(VALU_DEP_3)
	v_mad_co_u64_u32 v[9:10], null, s13, v16, v[6:7]
	v_add_co_u32 v27, vcc_lo, s18, v7
	v_lshlrev_b64_e32 v[6:7], 1, v[29:30]
	s_wait_alu 0xfffd
	v_add_co_ci_u32_e64 v28, null, s19, v8, vcc_lo
	v_add_co_u32 v29, vcc_lo, s16, v12
	v_mov_b32_e32 v32, v9
	s_wait_alu 0xfffd
	v_add_co_ci_u32_e64 v30, null, s17, v13, vcc_lo
	s_delay_alu instid0(VALU_DEP_2) | instskip(SKIP_4) | instid1(VALU_DEP_4)
	v_lshlrev_b64_e32 v[8:9], 1, v[31:32]
	v_add_co_u32 v31, vcc_lo, s16, v6
	s_wait_alu 0xfffd
	v_add_co_ci_u32_e64 v32, null, s17, v7, vcc_lo
	v_lshlrev_b64_e32 v[6:7], 1, v[0:1]
	v_add_co_u32 v33, vcc_lo, s18, v8
	s_wait_alu 0xfffd
	v_add_co_ci_u32_e64 v34, null, s19, v9, vcc_lo
	s_lshl_b64 s[16:17], s[20:21], 7
	s_branch .LBB393_5
.LBB393_3:                              ;   in Loop: Header=BB393_5 Depth=1
	s_wait_alu 0xfffe
	s_or_b32 exec_lo, exec_lo, s7
.LBB393_4:                              ;   in Loop: Header=BB393_5 Depth=1
	s_add_co_i32 s34, s34, 0x10000
	s_delay_alu instid0(SALU_CYCLE_1)
	s_cmp_lt_u32 s34, s33
	s_cbranch_scc0 .LBB393_53
.LBB393_5:                              ; =>This Loop Header: Depth=1
                                        ;     Child Loop BB393_21 Depth 2
	s_and_not1_b32 vcc_lo, exec_lo, s47
	s_wait_alu 0xfffe
	s_cbranch_vccnz .LBB393_4
; %bb.6:                                ;   in Loop: Header=BB393_5 Depth=1
	s_mul_u64 s[8:9], s[30:31], s[34:35]
	s_and_not1_b32 vcc_lo, exec_lo, s46
	s_wait_alu 0xfffe
	s_lshl_b64 s[8:9], s[8:9], 1
	s_wait_alu 0xfffe
	s_add_nc_u64 s[44:45], s[24:25], s[8:9]
	s_cbranch_vccnz .LBB393_10
; %bb.7:                                ;   in Loop: Header=BB393_5 Depth=1
	s_mov_b32 s7, 0
	s_mov_b32 s51, 0
                                        ; implicit-def: $vgpr10
	s_and_saveexec_b32 s8, s36
	s_cbranch_execz .LBB393_11
; %bb.8:                                ;   in Loop: Header=BB393_5 Depth=1
	s_and_not1_b32 vcc_lo, exec_lo, s48
	s_wait_alu 0xfffe
	s_cbranch_vccnz .LBB393_13
; %bb.9:                                ;   in Loop: Header=BB393_5 Depth=1
	v_add_co_u32 v8, vcc_lo, s44, v6
	s_wait_alu 0xfffd
	v_add_co_ci_u32_e64 v9, null, s45, v7, vcc_lo
	global_load_u16 v8, v[8:9], off
	s_wait_loadcnt 0x0
	v_fma_mixlo_f16 v10, s39, v8, 0 op_sel_hi:[0,1,0]
	s_branch .LBB393_14
.LBB393_10:                             ;   in Loop: Header=BB393_5 Depth=1
	s_mov_b32 s51, 0
                                        ; implicit-def: $vgpr10
	s_cbranch_execz .LBB393_12
	s_branch .LBB393_15
.LBB393_11:                             ;   in Loop: Header=BB393_5 Depth=1
	s_wait_alu 0xfffe
	s_or_b32 exec_lo, exec_lo, s8
	s_delay_alu instid0(SALU_CYCLE_1)
	s_and_b32 vcc_lo, exec_lo, s7
	s_wait_alu 0xfffe
	s_cbranch_vccnz .LBB393_15
.LBB393_12:                             ;   in Loop: Header=BB393_5 Depth=1
	v_dual_mov_b32 v9, v1 :: v_dual_mov_b32 v8, v0
	s_and_saveexec_b32 s7, s51
	s_cbranch_execz .LBB393_3
	s_branch .LBB393_52
.LBB393_13:                             ;   in Loop: Header=BB393_5 Depth=1
	v_mov_b32_e32 v10, 0
.LBB393_14:                             ;   in Loop: Header=BB393_5 Depth=1
	s_mov_b32 s51, exec_lo
	s_or_b32 exec_lo, exec_lo, s8
	s_delay_alu instid0(SALU_CYCLE_1)
	s_and_b32 vcc_lo, exec_lo, s7
	s_wait_alu 0xfffe
	s_cbranch_vccz .LBB393_12
.LBB393_15:                             ;   in Loop: Header=BB393_5 Depth=1
	v_dual_mov_b32 v35, 0 :: v_dual_mov_b32 v36, 0
	v_dual_mov_b32 v39, v16 :: v_dual_mov_b32 v38, 0
	v_mov_b32_e32 v37, 0
	s_and_saveexec_b32 s8, s5
	s_cbranch_execz .LBB393_27
; %bb.16:                               ;   in Loop: Header=BB393_5 Depth=1
	s_mul_u64 s[52:53], s[28:29], s[34:35]
	s_mul_u64 s[54:55], s[40:41], s[34:35]
	s_wait_alu 0xfffe
	v_add_co_u32 v40, vcc_lo, v19, s52
	s_wait_alu 0xfffd
	v_add_co_ci_u32_e64 v41, null, s53, v20, vcc_lo
	v_add_co_u32 v42, vcc_lo, v21, s54
	s_wait_alu 0xfffd
	v_add_co_ci_u32_e64 v43, null, s55, v22, vcc_lo
	;; [unrolled: 3-line block ×8, first 2 shown]
	v_dual_mov_b32 v35, 0 :: v_dual_mov_b32 v36, 0
	v_dual_mov_b32 v39, v16 :: v_dual_mov_b32 v38, 0
	v_mov_b32_e32 v37, 0
	s_mov_b32 s9, 0
	s_branch .LBB393_21
.LBB393_17:                             ;   in Loop: Header=BB393_21 Depth=2
	s_wait_alu 0xfffe
	s_or_b32 exec_lo, exec_lo, s54
	s_wait_loadcnt 0x3
	v_fma_mix_f32 v8, v68, v72, v37 op_sel_hi:[0,1,0]
	s_wait_loadcnt 0x2
	s_delay_alu instid0(VALU_DEP_1) | instskip(SKIP_1) | instid1(VALU_DEP_1)
	v_fma_mix_f32 v8, v69, v73, v8 op_sel_hi:[0,1,0]
	s_wait_loadcnt 0x1
	v_fma_mix_f32 v8, v70, v74, v8 op_sel_hi:[0,1,0]
	s_wait_loadcnt 0x0
	s_delay_alu instid0(VALU_DEP_1)
	v_fma_mix_f32 v37, v71, v75, v8 op_sel_hi:[0,1,0]
.LBB393_18:                             ;   in Loop: Header=BB393_21 Depth=2
	s_wait_alu 0xfffe
	s_or_b32 exec_lo, exec_lo, s53
	s_wait_loadcnt 0x3
	v_fma_mix_f32 v8, v68, v64, v36 op_sel_hi:[0,1,0]
	s_wait_loadcnt 0x2
	s_delay_alu instid0(VALU_DEP_1) | instskip(SKIP_1) | instid1(VALU_DEP_1)
	v_fma_mix_f32 v8, v69, v65, v8 op_sel_hi:[0,1,0]
	s_wait_loadcnt 0x1
	v_fma_mix_f32 v8, v70, v66, v8 op_sel_hi:[0,1,0]
	s_wait_loadcnt 0x0
	s_delay_alu instid0(VALU_DEP_1)
	v_fma_mix_f32 v36, v71, v67, v8 op_sel_hi:[0,1,0]
.LBB393_19:                             ;   in Loop: Header=BB393_21 Depth=2
	s_wait_alu 0xfffe
	s_or_b32 exec_lo, exec_lo, s52
	s_wait_loadcnt 0x3
	v_fma_mix_f32 v8, v56, v60, v35 op_sel_hi:[1,1,0]
	s_wait_loadcnt 0x2
	s_delay_alu instid0(VALU_DEP_1) | instskip(SKIP_1) | instid1(VALU_DEP_1)
	v_fma_mix_f32 v8, v57, v61, v8 op_sel_hi:[1,1,0]
	s_wait_loadcnt 0x1
	v_fma_mix_f32 v8, v58, v62, v8 op_sel_hi:[1,1,0]
	s_wait_loadcnt 0x0
	s_delay_alu instid0(VALU_DEP_1)
	v_fma_mix_f32 v35, v59, v63, v8 op_sel_hi:[1,1,0]
.LBB393_20:                             ;   in Loop: Header=BB393_21 Depth=2
	s_wait_alu 0xfffe
	s_or_b32 exec_lo, exec_lo, s7
	v_add_co_u32 v40, vcc_lo, v40, s16
	s_wait_alu 0xfffd
	v_add_co_ci_u32_e64 v41, null, s17, v41, vcc_lo
	v_add_co_u32 v42, vcc_lo, v42, s42
	s_wait_alu 0xfffd
	v_add_co_ci_u32_e64 v43, null, s43, v43, vcc_lo
	;; [unrolled: 3-line block ×4, first 2 shown]
	v_add_co_u32 v48, vcc_lo, v48, s42
	v_add_nc_u32_e32 v39, 64, v39
	s_wait_alu 0xfffd
	v_add_co_ci_u32_e64 v49, null, s43, v49, vcc_lo
	v_add_co_u32 v50, vcc_lo, v50, s16
	s_wait_alu 0xfffd
	v_add_co_ci_u32_e64 v51, null, s17, v51, vcc_lo
	v_add_co_u32 v52, vcc_lo, v52, s16
	s_wait_alu 0xfffd
	v_add_co_ci_u32_e64 v53, null, s17, v53, vcc_lo
	v_cmp_le_i32_e32 vcc_lo, s49, v39
	v_add_co_u32 v54, s7, v54, s42
	s_wait_alu 0xf1ff
	v_add_co_ci_u32_e64 v55, null, s43, v55, s7
	s_or_b32 s9, vcc_lo, s9
	s_wait_alu 0xfffe
	s_and_not1_b32 exec_lo, exec_lo, s9
	s_cbranch_execz .LBB393_26
.LBB393_21:                             ;   Parent Loop BB393_5 Depth=1
                                        ; =>  This Inner Loop Header: Depth=2
	s_and_saveexec_b32 s7, s1
	s_cbranch_execz .LBB393_20
; %bb.22:                               ;   in Loop: Header=BB393_21 Depth=2
	v_add_co_u32 v8, vcc_lo, v40, s10
	s_wait_alu 0xfffd
	v_add_co_ci_u32_e64 v9, null, s11, v41, vcc_lo
	v_add_co_u32 v10, vcc_lo, v52, s10
	s_wait_alu 0xfffd
	v_add_co_ci_u32_e64 v11, null, s11, v53, vcc_lo
	;; [unrolled: 3-line block ×3, first 2 shown]
	v_add_co_u32 v59, vcc_lo, v44, s10
	global_load_u16 v56, v[8:9], off
	global_load_u16 v57, v[10:11], off
	;; [unrolled: 1-line block ×3, first 2 shown]
	s_wait_alu 0xfffd
	v_add_co_ci_u32_e64 v60, null, s11, v45, vcc_lo
	v_add_co_u32 v8, vcc_lo, v46, v4
	s_wait_alu 0xfffd
	v_add_co_ci_u32_e64 v9, null, v47, v5, vcc_lo
	v_add_co_u32 v10, vcc_lo, v54, v4
	;; [unrolled: 3-line block ×4, first 2 shown]
	s_wait_alu 0xfffd
	v_add_co_ci_u32_e64 v15, null, v43, v5, vcc_lo
	global_load_u16 v59, v[59:60], off
	global_load_u16 v60, v[8:9], off
	;; [unrolled: 1-line block ×5, first 2 shown]
	s_and_saveexec_b32 s52, s2
	s_cbranch_execz .LBB393_19
; %bb.23:                               ;   in Loop: Header=BB393_21 Depth=2
	global_load_u16 v64, v[8:9], off offset:128
	global_load_u16 v65, v[10:11], off offset:128
	;; [unrolled: 1-line block ×4, first 2 shown]
	s_wait_loadcnt 0xb
	v_cvt_f32_f16_e32 v68, v56
	s_wait_loadcnt 0xa
	v_cvt_f32_f16_e32 v69, v57
	;; [unrolled: 2-line block ×4, first 2 shown]
	s_and_saveexec_b32 s53, s3
	s_cbranch_execz .LBB393_18
; %bb.24:                               ;   in Loop: Header=BB393_21 Depth=2
	global_load_u16 v72, v[8:9], off offset:256
	global_load_u16 v73, v[10:11], off offset:256
	;; [unrolled: 1-line block ×4, first 2 shown]
	s_and_saveexec_b32 s54, s4
	s_cbranch_execz .LBB393_17
; %bb.25:                               ;   in Loop: Header=BB393_21 Depth=2
	global_load_u16 v8, v[8:9], off offset:384
	global_load_u16 v9, v[10:11], off offset:384
	;; [unrolled: 1-line block ×4, first 2 shown]
	s_wait_loadcnt 0x3
	v_fma_mix_f32 v8, v68, v8, v38 op_sel_hi:[0,1,0]
	s_wait_loadcnt 0x2
	s_delay_alu instid0(VALU_DEP_1) | instskip(SKIP_1) | instid1(VALU_DEP_1)
	v_fma_mix_f32 v8, v69, v9, v8 op_sel_hi:[0,1,0]
	s_wait_loadcnt 0x1
	v_fma_mix_f32 v8, v70, v10, v8 op_sel_hi:[0,1,0]
	s_wait_loadcnt 0x0
	s_delay_alu instid0(VALU_DEP_1)
	v_fma_mix_f32 v38, v71, v11, v8 op_sel_hi:[0,1,0]
	s_branch .LBB393_17
.LBB393_26:                             ;   in Loop: Header=BB393_5 Depth=1
	s_or_b32 exec_lo, exec_lo, s9
.LBB393_27:                             ;   in Loop: Header=BB393_5 Depth=1
	s_wait_alu 0xfffe
	s_or_b32 exec_lo, exec_lo, s8
	s_delay_alu instid0(SALU_CYCLE_1)
	s_and_not1_b32 vcc_lo, exec_lo, s50
	s_wait_alu 0xfffe
	s_cbranch_vccnz .LBB393_45
; %bb.28:                               ;   in Loop: Header=BB393_5 Depth=1
	v_cmp_gt_i32_e32 vcc_lo, s37, v39
	v_dual_mov_b32 v40, 0 :: v_dual_mov_b32 v41, 0
	v_or_b32_e32 v8, 1, v39
	v_dual_mov_b32 v42, 0 :: v_dual_mov_b32 v43, 0
	s_and_saveexec_b32 s52, vcc_lo
	s_cbranch_execz .LBB393_36
; %bb.29:                               ;   in Loop: Header=BB393_5 Depth=1
	v_mad_co_u64_u32 v[9:10], null, s20, v39, 0
	s_mul_u64 s[8:9], s[22:23], s[34:35]
	v_dual_mov_b32 v42, 0 :: v_dual_mov_b32 v41, 0
	s_wait_alu 0xfffe
	s_lshl_b64 s[8:9], s[8:9], 1
	v_mov_b32_e32 v40, 0
	s_wait_alu 0xfffe
	s_add_nc_u64 s[8:9], s[26:27], s[8:9]
	v_mad_co_u64_u32 v[10:11], null, s21, v39, v[10:11]
	s_mov_b32 s53, exec_lo
	v_lshlrev_b64_e32 v[9:10], 1, v[9:10]
	s_wait_alu 0xfffe
	s_delay_alu instid0(VALU_DEP_1) | instskip(SKIP_1) | instid1(VALU_DEP_2)
	v_add_co_u32 v9, s7, s8, v9
	s_wait_alu 0xf1ff
	v_add_co_ci_u32_e64 v10, null, s9, v10, s7
	global_load_u16 v9, v[9:10], off
	v_cmpx_gt_i32_e64 s37, v8
	s_cbranch_execz .LBB393_35
; %bb.30:                               ;   in Loop: Header=BB393_5 Depth=1
	v_mad_co_u64_u32 v[10:11], null, s20, v8, 0
	v_dual_mov_b32 v41, 0 :: v_dual_mov_b32 v40, 0
	s_mov_b32 s54, exec_lo
	s_delay_alu instid0(VALU_DEP_2) | instskip(NEXT) | instid1(VALU_DEP_1)
	v_mad_co_u64_u32 v[11:12], null, s21, v8, v[11:12]
	v_lshlrev_b64_e32 v[10:11], 1, v[10:11]
	s_delay_alu instid0(VALU_DEP_1) | instskip(SKIP_1) | instid1(VALU_DEP_2)
	v_add_co_u32 v10, s7, s8, v10
	s_wait_alu 0xf1ff
	v_add_co_ci_u32_e64 v11, null, s9, v11, s7
	global_load_u16 v10, v[10:11], off
	v_or_b32_e32 v11, 2, v39
	s_delay_alu instid0(VALU_DEP_1)
	v_cmpx_gt_i32_e64 s37, v11
	s_cbranch_execz .LBB393_34
; %bb.31:                               ;   in Loop: Header=BB393_5 Depth=1
	v_mad_co_u64_u32 v[12:13], null, s20, v11, 0
	v_mov_b32_e32 v40, 0
	s_mov_b32 s55, exec_lo
	s_delay_alu instid0(VALU_DEP_2) | instskip(NEXT) | instid1(VALU_DEP_1)
	v_mad_co_u64_u32 v[13:14], null, s21, v11, v[13:14]
	v_lshlrev_b64_e32 v[11:12], 1, v[12:13]
	s_delay_alu instid0(VALU_DEP_1) | instskip(SKIP_1) | instid1(VALU_DEP_2)
	v_add_co_u32 v11, s7, s8, v11
	s_wait_alu 0xf1ff
	v_add_co_ci_u32_e64 v12, null, s9, v12, s7
	global_load_u16 v11, v[11:12], off
	v_or_b32_e32 v12, 3, v39
	s_delay_alu instid0(VALU_DEP_1)
	v_cmpx_gt_i32_e64 s37, v12
	s_cbranch_execz .LBB393_33
; %bb.32:                               ;   in Loop: Header=BB393_5 Depth=1
	v_mad_co_u64_u32 v[13:14], null, s20, v12, 0
	s_delay_alu instid0(VALU_DEP_1) | instskip(NEXT) | instid1(VALU_DEP_1)
	v_mad_co_u64_u32 v[14:15], null, s21, v12, v[14:15]
	v_lshlrev_b64_e32 v[12:13], 1, v[13:14]
	s_delay_alu instid0(VALU_DEP_1) | instskip(SKIP_1) | instid1(VALU_DEP_2)
	v_add_co_u32 v12, s7, s8, v12
	s_wait_alu 0xf1ff
	v_add_co_ci_u32_e64 v13, null, s9, v13, s7
	global_load_u16 v12, v[12:13], off
	s_wait_loadcnt 0x0
	v_cvt_f32_f16_e32 v40, v12
.LBB393_33:                             ;   in Loop: Header=BB393_5 Depth=1
	s_wait_alu 0xfffe
	s_or_b32 exec_lo, exec_lo, s55
	s_wait_loadcnt 0x0
	v_cvt_f32_f16_e32 v41, v11
.LBB393_34:                             ;   in Loop: Header=BB393_5 Depth=1
	s_wait_alu 0xfffe
	s_or_b32 exec_lo, exec_lo, s54
	s_wait_loadcnt 0x0
	v_cvt_f32_f16_e32 v42, v10
.LBB393_35:                             ;   in Loop: Header=BB393_5 Depth=1
	s_or_b32 exec_lo, exec_lo, s53
	s_wait_loadcnt 0x0
	v_cvt_f32_f16_e32 v43, v9
.LBB393_36:                             ;   in Loop: Header=BB393_5 Depth=1
	s_wait_alu 0xfffe
	s_or_b32 exec_lo, exec_lo, s52
	s_and_saveexec_b32 s9, s1
	s_cbranch_execz .LBB393_44
; %bb.37:                               ;   in Loop: Header=BB393_5 Depth=1
	v_mad_co_u64_u32 v[9:10], null, s12, v39, 0
	v_mad_co_u64_u32 v[11:12], null, s12, v8, 0
	v_or_b32_e32 v48, 2, v39
	v_or_b32_e32 v49, 3, v39
	s_mul_u64 s[52:53], s[14:15], s[34:35]
	s_wait_alu 0xfffe
	s_lshl_b64 s[52:53], s[52:53], 1
	v_cmp_gt_i32_e64 s7, s37, v48
	s_delay_alu instid0(VALU_DEP_4) | instskip(SKIP_4) | instid1(VALU_DEP_2)
	v_mad_co_u64_u32 v[13:14], null, s13, v39, v[10:11]
	v_mad_co_u64_u32 v[14:15], null, s12, v48, 0
	;; [unrolled: 1-line block ×3, first 2 shown]
	s_wait_alu 0xfffe
	s_add_nc_u64 s[52:53], s[18:19], s[52:53]
	v_dual_cndmask_b32 v10, 0, v13 :: v_dual_mov_b32 v13, v15
	s_delay_alu instid0(VALU_DEP_2) | instskip(NEXT) | instid1(VALU_DEP_2)
	v_mov_b32_e32 v15, v45
	v_mad_co_u64_u32 v[46:47], null, s13, v8, v[12:13]
	v_cndmask_b32_e32 v9, 0, v9, vcc_lo
	v_cmp_gt_i32_e32 vcc_lo, s37, v8
	s_wait_alu 0xfffd
	s_delay_alu instid0(VALU_DEP_3) | instskip(NEXT) | instid1(VALU_DEP_3)
	v_dual_cndmask_b32 v11, 0, v11 :: v_dual_cndmask_b32 v12, 0, v46
	v_lshlrev_b64_e32 v[9:10], 1, v[9:10]
	s_wait_alu 0xfffe
	s_delay_alu instid0(VALU_DEP_1) | instskip(SKIP_1) | instid1(VALU_DEP_2)
	v_add_co_u32 v8, s8, s52, v9
	s_wait_alu 0xf1ff
	v_add_co_ci_u32_e64 v9, null, s53, v10, s8
	v_lshlrev_b64_e32 v[10:11], 1, v[11:12]
	s_delay_alu instid0(VALU_DEP_3) | instskip(SKIP_1) | instid1(VALU_DEP_3)
	v_add_co_u32 v8, vcc_lo, v8, v4
	s_wait_alu 0xfffd
	v_add_co_ci_u32_e64 v9, null, v9, v5, vcc_lo
	v_cmp_gt_i32_e32 vcc_lo, s37, v49
	v_cndmask_b32_e64 v12, 0, v14, s7
	s_wait_alu 0xfffd
	v_cndmask_b32_e32 v44, 0, v44, vcc_lo
	v_mad_co_u64_u32 v[47:48], null, s13, v48, v[13:14]
	v_mad_co_u64_u32 v[14:15], null, s13, v49, v[15:16]
	s_delay_alu instid0(VALU_DEP_2) | instskip(SKIP_1) | instid1(VALU_DEP_3)
	v_cndmask_b32_e64 v13, 0, v47, s7
	v_add_co_u32 v10, s7, s52, v10
	v_cndmask_b32_e32 v45, 0, v14, vcc_lo
	s_wait_alu 0xf1ff
	v_add_co_ci_u32_e64 v11, null, s53, v11, s7
	v_lshlrev_b64_e32 v[12:13], 1, v[12:13]
	v_add_co_u32 v10, vcc_lo, v10, v4
	v_lshlrev_b64_e32 v[14:15], 1, v[44:45]
	s_wait_alu 0xfffd
	v_add_co_ci_u32_e64 v11, null, v11, v5, vcc_lo
	s_delay_alu instid0(VALU_DEP_4)
	v_add_co_u32 v12, vcc_lo, s52, v12
	s_wait_alu 0xfffd
	v_add_co_ci_u32_e64 v13, null, s53, v13, vcc_lo
	v_add_co_u32 v14, vcc_lo, s52, v14
	s_wait_alu 0xfffd
	v_add_co_ci_u32_e64 v15, null, s53, v15, vcc_lo
	;; [unrolled: 3-line block ×4, first 2 shown]
	s_clause 0x3
	global_load_u16 v39, v[8:9], off
	global_load_u16 v44, v[10:11], off
	;; [unrolled: 1-line block ×4, first 2 shown]
	s_and_saveexec_b32 s7, s2
	s_cbranch_execz .LBB393_43
; %bb.38:                               ;   in Loop: Header=BB393_5 Depth=1
	s_clause 0x3
	global_load_u16 v47, v[8:9], off offset:128
	global_load_u16 v48, v[10:11], off offset:128
	global_load_u16 v49, v[12:13], off offset:128
	global_load_u16 v50, v[14:15], off offset:128
	s_and_saveexec_b32 s8, s3
	s_cbranch_execz .LBB393_42
; %bb.39:                               ;   in Loop: Header=BB393_5 Depth=1
	s_clause 0x3
	global_load_u16 v51, v[8:9], off offset:256
	global_load_u16 v52, v[10:11], off offset:256
	global_load_u16 v53, v[12:13], off offset:256
	global_load_u16 v54, v[14:15], off offset:256
	s_and_saveexec_b32 s52, s4
	s_cbranch_execz .LBB393_41
; %bb.40:                               ;   in Loop: Header=BB393_5 Depth=1
	s_clause 0x3
	global_load_u16 v8, v[8:9], off offset:384
	global_load_u16 v9, v[10:11], off offset:384
	global_load_u16 v10, v[12:13], off offset:384
	global_load_u16 v11, v[14:15], off offset:384
	s_wait_loadcnt 0x3
	v_fma_mix_f32 v8, v43, v8, v38 op_sel_hi:[0,1,0]
	s_wait_loadcnt 0x2
	s_delay_alu instid0(VALU_DEP_1) | instskip(SKIP_1) | instid1(VALU_DEP_1)
	v_fma_mix_f32 v8, v42, v9, v8 op_sel_hi:[0,1,0]
	s_wait_loadcnt 0x1
	v_fma_mix_f32 v8, v41, v10, v8 op_sel_hi:[0,1,0]
	s_wait_loadcnt 0x0
	s_delay_alu instid0(VALU_DEP_1)
	v_fma_mix_f32 v38, v40, v11, v8 op_sel_hi:[0,1,0]
.LBB393_41:                             ;   in Loop: Header=BB393_5 Depth=1
	s_wait_alu 0xfffe
	s_or_b32 exec_lo, exec_lo, s52
	s_wait_loadcnt 0x3
	v_fma_mix_f32 v8, v43, v51, v37 op_sel_hi:[0,1,0]
	s_wait_loadcnt 0x2
	s_delay_alu instid0(VALU_DEP_1) | instskip(SKIP_1) | instid1(VALU_DEP_1)
	v_fma_mix_f32 v8, v42, v52, v8 op_sel_hi:[0,1,0]
	s_wait_loadcnt 0x1
	v_fma_mix_f32 v8, v41, v53, v8 op_sel_hi:[0,1,0]
	s_wait_loadcnt 0x0
	s_delay_alu instid0(VALU_DEP_1)
	v_fma_mix_f32 v37, v40, v54, v8 op_sel_hi:[0,1,0]
.LBB393_42:                             ;   in Loop: Header=BB393_5 Depth=1
	s_wait_alu 0xfffe
	s_or_b32 exec_lo, exec_lo, s8
	s_wait_loadcnt 0x3
	v_fma_mix_f32 v8, v43, v47, v36 op_sel_hi:[0,1,0]
	s_wait_loadcnt 0x2
	s_delay_alu instid0(VALU_DEP_1) | instskip(SKIP_1) | instid1(VALU_DEP_1)
	v_fma_mix_f32 v8, v42, v48, v8 op_sel_hi:[0,1,0]
	s_wait_loadcnt 0x1
	v_fma_mix_f32 v8, v41, v49, v8 op_sel_hi:[0,1,0]
	s_wait_loadcnt 0x0
	s_delay_alu instid0(VALU_DEP_1)
	v_fma_mix_f32 v36, v40, v50, v8 op_sel_hi:[0,1,0]
.LBB393_43:                             ;   in Loop: Header=BB393_5 Depth=1
	s_wait_alu 0xfffe
	s_or_b32 exec_lo, exec_lo, s7
	s_wait_loadcnt 0x3
	v_fma_mix_f32 v8, v43, v39, v35 op_sel_hi:[0,1,0]
	s_wait_loadcnt 0x2
	s_delay_alu instid0(VALU_DEP_1) | instskip(SKIP_1) | instid1(VALU_DEP_1)
	v_fma_mix_f32 v8, v42, v44, v8 op_sel_hi:[0,1,0]
	s_wait_loadcnt 0x1
	v_fma_mix_f32 v8, v41, v45, v8 op_sel_hi:[0,1,0]
	s_wait_loadcnt 0x0
	s_delay_alu instid0(VALU_DEP_1)
	v_fma_mix_f32 v35, v40, v46, v8 op_sel_hi:[0,1,0]
.LBB393_44:                             ;   in Loop: Header=BB393_5 Depth=1
	s_wait_alu 0xfffe
	s_or_b32 exec_lo, exec_lo, s9
.LBB393_45:                             ;   in Loop: Header=BB393_5 Depth=1
	ds_store_2addr_stride64_b32 v17, v35, v36 offset1:1
	ds_store_2addr_stride64_b32 v17, v37, v38 offset0:2 offset1:3
	s_wait_dscnt 0x0
	s_barrier_signal -1
	s_barrier_wait -1
	global_inv scope:SCOPE_SE
                                        ; implicit-def: $vgpr10
	s_and_saveexec_b32 s7, s0
	s_cbranch_execz .LBB393_51
; %bb.46:                               ;   in Loop: Header=BB393_5 Depth=1
	ds_load_2addr_stride64_b32 v[8:9], v18 offset1:4
	ds_load_2addr_stride64_b32 v[10:11], v18 offset0:8 offset1:12
	ds_load_2addr_stride64_b32 v[12:13], v18 offset0:16 offset1:20
	s_mov_b32 s9, s51
	s_wait_dscnt 0x2
	v_add_f32_e32 v14, v8, v9
	ds_load_2addr_stride64_b32 v[8:9], v18 offset0:24 offset1:28
	s_wait_dscnt 0x2
	v_add_f32_e32 v10, v10, v14
	s_delay_alu instid0(VALU_DEP_1) | instskip(SKIP_3) | instid1(VALU_DEP_1)
	v_add_f32_e32 v14, v11, v10
	ds_load_2addr_stride64_b32 v[10:11], v18 offset0:32 offset1:36
	s_wait_dscnt 0x2
	v_add_f32_e32 v12, v12, v14
	v_add_f32_e32 v14, v13, v12
	ds_load_2addr_stride64_b32 v[12:13], v18 offset0:40 offset1:44
	s_wait_dscnt 0x2
	v_add_f32_e32 v8, v8, v14
	s_delay_alu instid0(VALU_DEP_1) | instskip(SKIP_1) | instid1(VALU_DEP_1)
	v_add_f32_e32 v8, v9, v8
	s_wait_dscnt 0x1
	v_add_f32_e32 v10, v10, v8
	ds_load_2addr_stride64_b32 v[8:9], v18 offset0:48 offset1:52
	v_add_f32_e32 v10, v11, v10
	s_wait_dscnt 0x1
	s_delay_alu instid0(VALU_DEP_1) | instskip(SKIP_3) | instid1(VALU_DEP_1)
	v_add_f32_e32 v12, v12, v10
	ds_load_2addr_stride64_b32 v[10:11], v18 offset0:56 offset1:60
	v_add_f32_e32 v12, v13, v12
	s_wait_dscnt 0x1
	v_add_f32_e32 v8, v8, v12
	s_delay_alu instid0(VALU_DEP_1) | instskip(SKIP_1) | instid1(VALU_DEP_1)
	v_add_f32_e32 v8, v9, v8
	s_wait_dscnt 0x0
	v_add_f32_e32 v8, v10, v8
                                        ; implicit-def: $vgpr10
	s_delay_alu instid0(VALU_DEP_1)
	v_add_f32_e32 v8, v11, v8
	ds_store_b32 v18, v8
	s_and_saveexec_b32 s8, s6
	s_cbranch_execz .LBB393_50
; %bb.47:                               ;   in Loop: Header=BB393_5 Depth=1
	v_mul_f32_e32 v8, s38, v8
	s_and_not1_b32 vcc_lo, exec_lo, s48
	s_wait_alu 0xfffe
	s_cbranch_vccnz .LBB393_49
; %bb.48:                               ;   in Loop: Header=BB393_5 Depth=1
	v_lshlrev_b64_e32 v[9:10], 1, v[2:3]
	s_delay_alu instid0(VALU_DEP_1) | instskip(SKIP_1) | instid1(VALU_DEP_2)
	v_add_co_u32 v9, vcc_lo, s44, v9
	s_wait_alu 0xfffd
	v_add_co_ci_u32_e64 v10, null, s45, v10, vcc_lo
	global_load_u16 v9, v[9:10], off
	s_wait_loadcnt 0x0
	v_fma_mix_f32 v8, s39, v9, v8 op_sel_hi:[0,1,0]
.LBB393_49:                             ;   in Loop: Header=BB393_5 Depth=1
	s_delay_alu instid0(VALU_DEP_1)
	v_cvt_f16_f32_e32 v10, v8
	s_or_b32 s9, s51, exec_lo
.LBB393_50:                             ;   in Loop: Header=BB393_5 Depth=1
	s_wait_alu 0xfffe
	s_or_b32 exec_lo, exec_lo, s8
	s_delay_alu instid0(SALU_CYCLE_1)
	s_and_not1_b32 s8, s51, exec_lo
	s_and_b32 s9, s9, exec_lo
	s_wait_alu 0xfffe
	s_or_b32 s51, s8, s9
.LBB393_51:                             ;   in Loop: Header=BB393_5 Depth=1
	s_wait_alu 0xfffe
	s_or_b32 exec_lo, exec_lo, s7
	v_dual_mov_b32 v9, v3 :: v_dual_mov_b32 v8, v2
	s_and_saveexec_b32 s7, s51
	s_cbranch_execz .LBB393_3
.LBB393_52:                             ;   in Loop: Header=BB393_5 Depth=1
	s_delay_alu instid0(VALU_DEP_1) | instskip(SKIP_1) | instid1(VALU_DEP_1)
	v_lshlrev_b64_e32 v[8:9], 1, v[8:9]
	s_wait_alu 0xfffe
	v_add_co_u32 v8, vcc_lo, s44, v8
	s_wait_alu 0xfffd
	s_delay_alu instid0(VALU_DEP_2)
	v_add_co_ci_u32_e64 v9, null, s45, v9, vcc_lo
	global_store_b16 v[8:9], v10, off
	s_branch .LBB393_3
.LBB393_53:
	s_endpgm
	.section	.rodata,"a",@progbits
	.p2align	6, 0x0
	.amdhsa_kernel _ZL20rocblas_gemvn_kernelILi64ELi16ElDF16_fDF16_EviiT3_lPKT2_lT1_lS3_lS4_lS0_lPT4_lS4_li
		.amdhsa_group_segment_fixed_size 16384
		.amdhsa_private_segment_fixed_size 0
		.amdhsa_kernarg_size 400
		.amdhsa_user_sgpr_count 2
		.amdhsa_user_sgpr_dispatch_ptr 0
		.amdhsa_user_sgpr_queue_ptr 0
		.amdhsa_user_sgpr_kernarg_segment_ptr 1
		.amdhsa_user_sgpr_dispatch_id 0
		.amdhsa_user_sgpr_private_segment_size 0
		.amdhsa_wavefront_size32 1
		.amdhsa_uses_dynamic_stack 0
		.amdhsa_enable_private_segment 0
		.amdhsa_system_sgpr_workgroup_id_x 1
		.amdhsa_system_sgpr_workgroup_id_y 0
		.amdhsa_system_sgpr_workgroup_id_z 1
		.amdhsa_system_sgpr_workgroup_info 0
		.amdhsa_system_vgpr_workitem_id 1
		.amdhsa_next_free_vgpr 76
		.amdhsa_next_free_sgpr 56
		.amdhsa_reserve_vcc 1
		.amdhsa_float_round_mode_32 0
		.amdhsa_float_round_mode_16_64 0
		.amdhsa_float_denorm_mode_32 3
		.amdhsa_float_denorm_mode_16_64 3
		.amdhsa_fp16_overflow 0
		.amdhsa_workgroup_processor_mode 1
		.amdhsa_memory_ordered 1
		.amdhsa_forward_progress 1
		.amdhsa_inst_pref_size 32
		.amdhsa_round_robin_scheduling 0
		.amdhsa_exception_fp_ieee_invalid_op 0
		.amdhsa_exception_fp_denorm_src 0
		.amdhsa_exception_fp_ieee_div_zero 0
		.amdhsa_exception_fp_ieee_overflow 0
		.amdhsa_exception_fp_ieee_underflow 0
		.amdhsa_exception_fp_ieee_inexact 0
		.amdhsa_exception_int_div_zero 0
	.end_amdhsa_kernel
	.section	.text._ZL20rocblas_gemvn_kernelILi64ELi16ElDF16_fDF16_EviiT3_lPKT2_lT1_lS3_lS4_lS0_lPT4_lS4_li,"axG",@progbits,_ZL20rocblas_gemvn_kernelILi64ELi16ElDF16_fDF16_EviiT3_lPKT2_lT1_lS3_lS4_lS0_lPT4_lS4_li,comdat
.Lfunc_end393:
	.size	_ZL20rocblas_gemvn_kernelILi64ELi16ElDF16_fDF16_EviiT3_lPKT2_lT1_lS3_lS4_lS0_lPT4_lS4_li, .Lfunc_end393-_ZL20rocblas_gemvn_kernelILi64ELi16ElDF16_fDF16_EviiT3_lPKT2_lT1_lS3_lS4_lS0_lPT4_lS4_li
                                        ; -- End function
	.set _ZL20rocblas_gemvn_kernelILi64ELi16ElDF16_fDF16_EviiT3_lPKT2_lT1_lS3_lS4_lS0_lPT4_lS4_li.num_vgpr, 76
	.set _ZL20rocblas_gemvn_kernelILi64ELi16ElDF16_fDF16_EviiT3_lPKT2_lT1_lS3_lS4_lS0_lPT4_lS4_li.num_agpr, 0
	.set _ZL20rocblas_gemvn_kernelILi64ELi16ElDF16_fDF16_EviiT3_lPKT2_lT1_lS3_lS4_lS0_lPT4_lS4_li.numbered_sgpr, 56
	.set _ZL20rocblas_gemvn_kernelILi64ELi16ElDF16_fDF16_EviiT3_lPKT2_lT1_lS3_lS4_lS0_lPT4_lS4_li.num_named_barrier, 0
	.set _ZL20rocblas_gemvn_kernelILi64ELi16ElDF16_fDF16_EviiT3_lPKT2_lT1_lS3_lS4_lS0_lPT4_lS4_li.private_seg_size, 0
	.set _ZL20rocblas_gemvn_kernelILi64ELi16ElDF16_fDF16_EviiT3_lPKT2_lT1_lS3_lS4_lS0_lPT4_lS4_li.uses_vcc, 1
	.set _ZL20rocblas_gemvn_kernelILi64ELi16ElDF16_fDF16_EviiT3_lPKT2_lT1_lS3_lS4_lS0_lPT4_lS4_li.uses_flat_scratch, 0
	.set _ZL20rocblas_gemvn_kernelILi64ELi16ElDF16_fDF16_EviiT3_lPKT2_lT1_lS3_lS4_lS0_lPT4_lS4_li.has_dyn_sized_stack, 0
	.set _ZL20rocblas_gemvn_kernelILi64ELi16ElDF16_fDF16_EviiT3_lPKT2_lT1_lS3_lS4_lS0_lPT4_lS4_li.has_recursion, 0
	.set _ZL20rocblas_gemvn_kernelILi64ELi16ElDF16_fDF16_EviiT3_lPKT2_lT1_lS3_lS4_lS0_lPT4_lS4_li.has_indirect_call, 0
	.section	.AMDGPU.csdata,"",@progbits
; Kernel info:
; codeLenInByte = 4016
; TotalNumSgprs: 58
; NumVgprs: 76
; ScratchSize: 0
; MemoryBound: 0
; FloatMode: 240
; IeeeMode: 1
; LDSByteSize: 16384 bytes/workgroup (compile time only)
; SGPRBlocks: 0
; VGPRBlocks: 9
; NumSGPRsForWavesPerEU: 58
; NumVGPRsForWavesPerEU: 76
; Occupancy: 16
; WaveLimiterHint : 1
; COMPUTE_PGM_RSRC2:SCRATCH_EN: 0
; COMPUTE_PGM_RSRC2:USER_SGPR: 2
; COMPUTE_PGM_RSRC2:TRAP_HANDLER: 0
; COMPUTE_PGM_RSRC2:TGID_X_EN: 1
; COMPUTE_PGM_RSRC2:TGID_Y_EN: 0
; COMPUTE_PGM_RSRC2:TGID_Z_EN: 1
; COMPUTE_PGM_RSRC2:TIDIG_COMP_CNT: 1
	.section	.text._ZL22rocblas_gemvtsm_kernelILb0ELi256EDF16_PKfDF16_EviiT2_lPKT1_lilS5_lilS2_lPT3_lil,"axG",@progbits,_ZL22rocblas_gemvtsm_kernelILb0ELi256EDF16_PKfDF16_EviiT2_lPKT1_lilS5_lilS2_lPT3_lil,comdat
	.globl	_ZL22rocblas_gemvtsm_kernelILb0ELi256EDF16_PKfDF16_EviiT2_lPKT1_lilS5_lilS2_lPT3_lil ; -- Begin function _ZL22rocblas_gemvtsm_kernelILb0ELi256EDF16_PKfDF16_EviiT2_lPKT1_lilS5_lilS2_lPT3_lil
	.p2align	8
	.type	_ZL22rocblas_gemvtsm_kernelILb0ELi256EDF16_PKfDF16_EviiT2_lPKT1_lilS5_lilS2_lPT3_lil,@function
_ZL22rocblas_gemvtsm_kernelILb0ELi256EDF16_PKfDF16_EviiT2_lPKT1_lilS5_lilS2_lPT3_lil: ; @_ZL22rocblas_gemvtsm_kernelILb0ELi256EDF16_PKfDF16_EviiT2_lPKT1_lilS5_lilS2_lPT3_lil
; %bb.0:
	s_clause 0x1
	s_load_b256 s[4:11], s[0:1], 0x8
	s_load_b256 s[12:19], s[0:1], 0x50
	s_mov_b32 s24, ttmp9
	s_mov_b32 s25, 0
	s_wait_kmcnt 0x0
	s_mul_u64 s[2:3], s[6:7], s[24:25]
	s_delay_alu instid0(SALU_CYCLE_1) | instskip(NEXT) | instid1(SALU_CYCLE_1)
	s_lshl_b64 s[2:3], s[2:3], 2
	s_add_nc_u64 s[2:3], s[4:5], s[2:3]
	s_mul_u64 s[4:5], s[16:17], s[24:25]
	s_load_b32 s26, s[2:3], 0x0
	s_lshl_b64 s[2:3], s[4:5], 2
	s_delay_alu instid0(SALU_CYCLE_1)
	s_add_nc_u64 s[2:3], s[14:15], s[2:3]
	s_load_b32 s23, s[2:3], 0x0
	s_wait_kmcnt 0x0
	s_cmp_eq_f32 s26, 0
	s_cselect_b32 s2, -1, 0
	s_cmp_eq_f32 s23, 1.0
	s_cselect_b32 s3, -1, 0
	s_delay_alu instid0(SALU_CYCLE_1) | instskip(NEXT) | instid1(SALU_CYCLE_1)
	s_and_b32 s2, s2, s3
	s_and_b32 vcc_lo, exec_lo, s2
	s_cbranch_vccnz .LBB394_34
; %bb.1:
	s_clause 0x2
	s_load_b64 s[4:5], s[0:1], 0x80
	s_load_b96 s[20:22], s[0:1], 0x70
	s_load_b64 s[2:3], s[0:1], 0x0
	s_cmp_neq_f32 s26, 0
	s_wait_kmcnt 0x0
	s_mul_u64 s[14:15], s[4:5], s[24:25]
	s_cbranch_scc1 .LBB394_9
; %bb.2:
	s_cmp_gt_i32 s3, 0
	s_cselect_b32 s6, -1, 0
	s_cmp_neq_f32 s23, 0
	v_cndmask_b32_e64 v1, 0, 1, s6
	s_delay_alu instid0(VALU_DEP_1)
	v_cmp_ne_u32_e32 vcc_lo, 1, v1
	s_cbranch_scc1 .LBB394_10
; %bb.3:
	s_and_b32 vcc_lo, exec_lo, vcc_lo
	s_cbranch_vccnz .LBB394_8
; %bb.4:
	v_mad_co_i64_i32 v[1:2], null, s22, v0, 0
	s_lshl_b64 s[16:17], s[20:21], 1
	s_lshl_b64 s[28:29], s[14:15], 1
	s_add_nc_u64 s[16:17], s[18:19], s[16:17]
	v_mov_b32_e32 v3, 0
	s_add_nc_u64 s[16:17], s[16:17], s[28:29]
	s_ashr_i32 s5, s22, 31
	v_lshlrev_b64_e32 v[1:2], 1, v[1:2]
	s_mov_b32 s4, s22
	s_mov_b32 s7, 0
	s_lshl_b64 s[4:5], s[4:5], 9
	s_delay_alu instid0(VALU_DEP_1) | instskip(NEXT) | instid1(VALU_DEP_1)
	v_add_co_u32 v1, vcc_lo, s16, v1
	v_add_co_ci_u32_e64 v2, null, s17, v2, vcc_lo
	s_branch .LBB394_6
.LBB394_5:                              ;   in Loop: Header=BB394_6 Depth=1
	s_wait_alu 0xfffe
	s_or_b32 exec_lo, exec_lo, s16
	v_add_co_u32 v1, vcc_lo, v1, s4
	s_wait_alu 0xfffd
	v_add_co_ci_u32_e64 v2, null, s5, v2, vcc_lo
	s_addk_co_i32 s7, 0x100
	s_wait_alu 0xfffe
	s_cmp_ge_i32 s7, s3
	s_cbranch_scc1 .LBB394_8
.LBB394_6:                              ; =>This Inner Loop Header: Depth=1
	s_wait_alu 0xfffe
	v_add_nc_u32_e32 v4, s7, v0
	s_mov_b32 s16, exec_lo
	s_delay_alu instid0(VALU_DEP_1)
	v_cmpx_gt_i32_e64 s3, v4
	s_cbranch_execz .LBB394_5
; %bb.7:                                ;   in Loop: Header=BB394_6 Depth=1
	global_store_b16 v[1:2], v3, off
	s_branch .LBB394_5
.LBB394_8:
	s_cbranch_execz .LBB394_11
	s_branch .LBB394_16
.LBB394_9:
	s_branch .LBB394_17
.LBB394_10:
.LBB394_11:
	s_and_not1_b32 vcc_lo, exec_lo, s6
	s_wait_alu 0xfffe
	s_cbranch_vccnz .LBB394_16
; %bb.12:
	v_mad_co_i64_i32 v[1:2], null, s22, v0, 0
	s_lshl_b64 s[6:7], s[20:21], 1
	s_lshl_b64 s[16:17], s[14:15], 1
	s_wait_alu 0xfffe
	s_add_nc_u64 s[6:7], s[18:19], s[6:7]
	s_ashr_i32 s5, s22, 31
	s_wait_alu 0xfffe
	s_add_nc_u64 s[6:7], s[6:7], s[16:17]
	s_mov_b32 s4, s22
	v_lshlrev_b64_e32 v[1:2], 1, v[1:2]
	s_wait_alu 0xfffe
	s_lshl_b64 s[4:5], s[4:5], 9
	s_delay_alu instid0(VALU_DEP_1) | instskip(SKIP_1) | instid1(VALU_DEP_2)
	v_add_co_u32 v1, vcc_lo, s6, v1
	s_wait_alu 0xfffd
	v_add_co_ci_u32_e64 v2, null, s7, v2, vcc_lo
	s_mov_b32 s6, 0
	s_branch .LBB394_14
.LBB394_13:                             ;   in Loop: Header=BB394_14 Depth=1
	s_wait_alu 0xfffe
	s_or_b32 exec_lo, exec_lo, s7
	v_add_co_u32 v1, vcc_lo, v1, s4
	s_wait_alu 0xfffd
	v_add_co_ci_u32_e64 v2, null, s5, v2, vcc_lo
	s_addk_co_i32 s6, 0x100
	s_wait_alu 0xfffe
	s_cmp_ge_i32 s6, s3
	s_cbranch_scc1 .LBB394_16
.LBB394_14:                             ; =>This Inner Loop Header: Depth=1
	s_wait_alu 0xfffe
	v_add_nc_u32_e32 v3, s6, v0
	s_mov_b32 s7, exec_lo
	s_delay_alu instid0(VALU_DEP_1)
	v_cmpx_gt_i32_e64 s3, v3
	s_cbranch_execz .LBB394_13
; %bb.15:                               ;   in Loop: Header=BB394_14 Depth=1
	global_load_u16 v3, v[1:2], off
	s_wait_loadcnt 0x0
	v_fma_mixlo_f16 v3, s23, v3, 0 op_sel_hi:[0,1,0]
	global_store_b16 v[1:2], v3, off
	s_branch .LBB394_13
.LBB394_16:
	s_cbranch_execnz .LBB394_34
.LBB394_17:
	s_clause 0x1
	s_load_b128 s[4:7], s[0:1], 0x30
	s_load_b64 s[16:17], s[0:1], 0x40
	s_mov_b32 s27, exec_lo
	v_cmpx_gt_i32_e64 s2, v0
	s_cbranch_execz .LBB394_19
; %bb.18:
	s_load_b32 s28, s[0:1], 0x48
	s_mul_u64 s[12:13], s[12:13], s[24:25]
	s_wait_kmcnt 0x0
	s_lshl_b64 s[16:17], s[16:17], 1
	s_lshl_b64 s[12:13], s[12:13], 1
	s_delay_alu instid0(SALU_CYCLE_1) | instskip(SKIP_3) | instid1(VALU_DEP_1)
	s_add_nc_u64 s[6:7], s[6:7], s[12:13]
	s_wait_alu 0xfffe
	s_add_nc_u64 s[6:7], s[6:7], s[16:17]
	v_mad_co_i64_i32 v[1:2], null, s28, v0, 0
	v_lshlrev_b64_e32 v[1:2], 1, v[1:2]
	s_wait_alu 0xfffe
	s_delay_alu instid0(VALU_DEP_1) | instskip(SKIP_1) | instid1(VALU_DEP_2)
	v_add_co_u32 v1, vcc_lo, s6, v1
	s_wait_alu 0xfffd
	v_add_co_ci_u32_e64 v2, null, s7, v2, vcc_lo
	global_load_u16 v1, v[1:2], off
	v_lshlrev_b32_e32 v2, 2, v0
	s_wait_loadcnt 0x0
	v_cvt_f32_f16_e32 v1, v1
	s_delay_alu instid0(VALU_DEP_1)
	v_mul_f32_e32 v1, s26, v1
	ds_store_b32 v2, v1
.LBB394_19:
	s_or_b32 exec_lo, exec_lo, s27
	s_cmp_lt_i32 s3, 1
	s_wait_storecnt_dscnt 0x0
	s_barrier_signal -1
	s_barrier_wait -1
	global_inv scope:SCOPE_SE
	s_cbranch_scc1 .LBB394_34
; %bb.20:
	s_wait_kmcnt 0x0
	s_load_b32 s16, s[0:1], 0x28
	s_lshl_b64 s[0:1], s[14:15], 1
	s_lshl_b64 s[12:13], s[20:21], 1
	s_ashr_i32 s6, s22, 31
	s_add_nc_u64 s[0:1], s[18:19], s[0:1]
	s_mul_u64 s[4:5], s[4:5], s[24:25]
	s_add_nc_u64 s[0:1], s[0:1], s[12:13]
	s_wait_kmcnt 0x0
	s_ashr_i32 s17, s16, 31
	s_cmp_neq_f32 s23, 0
	v_mad_co_i64_i32 v[1:2], null, s16, v0, 0
	s_cselect_b32 s7, -1, 0
	s_cmp_gt_i32 s2, 0
	s_cselect_b32 s12, -1, 0
	s_and_b32 s13, s2, 7
	s_cmp_gt_u32 s2, 7
	v_lshlrev_b64_e32 v[1:2], 1, v[1:2]
	s_cselect_b32 s14, -1, 0
	s_and_b32 s2, s2, 0x7ffffff8
	s_cmp_lg_u32 s13, 0
	s_cselect_b32 s15, -1, 0
	s_lshl_b64 s[10:11], s[10:11], 1
	s_wait_alu 0xfffe
	s_lshl_b64 s[4:5], s[4:5], 1
	s_add_nc_u64 s[8:9], s[8:9], s[10:11]
	s_wait_alu 0xfffe
	s_add_nc_u64 s[4:5], s[8:9], s[4:5]
	s_mov_b32 s8, s22
	s_wait_alu 0xfffe
	v_add_co_u32 v7, vcc_lo, s4, v1
	s_wait_alu 0xfffd
	v_add_co_ci_u32_e64 v8, null, s5, v2, vcc_lo
	s_mov_b32 s9, 0
	v_add_co_u32 v1, vcc_lo, v7, 14
	s_wait_alu 0xfffd
	v_add_co_ci_u32_e64 v2, null, 0, v8, vcc_lo
	s_lshl_b64 s[4:5], s[16:17], 9
	s_branch .LBB394_23
.LBB394_21:                             ;   in Loop: Header=BB394_23 Depth=1
	v_add_co_u32 v3, vcc_lo, s0, v3
	s_delay_alu instid0(VALU_DEP_2)
	v_cvt_f16_f32_e32 v5, v9
	s_wait_alu 0xfffd
	v_add_co_ci_u32_e64 v4, null, s1, v4, vcc_lo
	global_store_b16 v[3:4], v5, off
.LBB394_22:                             ;   in Loop: Header=BB394_23 Depth=1
	s_wait_alu 0xfffe
	s_or_b32 exec_lo, exec_lo, s10
	v_add_co_u32 v1, vcc_lo, v1, s4
	s_wait_alu 0xfffd
	v_add_co_ci_u32_e64 v2, null, s5, v2, vcc_lo
	v_add_co_u32 v7, vcc_lo, v7, s4
	s_wait_alu 0xfffd
	v_add_co_ci_u32_e64 v8, null, s5, v8, vcc_lo
	s_addk_co_i32 s9, 0x100
	s_wait_alu 0xfffe
	s_cmp_ge_i32 s9, s3
	s_cbranch_scc1 .LBB394_34
.LBB394_23:                             ; =>This Loop Header: Depth=1
                                        ;     Child Loop BB394_29 Depth 2
                                        ;     Child Loop BB394_33 Depth 2
	v_add_nc_u32_e32 v3, s9, v0
	s_mov_b32 s10, exec_lo
	s_delay_alu instid0(VALU_DEP_1)
	v_cmpx_gt_i32_e64 s3, v3
	s_cbranch_execz .LBB394_22
; %bb.24:                               ;   in Loop: Header=BB394_23 Depth=1
	v_mad_co_u64_u32 v[4:5], null, v3, s8, 0
	s_and_not1_b32 vcc_lo, exec_lo, s7
	v_mad_co_u64_u32 v[5:6], null, v3, s6, v[5:6]
	s_delay_alu instid0(VALU_DEP_1)
	v_lshlrev_b64_e32 v[3:4], 1, v[4:5]
	s_wait_alu 0xfffe
	s_cbranch_vccnz .LBB394_26
; %bb.25:                               ;   in Loop: Header=BB394_23 Depth=1
	s_delay_alu instid0(VALU_DEP_1) | instskip(SKIP_1) | instid1(VALU_DEP_2)
	v_add_co_u32 v5, vcc_lo, s0, v3
	s_wait_alu 0xfffd
	v_add_co_ci_u32_e64 v6, null, s1, v4, vcc_lo
	global_load_u16 v5, v[5:6], off
	s_wait_loadcnt 0x0
	v_cvt_f32_f16_e32 v5, v5
	s_delay_alu instid0(VALU_DEP_1)
	v_mul_f32_e32 v9, s23, v5
	s_and_not1_b32 vcc_lo, exec_lo, s12
	s_wait_alu 0xfffe
	s_cbranch_vccz .LBB394_27
	s_branch .LBB394_21
.LBB394_26:                             ;   in Loop: Header=BB394_23 Depth=1
	v_mov_b32_e32 v9, 0
	s_and_not1_b32 vcc_lo, exec_lo, s12
	s_wait_alu 0xfffe
	s_cbranch_vccnz .LBB394_21
.LBB394_27:                             ;   in Loop: Header=BB394_23 Depth=1
	s_and_not1_b32 vcc_lo, exec_lo, s14
	s_mov_b32 s11, 0
	s_wait_alu 0xfffe
	s_cbranch_vccnz .LBB394_31
; %bb.28:                               ;   in Loop: Header=BB394_23 Depth=1
	v_dual_mov_b32 v6, v2 :: v_dual_mov_b32 v5, v1
	s_mov_b32 s16, 0
.LBB394_29:                             ;   Parent Loop BB394_23 Depth=1
                                        ; =>  This Inner Loop Header: Depth=2
	global_load_b128 v[10:13], v[5:6], off offset:-14
	v_mov_b32_e32 v18, s11
	v_add_co_u32 v5, vcc_lo, v5, 16
	s_wait_alu 0xfffd
	v_add_co_ci_u32_e64 v6, null, 0, v6, vcc_lo
	ds_load_b128 v[14:17], v18
	ds_load_b128 v[18:21], v18 offset:16
	s_wait_alu 0xfffe
	s_add_co_i32 s16, s16, 8
	s_add_co_i32 s11, s11, 32
	s_wait_alu 0xfffe
	s_cmp_eq_u32 s2, s16
	s_wait_loadcnt_dscnt 0x1
	v_fma_mix_f32 v9, v14, v10, v9 op_sel_hi:[0,1,0]
	s_delay_alu instid0(VALU_DEP_1) | instskip(NEXT) | instid1(VALU_DEP_1)
	v_fma_mix_f32 v9, v15, v10, v9 op_sel:[0,1,0] op_sel_hi:[0,1,0]
	v_fma_mix_f32 v9, v16, v11, v9 op_sel_hi:[0,1,0]
	s_delay_alu instid0(VALU_DEP_1) | instskip(SKIP_1) | instid1(VALU_DEP_1)
	v_fma_mix_f32 v9, v17, v11, v9 op_sel:[0,1,0] op_sel_hi:[0,1,0]
	s_wait_dscnt 0x0
	v_fma_mix_f32 v9, v18, v12, v9 op_sel_hi:[0,1,0]
	s_delay_alu instid0(VALU_DEP_1) | instskip(NEXT) | instid1(VALU_DEP_1)
	v_fma_mix_f32 v9, v19, v12, v9 op_sel:[0,1,0] op_sel_hi:[0,1,0]
	v_fma_mix_f32 v9, v20, v13, v9 op_sel_hi:[0,1,0]
	s_delay_alu instid0(VALU_DEP_1)
	v_fma_mix_f32 v9, v21, v13, v9 op_sel:[0,1,0] op_sel_hi:[0,1,0]
	s_cbranch_scc0 .LBB394_29
; %bb.30:                               ;   in Loop: Header=BB394_23 Depth=1
	s_mov_b32 s11, s2
.LBB394_31:                             ;   in Loop: Header=BB394_23 Depth=1
	s_and_not1_b32 vcc_lo, exec_lo, s15
	s_wait_alu 0xfffe
	s_cbranch_vccnz .LBB394_21
; %bb.32:                               ;   in Loop: Header=BB394_23 Depth=1
	s_lshl_b32 s16, s11, 1
	s_lshl_b32 s11, s11, 2
	s_wait_alu 0xfffe
	v_add_co_u32 v5, vcc_lo, v7, s16
	s_wait_alu 0xfffd
	v_add_co_ci_u32_e64 v6, null, 0, v8, vcc_lo
	s_mov_b32 s16, s13
.LBB394_33:                             ;   Parent Loop BB394_23 Depth=1
                                        ; =>  This Inner Loop Header: Depth=2
	global_load_u16 v10, v[5:6], off
	v_mov_b32_e32 v11, s11
	v_add_co_u32 v5, vcc_lo, v5, 2
	s_wait_alu 0xfffd
	v_add_co_ci_u32_e64 v6, null, 0, v6, vcc_lo
	ds_load_b32 v11, v11
	s_wait_alu 0xfffe
	s_add_co_i32 s16, s16, -1
	s_add_co_i32 s11, s11, 4
	s_wait_alu 0xfffe
	s_cmp_lg_u32 s16, 0
	s_wait_loadcnt_dscnt 0x0
	v_fma_mix_f32 v9, v11, v10, v9 op_sel_hi:[0,1,0]
	s_cbranch_scc1 .LBB394_33
	s_branch .LBB394_21
.LBB394_34:
	s_endpgm
	.section	.rodata,"a",@progbits
	.p2align	6, 0x0
	.amdhsa_kernel _ZL22rocblas_gemvtsm_kernelILb0ELi256EDF16_PKfDF16_EviiT2_lPKT1_lilS5_lilS2_lPT3_lil
		.amdhsa_group_segment_fixed_size 256
		.amdhsa_private_segment_fixed_size 0
		.amdhsa_kernarg_size 136
		.amdhsa_user_sgpr_count 2
		.amdhsa_user_sgpr_dispatch_ptr 0
		.amdhsa_user_sgpr_queue_ptr 0
		.amdhsa_user_sgpr_kernarg_segment_ptr 1
		.amdhsa_user_sgpr_dispatch_id 0
		.amdhsa_user_sgpr_private_segment_size 0
		.amdhsa_wavefront_size32 1
		.amdhsa_uses_dynamic_stack 0
		.amdhsa_enable_private_segment 0
		.amdhsa_system_sgpr_workgroup_id_x 1
		.amdhsa_system_sgpr_workgroup_id_y 0
		.amdhsa_system_sgpr_workgroup_id_z 0
		.amdhsa_system_sgpr_workgroup_info 0
		.amdhsa_system_vgpr_workitem_id 0
		.amdhsa_next_free_vgpr 22
		.amdhsa_next_free_sgpr 30
		.amdhsa_reserve_vcc 1
		.amdhsa_float_round_mode_32 0
		.amdhsa_float_round_mode_16_64 0
		.amdhsa_float_denorm_mode_32 3
		.amdhsa_float_denorm_mode_16_64 3
		.amdhsa_fp16_overflow 0
		.amdhsa_workgroup_processor_mode 1
		.amdhsa_memory_ordered 1
		.amdhsa_forward_progress 1
		.amdhsa_inst_pref_size 13
		.amdhsa_round_robin_scheduling 0
		.amdhsa_exception_fp_ieee_invalid_op 0
		.amdhsa_exception_fp_denorm_src 0
		.amdhsa_exception_fp_ieee_div_zero 0
		.amdhsa_exception_fp_ieee_overflow 0
		.amdhsa_exception_fp_ieee_underflow 0
		.amdhsa_exception_fp_ieee_inexact 0
		.amdhsa_exception_int_div_zero 0
	.end_amdhsa_kernel
	.section	.text._ZL22rocblas_gemvtsm_kernelILb0ELi256EDF16_PKfDF16_EviiT2_lPKT1_lilS5_lilS2_lPT3_lil,"axG",@progbits,_ZL22rocblas_gemvtsm_kernelILb0ELi256EDF16_PKfDF16_EviiT2_lPKT1_lilS5_lilS2_lPT3_lil,comdat
.Lfunc_end394:
	.size	_ZL22rocblas_gemvtsm_kernelILb0ELi256EDF16_PKfDF16_EviiT2_lPKT1_lilS5_lilS2_lPT3_lil, .Lfunc_end394-_ZL22rocblas_gemvtsm_kernelILb0ELi256EDF16_PKfDF16_EviiT2_lPKT1_lilS5_lilS2_lPT3_lil
                                        ; -- End function
	.set _ZL22rocblas_gemvtsm_kernelILb0ELi256EDF16_PKfDF16_EviiT2_lPKT1_lilS5_lilS2_lPT3_lil.num_vgpr, 22
	.set _ZL22rocblas_gemvtsm_kernelILb0ELi256EDF16_PKfDF16_EviiT2_lPKT1_lilS5_lilS2_lPT3_lil.num_agpr, 0
	.set _ZL22rocblas_gemvtsm_kernelILb0ELi256EDF16_PKfDF16_EviiT2_lPKT1_lilS5_lilS2_lPT3_lil.numbered_sgpr, 30
	.set _ZL22rocblas_gemvtsm_kernelILb0ELi256EDF16_PKfDF16_EviiT2_lPKT1_lilS5_lilS2_lPT3_lil.num_named_barrier, 0
	.set _ZL22rocblas_gemvtsm_kernelILb0ELi256EDF16_PKfDF16_EviiT2_lPKT1_lilS5_lilS2_lPT3_lil.private_seg_size, 0
	.set _ZL22rocblas_gemvtsm_kernelILb0ELi256EDF16_PKfDF16_EviiT2_lPKT1_lilS5_lilS2_lPT3_lil.uses_vcc, 1
	.set _ZL22rocblas_gemvtsm_kernelILb0ELi256EDF16_PKfDF16_EviiT2_lPKT1_lilS5_lilS2_lPT3_lil.uses_flat_scratch, 0
	.set _ZL22rocblas_gemvtsm_kernelILb0ELi256EDF16_PKfDF16_EviiT2_lPKT1_lilS5_lilS2_lPT3_lil.has_dyn_sized_stack, 0
	.set _ZL22rocblas_gemvtsm_kernelILb0ELi256EDF16_PKfDF16_EviiT2_lPKT1_lilS5_lilS2_lPT3_lil.has_recursion, 0
	.set _ZL22rocblas_gemvtsm_kernelILb0ELi256EDF16_PKfDF16_EviiT2_lPKT1_lilS5_lilS2_lPT3_lil.has_indirect_call, 0
	.section	.AMDGPU.csdata,"",@progbits
; Kernel info:
; codeLenInByte = 1540
; TotalNumSgprs: 32
; NumVgprs: 22
; ScratchSize: 0
; MemoryBound: 0
; FloatMode: 240
; IeeeMode: 1
; LDSByteSize: 256 bytes/workgroup (compile time only)
; SGPRBlocks: 0
; VGPRBlocks: 2
; NumSGPRsForWavesPerEU: 32
; NumVGPRsForWavesPerEU: 22
; Occupancy: 16
; WaveLimiterHint : 1
; COMPUTE_PGM_RSRC2:SCRATCH_EN: 0
; COMPUTE_PGM_RSRC2:USER_SGPR: 2
; COMPUTE_PGM_RSRC2:TRAP_HANDLER: 0
; COMPUTE_PGM_RSRC2:TGID_X_EN: 1
; COMPUTE_PGM_RSRC2:TGID_Y_EN: 0
; COMPUTE_PGM_RSRC2:TGID_Z_EN: 0
; COMPUTE_PGM_RSRC2:TIDIG_COMP_CNT: 0
	.section	.text._ZL22rocblas_gemvtsm_kernelILb0ELi256EDF16_fDF16_EviiT2_lPKT1_lilS3_lilS0_lPT3_lil,"axG",@progbits,_ZL22rocblas_gemvtsm_kernelILb0ELi256EDF16_fDF16_EviiT2_lPKT1_lilS3_lilS0_lPT3_lil,comdat
	.globl	_ZL22rocblas_gemvtsm_kernelILb0ELi256EDF16_fDF16_EviiT2_lPKT1_lilS3_lilS0_lPT3_lil ; -- Begin function _ZL22rocblas_gemvtsm_kernelILb0ELi256EDF16_fDF16_EviiT2_lPKT1_lilS3_lilS0_lPT3_lil
	.p2align	8
	.type	_ZL22rocblas_gemvtsm_kernelILb0ELi256EDF16_fDF16_EviiT2_lPKT1_lilS3_lilS0_lPT3_lil,@function
_ZL22rocblas_gemvtsm_kernelILb0ELi256EDF16_fDF16_EviiT2_lPKT1_lilS3_lilS0_lPT3_lil: ; @_ZL22rocblas_gemvtsm_kernelILb0ELi256EDF16_fDF16_EviiT2_lPKT1_lilS3_lilS0_lPT3_lil
; %bb.0:
	s_clause 0x1
	s_load_b96 s[12:14], s[0:1], 0x0
	s_load_b32 s15, s[0:1], 0x58
	s_mov_b32 s19, 0
	s_wait_kmcnt 0x0
	s_cmp_eq_f32 s14, 0
	s_cselect_b32 s2, -1, 0
	s_cmp_eq_f32 s15, 1.0
	s_cselect_b32 s3, -1, 0
	s_delay_alu instid0(SALU_CYCLE_1) | instskip(NEXT) | instid1(SALU_CYCLE_1)
	s_and_b32 s2, s2, s3
	s_and_b32 vcc_lo, exec_lo, s2
	s_cbranch_vccnz .LBB395_34
; %bb.1:
	s_clause 0x2
	s_load_b64 s[2:3], s[0:1], 0x80
	s_load_b128 s[4:7], s[0:1], 0x68
	s_load_b32 s16, s[0:1], 0x78
	s_mov_b32 s18, ttmp9
	s_cmp_neq_f32 s14, 0
	s_wait_kmcnt 0x0
	s_mul_u64 s[20:21], s[2:3], s[18:19]
	s_cbranch_scc1 .LBB395_9
; %bb.2:
	s_cmp_gt_i32 s13, 0
	s_cselect_b32 s8, -1, 0
	s_cmp_neq_f32 s15, 0
	v_cndmask_b32_e64 v1, 0, 1, s8
	s_delay_alu instid0(VALU_DEP_1)
	v_cmp_ne_u32_e32 vcc_lo, 1, v1
	s_cbranch_scc1 .LBB395_10
; %bb.3:
	s_and_b32 vcc_lo, exec_lo, vcc_lo
	s_cbranch_vccnz .LBB395_8
; %bb.4:
	v_mad_co_i64_i32 v[1:2], null, s16, v0, 0
	s_lshl_b64 s[2:3], s[6:7], 1
	s_lshl_b64 s[10:11], s[20:21], 1
	s_add_nc_u64 s[2:3], s[4:5], s[2:3]
	v_mov_b32_e32 v3, 0
	s_add_nc_u64 s[2:3], s[2:3], s[10:11]
	s_ashr_i32 s17, s16, 31
	v_lshlrev_b64_e32 v[1:2], 1, v[1:2]
	s_mov_b32 s9, 0
	s_delay_alu instid0(VALU_DEP_1) | instskip(NEXT) | instid1(VALU_DEP_1)
	v_add_co_u32 v1, vcc_lo, s2, v1
	v_add_co_ci_u32_e64 v2, null, s3, v2, vcc_lo
	s_wait_alu 0xfffe
	s_lshl_b64 s[2:3], s[16:17], 9
	s_branch .LBB395_6
.LBB395_5:                              ;   in Loop: Header=BB395_6 Depth=1
	s_or_b32 exec_lo, exec_lo, s10
	s_wait_alu 0xfffe
	v_add_co_u32 v1, vcc_lo, v1, s2
	s_wait_alu 0xfffd
	v_add_co_ci_u32_e64 v2, null, s3, v2, vcc_lo
	s_addk_co_i32 s9, 0x100
	s_wait_alu 0xfffe
	s_cmp_ge_i32 s9, s13
	s_cbranch_scc1 .LBB395_8
.LBB395_6:                              ; =>This Inner Loop Header: Depth=1
	v_add_nc_u32_e32 v4, s9, v0
	s_mov_b32 s10, exec_lo
	s_delay_alu instid0(VALU_DEP_1)
	v_cmpx_gt_i32_e64 s13, v4
	s_cbranch_execz .LBB395_5
; %bb.7:                                ;   in Loop: Header=BB395_6 Depth=1
	global_store_b16 v[1:2], v3, off
	s_branch .LBB395_5
.LBB395_8:
	s_cbranch_execz .LBB395_11
	s_branch .LBB395_16
.LBB395_9:
	s_branch .LBB395_17
.LBB395_10:
.LBB395_11:
	s_and_not1_b32 vcc_lo, exec_lo, s8
	s_wait_alu 0xfffe
	s_cbranch_vccnz .LBB395_16
; %bb.12:
	v_mad_co_i64_i32 v[1:2], null, s16, v0, 0
	s_lshl_b64 s[2:3], s[6:7], 1
	s_lshl_b64 s[8:9], s[20:21], 1
	s_wait_alu 0xfffe
	s_add_nc_u64 s[2:3], s[4:5], s[2:3]
	s_ashr_i32 s17, s16, 31
	s_wait_alu 0xfffe
	s_add_nc_u64 s[2:3], s[2:3], s[8:9]
	s_mov_b32 s8, 0
	v_lshlrev_b64_e32 v[1:2], 1, v[1:2]
	s_wait_alu 0xfffe
	s_delay_alu instid0(VALU_DEP_1) | instskip(SKIP_1) | instid1(VALU_DEP_2)
	v_add_co_u32 v1, vcc_lo, s2, v1
	s_wait_alu 0xfffd
	v_add_co_ci_u32_e64 v2, null, s3, v2, vcc_lo
	s_lshl_b64 s[2:3], s[16:17], 9
	s_branch .LBB395_14
.LBB395_13:                             ;   in Loop: Header=BB395_14 Depth=1
	s_wait_alu 0xfffe
	s_or_b32 exec_lo, exec_lo, s9
	v_add_co_u32 v1, vcc_lo, v1, s2
	s_wait_alu 0xfffd
	v_add_co_ci_u32_e64 v2, null, s3, v2, vcc_lo
	s_addk_co_i32 s8, 0x100
	s_wait_alu 0xfffe
	s_cmp_ge_i32 s8, s13
	s_cbranch_scc1 .LBB395_16
.LBB395_14:                             ; =>This Inner Loop Header: Depth=1
	v_add_nc_u32_e32 v3, s8, v0
	s_mov_b32 s9, exec_lo
	s_delay_alu instid0(VALU_DEP_1)
	v_cmpx_gt_i32_e64 s13, v3
	s_cbranch_execz .LBB395_13
; %bb.15:                               ;   in Loop: Header=BB395_14 Depth=1
	global_load_u16 v3, v[1:2], off
	s_wait_loadcnt 0x0
	v_fma_mixlo_f16 v3, s15, v3, 0 op_sel_hi:[0,1,0]
	global_store_b16 v[1:2], v3, off
	s_branch .LBB395_13
.LBB395_16:
	s_cbranch_execnz .LBB395_34
.LBB395_17:
	s_clause 0x1
	s_load_b128 s[8:11], s[0:1], 0x30
	s_load_b64 s[2:3], s[0:1], 0x40
	s_mov_b32 s17, exec_lo
	v_cmpx_gt_i32_e64 s12, v0
	s_cbranch_execz .LBB395_19
; %bb.18:
	s_clause 0x1
	s_load_b32 s24, s[0:1], 0x48
	s_load_b64 s[22:23], s[0:1], 0x50
	s_wait_kmcnt 0x0
	s_lshl_b64 s[2:3], s[2:3], 1
	v_mad_co_i64_i32 v[1:2], null, s24, v0, 0
	s_mul_u64 s[22:23], s[22:23], s[18:19]
	s_delay_alu instid0(SALU_CYCLE_1) | instskip(NEXT) | instid1(SALU_CYCLE_1)
	s_lshl_b64 s[22:23], s[22:23], 1
	s_add_nc_u64 s[10:11], s[10:11], s[22:23]
	s_wait_alu 0xfffe
	s_add_nc_u64 s[2:3], s[10:11], s[2:3]
	v_lshlrev_b64_e32 v[1:2], 1, v[1:2]
	s_wait_alu 0xfffe
	s_delay_alu instid0(VALU_DEP_1) | instskip(SKIP_1) | instid1(VALU_DEP_2)
	v_add_co_u32 v1, vcc_lo, s2, v1
	s_wait_alu 0xfffd
	v_add_co_ci_u32_e64 v2, null, s3, v2, vcc_lo
	global_load_u16 v1, v[1:2], off
	v_lshlrev_b32_e32 v2, 2, v0
	s_wait_loadcnt 0x0
	v_cvt_f32_f16_e32 v1, v1
	s_delay_alu instid0(VALU_DEP_1)
	v_mul_f32_e32 v1, s14, v1
	ds_store_b32 v2, v1
.LBB395_19:
	s_wait_alu 0xfffe
	s_or_b32 exec_lo, exec_lo, s17
	s_cmp_lt_i32 s13, 1
	s_wait_storecnt_dscnt 0x0
	s_barrier_signal -1
	s_barrier_wait -1
	global_inv scope:SCOPE_SE
	s_cbranch_scc1 .LBB395_34
; %bb.20:
	s_load_b32 s22, s[0:1], 0x28
	s_wait_kmcnt 0x0
	s_load_b128 s[0:3], s[0:1], 0x18
	s_lshl_b64 s[10:11], s[20:21], 1
	s_lshl_b64 s[20:21], s[6:7], 1
	s_ashr_i32 s6, s16, 31
	s_add_nc_u64 s[24:25], s[4:5], s[10:11]
	s_mul_u64 s[18:19], s[8:9], s[18:19]
	s_mov_b32 s11, 0
	s_ashr_i32 s23, s22, 31
	s_cmp_neq_f32 s15, 0
	v_mad_co_i64_i32 v[1:2], null, s22, v0, 0
	s_cselect_b32 s4, -1, 0
	s_cmp_gt_i32 s12, 0
	s_cselect_b32 s5, -1, 0
	s_and_b32 s7, s12, 7
	s_cmp_gt_u32 s12, 7
	v_lshlrev_b64_e32 v[1:2], 1, v[1:2]
	s_cselect_b32 s8, -1, 0
	s_and_b32 s9, s12, 0x7ffffff8
	s_cmp_lg_u32 s7, 0
	s_cselect_b32 s10, -1, 0
	s_wait_kmcnt 0x0
	s_lshl_b64 s[2:3], s[2:3], 1
	s_lshl_b64 s[18:19], s[18:19], 1
	s_wait_alu 0xfffe
	s_add_nc_u64 s[0:1], s[0:1], s[2:3]
	s_lshl_b64 s[2:3], s[22:23], 9
	s_add_nc_u64 s[0:1], s[0:1], s[18:19]
	s_delay_alu instid0(SALU_CYCLE_1)
	v_add_co_u32 v7, vcc_lo, s0, v1
	s_wait_alu 0xfffd
	v_add_co_ci_u32_e64 v8, null, s1, v2, vcc_lo
	s_add_nc_u64 s[0:1], s[24:25], s[20:21]
	v_add_co_u32 v1, vcc_lo, v7, 14
	s_wait_alu 0xfffd
	v_add_co_ci_u32_e64 v2, null, 0, v8, vcc_lo
	s_branch .LBB395_23
.LBB395_21:                             ;   in Loop: Header=BB395_23 Depth=1
	v_add_co_u32 v3, vcc_lo, s0, v3
	s_delay_alu instid0(VALU_DEP_2)
	v_cvt_f16_f32_e32 v5, v9
	s_wait_alu 0xfffd
	v_add_co_ci_u32_e64 v4, null, s1, v4, vcc_lo
	global_store_b16 v[3:4], v5, off
.LBB395_22:                             ;   in Loop: Header=BB395_23 Depth=1
	s_wait_alu 0xfffe
	s_or_b32 exec_lo, exec_lo, s12
	v_add_co_u32 v1, vcc_lo, v1, s2
	s_wait_alu 0xfffd
	v_add_co_ci_u32_e64 v2, null, s3, v2, vcc_lo
	v_add_co_u32 v7, vcc_lo, v7, s2
	s_wait_alu 0xfffd
	v_add_co_ci_u32_e64 v8, null, s3, v8, vcc_lo
	s_addk_co_i32 s11, 0x100
	s_wait_alu 0xfffe
	s_cmp_ge_i32 s11, s13
	s_cbranch_scc1 .LBB395_34
.LBB395_23:                             ; =>This Loop Header: Depth=1
                                        ;     Child Loop BB395_29 Depth 2
                                        ;     Child Loop BB395_33 Depth 2
	v_add_nc_u32_e32 v3, s11, v0
	s_mov_b32 s12, exec_lo
	s_delay_alu instid0(VALU_DEP_1)
	v_cmpx_gt_i32_e64 s13, v3
	s_cbranch_execz .LBB395_22
; %bb.24:                               ;   in Loop: Header=BB395_23 Depth=1
	v_mad_co_u64_u32 v[4:5], null, v3, s16, 0
	s_and_not1_b32 vcc_lo, exec_lo, s4
	v_mad_co_u64_u32 v[5:6], null, v3, s6, v[5:6]
	s_delay_alu instid0(VALU_DEP_1)
	v_lshlrev_b64_e32 v[3:4], 1, v[4:5]
	s_wait_alu 0xfffe
	s_cbranch_vccnz .LBB395_26
; %bb.25:                               ;   in Loop: Header=BB395_23 Depth=1
	s_delay_alu instid0(VALU_DEP_1) | instskip(SKIP_1) | instid1(VALU_DEP_2)
	v_add_co_u32 v5, vcc_lo, s0, v3
	s_wait_alu 0xfffd
	v_add_co_ci_u32_e64 v6, null, s1, v4, vcc_lo
	global_load_u16 v5, v[5:6], off
	s_wait_loadcnt 0x0
	v_cvt_f32_f16_e32 v5, v5
	s_delay_alu instid0(VALU_DEP_1)
	v_mul_f32_e32 v9, s15, v5
	s_and_not1_b32 vcc_lo, exec_lo, s5
	s_wait_alu 0xfffe
	s_cbranch_vccz .LBB395_27
	s_branch .LBB395_21
.LBB395_26:                             ;   in Loop: Header=BB395_23 Depth=1
	v_mov_b32_e32 v9, 0
	s_and_not1_b32 vcc_lo, exec_lo, s5
	s_wait_alu 0xfffe
	s_cbranch_vccnz .LBB395_21
.LBB395_27:                             ;   in Loop: Header=BB395_23 Depth=1
	s_and_not1_b32 vcc_lo, exec_lo, s8
	s_mov_b32 s14, 0
	s_wait_alu 0xfffe
	s_cbranch_vccnz .LBB395_31
; %bb.28:                               ;   in Loop: Header=BB395_23 Depth=1
	v_dual_mov_b32 v6, v2 :: v_dual_mov_b32 v5, v1
	s_mov_b32 s17, 0
.LBB395_29:                             ;   Parent Loop BB395_23 Depth=1
                                        ; =>  This Inner Loop Header: Depth=2
	global_load_b128 v[10:13], v[5:6], off offset:-14
	v_mov_b32_e32 v18, s14
	v_add_co_u32 v5, vcc_lo, v5, 16
	s_wait_alu 0xfffd
	v_add_co_ci_u32_e64 v6, null, 0, v6, vcc_lo
	ds_load_b128 v[14:17], v18
	ds_load_b128 v[18:21], v18 offset:16
	s_wait_alu 0xfffe
	s_add_co_i32 s17, s17, 8
	s_add_co_i32 s14, s14, 32
	s_wait_alu 0xfffe
	s_cmp_eq_u32 s9, s17
	s_wait_loadcnt_dscnt 0x1
	v_fma_mix_f32 v9, v14, v10, v9 op_sel_hi:[0,1,0]
	s_delay_alu instid0(VALU_DEP_1) | instskip(NEXT) | instid1(VALU_DEP_1)
	v_fma_mix_f32 v9, v15, v10, v9 op_sel:[0,1,0] op_sel_hi:[0,1,0]
	v_fma_mix_f32 v9, v16, v11, v9 op_sel_hi:[0,1,0]
	s_delay_alu instid0(VALU_DEP_1) | instskip(SKIP_1) | instid1(VALU_DEP_1)
	v_fma_mix_f32 v9, v17, v11, v9 op_sel:[0,1,0] op_sel_hi:[0,1,0]
	s_wait_dscnt 0x0
	v_fma_mix_f32 v9, v18, v12, v9 op_sel_hi:[0,1,0]
	s_delay_alu instid0(VALU_DEP_1) | instskip(NEXT) | instid1(VALU_DEP_1)
	v_fma_mix_f32 v9, v19, v12, v9 op_sel:[0,1,0] op_sel_hi:[0,1,0]
	v_fma_mix_f32 v9, v20, v13, v9 op_sel_hi:[0,1,0]
	s_delay_alu instid0(VALU_DEP_1)
	v_fma_mix_f32 v9, v21, v13, v9 op_sel:[0,1,0] op_sel_hi:[0,1,0]
	s_cbranch_scc0 .LBB395_29
; %bb.30:                               ;   in Loop: Header=BB395_23 Depth=1
	s_mov_b32 s14, s9
.LBB395_31:                             ;   in Loop: Header=BB395_23 Depth=1
	s_and_not1_b32 vcc_lo, exec_lo, s10
	s_wait_alu 0xfffe
	s_cbranch_vccnz .LBB395_21
; %bb.32:                               ;   in Loop: Header=BB395_23 Depth=1
	s_lshl_b32 s17, s14, 1
	s_lshl_b32 s14, s14, 2
	s_wait_alu 0xfffe
	v_add_co_u32 v5, vcc_lo, v7, s17
	s_wait_alu 0xfffd
	v_add_co_ci_u32_e64 v6, null, 0, v8, vcc_lo
	s_mov_b32 s17, s7
.LBB395_33:                             ;   Parent Loop BB395_23 Depth=1
                                        ; =>  This Inner Loop Header: Depth=2
	global_load_u16 v10, v[5:6], off
	v_mov_b32_e32 v11, s14
	v_add_co_u32 v5, vcc_lo, v5, 2
	s_wait_alu 0xfffd
	v_add_co_ci_u32_e64 v6, null, 0, v6, vcc_lo
	ds_load_b32 v11, v11
	s_wait_alu 0xfffe
	s_add_co_i32 s17, s17, -1
	s_add_co_i32 s14, s14, 4
	s_wait_alu 0xfffe
	s_cmp_lg_u32 s17, 0
	s_wait_loadcnt_dscnt 0x0
	v_fma_mix_f32 v9, v11, v10, v9 op_sel_hi:[0,1,0]
	s_cbranch_scc1 .LBB395_33
	s_branch .LBB395_21
.LBB395_34:
	s_endpgm
	.section	.rodata,"a",@progbits
	.p2align	6, 0x0
	.amdhsa_kernel _ZL22rocblas_gemvtsm_kernelILb0ELi256EDF16_fDF16_EviiT2_lPKT1_lilS3_lilS0_lPT3_lil
		.amdhsa_group_segment_fixed_size 256
		.amdhsa_private_segment_fixed_size 0
		.amdhsa_kernarg_size 136
		.amdhsa_user_sgpr_count 2
		.amdhsa_user_sgpr_dispatch_ptr 0
		.amdhsa_user_sgpr_queue_ptr 0
		.amdhsa_user_sgpr_kernarg_segment_ptr 1
		.amdhsa_user_sgpr_dispatch_id 0
		.amdhsa_user_sgpr_private_segment_size 0
		.amdhsa_wavefront_size32 1
		.amdhsa_uses_dynamic_stack 0
		.amdhsa_enable_private_segment 0
		.amdhsa_system_sgpr_workgroup_id_x 1
		.amdhsa_system_sgpr_workgroup_id_y 0
		.amdhsa_system_sgpr_workgroup_id_z 0
		.amdhsa_system_sgpr_workgroup_info 0
		.amdhsa_system_vgpr_workitem_id 0
		.amdhsa_next_free_vgpr 22
		.amdhsa_next_free_sgpr 26
		.amdhsa_reserve_vcc 1
		.amdhsa_float_round_mode_32 0
		.amdhsa_float_round_mode_16_64 0
		.amdhsa_float_denorm_mode_32 3
		.amdhsa_float_denorm_mode_16_64 3
		.amdhsa_fp16_overflow 0
		.amdhsa_workgroup_processor_mode 1
		.amdhsa_memory_ordered 1
		.amdhsa_forward_progress 1
		.amdhsa_inst_pref_size 12
		.amdhsa_round_robin_scheduling 0
		.amdhsa_exception_fp_ieee_invalid_op 0
		.amdhsa_exception_fp_denorm_src 0
		.amdhsa_exception_fp_ieee_div_zero 0
		.amdhsa_exception_fp_ieee_overflow 0
		.amdhsa_exception_fp_ieee_underflow 0
		.amdhsa_exception_fp_ieee_inexact 0
		.amdhsa_exception_int_div_zero 0
	.end_amdhsa_kernel
	.section	.text._ZL22rocblas_gemvtsm_kernelILb0ELi256EDF16_fDF16_EviiT2_lPKT1_lilS3_lilS0_lPT3_lil,"axG",@progbits,_ZL22rocblas_gemvtsm_kernelILb0ELi256EDF16_fDF16_EviiT2_lPKT1_lilS3_lilS0_lPT3_lil,comdat
.Lfunc_end395:
	.size	_ZL22rocblas_gemvtsm_kernelILb0ELi256EDF16_fDF16_EviiT2_lPKT1_lilS3_lilS0_lPT3_lil, .Lfunc_end395-_ZL22rocblas_gemvtsm_kernelILb0ELi256EDF16_fDF16_EviiT2_lPKT1_lilS3_lilS0_lPT3_lil
                                        ; -- End function
	.set _ZL22rocblas_gemvtsm_kernelILb0ELi256EDF16_fDF16_EviiT2_lPKT1_lilS3_lilS0_lPT3_lil.num_vgpr, 22
	.set _ZL22rocblas_gemvtsm_kernelILb0ELi256EDF16_fDF16_EviiT2_lPKT1_lilS3_lilS0_lPT3_lil.num_agpr, 0
	.set _ZL22rocblas_gemvtsm_kernelILb0ELi256EDF16_fDF16_EviiT2_lPKT1_lilS3_lilS0_lPT3_lil.numbered_sgpr, 26
	.set _ZL22rocblas_gemvtsm_kernelILb0ELi256EDF16_fDF16_EviiT2_lPKT1_lilS3_lilS0_lPT3_lil.num_named_barrier, 0
	.set _ZL22rocblas_gemvtsm_kernelILb0ELi256EDF16_fDF16_EviiT2_lPKT1_lilS3_lilS0_lPT3_lil.private_seg_size, 0
	.set _ZL22rocblas_gemvtsm_kernelILb0ELi256EDF16_fDF16_EviiT2_lPKT1_lilS3_lilS0_lPT3_lil.uses_vcc, 1
	.set _ZL22rocblas_gemvtsm_kernelILb0ELi256EDF16_fDF16_EviiT2_lPKT1_lilS3_lilS0_lPT3_lil.uses_flat_scratch, 0
	.set _ZL22rocblas_gemvtsm_kernelILb0ELi256EDF16_fDF16_EviiT2_lPKT1_lilS3_lilS0_lPT3_lil.has_dyn_sized_stack, 0
	.set _ZL22rocblas_gemvtsm_kernelILb0ELi256EDF16_fDF16_EviiT2_lPKT1_lilS3_lilS0_lPT3_lil.has_recursion, 0
	.set _ZL22rocblas_gemvtsm_kernelILb0ELi256EDF16_fDF16_EviiT2_lPKT1_lilS3_lilS0_lPT3_lil.has_indirect_call, 0
	.section	.AMDGPU.csdata,"",@progbits
; Kernel info:
; codeLenInByte = 1492
; TotalNumSgprs: 28
; NumVgprs: 22
; ScratchSize: 0
; MemoryBound: 0
; FloatMode: 240
; IeeeMode: 1
; LDSByteSize: 256 bytes/workgroup (compile time only)
; SGPRBlocks: 0
; VGPRBlocks: 2
; NumSGPRsForWavesPerEU: 28
; NumVGPRsForWavesPerEU: 22
; Occupancy: 16
; WaveLimiterHint : 1
; COMPUTE_PGM_RSRC2:SCRATCH_EN: 0
; COMPUTE_PGM_RSRC2:USER_SGPR: 2
; COMPUTE_PGM_RSRC2:TRAP_HANDLER: 0
; COMPUTE_PGM_RSRC2:TGID_X_EN: 1
; COMPUTE_PGM_RSRC2:TGID_Y_EN: 0
; COMPUTE_PGM_RSRC2:TGID_Z_EN: 0
; COMPUTE_PGM_RSRC2:TIDIG_COMP_CNT: 0
	.section	.text._ZL23rocblas_gemvt_sn_kernelILb0ELi256ELi4EiDF16_PKffEviiT4_lPKT3_lilS5_lilPT5_i,"axG",@progbits,_ZL23rocblas_gemvt_sn_kernelILb0ELi256ELi4EiDF16_PKffEviiT4_lPKT3_lilS5_lilPT5_i,comdat
	.globl	_ZL23rocblas_gemvt_sn_kernelILb0ELi256ELi4EiDF16_PKffEviiT4_lPKT3_lilS5_lilPT5_i ; -- Begin function _ZL23rocblas_gemvt_sn_kernelILb0ELi256ELi4EiDF16_PKffEviiT4_lPKT3_lilS5_lilPT5_i
	.p2align	8
	.type	_ZL23rocblas_gemvt_sn_kernelILb0ELi256ELi4EiDF16_PKffEviiT4_lPKT3_lilS5_lilPT5_i,@function
_ZL23rocblas_gemvt_sn_kernelILb0ELi256ELi4EiDF16_PKffEviiT4_lPKT3_lilS5_lilPT5_i: ; @_ZL23rocblas_gemvt_sn_kernelILb0ELi256ELi4EiDF16_PKffEviiT4_lPKT3_lilS5_lilPT5_i
; %bb.0:
	s_load_b32 s11, s[0:1], 0x60
	s_lshr_b32 s28, ttmp7, 16
	s_wait_kmcnt 0x0
	s_cmp_ge_u32 s28, s11
	s_cbranch_scc1 .LBB396_83
; %bb.1:
	s_clause 0x6
	s_load_b96 s[8:10], s[0:1], 0x40
	s_load_b256 s[12:19], s[0:1], 0x8
	s_load_b64 s[34:35], s[0:1], 0x0
	s_load_b128 s[20:23], s[0:1], 0x30
	s_load_b32 s36, s[0:1], 0x68
	s_load_b32 s38, s[0:1], 0x28
	s_load_b128 s[24:27], s[0:1], 0x50
	v_cmp_eq_u32_e64 s0, 0, v0
	v_mbcnt_lo_u32_b32 v28, -1, 0
	s_mov_b32 s41, 0
	s_mov_b32 s30, ttmp9
	s_mov_b32 s37, s41
	s_mov_b32 s31, s41
	v_lshl_or_b32 v29, v28, 2, 64
	s_mov_b32 s39, s41
	s_mov_b32 s49, s41
	s_wait_kmcnt 0x0
	s_lshl_b64 s[2:3], s[8:9], 1
	s_lshl_b64 s[4:5], s[18:19], 1
	s_ashr_i32 s7, s35, 31
	s_cmp_gt_i32 s35, 0
	s_add_nc_u64 s[18:19], s[22:23], s[2:3]
	s_add_nc_u64 s[2:3], s[16:17], s[4:5]
	s_cselect_b32 s1, -1, 0
	s_lshl_b32 s4, ttmp9, 10
	s_lshr_b32 s5, s7, 30
	v_lshl_or_b32 v1, v0, 2, s4
	s_ashr_i32 s4, s34, 31
	s_and_b32 s33, s0, s1
	s_wait_alu 0xfffe
	s_lshr_b32 s4, s4, 30
	s_add_co_i32 s1, s35, s5
	v_ashrrev_i32_e32 v2, 31, v1
	s_wait_alu 0xfffe
	s_add_co_i32 s4, s34, s4
	s_and_b32 s70, s1, -4
	s_wait_alu 0xfffe
	s_and_b32 s1, s4, -4
	v_mul_lo_u32 v5, s10, v1
	v_lshlrev_b64_e32 v[2:3], 1, v[1:2]
	s_sub_co_i32 s71, s34, s1
	v_add_nc_u32_e32 v4, 4, v1
	v_add_nc_u32_e32 v1, s71, v1
	v_cmp_gt_u32_e64 s5, 8, v0
	s_cmp_gt_i32 s70, 0
	v_add_co_u32 v24, vcc_lo, s2, v2
	s_delay_alu instid0(VALU_DEP_1)
	v_add_co_ci_u32_e64 v25, null, s3, v3, vcc_lo
	v_cmp_ge_i32_e64 s1, s34, v4
	v_and_b32_e32 v2, 31, v0
	v_cmp_gt_u32_e64 s3, 32, v0
	v_lshrrev_b32_e32 v4, 3, v0
	v_mov_b32_e32 v0, 0
	v_cmp_ge_i32_e64 s2, s34, v1
	v_add_nc_u32_e32 v1, s10, v5
	v_cmp_eq_u32_e64 s4, 0, v2
	v_lshlrev_b32_e32 v26, 2, v2
	v_and_b32_e32 v27, 28, v4
	v_ashrrev_i32_e32 v6, 31, v5
	v_add_nc_u32_e32 v3, s10, v1
	v_ashrrev_i32_e32 v2, 31, v1
	s_cselect_b32 s72, -1, 0
	s_cmp_gt_i32 s71, 0
	s_mov_b32 s6, s35
	v_add_nc_u32_e32 v12, s10, v3
	v_ashrrev_i32_e32 v4, 31, v3
	s_cselect_b32 s34, -1, 0
	s_lshl_b32 s40, s38, 1
	v_lshlrev_b64_e32 v[6:7], 1, v[5:6]
	v_ashrrev_i32_e32 v13, 31, v12
	v_lshlrev_b64_e32 v[8:9], 1, v[1:2]
	v_lshlrev_b64_e32 v[10:11], 1, v[3:4]
	s_mul_u64 s[16:17], s[6:7], s[36:37]
	s_lshl_b64 s[22:23], s[30:31], 2
	v_lshlrev_b64_e32 v[12:13], 1, v[12:13]
	s_mov_b64 s[50:51], s[40:41]
	s_mul_i32 s40, s38, 3
	s_add_nc_u64 s[42:43], s[26:27], s[22:23]
	s_lshl_b64 s[44:45], s[16:17], 2
	s_lshl_b64 s[46:47], s[36:37], 2
	s_lshl_b32 s48, s38, 2
	s_mov_b64 s[52:53], s[40:41]
	s_lshl_b64 s[54:55], s[20:21], 1
	s_branch .LBB396_3
.LBB396_2:                              ;   in Loop: Header=BB396_3 Depth=1
	s_add_co_i32 s28, s28, 0x10000
	s_delay_alu instid0(SALU_CYCLE_1)
	s_cmp_lt_u32 s28, s11
	s_cbranch_scc0 .LBB396_83
.LBB396_3:                              ; =>This Loop Header: Depth=1
                                        ;     Child Loop BB396_6 Depth 2
                                        ;     Child Loop BB396_12 Depth 2
                                        ;       Child Loop BB396_43 Depth 3
                                        ;       Child Loop BB396_46 Depth 3
                                        ;     Child Loop BB396_62 Depth 2
                                        ;       Child Loop BB396_75 Depth 3
                                        ;       Child Loop BB396_78 Depth 3
	s_mov_b32 s29, s41
	s_delay_alu instid0(SALU_CYCLE_1)
	s_mul_u64 s[6:7], s[14:15], s[28:29]
	s_wait_alu 0xfffe
	s_lshl_b64 s[6:7], s[6:7], 2
	s_wait_alu 0xfffe
	s_add_nc_u64 s[6:7], s[12:13], s[6:7]
	global_load_b32 v30, v0, s[6:7]
	s_mov_b32 s6, -1
	s_wait_loadcnt 0x0
	v_cmp_neq_f32_e32 vcc_lo, 0, v30
	s_cbranch_vccnz .LBB396_8
; %bb.4:                                ;   in Loop: Header=BB396_3 Depth=1
	s_and_saveexec_b32 s8, s33
	s_cbranch_execz .LBB396_7
; %bb.5:                                ;   in Loop: Header=BB396_3 Depth=1
	s_mul_u64 s[6:7], s[44:45], s[28:29]
	s_mov_b32 s9, s35
	s_wait_alu 0xfffe
	s_add_nc_u64 s[6:7], s[42:43], s[6:7]
.LBB396_6:                              ;   Parent Loop BB396_3 Depth=1
                                        ; =>  This Inner Loop Header: Depth=2
	s_add_co_i32 s9, s9, -1
	global_store_b32 v0, v0, s[6:7]
	s_wait_alu 0xfffe
	s_cmp_eq_u32 s9, 0
	s_add_nc_u64 s[6:7], s[6:7], s[46:47]
	s_cbranch_scc0 .LBB396_6
.LBB396_7:                              ;   in Loop: Header=BB396_3 Depth=1
	s_wait_alu 0xfffe
	s_or_b32 exec_lo, exec_lo, s8
	s_mov_b32 s6, 0
.LBB396_8:                              ;   in Loop: Header=BB396_3 Depth=1
	s_wait_alu 0xfffe
	s_and_not1_b32 vcc_lo, exec_lo, s6
	s_wait_alu 0xfffe
	s_cbranch_vccnz .LBB396_2
; %bb.9:                                ;   in Loop: Header=BB396_3 Depth=1
	s_mul_u64 s[6:7], s[24:25], s[28:29]
	s_mul_u64 s[8:9], s[20:21], s[28:29]
	s_wait_alu 0xfffe
	s_lshl_b64 s[6:7], s[6:7], 1
	s_mul_u64 s[60:61], s[16:17], s[28:29]
	s_wait_alu 0xfffe
	s_add_nc_u64 s[56:57], s[18:19], s[6:7]
	s_lshl_b64 s[6:7], s[8:9], 1
	v_cmp_gt_u32_e64 s9, 24, v28
	s_wait_alu 0xfffe
	v_add_co_u32 v31, vcc_lo, v24, s6
	s_wait_alu 0xfffd
	v_add_co_ci_u32_e64 v32, null, s7, v25, vcc_lo
	v_cmp_gt_u32_e64 s8, 28, v28
	v_cmp_gt_u32_e64 s7, 30, v28
	v_cmp_ne_u32_e64 s6, 31, v28
	s_lshl_b64 s[60:61], s[60:61], 2
	s_mul_u64 s[58:59], s[54:55], s[28:29]
	s_and_not1_b32 vcc_lo, exec_lo, s72
	s_wait_alu 0xfffe
	s_add_nc_u64 s[60:61], s[26:27], s[60:61]
	s_cbranch_vccnz .LBB396_58
; %bb.10:                               ;   in Loop: Header=BB396_3 Depth=1
	v_cndmask_b32_e64 v2, 0, 4, s8
	v_cndmask_b32_e64 v3, 0, 2, s7
	v_add_co_u32 v14, vcc_lo, s56, v6
	s_wait_alu 0xfffd
	v_add_co_ci_u32_e64 v15, null, s57, v7, vcc_lo
	v_add_co_u32 v16, vcc_lo, s56, v8
	v_cndmask_b32_e64 v1, 0, 8, s9
	v_add_co_ci_u32_e64 v4, null, 0, v28, s6
	v_add_lshl_u32 v34, v2, v28, 2
	v_add_lshl_u32 v35, v3, v28, 2
	s_wait_alu 0xfffd
	v_add_co_ci_u32_e64 v17, null, s57, v9, vcc_lo
	v_add_co_u32 v18, vcc_lo, s56, v10
	v_dual_mov_b32 v2, v0 :: v_dual_mov_b32 v3, v0
	s_wait_alu 0xfffd
	v_add_co_ci_u32_e64 v19, null, s57, v11, vcc_lo
	v_add_co_u32 v20, vcc_lo, s56, v12
	v_add_lshl_u32 v33, v1, v28, 2
	v_dual_mov_b32 v1, v0 :: v_dual_lshlrev_b32 v36, 2, v4
	s_wait_alu 0xfffd
	v_add_co_ci_u32_e64 v21, null, s57, v13, vcc_lo
	v_add_co_u32 v37, vcc_lo, v24, s58
	v_mov_b32_e32 v4, v3
	s_wait_alu 0xfffd
	v_add_co_ci_u32_e64 v38, null, s59, v25, vcc_lo
	v_mov_b32_e32 v3, v2
	v_mov_b32_e32 v2, v1
	;; [unrolled: 1-line block ×3, first 2 shown]
	s_mov_b32 s8, 0
	s_mov_b64 s[62:63], s[52:53]
	s_mov_b64 s[64:65], s[50:51]
	;; [unrolled: 1-line block ×3, first 2 shown]
	s_mov_b32 s29, 0
	s_branch .LBB396_12
.LBB396_11:                             ;   in Loop: Header=BB396_12 Depth=2
	s_wait_alu 0xfffe
	s_or_b32 exec_lo, exec_lo, s6
	s_add_co_i32 s29, s29, 4
	s_add_co_i32 s8, s8, s48
	s_add_nc_u64 s[66:67], s[66:67], s[48:49]
	s_add_nc_u64 s[64:65], s[64:65], s[48:49]
	s_cmp_ge_i32 s29, s70
	s_add_nc_u64 s[62:63], s[62:63], s[48:49]
	s_cbranch_scc1 .LBB396_59
.LBB396_12:                             ;   Parent Loop BB396_3 Depth=1
                                        ; =>  This Loop Header: Depth=2
                                        ;       Child Loop BB396_43 Depth 3
                                        ;       Child Loop BB396_46 Depth 3
                                        ; implicit-def: $vgpr39
                                        ; implicit-def: $vgpr40
                                        ; implicit-def: $vgpr41
                                        ; implicit-def: $vgpr42
	s_and_saveexec_b32 s6, s1
	s_wait_alu 0xfffe
	s_xor_b32 s6, exec_lo, s6
	s_cbranch_execnz .LBB396_39
; %bb.13:                               ;   in Loop: Header=BB396_12 Depth=2
	s_wait_alu 0xfffe
	s_and_not1_saveexec_b32 s31, s6
	s_cbranch_execnz .LBB396_40
.LBB396_14:                             ;   in Loop: Header=BB396_12 Depth=2
	s_or_b32 exec_lo, exec_lo, s31
	s_and_saveexec_b32 s6, s3
.LBB396_15:                             ;   in Loop: Header=BB396_12 Depth=2
	ds_store_b32 v26, v0
.LBB396_16:                             ;   in Loop: Header=BB396_12 Depth=2
	s_wait_alu 0xfffe
	s_or_b32 exec_lo, exec_lo, s6
	s_wait_dscnt 0x0
	ds_bpermute_b32 v22, v29, v42
	s_wait_storecnt_dscnt 0x0
	s_barrier_signal -1
	s_barrier_wait -1
	global_inv scope:SCOPE_SE
	v_add_f32_e32 v22, v42, v22
	ds_bpermute_b32 v23, v33, v22
	s_wait_dscnt 0x0
	v_add_f32_e32 v22, v22, v23
	ds_bpermute_b32 v23, v34, v22
	s_wait_dscnt 0x0
	;; [unrolled: 3-line block ×3, first 2 shown]
	v_add_f32_e32 v22, v22, v23
	ds_bpermute_b32 v23, v36, v22
	s_and_saveexec_b32 s6, s4
	s_cbranch_execz .LBB396_18
; %bb.17:                               ;   in Loop: Header=BB396_12 Depth=2
	s_wait_dscnt 0x0
	v_add_f32_e32 v22, v22, v23
	ds_store_b32 v27, v22
.LBB396_18:                             ;   in Loop: Header=BB396_12 Depth=2
	s_wait_alu 0xfffe
	s_or_b32 exec_lo, exec_lo, s6
	v_mov_b32_e32 v22, 0
	s_wait_loadcnt_dscnt 0x0
	s_barrier_signal -1
	s_barrier_wait -1
	global_inv scope:SCOPE_SE
	s_and_saveexec_b32 s6, s5
	s_cbranch_execnz .LBB396_47
; %bb.19:                               ;   in Loop: Header=BB396_12 Depth=2
	s_wait_alu 0xfffe
	s_or_b32 exec_lo, exec_lo, s6
	s_and_saveexec_b32 s6, s3
	s_cbranch_execnz .LBB396_48
.LBB396_20:                             ;   in Loop: Header=BB396_12 Depth=2
	s_wait_alu 0xfffe
	s_or_b32 exec_lo, exec_lo, s6
	s_and_saveexec_b32 s6, s3
.LBB396_21:                             ;   in Loop: Header=BB396_12 Depth=2
	ds_store_b32 v26, v0
.LBB396_22:                             ;   in Loop: Header=BB396_12 Depth=2
	s_wait_alu 0xfffe
	s_or_b32 exec_lo, exec_lo, s6
	ds_bpermute_b32 v23, v29, v41
	s_wait_loadcnt_dscnt 0x0
	s_barrier_signal -1
	s_barrier_wait -1
	global_inv scope:SCOPE_SE
	v_add_f32_e32 v23, v41, v23
	ds_bpermute_b32 v41, v33, v23
	s_wait_dscnt 0x0
	v_add_f32_e32 v23, v23, v41
	ds_bpermute_b32 v41, v34, v23
	s_wait_dscnt 0x0
	;; [unrolled: 3-line block ×3, first 2 shown]
	v_add_f32_e32 v23, v23, v41
	ds_bpermute_b32 v41, v36, v23
	s_and_saveexec_b32 s6, s4
	s_cbranch_execz .LBB396_24
; %bb.23:                               ;   in Loop: Header=BB396_12 Depth=2
	s_wait_dscnt 0x0
	v_add_f32_e32 v23, v23, v41
	ds_store_b32 v27, v23
.LBB396_24:                             ;   in Loop: Header=BB396_12 Depth=2
	s_wait_alu 0xfffe
	s_or_b32 exec_lo, exec_lo, s6
	v_mov_b32_e32 v23, 0
	s_wait_loadcnt_dscnt 0x0
	s_barrier_signal -1
	s_barrier_wait -1
	global_inv scope:SCOPE_SE
	s_and_saveexec_b32 s6, s5
	s_cbranch_execnz .LBB396_49
; %bb.25:                               ;   in Loop: Header=BB396_12 Depth=2
	s_wait_alu 0xfffe
	s_or_b32 exec_lo, exec_lo, s6
	s_and_saveexec_b32 s6, s3
	s_cbranch_execnz .LBB396_50
.LBB396_26:                             ;   in Loop: Header=BB396_12 Depth=2
	s_wait_alu 0xfffe
	s_or_b32 exec_lo, exec_lo, s6
	s_and_saveexec_b32 s6, s3
.LBB396_27:                             ;   in Loop: Header=BB396_12 Depth=2
	ds_store_b32 v26, v0
.LBB396_28:                             ;   in Loop: Header=BB396_12 Depth=2
	s_wait_alu 0xfffe
	s_or_b32 exec_lo, exec_lo, s6
	ds_bpermute_b32 v41, v29, v40
	s_wait_loadcnt_dscnt 0x0
	s_barrier_signal -1
	s_barrier_wait -1
	global_inv scope:SCOPE_SE
	v_add_f32_e32 v40, v40, v41
	ds_bpermute_b32 v41, v33, v40
	s_wait_dscnt 0x0
	v_add_f32_e32 v40, v40, v41
	ds_bpermute_b32 v41, v34, v40
	s_wait_dscnt 0x0
	;; [unrolled: 3-line block ×3, first 2 shown]
	v_add_f32_e32 v40, v40, v41
	ds_bpermute_b32 v41, v36, v40
	s_and_saveexec_b32 s6, s4
	s_cbranch_execz .LBB396_30
; %bb.29:                               ;   in Loop: Header=BB396_12 Depth=2
	s_wait_dscnt 0x0
	v_add_f32_e32 v40, v40, v41
	ds_store_b32 v27, v40
.LBB396_30:                             ;   in Loop: Header=BB396_12 Depth=2
	s_wait_alu 0xfffe
	s_or_b32 exec_lo, exec_lo, s6
	v_mov_b32_e32 v40, 0
	s_wait_loadcnt_dscnt 0x0
	s_barrier_signal -1
	s_barrier_wait -1
	global_inv scope:SCOPE_SE
	s_and_saveexec_b32 s6, s5
	s_cbranch_execnz .LBB396_51
; %bb.31:                               ;   in Loop: Header=BB396_12 Depth=2
	s_wait_alu 0xfffe
	s_or_b32 exec_lo, exec_lo, s6
	s_and_saveexec_b32 s6, s3
	s_cbranch_execnz .LBB396_52
.LBB396_32:                             ;   in Loop: Header=BB396_12 Depth=2
	s_wait_alu 0xfffe
	s_or_b32 exec_lo, exec_lo, s6
	s_and_saveexec_b32 s6, s3
.LBB396_33:                             ;   in Loop: Header=BB396_12 Depth=2
	ds_store_b32 v26, v0
.LBB396_34:                             ;   in Loop: Header=BB396_12 Depth=2
	s_wait_alu 0xfffe
	s_or_b32 exec_lo, exec_lo, s6
	ds_bpermute_b32 v41, v29, v39
	s_wait_loadcnt_dscnt 0x0
	s_barrier_signal -1
	s_barrier_wait -1
	global_inv scope:SCOPE_SE
	v_add_f32_e32 v39, v39, v41
	ds_bpermute_b32 v41, v33, v39
	s_wait_dscnt 0x0
	v_add_f32_e32 v39, v39, v41
	ds_bpermute_b32 v41, v34, v39
	s_wait_dscnt 0x0
	;; [unrolled: 3-line block ×3, first 2 shown]
	v_add_f32_e32 v39, v39, v41
	ds_bpermute_b32 v41, v36, v39
	s_and_saveexec_b32 s6, s4
	s_cbranch_execz .LBB396_36
; %bb.35:                               ;   in Loop: Header=BB396_12 Depth=2
	s_wait_dscnt 0x0
	v_add_f32_e32 v39, v39, v41
	ds_store_b32 v27, v39
.LBB396_36:                             ;   in Loop: Header=BB396_12 Depth=2
	s_wait_alu 0xfffe
	s_or_b32 exec_lo, exec_lo, s6
	v_mov_b32_e32 v39, 0
	s_wait_loadcnt_dscnt 0x0
	s_barrier_signal -1
	s_barrier_wait -1
	global_inv scope:SCOPE_SE
	s_and_saveexec_b32 s6, s5
	s_cbranch_execnz .LBB396_53
; %bb.37:                               ;   in Loop: Header=BB396_12 Depth=2
	s_wait_alu 0xfffe
	s_or_b32 exec_lo, exec_lo, s6
	s_and_saveexec_b32 s6, s3
	s_cbranch_execnz .LBB396_54
.LBB396_38:                             ;   in Loop: Header=BB396_12 Depth=2
	s_wait_alu 0xfffe
	s_or_b32 exec_lo, exec_lo, s6
	s_and_saveexec_b32 s6, s0
	s_cbranch_execz .LBB396_11
	s_branch .LBB396_55
.LBB396_39:                             ;   in Loop: Header=BB396_12 Depth=2
	s_mul_i32 s68, s29, s38
	s_wait_alu 0xfffe
	s_ashr_i32 s69, s68, 31
	s_add_co_i32 s74, s68, s38
	s_wait_alu 0xfffe
	s_lshl_b64 s[68:69], s[68:69], 1
	s_ashr_i32 s75, s74, 31
	s_wait_alu 0xfffe
	v_add_co_u32 v1, vcc_lo, v31, s68
	s_wait_alu 0xfffd
	v_add_co_ci_u32_e64 v2, null, s69, v32, vcc_lo
	s_lshl_b64 s[68:69], s[74:75], 1
	s_add_co_i32 s74, s74, s38
	s_wait_alu 0xfffe
	v_add_co_u32 v3, vcc_lo, v31, s68
	s_ashr_i32 s75, s74, 31
	s_add_co_i32 s68, s74, s38
	s_wait_alu 0xfffd
	v_add_co_ci_u32_e64 v4, null, s69, v32, vcc_lo
	s_wait_alu 0xfffe
	s_lshl_b64 s[74:75], s[74:75], 1
	s_ashr_i32 s69, s68, 31
	s_wait_dscnt 0x0
	s_wait_alu 0xfffe
	v_add_co_u32 v22, vcc_lo, v31, s74
	s_lshl_b64 s[68:69], s[68:69], 1
	s_wait_alu 0xfffd
	v_add_co_ci_u32_e64 v23, null, s75, v32, vcc_lo
	s_wait_alu 0xfffe
	v_add_co_u32 v39, vcc_lo, v31, s68
	s_wait_alu 0xfffd
	v_add_co_ci_u32_e64 v40, null, s69, v32, vcc_lo
	global_load_u16 v47, v[14:15], off
	s_clause 0x3
	global_load_b64 v[41:42], v[1:2], off
	global_load_b64 v[43:44], v[3:4], off
	;; [unrolled: 1-line block ×4, first 2 shown]
	s_clause 0x2
	global_load_u16 v3, v[16:17], off
	global_load_u16 v4, v[18:19], off
	;; [unrolled: 1-line block ×3, first 2 shown]
	s_wait_loadcnt 0x7
	v_cvt_f32_f16_e32 v1, v47
	s_wait_loadcnt 0x6
	v_fma_mix_f32 v40, v47, v41, 0 op_sel_hi:[1,1,0]
	s_wait_loadcnt 0x5
	v_fma_mix_f32 v48, v47, v43, 0 op_sel_hi:[1,1,0]
	;; [unrolled: 2-line block ×4, first 2 shown]
	s_wait_loadcnt 0x2
	v_cvt_f32_f16_e32 v2, v3
	v_fma_mix_f32 v40, v3, v41, v40 op_sel:[0,1,0] op_sel_hi:[1,1,0]
	v_fma_mix_f32 v41, v3, v43, v48 op_sel:[0,1,0] op_sel_hi:[1,1,0]
	;; [unrolled: 1-line block ×4, first 2 shown]
	s_wait_loadcnt 0x1
	v_cvt_f32_f16_e32 v3, v4
	v_fma_mix_f32 v40, v4, v42, v40 op_sel_hi:[1,1,0]
	v_fma_mix_f32 v41, v4, v44, v41 op_sel_hi:[1,1,0]
	;; [unrolled: 1-line block ×4, first 2 shown]
	s_wait_loadcnt 0x0
	v_cvt_f32_f16_e32 v4, v39
	v_fma_mix_f32 v42, v39, v42, v40 op_sel:[0,1,0] op_sel_hi:[1,1,0]
	v_fma_mix_f32 v41, v39, v44, v41 op_sel:[0,1,0] op_sel_hi:[1,1,0]
	;; [unrolled: 1-line block ×4, first 2 shown]
	s_and_not1_saveexec_b32 s31, s6
	s_cbranch_execz .LBB396_14
.LBB396_40:                             ;   in Loop: Header=BB396_12 Depth=2
	s_wait_dscnt 0x0
	v_dual_mov_b32 v39, 0 :: v_dual_mov_b32 v40, 0
	v_dual_mov_b32 v41, 0 :: v_dual_mov_b32 v42, 0
	s_and_saveexec_b32 s40, s2
	s_cbranch_execz .LBB396_57
; %bb.41:                               ;   in Loop: Header=BB396_12 Depth=2
	s_and_not1_b32 vcc_lo, exec_lo, s34
	s_wait_alu 0xfffe
	s_cbranch_vccnz .LBB396_44
; %bb.42:                               ;   in Loop: Header=BB396_12 Depth=2
	v_mov_b32_e32 v22, v5
	s_mov_b64 s[68:69], 0
.LBB396_43:                             ;   Parent Loop BB396_3 Depth=1
                                        ;     Parent Loop BB396_12 Depth=2
                                        ; =>    This Inner Loop Header: Depth=3
	s_delay_alu instid0(VALU_DEP_1) | instskip(SKIP_2) | instid1(VALU_DEP_1)
	v_ashrrev_i32_e32 v23, 31, v22
	s_wait_alu 0xfffe
	s_cmp_eq_u32 s68, 3
	v_lshlrev_b64_e32 v[39:40], 1, v[22:23]
	s_delay_alu instid0(VALU_DEP_1) | instskip(SKIP_1) | instid1(VALU_DEP_2)
	v_add_co_u32 v39, vcc_lo, s56, v39
	s_wait_alu 0xfffd
	v_add_co_ci_u32_e64 v40, null, s57, v40, vcc_lo
	s_cselect_b32 vcc_lo, -1, 0
	s_cmp_eq_u32 s68, 2
	s_cselect_b32 s6, -1, 0
	global_load_u16 v23, v[39:40], off
	s_cmp_eq_u32 s68, 1
	s_cselect_b32 s7, -1, 0
	s_cmp_eq_u32 s68, 0
	s_add_nc_u64 s[68:69], s[68:69], 1
	s_wait_loadcnt 0x0
	v_cvt_f32_f16_e32 v23, v23
	s_wait_alu 0xfffe
	s_delay_alu instid0(VALU_DEP_1)
	v_cndmask_b32_e32 v4, v4, v23, vcc_lo
	s_cselect_b32 vcc_lo, -1, 0
	s_wait_alu 0xfffe
	v_dual_cndmask_b32 v1, v1, v23 :: v_dual_add_nc_u32 v22, s10, v22
	v_cndmask_b32_e64 v3, v3, v23, s6
	v_cndmask_b32_e64 v2, v2, v23, s7
	s_cmp_eq_u32 s71, s68
	s_cbranch_scc0 .LBB396_43
.LBB396_44:                             ;   in Loop: Header=BB396_12 Depth=2
	s_and_not1_b32 vcc_lo, exec_lo, s34
	s_wait_alu 0xfffe
	s_cbranch_vccnz .LBB396_56
; %bb.45:                               ;   in Loop: Header=BB396_12 Depth=2
	s_ashr_i32 s9, s8, 31
	v_dual_mov_b32 v42, 0 :: v_dual_mov_b32 v41, 0
	s_wait_alu 0xfffe
	s_lshl_b64 s[6:7], s[8:9], 1
	v_dual_mov_b32 v40, 0 :: v_dual_mov_b32 v39, 0
	s_wait_alu 0xfffe
	v_add_co_u32 v22, vcc_lo, v37, s6
	s_wait_alu 0xfffd
	v_add_co_ci_u32_e64 v23, null, s7, v38, vcc_lo
	s_mov_b64 s[68:69], 0
.LBB396_46:                             ;   Parent Loop BB396_3 Depth=1
                                        ;     Parent Loop BB396_12 Depth=2
                                        ; =>    This Inner Loop Header: Depth=3
	s_wait_alu 0xfffe
	s_cmp_eq_u32 s68, 1
	s_cselect_b32 vcc_lo, -1, 0
	s_cmp_eq_u32 s68, 2
	s_wait_alu 0xfffe
	v_cndmask_b32_e32 v43, v1, v2, vcc_lo
	s_cselect_b32 vcc_lo, -1, 0
	s_cmp_eq_u32 s68, 3
	s_wait_alu 0xfffe
	s_delay_alu instid0(VALU_DEP_1)
	v_cndmask_b32_e32 v49, v43, v3, vcc_lo
	s_cselect_b32 vcc_lo, -1, 0
	s_add_co_i32 s6, s66, s68
	s_add_co_i32 s74, s64, s68
	s_wait_alu 0xfffe
	s_ashr_i32 s7, s6, 31
	s_add_co_i32 s76, s62, s68
	s_ashr_i32 s75, s74, 31
	s_wait_alu 0xfffe
	s_lshl_b64 s[6:7], s[6:7], 1
	s_ashr_i32 s77, s76, 31
	s_lshl_b64 s[74:75], s[74:75], 1
	s_wait_alu 0xfffe
	v_add_co_u32 v43, s6, v31, s6
	s_lshl_b64 s[76:77], s[76:77], 1
	v_add_co_ci_u32_e64 v44, null, s7, v32, s6
	v_add_co_u32 v45, s6, v31, s74
	s_wait_alu 0xf1ff
	v_add_co_ci_u32_e64 v46, null, s75, v32, s6
	s_wait_alu 0xfffe
	v_add_co_u32 v47, s6, v31, s76
	s_wait_alu 0xf1ff
	v_add_co_ci_u32_e64 v48, null, s77, v32, s6
	global_load_u16 v50, v[22:23], off
	s_clause 0x2
	global_load_u16 v43, v[43:44], off
	global_load_u16 v44, v[45:46], off
	;; [unrolled: 1-line block ×3, first 2 shown]
	v_cndmask_b32_e32 v46, v49, v4, vcc_lo
	v_add_co_u32 v22, s6, v22, 2
	s_wait_alu 0xf1ff
	v_add_co_ci_u32_e64 v23, null, 0, v23, s6
	s_add_nc_u64 s[68:69], s[68:69], 1
	s_wait_alu 0xfffe
	s_cmp_lg_u32 s71, s68
	s_wait_loadcnt 0x3
	v_fma_mix_f32 v42, v46, v50, v42 op_sel_hi:[0,1,0]
	s_wait_loadcnt 0x2
	v_fma_mix_f32 v41, v46, v43, v41 op_sel_hi:[0,1,0]
	;; [unrolled: 2-line block ×4, first 2 shown]
	s_cbranch_scc1 .LBB396_46
	s_branch .LBB396_57
.LBB396_47:                             ;   in Loop: Header=BB396_12 Depth=2
	ds_load_b32 v22, v26
	s_wait_alu 0xfffe
	s_or_b32 exec_lo, exec_lo, s6
	s_and_saveexec_b32 s6, s3
	s_cbranch_execz .LBB396_20
.LBB396_48:                             ;   in Loop: Header=BB396_12 Depth=2
	s_wait_dscnt 0x0
	ds_bpermute_b32 v23, v34, v22
	s_wait_dscnt 0x0
	v_add_f32_e32 v22, v22, v23
	ds_bpermute_b32 v23, v35, v22
	s_wait_dscnt 0x0
	v_add_f32_e32 v22, v22, v23
	;; [unrolled: 3-line block ×3, first 2 shown]
	s_wait_alu 0xfffe
	s_or_b32 exec_lo, exec_lo, s6
	s_and_saveexec_b32 s6, s3
	s_cbranch_execnz .LBB396_21
	s_branch .LBB396_22
.LBB396_49:                             ;   in Loop: Header=BB396_12 Depth=2
	ds_load_b32 v23, v26
	s_wait_alu 0xfffe
	s_or_b32 exec_lo, exec_lo, s6
	s_and_saveexec_b32 s6, s3
	s_cbranch_execz .LBB396_26
.LBB396_50:                             ;   in Loop: Header=BB396_12 Depth=2
	s_wait_dscnt 0x0
	ds_bpermute_b32 v41, v34, v23
	s_wait_dscnt 0x0
	v_add_f32_e32 v23, v23, v41
	ds_bpermute_b32 v41, v35, v23
	s_wait_dscnt 0x0
	v_add_f32_e32 v23, v23, v41
	;; [unrolled: 3-line block ×3, first 2 shown]
	s_wait_alu 0xfffe
	s_or_b32 exec_lo, exec_lo, s6
	s_and_saveexec_b32 s6, s3
	s_cbranch_execnz .LBB396_27
	s_branch .LBB396_28
.LBB396_51:                             ;   in Loop: Header=BB396_12 Depth=2
	ds_load_b32 v40, v26
	s_wait_alu 0xfffe
	s_or_b32 exec_lo, exec_lo, s6
	s_and_saveexec_b32 s6, s3
	s_cbranch_execz .LBB396_32
.LBB396_52:                             ;   in Loop: Header=BB396_12 Depth=2
	s_wait_dscnt 0x0
	ds_bpermute_b32 v41, v34, v40
	s_wait_dscnt 0x0
	v_add_f32_e32 v40, v40, v41
	ds_bpermute_b32 v41, v35, v40
	s_wait_dscnt 0x0
	v_add_f32_e32 v40, v40, v41
	;; [unrolled: 3-line block ×3, first 2 shown]
	s_wait_alu 0xfffe
	s_or_b32 exec_lo, exec_lo, s6
	s_and_saveexec_b32 s6, s3
	s_cbranch_execnz .LBB396_33
	s_branch .LBB396_34
.LBB396_53:                             ;   in Loop: Header=BB396_12 Depth=2
	ds_load_b32 v39, v26
	s_wait_alu 0xfffe
	s_or_b32 exec_lo, exec_lo, s6
	s_and_saveexec_b32 s6, s3
	s_cbranch_execz .LBB396_38
.LBB396_54:                             ;   in Loop: Header=BB396_12 Depth=2
	s_wait_dscnt 0x0
	ds_bpermute_b32 v41, v34, v39
	s_wait_dscnt 0x0
	v_add_f32_e32 v39, v39, v41
	ds_bpermute_b32 v41, v35, v39
	s_wait_dscnt 0x0
	v_add_f32_e32 v39, v39, v41
	;; [unrolled: 3-line block ×3, first 2 shown]
	s_wait_alu 0xfffe
	s_or_b32 exec_lo, exec_lo, s6
	s_and_saveexec_b32 s6, s0
	s_cbranch_execz .LBB396_11
.LBB396_55:                             ;   in Loop: Header=BB396_12 Depth=2
	s_mul_i32 s7, s29, s36
	v_mul_f32_e32 v22, v30, v22
	s_wait_alu 0xfffe
	s_add_co_i32 s40, s7, s30
	v_mul_f32_e32 v23, v30, v23
	s_wait_alu 0xfffe
	s_lshl_b64 s[68:69], s[40:41], 2
	s_add_co_i32 s40, s40, s36
	s_wait_alu 0xfffe
	s_add_nc_u64 s[68:69], s[60:61], s[68:69]
	s_lshl_b64 s[74:75], s[40:41], 2
	s_add_co_i32 s40, s40, s36
	s_wait_alu 0xfffe
	s_add_nc_u64 s[74:75], s[60:61], s[74:75]
	s_clause 0x1
	global_store_b32 v0, v22, s[68:69]
	global_store_b32 v0, v23, s[74:75]
	v_mul_f32_e32 v22, v30, v40
	s_lshl_b64 s[68:69], s[40:41], 2
	s_add_co_i32 s40, s40, s36
	s_wait_dscnt 0x0
	v_mul_f32_e32 v23, v30, v39
	s_wait_alu 0xfffe
	s_lshl_b64 s[74:75], s[40:41], 2
	s_add_nc_u64 s[68:69], s[60:61], s[68:69]
	s_wait_alu 0xfffe
	s_add_nc_u64 s[74:75], s[60:61], s[74:75]
	s_clause 0x1
	global_store_b32 v0, v22, s[68:69]
	global_store_b32 v0, v23, s[74:75]
	s_branch .LBB396_11
.LBB396_56:                             ;   in Loop: Header=BB396_12 Depth=2
	v_dual_mov_b32 v39, 0 :: v_dual_mov_b32 v40, 0
	v_dual_mov_b32 v41, 0 :: v_dual_mov_b32 v42, 0
.LBB396_57:                             ;   in Loop: Header=BB396_12 Depth=2
	s_wait_alu 0xfffe
	s_or_b32 exec_lo, exec_lo, s40
	s_delay_alu instid0(SALU_CYCLE_1)
	s_or_b32 exec_lo, exec_lo, s31
	s_and_saveexec_b32 s6, s3
	s_cbranch_execnz .LBB396_15
	s_branch .LBB396_16
.LBB396_58:                             ;   in Loop: Header=BB396_3 Depth=1
	v_mov_b32_e32 v3, v0
	v_dual_mov_b32 v1, v0 :: v_dual_mov_b32 v2, v0
	s_mov_b32 s29, 0
	s_delay_alu instid0(VALU_DEP_2) | instskip(NEXT) | instid1(VALU_DEP_2)
	v_mov_b32_e32 v4, v3
	v_mov_b32_e32 v3, v2
	s_delay_alu instid0(VALU_DEP_3)
	v_mov_b32_e32 v2, v1
	v_mov_b32_e32 v1, v0
.LBB396_59:                             ;   in Loop: Header=BB396_3 Depth=1
	s_cmp_ge_i32 s29, s35
	s_cbranch_scc1 .LBB396_2
; %bb.60:                               ;   in Loop: Header=BB396_3 Depth=1
	v_cmp_gt_u32_e32 vcc_lo, 24, v28
	s_wait_alu 0xfffe
	s_add_nc_u64 s[8:9], s[60:61], s[22:23]
	s_mov_b32 s40, s29
	s_wait_alu 0xfffd
	v_cndmask_b32_e64 v14, 0, 8, vcc_lo
	v_cmp_gt_u32_e32 vcc_lo, 28, v28
	s_delay_alu instid0(VALU_DEP_2) | instskip(SKIP_3) | instid1(VALU_DEP_2)
	v_add_lshl_u32 v33, v14, v28, 2
	s_wait_alu 0xfffd
	v_cndmask_b32_e64 v15, 0, 4, vcc_lo
	v_cmp_gt_u32_e32 vcc_lo, 30, v28
	v_add_lshl_u32 v34, v15, v28, 2
	s_wait_alu 0xfffd
	v_cndmask_b32_e64 v16, 0, 2, vcc_lo
	v_cmp_ne_u32_e32 vcc_lo, 31, v28
	s_delay_alu instid0(VALU_DEP_2)
	v_add_lshl_u32 v35, v16, v28, 2
	s_wait_alu 0xfffd
	v_add_co_ci_u32_e64 v17, null, 0, v28, vcc_lo
	v_add_co_u32 v14, vcc_lo, s56, v6
	s_wait_alu 0xfffd
	v_add_co_ci_u32_e64 v15, null, s57, v7, vcc_lo
	v_add_co_u32 v16, vcc_lo, s56, v8
	v_lshlrev_b32_e32 v36, 2, v17
	s_wait_alu 0xfffd
	v_add_co_ci_u32_e64 v17, null, s57, v9, vcc_lo
	v_add_co_u32 v18, vcc_lo, s56, v10
	s_wait_alu 0xfffd
	v_add_co_ci_u32_e64 v19, null, s57, v11, vcc_lo
	v_add_co_u32 v20, vcc_lo, s56, v12
	;; [unrolled: 3-line block ×3, first 2 shown]
	s_wait_alu 0xfffd
	v_add_co_ci_u32_e64 v38, null, s59, v25, vcc_lo
	s_mul_i32 s58, s38, s29
	s_branch .LBB396_62
.LBB396_61:                             ;   in Loop: Header=BB396_62 Depth=2
	s_wait_alu 0xfffe
	s_or_b32 exec_lo, exec_lo, s6
	s_add_co_i32 s40, s40, 1
	s_add_co_i32 s58, s58, s38
	s_wait_alu 0xfffe
	s_cmp_ge_i32 s40, s35
	s_cbranch_scc1 .LBB396_2
.LBB396_62:                             ;   Parent Loop BB396_3 Depth=1
                                        ; =>  This Loop Header: Depth=2
                                        ;       Child Loop BB396_75 Depth 3
                                        ;       Child Loop BB396_78 Depth 3
	s_wait_dscnt 0x0
	v_mov_b32_e32 v39, s41
	s_and_saveexec_b32 s6, s1
	s_wait_alu 0xfffe
	s_xor_b32 s6, exec_lo, s6
	s_cbranch_execnz .LBB396_71
; %bb.63:                               ;   in Loop: Header=BB396_62 Depth=2
	s_wait_alu 0xfffe
	s_and_not1_saveexec_b32 s29, s6
	s_cbranch_execnz .LBB396_72
.LBB396_64:                             ;   in Loop: Header=BB396_62 Depth=2
	s_or_b32 exec_lo, exec_lo, s29
	s_and_saveexec_b32 s6, s3
.LBB396_65:                             ;   in Loop: Header=BB396_62 Depth=2
	ds_store_b32 v26, v0
.LBB396_66:                             ;   in Loop: Header=BB396_62 Depth=2
	s_wait_alu 0xfffe
	s_or_b32 exec_lo, exec_lo, s6
	ds_bpermute_b32 v22, v29, v39
	s_wait_storecnt 0x0
	s_wait_loadcnt_dscnt 0x0
	s_barrier_signal -1
	s_barrier_wait -1
	global_inv scope:SCOPE_SE
	v_add_f32_e32 v22, v39, v22
	ds_bpermute_b32 v23, v33, v22
	s_wait_dscnt 0x0
	v_add_f32_e32 v22, v22, v23
	ds_bpermute_b32 v23, v34, v22
	s_wait_dscnt 0x0
	;; [unrolled: 3-line block ×3, first 2 shown]
	v_add_f32_e32 v22, v22, v23
	ds_bpermute_b32 v23, v36, v22
	s_and_saveexec_b32 s6, s4
	s_cbranch_execz .LBB396_68
; %bb.67:                               ;   in Loop: Header=BB396_62 Depth=2
	s_wait_dscnt 0x0
	v_add_f32_e32 v22, v22, v23
	ds_store_b32 v27, v22
.LBB396_68:                             ;   in Loop: Header=BB396_62 Depth=2
	s_wait_alu 0xfffe
	s_or_b32 exec_lo, exec_lo, s6
	v_mov_b32_e32 v22, 0
	s_wait_loadcnt_dscnt 0x0
	s_barrier_signal -1
	s_barrier_wait -1
	global_inv scope:SCOPE_SE
	s_and_saveexec_b32 s6, s5
	s_cbranch_execnz .LBB396_80
; %bb.69:                               ;   in Loop: Header=BB396_62 Depth=2
	s_wait_alu 0xfffe
	s_or_b32 exec_lo, exec_lo, s6
	s_and_saveexec_b32 s6, s3
	s_cbranch_execnz .LBB396_81
.LBB396_70:                             ;   in Loop: Header=BB396_62 Depth=2
	s_wait_alu 0xfffe
	s_or_b32 exec_lo, exec_lo, s6
	s_and_saveexec_b32 s6, s0
	s_cbranch_execz .LBB396_61
	s_branch .LBB396_82
.LBB396_71:                             ;   in Loop: Header=BB396_62 Depth=2
	s_mul_i32 s60, s40, s38
	s_wait_alu 0xfffe
	s_ashr_i32 s61, s60, 31
	s_wait_alu 0xfffe
	s_lshl_b64 s[60:61], s[60:61], 1
	s_wait_alu 0xfffe
	v_add_co_u32 v1, vcc_lo, v31, s60
	s_wait_alu 0xfffd
	v_add_co_ci_u32_e64 v2, null, s61, v32, vcc_lo
	global_load_b64 v[22:23], v[1:2], off
	s_clause 0x3
	global_load_u16 v1, v[14:15], off
	global_load_u16 v2, v[16:17], off
	;; [unrolled: 1-line block ×4, first 2 shown]
	s_wait_loadcnt 0x3
	v_fma_mix_f32 v4, v1, v22, 0 op_sel_hi:[1,1,0]
	v_cvt_f32_f16_e32 v1, v1
	s_wait_loadcnt 0x2
	s_delay_alu instid0(VALU_DEP_2) | instskip(SKIP_2) | instid1(VALU_DEP_2)
	v_fma_mix_f32 v4, v2, v22, v4 op_sel:[0,1,0] op_sel_hi:[1,1,0]
	v_cvt_f32_f16_e32 v2, v2
	s_wait_loadcnt 0x1
	v_fma_mix_f32 v22, v3, v23, v4 op_sel_hi:[1,1,0]
	v_cvt_f32_f16_e32 v3, v3
	s_wait_loadcnt 0x0
	v_cvt_f32_f16_e32 v4, v39
	s_delay_alu instid0(VALU_DEP_3)
	v_fma_mix_f32 v39, v39, v23, v22 op_sel:[0,1,0] op_sel_hi:[1,1,0]
	s_and_not1_saveexec_b32 s29, s6
	s_cbranch_execz .LBB396_64
.LBB396_72:                             ;   in Loop: Header=BB396_62 Depth=2
	s_and_saveexec_b32 s31, s2
	s_cbranch_execz .LBB396_79
; %bb.73:                               ;   in Loop: Header=BB396_62 Depth=2
	s_and_not1_b32 vcc_lo, exec_lo, s34
	s_wait_alu 0xfffe
	s_cbranch_vccnz .LBB396_76
; %bb.74:                               ;   in Loop: Header=BB396_62 Depth=2
	v_mov_b32_e32 v22, v5
	s_mov_b64 s[60:61], 0
.LBB396_75:                             ;   Parent Loop BB396_3 Depth=1
                                        ;     Parent Loop BB396_62 Depth=2
                                        ; =>    This Inner Loop Header: Depth=3
	s_delay_alu instid0(VALU_DEP_1) | instskip(SKIP_2) | instid1(VALU_DEP_1)
	v_ashrrev_i32_e32 v23, 31, v22
	s_wait_alu 0xfffe
	s_cmp_eq_u32 s60, 3
	v_lshlrev_b64_e32 v[40:41], 1, v[22:23]
	s_delay_alu instid0(VALU_DEP_1) | instskip(SKIP_1) | instid1(VALU_DEP_2)
	v_add_co_u32 v40, vcc_lo, s56, v40
	s_wait_alu 0xfffd
	v_add_co_ci_u32_e64 v41, null, s57, v41, vcc_lo
	s_cselect_b32 vcc_lo, -1, 0
	s_cmp_eq_u32 s60, 2
	s_cselect_b32 s6, -1, 0
	global_load_u16 v23, v[40:41], off
	s_cmp_eq_u32 s60, 1
	s_cselect_b32 s7, -1, 0
	s_cmp_eq_u32 s60, 0
	s_add_nc_u64 s[60:61], s[60:61], 1
	s_wait_loadcnt 0x0
	v_cvt_f32_f16_e32 v23, v23
	s_wait_alu 0xfffe
	s_delay_alu instid0(VALU_DEP_1)
	v_cndmask_b32_e32 v4, v4, v23, vcc_lo
	s_cselect_b32 vcc_lo, -1, 0
	s_wait_alu 0xfffe
	v_dual_cndmask_b32 v1, v1, v23 :: v_dual_add_nc_u32 v22, s10, v22
	v_cndmask_b32_e64 v3, v3, v23, s6
	v_cndmask_b32_e64 v2, v2, v23, s7
	s_cmp_eq_u32 s71, s60
	s_cbranch_scc0 .LBB396_75
.LBB396_76:                             ;   in Loop: Header=BB396_62 Depth=2
	s_and_not1_b32 vcc_lo, exec_lo, s34
	s_wait_alu 0xfffe
	s_cbranch_vccnz .LBB396_79
; %bb.77:                               ;   in Loop: Header=BB396_62 Depth=2
	s_ashr_i32 s59, s58, 31
	s_wait_alu 0xfffe
	s_lshl_b64 s[6:7], s[58:59], 1
	s_wait_alu 0xfffe
	v_add_co_u32 v22, vcc_lo, v37, s6
	s_wait_alu 0xfffd
	v_add_co_ci_u32_e64 v23, null, s7, v38, vcc_lo
	s_mov_b64 s[6:7], 0
.LBB396_78:                             ;   Parent Loop BB396_3 Depth=1
                                        ;     Parent Loop BB396_62 Depth=2
                                        ; =>    This Inner Loop Header: Depth=3
	global_load_u16 v40, v[22:23], off
	s_wait_alu 0xfffe
	s_cmp_eq_u32 s6, 1
	s_cselect_b32 vcc_lo, -1, 0
	s_cmp_eq_u32 s6, 2
	s_wait_alu 0xfffe
	v_cndmask_b32_e32 v41, v1, v2, vcc_lo
	s_cselect_b32 vcc_lo, -1, 0
	s_cmp_eq_u32 s6, 3
	s_add_nc_u64 s[6:7], s[6:7], 1
	s_wait_alu 0xfffe
	v_cndmask_b32_e32 v41, v41, v3, vcc_lo
	s_cselect_b32 vcc_lo, -1, 0
	s_cmp_lg_u32 s71, s6
	s_wait_alu 0xfffe
	s_delay_alu instid0(VALU_DEP_1)
	v_cndmask_b32_e32 v41, v41, v4, vcc_lo
	v_add_co_u32 v22, vcc_lo, v22, 2
	s_wait_alu 0xfffd
	v_add_co_ci_u32_e64 v23, null, 0, v23, vcc_lo
	s_wait_loadcnt 0x0
	v_fma_mix_f32 v39, v41, v40, v39 op_sel_hi:[0,1,0]
	s_cbranch_scc1 .LBB396_78
.LBB396_79:                             ;   in Loop: Header=BB396_62 Depth=2
	s_or_b32 exec_lo, exec_lo, s31
	s_delay_alu instid0(SALU_CYCLE_1)
	s_or_b32 exec_lo, exec_lo, s29
	s_and_saveexec_b32 s6, s3
	s_cbranch_execnz .LBB396_65
	s_branch .LBB396_66
.LBB396_80:                             ;   in Loop: Header=BB396_62 Depth=2
	ds_load_b32 v22, v26
	s_wait_alu 0xfffe
	s_or_b32 exec_lo, exec_lo, s6
	s_and_saveexec_b32 s6, s3
	s_cbranch_execz .LBB396_70
.LBB396_81:                             ;   in Loop: Header=BB396_62 Depth=2
	s_wait_dscnt 0x0
	ds_bpermute_b32 v23, v34, v22
	s_wait_dscnt 0x0
	v_add_f32_e32 v22, v22, v23
	ds_bpermute_b32 v23, v35, v22
	s_wait_dscnt 0x0
	v_add_f32_e32 v22, v22, v23
	;; [unrolled: 3-line block ×3, first 2 shown]
	s_wait_alu 0xfffe
	s_or_b32 exec_lo, exec_lo, s6
	s_and_saveexec_b32 s6, s0
	s_cbranch_execz .LBB396_61
.LBB396_82:                             ;   in Loop: Header=BB396_62 Depth=2
	s_mul_u64 s[60:61], s[40:41], s[36:37]
	s_wait_dscnt 0x0
	v_mul_f32_e32 v22, v30, v22
	s_wait_alu 0xfffe
	s_lshl_b64 s[60:61], s[60:61], 2
	s_wait_alu 0xfffe
	s_add_nc_u64 s[60:61], s[8:9], s[60:61]
	global_store_b32 v0, v22, s[60:61]
	s_branch .LBB396_61
.LBB396_83:
	s_endpgm
	.section	.rodata,"a",@progbits
	.p2align	6, 0x0
	.amdhsa_kernel _ZL23rocblas_gemvt_sn_kernelILb0ELi256ELi4EiDF16_PKffEviiT4_lPKT3_lilS5_lilPT5_i
		.amdhsa_group_segment_fixed_size 128
		.amdhsa_private_segment_fixed_size 0
		.amdhsa_kernarg_size 360
		.amdhsa_user_sgpr_count 2
		.amdhsa_user_sgpr_dispatch_ptr 0
		.amdhsa_user_sgpr_queue_ptr 0
		.amdhsa_user_sgpr_kernarg_segment_ptr 1
		.amdhsa_user_sgpr_dispatch_id 0
		.amdhsa_user_sgpr_private_segment_size 0
		.amdhsa_wavefront_size32 1
		.amdhsa_uses_dynamic_stack 0
		.amdhsa_enable_private_segment 0
		.amdhsa_system_sgpr_workgroup_id_x 1
		.amdhsa_system_sgpr_workgroup_id_y 0
		.amdhsa_system_sgpr_workgroup_id_z 1
		.amdhsa_system_sgpr_workgroup_info 0
		.amdhsa_system_vgpr_workitem_id 0
		.amdhsa_next_free_vgpr 51
		.amdhsa_next_free_sgpr 78
		.amdhsa_reserve_vcc 1
		.amdhsa_float_round_mode_32 0
		.amdhsa_float_round_mode_16_64 0
		.amdhsa_float_denorm_mode_32 3
		.amdhsa_float_denorm_mode_16_64 3
		.amdhsa_fp16_overflow 0
		.amdhsa_workgroup_processor_mode 1
		.amdhsa_memory_ordered 1
		.amdhsa_forward_progress 1
		.amdhsa_inst_pref_size 37
		.amdhsa_round_robin_scheduling 0
		.amdhsa_exception_fp_ieee_invalid_op 0
		.amdhsa_exception_fp_denorm_src 0
		.amdhsa_exception_fp_ieee_div_zero 0
		.amdhsa_exception_fp_ieee_overflow 0
		.amdhsa_exception_fp_ieee_underflow 0
		.amdhsa_exception_fp_ieee_inexact 0
		.amdhsa_exception_int_div_zero 0
	.end_amdhsa_kernel
	.section	.text._ZL23rocblas_gemvt_sn_kernelILb0ELi256ELi4EiDF16_PKffEviiT4_lPKT3_lilS5_lilPT5_i,"axG",@progbits,_ZL23rocblas_gemvt_sn_kernelILb0ELi256ELi4EiDF16_PKffEviiT4_lPKT3_lilS5_lilPT5_i,comdat
.Lfunc_end396:
	.size	_ZL23rocblas_gemvt_sn_kernelILb0ELi256ELi4EiDF16_PKffEviiT4_lPKT3_lilS5_lilPT5_i, .Lfunc_end396-_ZL23rocblas_gemvt_sn_kernelILb0ELi256ELi4EiDF16_PKffEviiT4_lPKT3_lilS5_lilPT5_i
                                        ; -- End function
	.set _ZL23rocblas_gemvt_sn_kernelILb0ELi256ELi4EiDF16_PKffEviiT4_lPKT3_lilS5_lilPT5_i.num_vgpr, 51
	.set _ZL23rocblas_gemvt_sn_kernelILb0ELi256ELi4EiDF16_PKffEviiT4_lPKT3_lilS5_lilPT5_i.num_agpr, 0
	.set _ZL23rocblas_gemvt_sn_kernelILb0ELi256ELi4EiDF16_PKffEviiT4_lPKT3_lilS5_lilPT5_i.numbered_sgpr, 78
	.set _ZL23rocblas_gemvt_sn_kernelILb0ELi256ELi4EiDF16_PKffEviiT4_lPKT3_lilS5_lilPT5_i.num_named_barrier, 0
	.set _ZL23rocblas_gemvt_sn_kernelILb0ELi256ELi4EiDF16_PKffEviiT4_lPKT3_lilS5_lilPT5_i.private_seg_size, 0
	.set _ZL23rocblas_gemvt_sn_kernelILb0ELi256ELi4EiDF16_PKffEviiT4_lPKT3_lilS5_lilPT5_i.uses_vcc, 1
	.set _ZL23rocblas_gemvt_sn_kernelILb0ELi256ELi4EiDF16_PKffEviiT4_lPKT3_lilS5_lilPT5_i.uses_flat_scratch, 0
	.set _ZL23rocblas_gemvt_sn_kernelILb0ELi256ELi4EiDF16_PKffEviiT4_lPKT3_lilS5_lilPT5_i.has_dyn_sized_stack, 0
	.set _ZL23rocblas_gemvt_sn_kernelILb0ELi256ELi4EiDF16_PKffEviiT4_lPKT3_lilS5_lilPT5_i.has_recursion, 0
	.set _ZL23rocblas_gemvt_sn_kernelILb0ELi256ELi4EiDF16_PKffEviiT4_lPKT3_lilS5_lilPT5_i.has_indirect_call, 0
	.section	.AMDGPU.csdata,"",@progbits
; Kernel info:
; codeLenInByte = 4656
; TotalNumSgprs: 80
; NumVgprs: 51
; ScratchSize: 0
; MemoryBound: 0
; FloatMode: 240
; IeeeMode: 1
; LDSByteSize: 128 bytes/workgroup (compile time only)
; SGPRBlocks: 0
; VGPRBlocks: 6
; NumSGPRsForWavesPerEU: 80
; NumVGPRsForWavesPerEU: 51
; Occupancy: 16
; WaveLimiterHint : 0
; COMPUTE_PGM_RSRC2:SCRATCH_EN: 0
; COMPUTE_PGM_RSRC2:USER_SGPR: 2
; COMPUTE_PGM_RSRC2:TRAP_HANDLER: 0
; COMPUTE_PGM_RSRC2:TGID_X_EN: 1
; COMPUTE_PGM_RSRC2:TGID_Y_EN: 0
; COMPUTE_PGM_RSRC2:TGID_Z_EN: 1
; COMPUTE_PGM_RSRC2:TIDIG_COMP_CNT: 0
	.section	.text._ZL23rocblas_gemvt_sn_kernelILb0ELi256ELi4ElDF16_PKffEviiT4_lPKT3_lilS5_lilPT5_i,"axG",@progbits,_ZL23rocblas_gemvt_sn_kernelILb0ELi256ELi4ElDF16_PKffEviiT4_lPKT3_lilS5_lilPT5_i,comdat
	.globl	_ZL23rocblas_gemvt_sn_kernelILb0ELi256ELi4ElDF16_PKffEviiT4_lPKT3_lilS5_lilPT5_i ; -- Begin function _ZL23rocblas_gemvt_sn_kernelILb0ELi256ELi4ElDF16_PKffEviiT4_lPKT3_lilS5_lilPT5_i
	.p2align	8
	.type	_ZL23rocblas_gemvt_sn_kernelILb0ELi256ELi4ElDF16_PKffEviiT4_lPKT3_lilS5_lilPT5_i,@function
_ZL23rocblas_gemvt_sn_kernelILb0ELi256ELi4ElDF16_PKffEviiT4_lPKT3_lilS5_lilPT5_i: ; @_ZL23rocblas_gemvt_sn_kernelILb0ELi256ELi4ElDF16_PKffEviiT4_lPKT3_lilS5_lilPT5_i
; %bb.0:
	s_load_b32 s33, s[0:1], 0x60
	s_lshr_b32 s10, ttmp7, 16
	s_wait_kmcnt 0x0
	s_cmp_ge_u32 s10, s33
	s_cbranch_scc1 .LBB397_83
; %bb.1:
	s_clause 0x6
	s_load_b32 s30, s[0:1], 0x28
	s_load_b96 s[4:6], s[0:1], 0x40
	s_load_b256 s[12:19], s[0:1], 0x8
	s_load_b64 s[34:35], s[0:1], 0x0
	s_load_b128 s[20:23], s[0:1], 0x30
	s_load_b32 s36, s[0:1], 0x68
	s_load_b128 s[24:27], s[0:1], 0x50
	v_cmp_eq_u32_e64 s0, 0, v0
	v_mbcnt_lo_u32_b32 v33, -1, 0
	s_mov_b32 s29, 0
	s_mov_b32 s28, ttmp9
	s_mov_b32 s37, s29
	s_delay_alu instid0(VALU_DEP_1)
	v_lshl_or_b32 v34, v33, 2, 64
	s_wait_kmcnt 0x0
	s_ashr_i32 s31, s30, 31
	s_ashr_i32 s9, s6, 31
	s_lshl_b64 s[2:3], s[4:5], 1
	s_lshl_b64 s[4:5], s[18:19], 1
	s_ashr_i32 s39, s35, 31
	s_cmp_gt_i32 s35, 0
	s_add_nc_u64 s[18:19], s[22:23], s[2:3]
	s_cselect_b32 s1, -1, 0
	s_lshl_b32 s7, ttmp9, 10
	s_add_nc_u64 s[2:3], s[16:17], s[4:5]
	v_lshl_or_b32 v1, v0, 2, s7
	s_lshr_b32 s4, s39, 30
	s_ashr_i32 s5, s34, 31
	s_and_b32 s64, s0, s1
	s_add_co_i32 s1, s35, s4
	v_ashrrev_i32_e32 v2, 31, v1
	s_lshr_b32 s4, s5, 30
	s_and_b32 s65, s1, -4
	s_add_co_i32 s1, s34, s4
	v_add_nc_u32_e32 v4, 4, v1
	v_lshlrev_b64_e32 v[2:3], 1, v[1:2]
	s_and_b32 s1, s1, -4
	v_cmp_gt_u32_e64 s5, 8, v0
	s_sub_co_i32 s66, s34, s1
	v_cmp_ge_i32_e64 s1, s34, v4
	v_or_b32_e32 v4, 2, v1
	v_add_co_u32 v29, vcc_lo, s2, v2
	v_add_nc_u32_e32 v2, s66, v1
	v_add_co_ci_u32_e64 v30, null, s3, v3, vcc_lo
	v_and_b32_e32 v3, 31, v0
	v_cmp_gt_u32_e64 s3, 32, v0
	s_delay_alu instid0(VALU_DEP_4)
	v_cmp_ge_i32_e64 s2, s34, v2
	v_lshrrev_b32_e32 v2, 3, v0
	v_or_b32_e32 v0, 1, v1
	v_cmp_eq_u32_e64 s4, 0, v3
	v_lshlrev_b32_e32 v31, 2, v3
	v_mad_co_i64_i32 v[11:12], null, s6, v4, 0
	v_and_b32_e32 v32, 28, v2
	v_mad_co_i64_i32 v[2:3], null, s6, v1, 0
	v_mad_co_i64_i32 v[9:10], null, s6, v0, 0
	v_or_b32_e32 v0, 3, v1
	s_cmp_gt_i32 s65, 0
	s_mov_b32 s38, s35
	s_cselect_b32 s67, -1, 0
	s_delay_alu instid0(VALU_DEP_3)
	v_lshlrev_b64_e32 v[5:6], 1, v[2:3]
	v_mad_co_i64_i32 v[1:2], null, s6, v0, 0
	s_cmp_gt_i32 s66, 0
	v_lshlrev_b64_e32 v[9:10], 1, v[9:10]
	v_lshlrev_b64_e32 v[11:12], 1, v[11:12]
	v_add_co_u32 v7, vcc_lo, s18, v5
	s_wait_alu 0xfffd
	v_add_co_ci_u32_e64 v8, null, s19, v6, vcc_lo
	v_lshlrev_b64_e32 v[13:14], 1, v[1:2]
	v_mov_b32_e32 v0, 0
	s_mov_b32 s8, s6
	s_mul_u64 s[16:17], s[38:39], s[36:37]
	s_cselect_b32 s34, -1, 0
	s_lshl_b64 s[22:23], s[28:29], 2
	s_lshl_b64 s[40:41], s[16:17], 2
	s_add_nc_u64 s[38:39], s[26:27], s[22:23]
	s_lshl_b64 s[42:43], s[36:37], 2
	s_lshl_b64 s[44:45], s[24:25], 1
	;; [unrolled: 1-line block ×4, first 2 shown]
	s_mul_u64 s[50:51], s[30:31], 6
	s_lshl_b64 s[52:53], s[30:31], 3
	s_lshl_b64 s[54:55], s[30:31], 1
	;; [unrolled: 1-line block ×3, first 2 shown]
	s_branch .LBB397_3
.LBB397_2:                              ;   in Loop: Header=BB397_3 Depth=1
	s_add_co_i32 s10, s10, 0x10000
	s_wait_alu 0xfffe
	s_cmp_lt_u32 s10, s33
	s_cbranch_scc0 .LBB397_83
.LBB397_3:                              ; =>This Loop Header: Depth=1
                                        ;     Child Loop BB397_6 Depth 2
                                        ;     Child Loop BB397_12 Depth 2
                                        ;       Child Loop BB397_43 Depth 3
                                        ;       Child Loop BB397_46 Depth 3
                                        ;     Child Loop BB397_62 Depth 2
                                        ;       Child Loop BB397_75 Depth 3
                                        ;       Child Loop BB397_78 Depth 3
	s_mov_b32 s11, s29
	s_wait_alu 0xfffe
	s_mul_u64 s[6:7], s[14:15], s[10:11]
	s_wait_alu 0xfffe
	s_lshl_b64 s[6:7], s[6:7], 2
	s_wait_alu 0xfffe
	s_add_nc_u64 s[6:7], s[12:13], s[6:7]
	global_load_b32 v35, v0, s[6:7]
	s_mov_b32 s6, -1
	s_wait_loadcnt 0x0
	v_cmp_neq_f32_e32 vcc_lo, 0, v35
	s_cbranch_vccnz .LBB397_8
; %bb.4:                                ;   in Loop: Header=BB397_3 Depth=1
	s_and_saveexec_b32 s8, s64
	s_cbranch_execz .LBB397_7
; %bb.5:                                ;   in Loop: Header=BB397_3 Depth=1
	s_mul_u64 s[6:7], s[40:41], s[10:11]
	s_mov_b32 s9, s35
	s_wait_alu 0xfffe
	s_add_nc_u64 s[6:7], s[38:39], s[6:7]
.LBB397_6:                              ;   Parent Loop BB397_3 Depth=1
                                        ; =>  This Inner Loop Header: Depth=2
	s_add_co_i32 s9, s9, -1
	global_store_b32 v0, v0, s[6:7]
	s_wait_alu 0xfffe
	s_cmp_eq_u32 s9, 0
	s_add_nc_u64 s[6:7], s[6:7], s[42:43]
	s_cbranch_scc0 .LBB397_6
.LBB397_7:                              ;   in Loop: Header=BB397_3 Depth=1
	s_wait_alu 0xfffe
	s_or_b32 exec_lo, exec_lo, s8
	s_mov_b32 s6, 0
.LBB397_8:                              ;   in Loop: Header=BB397_3 Depth=1
	s_wait_alu 0xfffe
	s_and_not1_b32 vcc_lo, exec_lo, s6
	s_wait_alu 0xfffe
	s_cbranch_vccnz .LBB397_2
; %bb.9:                                ;   in Loop: Header=BB397_3 Depth=1
	v_mad_co_u64_u32 v[15:16], null, s44, s10, v[7:8]
	s_mul_u64 s[68:69], s[20:21], s[10:11]
	s_mul_u64 s[58:59], s[24:25], s[10:11]
	s_wait_alu 0xfffe
	s_lshl_b64 s[68:69], s[68:69], 1
	s_mul_u64 s[62:63], s[16:17], s[10:11]
	s_wait_alu 0xfffe
	v_add_co_u32 v36, vcc_lo, v29, s68
	v_mov_b32_e32 v1, v16
	s_lshl_b64 s[58:59], s[58:59], 1
	s_lshl_b64 s[70:71], s[62:63], 2
	v_cmp_gt_u32_e64 s7, 24, v33
	v_cmp_gt_u32_e64 s8, 28, v33
	v_mad_co_u64_u32 v[1:2], null, s45, s10, v[1:2]
	v_cmp_gt_u32_e64 s6, 30, v33
	s_wait_alu 0xfffd
	v_add_co_ci_u32_e64 v37, null, s69, v30, vcc_lo
	v_cmp_ne_u32_e64 s9, 31, v33
	s_add_nc_u64 s[62:63], s[18:19], s[58:59]
	s_add_nc_u64 s[58:59], s[26:27], s[70:71]
	v_mov_b32_e32 v16, v1
	s_mul_u64 s[60:61], s[48:49], s[10:11]
	s_and_not1_b32 vcc_lo, exec_lo, s67
	s_add_nc_u64 s[58:59], s[58:59], s[22:23]
	s_wait_alu 0xfffe
	s_cbranch_vccnz .LBB397_58
; %bb.10:                               ;   in Loop: Header=BB397_3 Depth=1
	v_cndmask_b32_e64 v3, 0, 2, s6
	v_add_co_u32 v17, vcc_lo, v29, s60
	s_wait_alu 0xfffd
	v_add_co_ci_u32_e64 v18, null, s61, v30, vcc_lo
	v_add_co_u32 v19, vcc_lo, s62, v5
	v_cndmask_b32_e64 v1, 0, 8, s7
	v_cndmask_b32_e64 v2, 0, 4, s8
	v_add_co_ci_u32_e64 v4, null, 0, v33, s9
	v_add_lshl_u32 v40, v3, v33, 2
	s_wait_alu 0xfffd
	v_add_co_ci_u32_e64 v20, null, s63, v6, vcc_lo
	v_add_co_u32 v21, vcc_lo, s62, v9
	v_mov_b32_e32 v3, v0
	s_wait_alu 0xfffd
	v_add_co_ci_u32_e64 v22, null, s63, v10, vcc_lo
	v_add_co_u32 v23, vcc_lo, s62, v11
	v_add_lshl_u32 v38, v1, v33, 2
	v_add_lshl_u32 v39, v2, v33, 2
	v_dual_mov_b32 v2, v0 :: v_dual_lshlrev_b32 v41, 2, v4
	s_wait_alu 0xfffd
	v_add_co_ci_u32_e64 v24, null, s63, v12, vcc_lo
	v_mov_b32_e32 v1, v0
	v_add_co_u32 v25, vcc_lo, s62, v13
	v_mov_b32_e32 v4, v3
	s_wait_alu 0xfffd
	v_add_co_ci_u32_e64 v26, null, s63, v14, vcc_lo
	v_mov_b32_e32 v3, v2
	v_mov_b32_e32 v2, v1
	;; [unrolled: 1-line block ×3, first 2 shown]
	s_mov_b32 s28, 0
	s_branch .LBB397_12
.LBB397_11:                             ;   in Loop: Header=BB397_12 Depth=2
	s_wait_alu 0xfffe
	s_or_b32 exec_lo, exec_lo, s6
	v_add_co_u32 v17, vcc_lo, v17, s52
	s_wait_alu 0xfffd
	v_add_co_ci_u32_e64 v18, null, s53, v18, vcc_lo
	s_add_co_i32 s28, s28, 4
	s_wait_alu 0xfffe
	s_cmp_ge_i32 s28, s65
	s_cbranch_scc1 .LBB397_59
.LBB397_12:                             ;   Parent Loop BB397_3 Depth=1
                                        ; =>  This Loop Header: Depth=2
                                        ;       Child Loop BB397_43 Depth 3
                                        ;       Child Loop BB397_46 Depth 3
                                        ; implicit-def: $vgpr42
                                        ; implicit-def: $vgpr43
                                        ; implicit-def: $vgpr44
                                        ; implicit-def: $vgpr45
	s_and_saveexec_b32 s6, s1
	s_wait_alu 0xfffe
	s_xor_b32 s6, exec_lo, s6
	s_cbranch_execnz .LBB397_39
; %bb.13:                               ;   in Loop: Header=BB397_12 Depth=2
	s_wait_alu 0xfffe
	s_and_not1_saveexec_b32 s11, s6
	s_cbranch_execnz .LBB397_40
.LBB397_14:                             ;   in Loop: Header=BB397_12 Depth=2
	s_wait_alu 0xfffe
	s_or_b32 exec_lo, exec_lo, s11
	s_and_saveexec_b32 s6, s3
.LBB397_15:                             ;   in Loop: Header=BB397_12 Depth=2
	ds_store_b32 v31, v0
.LBB397_16:                             ;   in Loop: Header=BB397_12 Depth=2
	s_wait_alu 0xfffe
	s_or_b32 exec_lo, exec_lo, s6
	s_wait_dscnt 0x0
	ds_bpermute_b32 v27, v34, v45
	s_wait_storecnt_dscnt 0x0
	s_barrier_signal -1
	s_barrier_wait -1
	global_inv scope:SCOPE_SE
	v_add_f32_e32 v27, v45, v27
	ds_bpermute_b32 v28, v38, v27
	s_wait_dscnt 0x0
	v_add_f32_e32 v27, v27, v28
	ds_bpermute_b32 v28, v39, v27
	s_wait_dscnt 0x0
	v_add_f32_e32 v27, v27, v28
	ds_bpermute_b32 v28, v40, v27
	s_wait_dscnt 0x0
	v_add_f32_e32 v27, v27, v28
	ds_bpermute_b32 v28, v41, v27
	s_and_saveexec_b32 s6, s4
	s_cbranch_execz .LBB397_18
; %bb.17:                               ;   in Loop: Header=BB397_12 Depth=2
	s_wait_dscnt 0x0
	v_add_f32_e32 v27, v27, v28
	ds_store_b32 v32, v27
.LBB397_18:                             ;   in Loop: Header=BB397_12 Depth=2
	s_wait_alu 0xfffe
	s_or_b32 exec_lo, exec_lo, s6
	v_mov_b32_e32 v27, 0
	s_wait_loadcnt_dscnt 0x0
	s_barrier_signal -1
	s_barrier_wait -1
	global_inv scope:SCOPE_SE
	s_and_saveexec_b32 s6, s5
	s_cbranch_execnz .LBB397_47
; %bb.19:                               ;   in Loop: Header=BB397_12 Depth=2
	s_wait_alu 0xfffe
	s_or_b32 exec_lo, exec_lo, s6
	s_and_saveexec_b32 s6, s3
	s_cbranch_execnz .LBB397_48
.LBB397_20:                             ;   in Loop: Header=BB397_12 Depth=2
	s_wait_alu 0xfffe
	s_or_b32 exec_lo, exec_lo, s6
	s_and_saveexec_b32 s6, s3
.LBB397_21:                             ;   in Loop: Header=BB397_12 Depth=2
	ds_store_b32 v31, v0
.LBB397_22:                             ;   in Loop: Header=BB397_12 Depth=2
	s_wait_alu 0xfffe
	s_or_b32 exec_lo, exec_lo, s6
	ds_bpermute_b32 v28, v34, v44
	s_wait_loadcnt_dscnt 0x0
	s_barrier_signal -1
	s_barrier_wait -1
	global_inv scope:SCOPE_SE
	v_add_f32_e32 v28, v44, v28
	ds_bpermute_b32 v44, v38, v28
	s_wait_dscnt 0x0
	v_add_f32_e32 v28, v28, v44
	ds_bpermute_b32 v44, v39, v28
	s_wait_dscnt 0x0
	;; [unrolled: 3-line block ×3, first 2 shown]
	v_add_f32_e32 v28, v28, v44
	ds_bpermute_b32 v44, v41, v28
	s_and_saveexec_b32 s6, s4
	s_cbranch_execz .LBB397_24
; %bb.23:                               ;   in Loop: Header=BB397_12 Depth=2
	s_wait_dscnt 0x0
	v_add_f32_e32 v28, v28, v44
	ds_store_b32 v32, v28
.LBB397_24:                             ;   in Loop: Header=BB397_12 Depth=2
	s_wait_alu 0xfffe
	s_or_b32 exec_lo, exec_lo, s6
	v_mov_b32_e32 v28, 0
	s_wait_loadcnt_dscnt 0x0
	s_barrier_signal -1
	s_barrier_wait -1
	global_inv scope:SCOPE_SE
	s_and_saveexec_b32 s6, s5
	s_cbranch_execnz .LBB397_49
; %bb.25:                               ;   in Loop: Header=BB397_12 Depth=2
	s_wait_alu 0xfffe
	s_or_b32 exec_lo, exec_lo, s6
	s_and_saveexec_b32 s6, s3
	s_cbranch_execnz .LBB397_50
.LBB397_26:                             ;   in Loop: Header=BB397_12 Depth=2
	s_wait_alu 0xfffe
	s_or_b32 exec_lo, exec_lo, s6
	s_and_saveexec_b32 s6, s3
.LBB397_27:                             ;   in Loop: Header=BB397_12 Depth=2
	ds_store_b32 v31, v0
.LBB397_28:                             ;   in Loop: Header=BB397_12 Depth=2
	s_wait_alu 0xfffe
	s_or_b32 exec_lo, exec_lo, s6
	ds_bpermute_b32 v44, v34, v43
	s_wait_loadcnt_dscnt 0x0
	s_barrier_signal -1
	s_barrier_wait -1
	global_inv scope:SCOPE_SE
	v_add_f32_e32 v43, v43, v44
	ds_bpermute_b32 v44, v38, v43
	s_wait_dscnt 0x0
	v_add_f32_e32 v43, v43, v44
	ds_bpermute_b32 v44, v39, v43
	s_wait_dscnt 0x0
	v_add_f32_e32 v43, v43, v44
	ds_bpermute_b32 v44, v40, v43
	s_wait_dscnt 0x0
	v_add_f32_e32 v43, v43, v44
	ds_bpermute_b32 v44, v41, v43
	s_and_saveexec_b32 s6, s4
	s_cbranch_execz .LBB397_30
; %bb.29:                               ;   in Loop: Header=BB397_12 Depth=2
	s_wait_dscnt 0x0
	v_add_f32_e32 v43, v43, v44
	ds_store_b32 v32, v43
.LBB397_30:                             ;   in Loop: Header=BB397_12 Depth=2
	s_wait_alu 0xfffe
	s_or_b32 exec_lo, exec_lo, s6
	v_mov_b32_e32 v43, 0
	s_wait_loadcnt_dscnt 0x0
	s_barrier_signal -1
	s_barrier_wait -1
	global_inv scope:SCOPE_SE
	s_and_saveexec_b32 s6, s5
	s_cbranch_execnz .LBB397_51
; %bb.31:                               ;   in Loop: Header=BB397_12 Depth=2
	s_wait_alu 0xfffe
	s_or_b32 exec_lo, exec_lo, s6
	s_and_saveexec_b32 s6, s3
	s_cbranch_execnz .LBB397_52
.LBB397_32:                             ;   in Loop: Header=BB397_12 Depth=2
	s_wait_alu 0xfffe
	s_or_b32 exec_lo, exec_lo, s6
	s_and_saveexec_b32 s6, s3
.LBB397_33:                             ;   in Loop: Header=BB397_12 Depth=2
	ds_store_b32 v31, v0
.LBB397_34:                             ;   in Loop: Header=BB397_12 Depth=2
	s_wait_alu 0xfffe
	s_or_b32 exec_lo, exec_lo, s6
	ds_bpermute_b32 v44, v34, v42
	s_wait_loadcnt_dscnt 0x0
	s_barrier_signal -1
	s_barrier_wait -1
	global_inv scope:SCOPE_SE
	v_add_f32_e32 v42, v42, v44
	ds_bpermute_b32 v44, v38, v42
	s_wait_dscnt 0x0
	v_add_f32_e32 v42, v42, v44
	ds_bpermute_b32 v44, v39, v42
	s_wait_dscnt 0x0
	;; [unrolled: 3-line block ×3, first 2 shown]
	v_add_f32_e32 v42, v42, v44
	ds_bpermute_b32 v44, v41, v42
	s_and_saveexec_b32 s6, s4
	s_cbranch_execz .LBB397_36
; %bb.35:                               ;   in Loop: Header=BB397_12 Depth=2
	s_wait_dscnt 0x0
	v_add_f32_e32 v42, v42, v44
	ds_store_b32 v32, v42
.LBB397_36:                             ;   in Loop: Header=BB397_12 Depth=2
	s_wait_alu 0xfffe
	s_or_b32 exec_lo, exec_lo, s6
	v_mov_b32_e32 v42, 0
	s_wait_loadcnt_dscnt 0x0
	s_barrier_signal -1
	s_barrier_wait -1
	global_inv scope:SCOPE_SE
	s_and_saveexec_b32 s6, s5
	s_cbranch_execnz .LBB397_53
; %bb.37:                               ;   in Loop: Header=BB397_12 Depth=2
	s_wait_alu 0xfffe
	s_or_b32 exec_lo, exec_lo, s6
	s_and_saveexec_b32 s6, s3
	s_cbranch_execnz .LBB397_54
.LBB397_38:                             ;   in Loop: Header=BB397_12 Depth=2
	s_wait_alu 0xfffe
	s_or_b32 exec_lo, exec_lo, s6
	s_and_saveexec_b32 s6, s0
	s_cbranch_execz .LBB397_11
	s_branch .LBB397_55
.LBB397_39:                             ;   in Loop: Header=BB397_12 Depth=2
	s_mul_u64 s[8:9], s[28:29], s[30:31]
	s_or_b32 s68, s28, 1
	s_mov_b32 s69, s29
	s_wait_alu 0xfffe
	s_lshl_b64 s[8:9], s[8:9], 1
	s_mul_u64 s[68:69], s[68:69], s[30:31]
	s_wait_alu 0xfffe
	v_add_co_u32 v1, vcc_lo, v36, s8
	s_wait_alu 0xfffd
	v_add_co_ci_u32_e64 v2, null, s9, v37, vcc_lo
	s_lshl_b64 s[8:9], s[68:69], 1
	s_or_b32 s68, s28, 2
	s_mov_b32 s69, s29
	s_wait_alu 0xfffe
	v_add_co_u32 v3, vcc_lo, v36, s8
	s_wait_alu 0xfffd
	v_add_co_ci_u32_e64 v4, null, s9, v37, vcc_lo
	s_mul_u64 s[8:9], s[68:69], s[30:31]
	s_or_b32 s68, s28, 3
	s_wait_alu 0xfffe
	s_lshl_b64 s[8:9], s[8:9], 1
	s_mul_u64 s[68:69], s[68:69], s[30:31]
	s_wait_dscnt 0x0
	s_wait_alu 0xfffe
	v_add_co_u32 v27, vcc_lo, v36, s8
	s_wait_alu 0xfffd
	v_add_co_ci_u32_e64 v28, null, s9, v37, vcc_lo
	s_lshl_b64 s[8:9], s[68:69], 1
	s_wait_alu 0xfffe
	v_add_co_u32 v42, vcc_lo, v36, s8
	s_wait_alu 0xfffd
	v_add_co_ci_u32_e64 v43, null, s9, v37, vcc_lo
	global_load_u16 v50, v[19:20], off
	s_clause 0x3
	global_load_b64 v[44:45], v[1:2], off
	global_load_b64 v[46:47], v[3:4], off
	;; [unrolled: 1-line block ×4, first 2 shown]
	s_clause 0x2
	global_load_u16 v3, v[21:22], off
	global_load_u16 v4, v[23:24], off
	;; [unrolled: 1-line block ×3, first 2 shown]
	s_wait_loadcnt 0x7
	v_cvt_f32_f16_e32 v1, v50
	s_wait_loadcnt 0x6
	v_fma_mix_f32 v43, v50, v44, 0 op_sel_hi:[1,1,0]
	s_wait_loadcnt 0x5
	v_fma_mix_f32 v51, v50, v46, 0 op_sel_hi:[1,1,0]
	;; [unrolled: 2-line block ×4, first 2 shown]
	s_wait_loadcnt 0x2
	v_cvt_f32_f16_e32 v2, v3
	v_fma_mix_f32 v43, v3, v44, v43 op_sel:[0,1,0] op_sel_hi:[1,1,0]
	v_fma_mix_f32 v44, v3, v46, v51 op_sel:[0,1,0] op_sel_hi:[1,1,0]
	;; [unrolled: 1-line block ×4, first 2 shown]
	s_wait_loadcnt 0x1
	v_cvt_f32_f16_e32 v3, v4
	v_fma_mix_f32 v43, v4, v45, v43 op_sel_hi:[1,1,0]
	v_fma_mix_f32 v44, v4, v47, v44 op_sel_hi:[1,1,0]
	;; [unrolled: 1-line block ×4, first 2 shown]
	s_wait_loadcnt 0x0
	v_cvt_f32_f16_e32 v4, v42
	v_fma_mix_f32 v45, v42, v45, v43 op_sel:[0,1,0] op_sel_hi:[1,1,0]
	v_fma_mix_f32 v44, v42, v47, v44 op_sel:[0,1,0] op_sel_hi:[1,1,0]
	;; [unrolled: 1-line block ×4, first 2 shown]
	s_and_not1_saveexec_b32 s11, s6
	s_cbranch_execz .LBB397_14
.LBB397_40:                             ;   in Loop: Header=BB397_12 Depth=2
	s_wait_dscnt 0x0
	v_dual_mov_b32 v42, 0 :: v_dual_mov_b32 v43, 0
	v_dual_mov_b32 v44, 0 :: v_dual_mov_b32 v45, 0
	s_and_saveexec_b32 s68, s2
	s_cbranch_execz .LBB397_57
; %bb.41:                               ;   in Loop: Header=BB397_12 Depth=2
	s_and_not1_b32 vcc_lo, exec_lo, s34
	s_wait_alu 0xfffe
	s_cbranch_vccnz .LBB397_44
; %bb.42:                               ;   in Loop: Header=BB397_12 Depth=2
	v_dual_mov_b32 v28, v16 :: v_dual_mov_b32 v27, v15
	s_mov_b64 s[8:9], 0
.LBB397_43:                             ;   Parent Loop BB397_3 Depth=1
                                        ;     Parent Loop BB397_12 Depth=2
                                        ; =>    This Inner Loop Header: Depth=3
	global_load_u16 v42, v[27:28], off
	s_wait_alu 0xfffe
	s_cmp_eq_u32 s8, 3
	v_add_co_u32 v27, vcc_lo, v27, s46
	s_wait_alu 0xfffd
	v_add_co_ci_u32_e64 v28, null, s47, v28, vcc_lo
	s_cselect_b32 vcc_lo, -1, 0
	s_cmp_eq_u32 s8, 2
	s_cselect_b32 s6, -1, 0
	s_cmp_eq_u32 s8, 1
	s_cselect_b32 s7, -1, 0
	s_cmp_eq_u32 s8, 0
	s_add_nc_u64 s[8:9], s[8:9], 1
	s_wait_loadcnt 0x0
	v_cvt_f32_f16_e32 v42, v42
	s_wait_alu 0xfffe
	s_delay_alu instid0(VALU_DEP_1)
	v_cndmask_b32_e32 v4, v4, v42, vcc_lo
	s_cselect_b32 vcc_lo, -1, 0
	v_cndmask_b32_e64 v3, v3, v42, s6
	v_cndmask_b32_e64 v2, v2, v42, s7
	s_wait_alu 0xfffe
	v_cndmask_b32_e32 v1, v1, v42, vcc_lo
	s_cmp_eq_u32 s66, s8
	s_cbranch_scc0 .LBB397_43
.LBB397_44:                             ;   in Loop: Header=BB397_12 Depth=2
	s_and_not1_b32 vcc_lo, exec_lo, s34
	s_wait_alu 0xfffe
	s_cbranch_vccnz .LBB397_56
; %bb.45:                               ;   in Loop: Header=BB397_12 Depth=2
	v_dual_mov_b32 v45, 0 :: v_dual_mov_b32 v28, v18
	v_dual_mov_b32 v27, v17 :: v_dual_mov_b32 v44, 0
	v_dual_mov_b32 v43, 0 :: v_dual_mov_b32 v42, 0
	s_mov_b64 s[8:9], 0
.LBB397_46:                             ;   Parent Loop BB397_3 Depth=1
                                        ;     Parent Loop BB397_12 Depth=2
                                        ; =>    This Inner Loop Header: Depth=3
	s_delay_alu instid0(VALU_DEP_2)
	v_add_co_u32 v46, vcc_lo, v27, s54
	s_wait_alu 0xfffd
	v_add_co_ci_u32_e64 v47, null, s55, v28, vcc_lo
	v_add_co_u32 v48, vcc_lo, v27, s56
	s_wait_alu 0xfffd
	v_add_co_ci_u32_e64 v49, null, s57, v28, vcc_lo
	;; [unrolled: 3-line block ×3, first 2 shown]
	s_clause 0x3
	global_load_u16 v52, v[27:28], off
	global_load_u16 v46, v[46:47], off
	;; [unrolled: 1-line block ×4, first 2 shown]
	s_wait_alu 0xfffe
	s_cmp_eq_u32 s8, 1
	v_add_co_u32 v27, s6, v27, 2
	s_cselect_b32 vcc_lo, -1, 0
	s_cmp_eq_u32 s8, 2
	s_wait_alu 0xfffe
	v_cndmask_b32_e32 v49, v1, v2, vcc_lo
	s_cselect_b32 vcc_lo, -1, 0
	s_cmp_eq_u32 s8, 3
	v_add_co_ci_u32_e64 v28, null, 0, v28, s6
	s_wait_alu 0xfffe
	v_cndmask_b32_e32 v49, v49, v3, vcc_lo
	s_cselect_b32 vcc_lo, -1, 0
	s_add_nc_u64 s[8:9], s[8:9], 1
	s_wait_alu 0xfffe
	s_cmp_lg_u32 s66, s8
	v_cndmask_b32_e32 v49, v49, v4, vcc_lo
	s_wait_loadcnt 0x3
	s_delay_alu instid0(VALU_DEP_1)
	v_fma_mix_f32 v45, v49, v52, v45 op_sel_hi:[0,1,0]
	s_wait_loadcnt 0x2
	v_fma_mix_f32 v44, v49, v46, v44 op_sel_hi:[0,1,0]
	s_wait_loadcnt 0x1
	;; [unrolled: 2-line block ×3, first 2 shown]
	v_fma_mix_f32 v42, v49, v48, v42 op_sel_hi:[0,1,0]
	s_cbranch_scc1 .LBB397_46
	s_branch .LBB397_57
.LBB397_47:                             ;   in Loop: Header=BB397_12 Depth=2
	ds_load_b32 v27, v31
	s_wait_alu 0xfffe
	s_or_b32 exec_lo, exec_lo, s6
	s_and_saveexec_b32 s6, s3
	s_cbranch_execz .LBB397_20
.LBB397_48:                             ;   in Loop: Header=BB397_12 Depth=2
	s_wait_dscnt 0x0
	ds_bpermute_b32 v28, v39, v27
	s_wait_dscnt 0x0
	v_add_f32_e32 v27, v27, v28
	ds_bpermute_b32 v28, v40, v27
	s_wait_dscnt 0x0
	v_add_f32_e32 v27, v27, v28
	;; [unrolled: 3-line block ×3, first 2 shown]
	s_wait_alu 0xfffe
	s_or_b32 exec_lo, exec_lo, s6
	s_and_saveexec_b32 s6, s3
	s_cbranch_execnz .LBB397_21
	s_branch .LBB397_22
.LBB397_49:                             ;   in Loop: Header=BB397_12 Depth=2
	ds_load_b32 v28, v31
	s_wait_alu 0xfffe
	s_or_b32 exec_lo, exec_lo, s6
	s_and_saveexec_b32 s6, s3
	s_cbranch_execz .LBB397_26
.LBB397_50:                             ;   in Loop: Header=BB397_12 Depth=2
	s_wait_dscnt 0x0
	ds_bpermute_b32 v44, v39, v28
	s_wait_dscnt 0x0
	v_add_f32_e32 v28, v28, v44
	ds_bpermute_b32 v44, v40, v28
	s_wait_dscnt 0x0
	v_add_f32_e32 v28, v28, v44
	;; [unrolled: 3-line block ×3, first 2 shown]
	s_wait_alu 0xfffe
	s_or_b32 exec_lo, exec_lo, s6
	s_and_saveexec_b32 s6, s3
	s_cbranch_execnz .LBB397_27
	s_branch .LBB397_28
.LBB397_51:                             ;   in Loop: Header=BB397_12 Depth=2
	ds_load_b32 v43, v31
	s_wait_alu 0xfffe
	s_or_b32 exec_lo, exec_lo, s6
	s_and_saveexec_b32 s6, s3
	s_cbranch_execz .LBB397_32
.LBB397_52:                             ;   in Loop: Header=BB397_12 Depth=2
	s_wait_dscnt 0x0
	ds_bpermute_b32 v44, v39, v43
	s_wait_dscnt 0x0
	v_add_f32_e32 v43, v43, v44
	ds_bpermute_b32 v44, v40, v43
	s_wait_dscnt 0x0
	v_add_f32_e32 v43, v43, v44
	;; [unrolled: 3-line block ×3, first 2 shown]
	s_wait_alu 0xfffe
	s_or_b32 exec_lo, exec_lo, s6
	s_and_saveexec_b32 s6, s3
	s_cbranch_execnz .LBB397_33
	s_branch .LBB397_34
.LBB397_53:                             ;   in Loop: Header=BB397_12 Depth=2
	ds_load_b32 v42, v31
	s_wait_alu 0xfffe
	s_or_b32 exec_lo, exec_lo, s6
	s_and_saveexec_b32 s6, s3
	s_cbranch_execz .LBB397_38
.LBB397_54:                             ;   in Loop: Header=BB397_12 Depth=2
	s_wait_dscnt 0x0
	ds_bpermute_b32 v44, v39, v42
	s_wait_dscnt 0x0
	v_add_f32_e32 v42, v42, v44
	ds_bpermute_b32 v44, v40, v42
	s_wait_dscnt 0x0
	v_add_f32_e32 v42, v42, v44
	;; [unrolled: 3-line block ×3, first 2 shown]
	s_wait_alu 0xfffe
	s_or_b32 exec_lo, exec_lo, s6
	s_and_saveexec_b32 s6, s0
	s_cbranch_execz .LBB397_11
.LBB397_55:                             ;   in Loop: Header=BB397_12 Depth=2
	s_mul_u64 s[8:9], s[28:29], s[36:37]
	v_mul_f32_e32 v27, v35, v27
	s_or_b32 s68, s28, 1
	s_mov_b32 s69, s29
	s_wait_alu 0xfffe
	s_lshl_b64 s[8:9], s[8:9], 2
	s_mul_u64 s[68:69], s[68:69], s[36:37]
	s_wait_alu 0xfffe
	s_add_nc_u64 s[8:9], s[58:59], s[8:9]
	v_mul_f32_e32 v28, v35, v28
	s_or_b32 s70, s28, 2
	s_mov_b32 s71, s29
	global_store_b32 v0, v27, s[8:9]
	s_lshl_b64 s[8:9], s[68:69], 2
	s_mul_u64 s[68:69], s[70:71], s[36:37]
	s_or_b32 s70, s28, 3
	s_wait_alu 0xfffe
	s_add_nc_u64 s[8:9], s[58:59], s[8:9]
	s_mul_u64 s[70:71], s[70:71], s[36:37]
	v_mul_f32_e32 v27, v35, v43
	global_store_b32 v0, v28, s[8:9]
	s_lshl_b64 s[8:9], s[68:69], 2
	s_wait_dscnt 0x0
	v_mul_f32_e32 v28, v35, v42
	s_lshl_b64 s[68:69], s[70:71], 2
	s_wait_alu 0xfffe
	s_add_nc_u64 s[8:9], s[58:59], s[8:9]
	s_add_nc_u64 s[68:69], s[58:59], s[68:69]
	s_clause 0x1
	global_store_b32 v0, v27, s[8:9]
	global_store_b32 v0, v28, s[68:69]
	s_branch .LBB397_11
.LBB397_56:                             ;   in Loop: Header=BB397_12 Depth=2
	v_dual_mov_b32 v42, 0 :: v_dual_mov_b32 v43, 0
	v_dual_mov_b32 v44, 0 :: v_dual_mov_b32 v45, 0
.LBB397_57:                             ;   in Loop: Header=BB397_12 Depth=2
	s_wait_alu 0xfffe
	s_or_b32 exec_lo, exec_lo, s68
	s_delay_alu instid0(SALU_CYCLE_1)
	s_or_b32 exec_lo, exec_lo, s11
	s_and_saveexec_b32 s6, s3
	s_cbranch_execnz .LBB397_15
	s_branch .LBB397_16
.LBB397_58:                             ;   in Loop: Header=BB397_3 Depth=1
	v_mov_b32_e32 v3, v0
	v_dual_mov_b32 v1, v0 :: v_dual_mov_b32 v2, v0
	s_mov_b32 s28, 0
	s_delay_alu instid0(VALU_DEP_2) | instskip(NEXT) | instid1(VALU_DEP_2)
	v_mov_b32_e32 v4, v3
	v_mov_b32_e32 v3, v2
	s_delay_alu instid0(VALU_DEP_3)
	v_mov_b32_e32 v2, v1
	v_mov_b32_e32 v1, v0
.LBB397_59:                             ;   in Loop: Header=BB397_3 Depth=1
	s_wait_alu 0xfffe
	s_cmp_ge_i32 s28, s35
	s_cbranch_scc1 .LBB397_2
; %bb.60:                               ;   in Loop: Header=BB397_3 Depth=1
	v_cmp_gt_u32_e32 vcc_lo, 24, v33
	s_mul_u64 s[6:7], s[54:55], s[28:29]
	s_wait_alu 0xfffe
	s_add_nc_u64 s[6:7], s[6:7], s[60:61]
	s_wait_alu 0xfffd
	v_cndmask_b32_e64 v17, 0, 8, vcc_lo
	v_cmp_gt_u32_e32 vcc_lo, 28, v33
	s_delay_alu instid0(VALU_DEP_2) | instskip(SKIP_3) | instid1(VALU_DEP_2)
	v_add_lshl_u32 v38, v17, v33, 2
	s_wait_alu 0xfffd
	v_cndmask_b32_e64 v18, 0, 4, vcc_lo
	v_cmp_gt_u32_e32 vcc_lo, 30, v33
	v_add_lshl_u32 v39, v18, v33, 2
	s_wait_alu 0xfffd
	v_cndmask_b32_e64 v19, 0, 2, vcc_lo
	v_cmp_ne_u32_e32 vcc_lo, 31, v33
	s_delay_alu instid0(VALU_DEP_2)
	v_add_lshl_u32 v40, v19, v33, 2
	s_wait_alu 0xfffd
	v_add_co_ci_u32_e64 v20, null, 0, v33, vcc_lo
	v_add_co_u32 v17, vcc_lo, s62, v5
	s_wait_alu 0xfffd
	v_add_co_ci_u32_e64 v18, null, s63, v6, vcc_lo
	v_add_co_u32 v19, vcc_lo, s62, v9
	v_lshlrev_b32_e32 v41, 2, v20
	s_wait_alu 0xfffd
	v_add_co_ci_u32_e64 v20, null, s63, v10, vcc_lo
	v_add_co_u32 v21, vcc_lo, s62, v11
	s_wait_alu 0xfffd
	v_add_co_ci_u32_e64 v22, null, s63, v12, vcc_lo
	v_add_co_u32 v23, vcc_lo, s62, v13
	s_wait_alu 0xfffd
	v_add_co_ci_u32_e64 v24, null, s63, v14, vcc_lo
	s_wait_alu 0xfffe
	v_add_co_u32 v25, vcc_lo, v29, s6
	s_wait_alu 0xfffd
	v_add_co_ci_u32_e64 v26, null, s7, v30, vcc_lo
	s_branch .LBB397_62
.LBB397_61:                             ;   in Loop: Header=BB397_62 Depth=2
	s_wait_alu 0xfffe
	s_or_b32 exec_lo, exec_lo, s6
	v_add_co_u32 v25, vcc_lo, v25, s54
	s_wait_alu 0xfffd
	v_add_co_ci_u32_e64 v26, null, s55, v26, vcc_lo
	s_add_co_i32 s28, s28, 1
	s_wait_alu 0xfffe
	s_cmp_ge_i32 s28, s35
	s_cbranch_scc1 .LBB397_2
.LBB397_62:                             ;   Parent Loop BB397_3 Depth=1
                                        ; =>  This Loop Header: Depth=2
                                        ;       Child Loop BB397_75 Depth 3
                                        ;       Child Loop BB397_78 Depth 3
	s_wait_dscnt 0x0
	v_mov_b32_e32 v42, s29
	s_and_saveexec_b32 s6, s1
	s_wait_alu 0xfffe
	s_xor_b32 s6, exec_lo, s6
	s_cbranch_execnz .LBB397_71
; %bb.63:                               ;   in Loop: Header=BB397_62 Depth=2
	s_wait_alu 0xfffe
	s_and_not1_saveexec_b32 s11, s6
	s_cbranch_execnz .LBB397_72
.LBB397_64:                             ;   in Loop: Header=BB397_62 Depth=2
	s_wait_alu 0xfffe
	s_or_b32 exec_lo, exec_lo, s11
	s_and_saveexec_b32 s6, s3
.LBB397_65:                             ;   in Loop: Header=BB397_62 Depth=2
	ds_store_b32 v31, v0
.LBB397_66:                             ;   in Loop: Header=BB397_62 Depth=2
	s_wait_alu 0xfffe
	s_or_b32 exec_lo, exec_lo, s6
	ds_bpermute_b32 v27, v34, v42
	s_wait_storecnt 0x0
	s_wait_loadcnt_dscnt 0x0
	s_barrier_signal -1
	s_barrier_wait -1
	global_inv scope:SCOPE_SE
	v_add_f32_e32 v27, v42, v27
	ds_bpermute_b32 v28, v38, v27
	s_wait_dscnt 0x0
	v_add_f32_e32 v27, v27, v28
	ds_bpermute_b32 v28, v39, v27
	s_wait_dscnt 0x0
	;; [unrolled: 3-line block ×3, first 2 shown]
	v_add_f32_e32 v27, v27, v28
	ds_bpermute_b32 v28, v41, v27
	s_and_saveexec_b32 s6, s4
	s_cbranch_execz .LBB397_68
; %bb.67:                               ;   in Loop: Header=BB397_62 Depth=2
	s_wait_dscnt 0x0
	v_add_f32_e32 v27, v27, v28
	ds_store_b32 v32, v27
.LBB397_68:                             ;   in Loop: Header=BB397_62 Depth=2
	s_wait_alu 0xfffe
	s_or_b32 exec_lo, exec_lo, s6
	v_mov_b32_e32 v27, 0
	s_wait_loadcnt_dscnt 0x0
	s_barrier_signal -1
	s_barrier_wait -1
	global_inv scope:SCOPE_SE
	s_and_saveexec_b32 s6, s5
	s_cbranch_execnz .LBB397_80
; %bb.69:                               ;   in Loop: Header=BB397_62 Depth=2
	s_wait_alu 0xfffe
	s_or_b32 exec_lo, exec_lo, s6
	s_and_saveexec_b32 s6, s3
	s_cbranch_execnz .LBB397_81
.LBB397_70:                             ;   in Loop: Header=BB397_62 Depth=2
	s_wait_alu 0xfffe
	s_or_b32 exec_lo, exec_lo, s6
	s_and_saveexec_b32 s6, s0
	s_cbranch_execz .LBB397_61
	s_branch .LBB397_82
.LBB397_71:                             ;   in Loop: Header=BB397_62 Depth=2
	s_mul_u64 s[8:9], s[28:29], s[30:31]
	s_wait_alu 0xfffe
	s_lshl_b64 s[8:9], s[8:9], 1
	s_wait_alu 0xfffe
	v_add_co_u32 v1, vcc_lo, v36, s8
	s_wait_alu 0xfffd
	v_add_co_ci_u32_e64 v2, null, s9, v37, vcc_lo
	global_load_b64 v[27:28], v[1:2], off
	s_clause 0x3
	global_load_u16 v1, v[17:18], off
	global_load_u16 v2, v[19:20], off
	;; [unrolled: 1-line block ×4, first 2 shown]
	s_wait_loadcnt 0x3
	v_fma_mix_f32 v4, v1, v27, 0 op_sel_hi:[1,1,0]
	v_cvt_f32_f16_e32 v1, v1
	s_wait_loadcnt 0x2
	s_delay_alu instid0(VALU_DEP_2) | instskip(SKIP_2) | instid1(VALU_DEP_2)
	v_fma_mix_f32 v4, v2, v27, v4 op_sel:[0,1,0] op_sel_hi:[1,1,0]
	v_cvt_f32_f16_e32 v2, v2
	s_wait_loadcnt 0x1
	v_fma_mix_f32 v27, v3, v28, v4 op_sel_hi:[1,1,0]
	v_cvt_f32_f16_e32 v3, v3
	s_wait_loadcnt 0x0
	v_cvt_f32_f16_e32 v4, v42
	s_delay_alu instid0(VALU_DEP_3)
	v_fma_mix_f32 v42, v42, v28, v27 op_sel:[0,1,0] op_sel_hi:[1,1,0]
	s_and_not1_saveexec_b32 s11, s6
	s_cbranch_execz .LBB397_64
.LBB397_72:                             ;   in Loop: Header=BB397_62 Depth=2
	s_and_saveexec_b32 s60, s2
	s_cbranch_execz .LBB397_79
; %bb.73:                               ;   in Loop: Header=BB397_62 Depth=2
	s_and_not1_b32 vcc_lo, exec_lo, s34
	s_wait_alu 0xfffe
	s_cbranch_vccnz .LBB397_76
; %bb.74:                               ;   in Loop: Header=BB397_62 Depth=2
	v_dual_mov_b32 v28, v16 :: v_dual_mov_b32 v27, v15
	s_mov_b64 s[8:9], 0
.LBB397_75:                             ;   Parent Loop BB397_3 Depth=1
                                        ;     Parent Loop BB397_62 Depth=2
                                        ; =>    This Inner Loop Header: Depth=3
	global_load_u16 v43, v[27:28], off
	s_wait_alu 0xfffe
	s_cmp_eq_u32 s8, 3
	v_add_co_u32 v27, vcc_lo, v27, s46
	s_wait_alu 0xfffd
	v_add_co_ci_u32_e64 v28, null, s47, v28, vcc_lo
	s_cselect_b32 vcc_lo, -1, 0
	s_cmp_eq_u32 s8, 2
	s_cselect_b32 s6, -1, 0
	s_cmp_eq_u32 s8, 1
	s_cselect_b32 s7, -1, 0
	s_cmp_eq_u32 s8, 0
	s_add_nc_u64 s[8:9], s[8:9], 1
	s_wait_loadcnt 0x0
	v_cvt_f32_f16_e32 v43, v43
	s_wait_alu 0xfffe
	s_delay_alu instid0(VALU_DEP_1)
	v_cndmask_b32_e32 v4, v4, v43, vcc_lo
	s_cselect_b32 vcc_lo, -1, 0
	v_cndmask_b32_e64 v3, v3, v43, s6
	v_cndmask_b32_e64 v2, v2, v43, s7
	s_wait_alu 0xfffe
	v_cndmask_b32_e32 v1, v1, v43, vcc_lo
	s_cmp_eq_u32 s66, s8
	s_cbranch_scc0 .LBB397_75
.LBB397_76:                             ;   in Loop: Header=BB397_62 Depth=2
	s_and_not1_b32 vcc_lo, exec_lo, s34
	s_wait_alu 0xfffe
	s_cbranch_vccnz .LBB397_79
; %bb.77:                               ;   in Loop: Header=BB397_62 Depth=2
	v_dual_mov_b32 v28, v26 :: v_dual_mov_b32 v27, v25
	s_mov_b64 s[6:7], 0
.LBB397_78:                             ;   Parent Loop BB397_3 Depth=1
                                        ;     Parent Loop BB397_62 Depth=2
                                        ; =>    This Inner Loop Header: Depth=3
	global_load_u16 v43, v[27:28], off
	s_wait_alu 0xfffe
	s_cmp_eq_u32 s6, 1
	s_cselect_b32 vcc_lo, -1, 0
	s_cmp_eq_u32 s6, 2
	s_wait_alu 0xfffe
	v_cndmask_b32_e32 v44, v1, v2, vcc_lo
	s_cselect_b32 vcc_lo, -1, 0
	s_cmp_eq_u32 s6, 3
	s_add_nc_u64 s[6:7], s[6:7], 1
	s_wait_alu 0xfffe
	v_cndmask_b32_e32 v44, v44, v3, vcc_lo
	s_cselect_b32 vcc_lo, -1, 0
	s_cmp_lg_u32 s66, s6
	s_wait_alu 0xfffe
	s_delay_alu instid0(VALU_DEP_1)
	v_cndmask_b32_e32 v44, v44, v4, vcc_lo
	v_add_co_u32 v27, vcc_lo, v27, 2
	s_wait_alu 0xfffd
	v_add_co_ci_u32_e64 v28, null, 0, v28, vcc_lo
	s_wait_loadcnt 0x0
	v_fma_mix_f32 v42, v44, v43, v42 op_sel_hi:[0,1,0]
	s_cbranch_scc1 .LBB397_78
.LBB397_79:                             ;   in Loop: Header=BB397_62 Depth=2
	s_wait_alu 0xfffe
	s_or_b32 exec_lo, exec_lo, s60
	s_delay_alu instid0(SALU_CYCLE_1)
	s_or_b32 exec_lo, exec_lo, s11
	s_and_saveexec_b32 s6, s3
	s_cbranch_execnz .LBB397_65
	s_branch .LBB397_66
.LBB397_80:                             ;   in Loop: Header=BB397_62 Depth=2
	ds_load_b32 v27, v31
	s_wait_alu 0xfffe
	s_or_b32 exec_lo, exec_lo, s6
	s_and_saveexec_b32 s6, s3
	s_cbranch_execz .LBB397_70
.LBB397_81:                             ;   in Loop: Header=BB397_62 Depth=2
	s_wait_dscnt 0x0
	ds_bpermute_b32 v28, v39, v27
	s_wait_dscnt 0x0
	v_add_f32_e32 v27, v27, v28
	ds_bpermute_b32 v28, v40, v27
	s_wait_dscnt 0x0
	v_add_f32_e32 v27, v27, v28
	ds_bpermute_b32 v28, v41, v27
	s_wait_dscnt 0x0
	v_add_f32_e32 v27, v27, v28
	s_wait_alu 0xfffe
	s_or_b32 exec_lo, exec_lo, s6
	s_and_saveexec_b32 s6, s0
	s_cbranch_execz .LBB397_61
.LBB397_82:                             ;   in Loop: Header=BB397_62 Depth=2
	s_mul_u64 s[8:9], s[28:29], s[36:37]
	s_wait_dscnt 0x0
	v_mul_f32_e32 v27, v35, v27
	s_wait_alu 0xfffe
	s_lshl_b64 s[8:9], s[8:9], 2
	s_wait_alu 0xfffe
	s_add_nc_u64 s[8:9], s[58:59], s[8:9]
	global_store_b32 v0, v27, s[8:9]
	s_branch .LBB397_61
.LBB397_83:
	s_endpgm
	.section	.rodata,"a",@progbits
	.p2align	6, 0x0
	.amdhsa_kernel _ZL23rocblas_gemvt_sn_kernelILb0ELi256ELi4ElDF16_PKffEviiT4_lPKT3_lilS5_lilPT5_i
		.amdhsa_group_segment_fixed_size 128
		.amdhsa_private_segment_fixed_size 0
		.amdhsa_kernarg_size 360
		.amdhsa_user_sgpr_count 2
		.amdhsa_user_sgpr_dispatch_ptr 0
		.amdhsa_user_sgpr_queue_ptr 0
		.amdhsa_user_sgpr_kernarg_segment_ptr 1
		.amdhsa_user_sgpr_dispatch_id 0
		.amdhsa_user_sgpr_private_segment_size 0
		.amdhsa_wavefront_size32 1
		.amdhsa_uses_dynamic_stack 0
		.amdhsa_enable_private_segment 0
		.amdhsa_system_sgpr_workgroup_id_x 1
		.amdhsa_system_sgpr_workgroup_id_y 0
		.amdhsa_system_sgpr_workgroup_id_z 1
		.amdhsa_system_sgpr_workgroup_info 0
		.amdhsa_system_vgpr_workitem_id 0
		.amdhsa_next_free_vgpr 53
		.amdhsa_next_free_sgpr 72
		.amdhsa_reserve_vcc 1
		.amdhsa_float_round_mode_32 0
		.amdhsa_float_round_mode_16_64 0
		.amdhsa_float_denorm_mode_32 3
		.amdhsa_float_denorm_mode_16_64 3
		.amdhsa_fp16_overflow 0
		.amdhsa_workgroup_processor_mode 1
		.amdhsa_memory_ordered 1
		.amdhsa_forward_progress 1
		.amdhsa_inst_pref_size 36
		.amdhsa_round_robin_scheduling 0
		.amdhsa_exception_fp_ieee_invalid_op 0
		.amdhsa_exception_fp_denorm_src 0
		.amdhsa_exception_fp_ieee_div_zero 0
		.amdhsa_exception_fp_ieee_overflow 0
		.amdhsa_exception_fp_ieee_underflow 0
		.amdhsa_exception_fp_ieee_inexact 0
		.amdhsa_exception_int_div_zero 0
	.end_amdhsa_kernel
	.section	.text._ZL23rocblas_gemvt_sn_kernelILb0ELi256ELi4ElDF16_PKffEviiT4_lPKT3_lilS5_lilPT5_i,"axG",@progbits,_ZL23rocblas_gemvt_sn_kernelILb0ELi256ELi4ElDF16_PKffEviiT4_lPKT3_lilS5_lilPT5_i,comdat
.Lfunc_end397:
	.size	_ZL23rocblas_gemvt_sn_kernelILb0ELi256ELi4ElDF16_PKffEviiT4_lPKT3_lilS5_lilPT5_i, .Lfunc_end397-_ZL23rocblas_gemvt_sn_kernelILb0ELi256ELi4ElDF16_PKffEviiT4_lPKT3_lilS5_lilPT5_i
                                        ; -- End function
	.set _ZL23rocblas_gemvt_sn_kernelILb0ELi256ELi4ElDF16_PKffEviiT4_lPKT3_lilS5_lilPT5_i.num_vgpr, 53
	.set _ZL23rocblas_gemvt_sn_kernelILb0ELi256ELi4ElDF16_PKffEviiT4_lPKT3_lilS5_lilPT5_i.num_agpr, 0
	.set _ZL23rocblas_gemvt_sn_kernelILb0ELi256ELi4ElDF16_PKffEviiT4_lPKT3_lilS5_lilPT5_i.numbered_sgpr, 72
	.set _ZL23rocblas_gemvt_sn_kernelILb0ELi256ELi4ElDF16_PKffEviiT4_lPKT3_lilS5_lilPT5_i.num_named_barrier, 0
	.set _ZL23rocblas_gemvt_sn_kernelILb0ELi256ELi4ElDF16_PKffEviiT4_lPKT3_lilS5_lilPT5_i.private_seg_size, 0
	.set _ZL23rocblas_gemvt_sn_kernelILb0ELi256ELi4ElDF16_PKffEviiT4_lPKT3_lilS5_lilPT5_i.uses_vcc, 1
	.set _ZL23rocblas_gemvt_sn_kernelILb0ELi256ELi4ElDF16_PKffEviiT4_lPKT3_lilS5_lilPT5_i.uses_flat_scratch, 0
	.set _ZL23rocblas_gemvt_sn_kernelILb0ELi256ELi4ElDF16_PKffEviiT4_lPKT3_lilS5_lilPT5_i.has_dyn_sized_stack, 0
	.set _ZL23rocblas_gemvt_sn_kernelILb0ELi256ELi4ElDF16_PKffEviiT4_lPKT3_lilS5_lilPT5_i.has_recursion, 0
	.set _ZL23rocblas_gemvt_sn_kernelILb0ELi256ELi4ElDF16_PKffEviiT4_lPKT3_lilS5_lilPT5_i.has_indirect_call, 0
	.section	.AMDGPU.csdata,"",@progbits
; Kernel info:
; codeLenInByte = 4592
; TotalNumSgprs: 74
; NumVgprs: 53
; ScratchSize: 0
; MemoryBound: 0
; FloatMode: 240
; IeeeMode: 1
; LDSByteSize: 128 bytes/workgroup (compile time only)
; SGPRBlocks: 0
; VGPRBlocks: 6
; NumSGPRsForWavesPerEU: 74
; NumVGPRsForWavesPerEU: 53
; Occupancy: 16
; WaveLimiterHint : 0
; COMPUTE_PGM_RSRC2:SCRATCH_EN: 0
; COMPUTE_PGM_RSRC2:USER_SGPR: 2
; COMPUTE_PGM_RSRC2:TRAP_HANDLER: 0
; COMPUTE_PGM_RSRC2:TGID_X_EN: 1
; COMPUTE_PGM_RSRC2:TGID_Y_EN: 0
; COMPUTE_PGM_RSRC2:TGID_Z_EN: 1
; COMPUTE_PGM_RSRC2:TIDIG_COMP_CNT: 0
	.section	.text._ZL23rocblas_gemvt_sn_reduceILi256ELi8EfPKfDF16_EviT2_lPT3_lilPT1_i,"axG",@progbits,_ZL23rocblas_gemvt_sn_reduceILi256ELi8EfPKfDF16_EviT2_lPT3_lilPT1_i,comdat
	.globl	_ZL23rocblas_gemvt_sn_reduceILi256ELi8EfPKfDF16_EviT2_lPT3_lilPT1_i ; -- Begin function _ZL23rocblas_gemvt_sn_reduceILi256ELi8EfPKfDF16_EviT2_lPT3_lilPT1_i
	.p2align	8
	.type	_ZL23rocblas_gemvt_sn_reduceILi256ELi8EfPKfDF16_EviT2_lPT3_lilPT1_i,@function
_ZL23rocblas_gemvt_sn_reduceILi256ELi8EfPKfDF16_EviT2_lPT3_lilPT1_i: ; @_ZL23rocblas_gemvt_sn_reduceILi256ELi8EfPKfDF16_EviT2_lPT3_lilPT1_i
; %bb.0:
	s_load_b32 s28, s[0:1], 0x40
	s_lshr_b32 s20, ttmp7, 16
	s_wait_kmcnt 0x0
	s_cmp_ge_u32 s20, s28
	s_cbranch_scc1 .LBB398_21
; %bb.1:
	s_clause 0x5
	s_load_b32 s22, s[0:1], 0x0
	s_load_b32 s29, s[0:1], 0x4c
	;; [unrolled: 1-line block ×4, first 2 shown]
	s_load_b256 s[8:15], s[0:1], 0x8
	s_load_b128 s[16:19], s[0:1], 0x30
	v_mbcnt_lo_u32_b32 v4, -1, 0
	v_and_b32_e32 v3, 31, v0
	v_dual_mov_b32 v2, 0 :: v_dual_lshlrev_b32 v7, 3, v0
	v_cmp_gt_u32_e64 s0, 32, v0
	s_delay_alu instid0(VALU_DEP_4) | instskip(NEXT) | instid1(VALU_DEP_4)
	v_cmp_gt_u32_e32 vcc_lo, 24, v4
	v_lshlrev_b32_e32 v8, 2, v3
	v_cmp_eq_u32_e64 s5, 0, v0
	v_lshl_or_b32 v9, v4, 2, 64
	s_mov_b32 s21, 0
	v_cndmask_b32_e64 v5, 0, 8, vcc_lo
	v_cmp_gt_u32_e32 vcc_lo, 28, v4
	s_and_b32 s24, ttmp7, 0xffff
	s_mov_b32 s25, s21
	s_wait_kmcnt 0x0
	s_ashr_i32 s23, s22, 31
	v_xad_u32 v1, v0, -1, s22
	s_lshr_b32 s1, s23, 29
	s_wait_alu 0xfffd
	v_cndmask_b32_e64 v6, 0, 4, vcc_lo
	v_cmp_gt_u32_e32 vcc_lo, 30, v4
	s_lshl_b64 s[2:3], s[14:15], 1
	s_add_co_i32 s1, s22, s1
	s_add_nc_u64 s[12:13], s[12:13], s[2:3]
	v_cmp_eq_u32_e64 s3, 0, v3
	v_lshlrev_b32_e32 v3, 5, v0
	s_and_b32 s30, s1, -8
	s_wait_alu 0xfffd
	v_cndmask_b32_e64 v12, 0, 2, vcc_lo
	v_cmp_ne_u32_e32 vcc_lo, 31, v4
	s_sub_co_i32 s2, s22, s30
	s_and_b32 s26, s4, 0xffff
	v_cmp_gt_u32_e64 s2, s2, v0
	v_add_lshl_u32 v10, v5, v4, 2
	v_lshrrev_b32_e32 v5, 3, v0
	v_cmp_gt_u32_e64 s4, 8, v0
	v_add_co_u32 v0, s14, s18, v3
	s_wait_alu 0xfffd
	v_add_co_ci_u32_e64 v13, null, 0, v4, vcc_lo
	v_add_lshl_u32 v11, v6, v4, 2
	v_add_lshl_u32 v12, v12, v4, 2
	v_add_co_ci_u32_e64 v4, null, s19, 0, s14
	v_add_co_u32 v3, vcc_lo, v0, 28
	s_ashr_i32 s7, s6, 31
	v_lshlrev_b64_e32 v[0:1], 2, v[1:2]
	v_cmp_gt_i32_e64 s1, s30, v7
	v_lshlrev_b32_e32 v13, 2, v13
	v_and_b32_e32 v14, 28, v5
	s_wait_alu 0xfffd
	v_add_co_ci_u32_e64 v4, null, 0, v4, vcc_lo
	s_mul_u64 s[6:7], s[6:7], s[24:25]
	s_mul_i32 s25, s20, s29
	s_lshl_b32 s31, s26, 3
	s_lshl_b64 s[14:15], s[22:23], 2
	s_add_co_i32 s25, s24, s25
	s_lshl_b32 s33, s29, 16
	s_lshl_b32 s34, s26, 5
	s_lshl_b64 s[26:27], s[6:7], 1
	s_branch .LBB398_4
.LBB398_2:                              ;   in Loop: Header=BB398_4 Depth=1
	s_wait_dscnt 0x0
	s_delay_alu instid0(VALU_DEP_1)
	v_cvt_f16_f32_e32 v5, v5
	global_store_b16 v2, v5, s[6:7]
.LBB398_3:                              ;   in Loop: Header=BB398_4 Depth=1
	s_wait_alu 0xfffe
	s_or_b32 exec_lo, exec_lo, s35
	s_add_co_i32 s20, s20, 0x10000
	s_add_co_i32 s25, s25, s33
	s_cmp_lt_u32 s20, s28
	s_cbranch_scc0 .LBB398_21
.LBB398_4:                              ; =>This Loop Header: Depth=1
                                        ;     Child Loop BB398_14 Depth 2
	s_mul_u64 s[6:7], s[10:11], s[20:21]
	v_mov_b32_e32 v16, 0
	s_lshl_b64 s[6:7], s[6:7], 2
	s_delay_alu instid0(SALU_CYCLE_1)
	s_add_nc_u64 s[6:7], s[8:9], s[6:7]
	global_load_b32 v15, v2, s[6:7]
	s_and_saveexec_b32 s7, s1
	s_cbranch_execnz .LBB398_13
; %bb.5:                                ;   in Loop: Header=BB398_4 Depth=1
	s_or_b32 exec_lo, exec_lo, s7
	s_and_saveexec_b32 s6, s2
	s_cbranch_execnz .LBB398_16
.LBB398_6:                              ;   in Loop: Header=BB398_4 Depth=1
	s_or_b32 exec_lo, exec_lo, s6
	s_and_saveexec_b32 s6, s0
.LBB398_7:                              ;   in Loop: Header=BB398_4 Depth=1
	ds_store_b32 v8, v2
.LBB398_8:                              ;   in Loop: Header=BB398_4 Depth=1
	s_or_b32 exec_lo, exec_lo, s6
	s_wait_dscnt 0x0
	ds_bpermute_b32 v5, v9, v16
	s_wait_loadcnt_dscnt 0x0
	s_barrier_signal -1
	s_barrier_wait -1
	global_inv scope:SCOPE_SE
	v_add_f32_e32 v5, v16, v5
	ds_bpermute_b32 v6, v10, v5
	s_wait_dscnt 0x0
	v_add_f32_e32 v5, v5, v6
	ds_bpermute_b32 v6, v11, v5
	s_wait_dscnt 0x0
	;; [unrolled: 3-line block ×3, first 2 shown]
	v_add_f32_e32 v5, v5, v6
	ds_bpermute_b32 v6, v13, v5
	s_and_saveexec_b32 s6, s3
	s_cbranch_execz .LBB398_10
; %bb.9:                                ;   in Loop: Header=BB398_4 Depth=1
	s_wait_dscnt 0x0
	v_add_f32_e32 v5, v5, v6
	ds_store_b32 v14, v5
.LBB398_10:                             ;   in Loop: Header=BB398_4 Depth=1
	s_or_b32 exec_lo, exec_lo, s6
	v_mov_b32_e32 v5, 0
	s_wait_loadcnt_dscnt 0x0
	s_barrier_signal -1
	s_barrier_wait -1
	global_inv scope:SCOPE_SE
	s_and_saveexec_b32 s6, s4
	s_cbranch_execnz .LBB398_17
; %bb.11:                               ;   in Loop: Header=BB398_4 Depth=1
	s_or_b32 exec_lo, exec_lo, s6
	s_and_saveexec_b32 s6, s0
	s_cbranch_execnz .LBB398_18
.LBB398_12:                             ;   in Loop: Header=BB398_4 Depth=1
	s_or_b32 exec_lo, exec_lo, s6
	s_and_saveexec_b32 s35, s5
	s_cbranch_execz .LBB398_3
	s_branch .LBB398_19
.LBB398_13:                             ;   in Loop: Header=BB398_4 Depth=1
	s_wait_dscnt 0x0
	s_wait_alu 0xfffe
	v_mad_co_u64_u32 v[5:6], null, s14, s25, v[3:4]
	v_mov_b32_e32 v16, 0
	s_mov_b32 s35, 0
	s_delay_alu instid0(VALU_DEP_2) | instskip(NEXT) | instid1(VALU_DEP_1)
	v_mad_co_u64_u32 v[17:18], null, s15, s25, v[6:7]
	v_dual_mov_b32 v6, v17 :: v_dual_mov_b32 v17, v7
.LBB398_14:                             ;   Parent Loop BB398_4 Depth=1
                                        ; =>  This Inner Loop Header: Depth=2
	s_clause 0x1
	global_load_b128 v[18:21], v[5:6], off offset:-28
	global_load_b128 v[22:25], v[5:6], off offset:-12
	v_add_co_u32 v5, vcc_lo, v5, s34
	s_wait_alu 0xfffd
	v_add_co_ci_u32_e64 v6, null, 0, v6, vcc_lo
	v_add_nc_u32_e32 v17, s31, v17
	s_delay_alu instid0(VALU_DEP_1) | instskip(SKIP_4) | instid1(VALU_DEP_1)
	v_cmp_le_i32_e64 s6, s30, v17
	s_wait_alu 0xfffe
	s_or_b32 s35, s6, s35
	s_wait_loadcnt 0x1
	v_add_f32_e32 v16, v16, v18
	v_add_f32_e32 v16, v16, v19
	s_delay_alu instid0(VALU_DEP_1) | instskip(NEXT) | instid1(VALU_DEP_1)
	v_add_f32_e32 v16, v16, v20
	v_add_f32_e32 v16, v16, v21
	s_wait_loadcnt 0x0
	s_delay_alu instid0(VALU_DEP_1) | instskip(NEXT) | instid1(VALU_DEP_1)
	v_add_f32_e32 v16, v16, v22
	v_add_f32_e32 v16, v16, v23
	s_delay_alu instid0(VALU_DEP_1) | instskip(NEXT) | instid1(VALU_DEP_1)
	v_add_f32_e32 v16, v16, v24
	v_add_f32_e32 v16, v16, v25
	s_wait_alu 0xfffe
	s_and_not1_b32 exec_lo, exec_lo, s35
	s_cbranch_execnz .LBB398_14
; %bb.15:                               ;   in Loop: Header=BB398_4 Depth=1
	s_or_b32 exec_lo, exec_lo, s35
	s_delay_alu instid0(SALU_CYCLE_1)
	s_or_b32 exec_lo, exec_lo, s7
	s_and_saveexec_b32 s6, s2
	s_cbranch_execz .LBB398_6
.LBB398_16:                             ;   in Loop: Header=BB398_4 Depth=1
	s_mul_i32 s7, s29, s20
	s_mov_b32 s37, s21
	s_add_co_i32 s36, s7, s24
	s_wait_alu 0xfffe
	s_mul_u64 s[36:37], s[36:37], s[22:23]
	s_wait_alu 0xfffe
	s_lshl_b64 s[36:37], s[36:37], 2
	s_wait_alu 0xfffe
	s_add_nc_u64 s[36:37], s[18:19], s[36:37]
	s_wait_dscnt 0x0
	s_wait_alu 0xfffe
	v_add_co_u32 v5, vcc_lo, s36, v0
	s_wait_alu 0xfffd
	v_add_co_ci_u32_e64 v6, null, s37, v1, vcc_lo
	global_load_b32 v5, v[5:6], off
	s_wait_loadcnt 0x0
	v_add_f32_e32 v16, v16, v5
	s_or_b32 exec_lo, exec_lo, s6
	s_and_saveexec_b32 s6, s0
	s_cbranch_execnz .LBB398_7
	s_branch .LBB398_8
.LBB398_17:                             ;   in Loop: Header=BB398_4 Depth=1
	ds_load_b32 v5, v8
	s_or_b32 exec_lo, exec_lo, s6
	s_and_saveexec_b32 s6, s0
	s_cbranch_execz .LBB398_12
.LBB398_18:                             ;   in Loop: Header=BB398_4 Depth=1
	s_wait_dscnt 0x0
	ds_bpermute_b32 v6, v11, v5
	s_wait_dscnt 0x0
	v_add_f32_e32 v5, v5, v6
	ds_bpermute_b32 v6, v12, v5
	s_wait_dscnt 0x0
	v_add_f32_e32 v5, v5, v6
	;; [unrolled: 3-line block ×3, first 2 shown]
	s_or_b32 exec_lo, exec_lo, s6
	s_and_saveexec_b32 s35, s5
	s_cbranch_execz .LBB398_3
.LBB398_19:                             ;   in Loop: Header=BB398_4 Depth=1
	s_mul_u64 s[6:7], s[16:17], s[20:21]
	v_cmp_eq_f32_e32 vcc_lo, 0, v15
	s_lshl_b64 s[6:7], s[6:7], 1
	s_delay_alu instid0(SALU_CYCLE_1) | instskip(NEXT) | instid1(SALU_CYCLE_1)
	s_add_nc_u64 s[6:7], s[12:13], s[6:7]
	s_add_nc_u64 s[6:7], s[6:7], s[26:27]
	s_cbranch_vccnz .LBB398_2
; %bb.20:                               ;   in Loop: Header=BB398_4 Depth=1
	global_load_u16 v6, v2, s[6:7]
	s_wait_loadcnt_dscnt 0x0
	v_fma_mix_f32 v5, v15, v6, v5 op_sel_hi:[0,1,0]
	s_branch .LBB398_2
.LBB398_21:
	s_endpgm
	.section	.rodata,"a",@progbits
	.p2align	6, 0x0
	.amdhsa_kernel _ZL23rocblas_gemvt_sn_reduceILi256ELi8EfPKfDF16_EviT2_lPT3_lilPT1_i
		.amdhsa_group_segment_fixed_size 128
		.amdhsa_private_segment_fixed_size 0
		.amdhsa_kernarg_size 328
		.amdhsa_user_sgpr_count 2
		.amdhsa_user_sgpr_dispatch_ptr 0
		.amdhsa_user_sgpr_queue_ptr 0
		.amdhsa_user_sgpr_kernarg_segment_ptr 1
		.amdhsa_user_sgpr_dispatch_id 0
		.amdhsa_user_sgpr_private_segment_size 0
		.amdhsa_wavefront_size32 1
		.amdhsa_uses_dynamic_stack 0
		.amdhsa_enable_private_segment 0
		.amdhsa_system_sgpr_workgroup_id_x 1
		.amdhsa_system_sgpr_workgroup_id_y 1
		.amdhsa_system_sgpr_workgroup_id_z 1
		.amdhsa_system_sgpr_workgroup_info 0
		.amdhsa_system_vgpr_workitem_id 0
		.amdhsa_next_free_vgpr 26
		.amdhsa_next_free_sgpr 38
		.amdhsa_reserve_vcc 1
		.amdhsa_float_round_mode_32 0
		.amdhsa_float_round_mode_16_64 0
		.amdhsa_float_denorm_mode_32 3
		.amdhsa_float_denorm_mode_16_64 3
		.amdhsa_fp16_overflow 0
		.amdhsa_workgroup_processor_mode 1
		.amdhsa_memory_ordered 1
		.amdhsa_forward_progress 1
		.amdhsa_inst_pref_size 10
		.amdhsa_round_robin_scheduling 0
		.amdhsa_exception_fp_ieee_invalid_op 0
		.amdhsa_exception_fp_denorm_src 0
		.amdhsa_exception_fp_ieee_div_zero 0
		.amdhsa_exception_fp_ieee_overflow 0
		.amdhsa_exception_fp_ieee_underflow 0
		.amdhsa_exception_fp_ieee_inexact 0
		.amdhsa_exception_int_div_zero 0
	.end_amdhsa_kernel
	.section	.text._ZL23rocblas_gemvt_sn_reduceILi256ELi8EfPKfDF16_EviT2_lPT3_lilPT1_i,"axG",@progbits,_ZL23rocblas_gemvt_sn_reduceILi256ELi8EfPKfDF16_EviT2_lPT3_lilPT1_i,comdat
.Lfunc_end398:
	.size	_ZL23rocblas_gemvt_sn_reduceILi256ELi8EfPKfDF16_EviT2_lPT3_lilPT1_i, .Lfunc_end398-_ZL23rocblas_gemvt_sn_reduceILi256ELi8EfPKfDF16_EviT2_lPT3_lilPT1_i
                                        ; -- End function
	.set _ZL23rocblas_gemvt_sn_reduceILi256ELi8EfPKfDF16_EviT2_lPT3_lilPT1_i.num_vgpr, 26
	.set _ZL23rocblas_gemvt_sn_reduceILi256ELi8EfPKfDF16_EviT2_lPT3_lilPT1_i.num_agpr, 0
	.set _ZL23rocblas_gemvt_sn_reduceILi256ELi8EfPKfDF16_EviT2_lPT3_lilPT1_i.numbered_sgpr, 38
	.set _ZL23rocblas_gemvt_sn_reduceILi256ELi8EfPKfDF16_EviT2_lPT3_lilPT1_i.num_named_barrier, 0
	.set _ZL23rocblas_gemvt_sn_reduceILi256ELi8EfPKfDF16_EviT2_lPT3_lilPT1_i.private_seg_size, 0
	.set _ZL23rocblas_gemvt_sn_reduceILi256ELi8EfPKfDF16_EviT2_lPT3_lilPT1_i.uses_vcc, 1
	.set _ZL23rocblas_gemvt_sn_reduceILi256ELi8EfPKfDF16_EviT2_lPT3_lilPT1_i.uses_flat_scratch, 0
	.set _ZL23rocblas_gemvt_sn_reduceILi256ELi8EfPKfDF16_EviT2_lPT3_lilPT1_i.has_dyn_sized_stack, 0
	.set _ZL23rocblas_gemvt_sn_reduceILi256ELi8EfPKfDF16_EviT2_lPT3_lilPT1_i.has_recursion, 0
	.set _ZL23rocblas_gemvt_sn_reduceILi256ELi8EfPKfDF16_EviT2_lPT3_lilPT1_i.has_indirect_call, 0
	.section	.AMDGPU.csdata,"",@progbits
; Kernel info:
; codeLenInByte = 1160
; TotalNumSgprs: 40
; NumVgprs: 26
; ScratchSize: 0
; MemoryBound: 0
; FloatMode: 240
; IeeeMode: 1
; LDSByteSize: 128 bytes/workgroup (compile time only)
; SGPRBlocks: 0
; VGPRBlocks: 3
; NumSGPRsForWavesPerEU: 40
; NumVGPRsForWavesPerEU: 26
; Occupancy: 16
; WaveLimiterHint : 0
; COMPUTE_PGM_RSRC2:SCRATCH_EN: 0
; COMPUTE_PGM_RSRC2:USER_SGPR: 2
; COMPUTE_PGM_RSRC2:TRAP_HANDLER: 0
; COMPUTE_PGM_RSRC2:TGID_X_EN: 1
; COMPUTE_PGM_RSRC2:TGID_Y_EN: 1
; COMPUTE_PGM_RSRC2:TGID_Z_EN: 1
; COMPUTE_PGM_RSRC2:TIDIG_COMP_CNT: 0
	.section	.text._ZL23rocblas_gemvt_sn_kernelILb0ELi256ELi4EiDF16_ffEviiT4_lPKT3_lilS3_lilPT5_i,"axG",@progbits,_ZL23rocblas_gemvt_sn_kernelILb0ELi256ELi4EiDF16_ffEviiT4_lPKT3_lilS3_lilPT5_i,comdat
	.globl	_ZL23rocblas_gemvt_sn_kernelILb0ELi256ELi4EiDF16_ffEviiT4_lPKT3_lilS3_lilPT5_i ; -- Begin function _ZL23rocblas_gemvt_sn_kernelILb0ELi256ELi4EiDF16_ffEviiT4_lPKT3_lilS3_lilPT5_i
	.p2align	8
	.type	_ZL23rocblas_gemvt_sn_kernelILb0ELi256ELi4EiDF16_ffEviiT4_lPKT3_lilS3_lilPT5_i,@function
_ZL23rocblas_gemvt_sn_kernelILb0ELi256ELi4EiDF16_ffEviiT4_lPKT3_lilS3_lilPT5_i: ; @_ZL23rocblas_gemvt_sn_kernelILb0ELi256ELi4EiDF16_ffEviiT4_lPKT3_lilS3_lilPT5_i
; %bb.0:
	s_load_b32 s11, s[0:1], 0x60
	s_lshr_b32 s24, ttmp7, 16
	s_wait_kmcnt 0x0
	s_cmp_ge_u32 s24, s11
	s_cbranch_scc1 .LBB399_83
; %bb.1:
	s_clause 0x6
	s_load_b96 s[8:10], s[0:1], 0x40
	s_load_b128 s[4:7], s[0:1], 0x18
	s_load_b96 s[20:22], s[0:1], 0x0
	s_load_b128 s[12:15], s[0:1], 0x30
	s_load_b32 s28, s[0:1], 0x68
	s_load_b32 s30, s[0:1], 0x28
	s_load_b128 s[16:19], s[0:1], 0x50
	v_cmp_eq_u32_e64 s0, 0, v0
	v_mbcnt_lo_u32_b32 v28, -1, 0
	s_mov_b32 s35, 0
	s_mov_b32 s26, ttmp9
	s_mov_b32 s29, s35
	s_mov_b32 s27, s35
	v_lshl_or_b32 v29, v28, 2, 64
	s_mov_b32 s31, s35
	s_mov_b32 s47, s35
	s_wait_kmcnt 0x0
	s_lshl_b64 s[2:3], s[8:9], 1
	s_lshl_b64 s[6:7], s[6:7], 1
	s_ashr_i32 s9, s21, 31
	s_cmp_eq_f32 s22, 0
	s_add_nc_u64 s[14:15], s[14:15], s[2:3]
	s_add_nc_u64 s[2:3], s[4:5], s[6:7]
	s_mov_b32 s8, s21
	s_cselect_b32 s23, -1, 0
	s_cmp_gt_i32 s21, 0
	s_mul_u64 s[36:37], s[8:9], s[28:29]
	s_cselect_b32 s1, -1, 0
	s_lshl_b32 s4, ttmp9, 10
	s_lshr_b32 s5, s9, 30
	v_lshl_or_b32 v1, v0, 2, s4
	s_ashr_i32 s6, s20, 31
	s_and_b32 s33, s0, s1
	s_add_co_i32 s1, s21, s5
	s_lshr_b32 s4, s6, 30
	v_ashrrev_i32_e32 v2, 31, v1
	s_and_b32 s68, s1, -4
	s_wait_alu 0xfffe
	s_add_co_i32 s1, s20, s4
	v_mul_lo_u32 v5, s10, v1
	s_and_b32 s1, s1, -4
	v_lshlrev_b64_e32 v[2:3], 1, v[1:2]
	s_sub_co_i32 s69, s20, s1
	v_add_nc_u32_e32 v4, 4, v1
	v_add_nc_u32_e32 v1, s69, v1
	v_cmp_gt_u32_e64 s5, 8, v0
	s_cmp_gt_i32 s68, 0
	v_add_co_u32 v24, vcc_lo, s2, v2
	v_cmp_ge_i32_e64 s1, s20, v4
	v_add_co_ci_u32_e64 v25, null, s3, v3, vcc_lo
	v_and_b32_e32 v2, 31, v0
	v_cmp_gt_u32_e64 s3, 32, v0
	v_lshrrev_b32_e32 v4, 3, v0
	v_mov_b32_e32 v0, 0
	v_cmp_ge_i32_e64 s2, s20, v1
	v_add_nc_u32_e32 v1, s10, v5
	v_cmp_eq_u32_e64 s4, 0, v2
	v_lshlrev_b32_e32 v26, 2, v2
	v_and_b32_e32 v27, 28, v4
	v_ashrrev_i32_e32 v6, 31, v5
	v_add_nc_u32_e32 v3, s10, v1
	v_ashrrev_i32_e32 v2, 31, v1
	s_cselect_b32 s70, -1, 0
	s_cmp_gt_i32 s69, 0
	v_lshlrev_b64_e32 v[6:7], 1, v[5:6]
	v_add_nc_u32_e32 v12, s10, v3
	v_ashrrev_i32_e32 v4, 31, v3
	s_cselect_b32 s20, -1, 0
	s_lshl_b32 s34, s30, 1
	v_lshlrev_b64_e32 v[8:9], 1, v[1:2]
	v_ashrrev_i32_e32 v13, 31, v12
	v_lshlrev_b64_e32 v[10:11], 1, v[3:4]
	s_lshl_b64 s[38:39], s[26:27], 2
	s_mov_b64 s[48:49], s[34:35]
	s_mul_i32 s34, s30, 3
	v_lshlrev_b64_e32 v[12:13], 1, v[12:13]
	s_add_nc_u64 s[40:41], s[18:19], s[38:39]
	s_lshl_b64 s[42:43], s[36:37], 2
	s_lshl_b64 s[44:45], s[28:29], 2
	s_lshl_b32 s46, s30, 2
	s_mov_b64 s[50:51], s[34:35]
	s_lshl_b64 s[52:53], s[12:13], 1
	s_branch .LBB399_3
.LBB399_2:                              ;   in Loop: Header=BB399_3 Depth=1
	s_add_co_i32 s24, s24, 0x10000
	s_delay_alu instid0(SALU_CYCLE_1)
	s_cmp_lt_u32 s24, s11
	s_cbranch_scc0 .LBB399_83
.LBB399_3:                              ; =>This Loop Header: Depth=1
                                        ;     Child Loop BB399_6 Depth 2
                                        ;     Child Loop BB399_12 Depth 2
                                        ;       Child Loop BB399_43 Depth 3
                                        ;       Child Loop BB399_46 Depth 3
                                        ;     Child Loop BB399_62 Depth 2
                                        ;       Child Loop BB399_75 Depth 3
                                        ;       Child Loop BB399_78 Depth 3
	s_mov_b32 s25, s35
	s_and_not1_b32 vcc_lo, exec_lo, s23
	s_mov_b32 s6, -1
	s_wait_alu 0xfffe
	s_cbranch_vccnz .LBB399_8
; %bb.4:                                ;   in Loop: Header=BB399_3 Depth=1
	s_and_saveexec_b32 s8, s33
	s_cbranch_execz .LBB399_7
; %bb.5:                                ;   in Loop: Header=BB399_3 Depth=1
	s_mul_u64 s[6:7], s[42:43], s[24:25]
	s_mov_b32 s9, s21
	s_wait_alu 0xfffe
	s_add_nc_u64 s[6:7], s[40:41], s[6:7]
.LBB399_6:                              ;   Parent Loop BB399_3 Depth=1
                                        ; =>  This Inner Loop Header: Depth=2
	s_add_co_i32 s9, s9, -1
	global_store_b32 v0, v0, s[6:7]
	s_wait_alu 0xfffe
	s_cmp_eq_u32 s9, 0
	s_add_nc_u64 s[6:7], s[6:7], s[44:45]
	s_cbranch_scc0 .LBB399_6
.LBB399_7:                              ;   in Loop: Header=BB399_3 Depth=1
	s_wait_alu 0xfffe
	s_or_b32 exec_lo, exec_lo, s8
	s_mov_b32 s6, 0
.LBB399_8:                              ;   in Loop: Header=BB399_3 Depth=1
	s_wait_alu 0xfffe
	s_and_not1_b32 vcc_lo, exec_lo, s6
	s_wait_alu 0xfffe
	s_cbranch_vccnz .LBB399_2
; %bb.9:                                ;   in Loop: Header=BB399_3 Depth=1
	s_mul_u64 s[6:7], s[16:17], s[24:25]
	s_mul_u64 s[8:9], s[12:13], s[24:25]
	s_wait_alu 0xfffe
	s_lshl_b64 s[6:7], s[6:7], 1
	s_mul_u64 s[58:59], s[36:37], s[24:25]
	s_wait_alu 0xfffe
	s_add_nc_u64 s[54:55], s[14:15], s[6:7]
	s_lshl_b64 s[6:7], s[8:9], 1
	v_cmp_gt_u32_e64 s9, 24, v28
	s_wait_alu 0xfffe
	v_add_co_u32 v30, vcc_lo, v24, s6
	s_wait_alu 0xfffd
	v_add_co_ci_u32_e64 v31, null, s7, v25, vcc_lo
	v_cmp_gt_u32_e64 s8, 28, v28
	v_cmp_gt_u32_e64 s7, 30, v28
	v_cmp_ne_u32_e64 s6, 31, v28
	s_lshl_b64 s[58:59], s[58:59], 2
	s_mul_u64 s[56:57], s[52:53], s[24:25]
	s_and_not1_b32 vcc_lo, exec_lo, s70
	s_wait_alu 0xfffe
	s_add_nc_u64 s[58:59], s[18:19], s[58:59]
	s_cbranch_vccnz .LBB399_58
; %bb.10:                               ;   in Loop: Header=BB399_3 Depth=1
	v_cndmask_b32_e64 v3, 0, 2, s7
	v_add_co_u32 v14, vcc_lo, s54, v6
	s_wait_alu 0xfffd
	v_add_co_ci_u32_e64 v15, null, s55, v7, vcc_lo
	v_add_co_u32 v16, vcc_lo, s54, v8
	v_cndmask_b32_e64 v1, 0, 8, s9
	v_cndmask_b32_e64 v2, 0, 4, s8
	v_add_co_ci_u32_e64 v4, null, 0, v28, s6
	v_add_lshl_u32 v34, v3, v28, 2
	s_wait_alu 0xfffd
	v_add_co_ci_u32_e64 v17, null, s55, v9, vcc_lo
	v_add_co_u32 v18, vcc_lo, s54, v10
	v_mov_b32_e32 v3, v0
	s_wait_alu 0xfffd
	v_add_co_ci_u32_e64 v19, null, s55, v11, vcc_lo
	v_add_co_u32 v20, vcc_lo, s54, v12
	v_add_lshl_u32 v32, v1, v28, 2
	v_add_lshl_u32 v33, v2, v28, 2
	v_dual_mov_b32 v2, v0 :: v_dual_lshlrev_b32 v35, 2, v4
	s_wait_alu 0xfffd
	v_add_co_ci_u32_e64 v21, null, s55, v13, vcc_lo
	v_mov_b32_e32 v1, v0
	v_add_co_u32 v36, vcc_lo, v24, s56
	v_mov_b32_e32 v4, v3
	s_wait_alu 0xfffd
	v_add_co_ci_u32_e64 v37, null, s57, v25, vcc_lo
	v_mov_b32_e32 v3, v2
	v_mov_b32_e32 v2, v1
	v_mov_b32_e32 v1, v0
	s_mov_b32 s8, 0
	s_mov_b64 s[60:61], s[50:51]
	s_mov_b64 s[62:63], s[48:49]
	;; [unrolled: 1-line block ×3, first 2 shown]
	s_mov_b32 s25, 0
	s_branch .LBB399_12
.LBB399_11:                             ;   in Loop: Header=BB399_12 Depth=2
	s_wait_alu 0xfffe
	s_or_b32 exec_lo, exec_lo, s6
	s_add_co_i32 s25, s25, 4
	s_add_co_i32 s8, s8, s46
	s_add_nc_u64 s[64:65], s[64:65], s[46:47]
	s_add_nc_u64 s[62:63], s[62:63], s[46:47]
	s_cmp_ge_i32 s25, s68
	s_add_nc_u64 s[60:61], s[60:61], s[46:47]
	s_cbranch_scc1 .LBB399_59
.LBB399_12:                             ;   Parent Loop BB399_3 Depth=1
                                        ; =>  This Loop Header: Depth=2
                                        ;       Child Loop BB399_43 Depth 3
                                        ;       Child Loop BB399_46 Depth 3
                                        ; implicit-def: $vgpr38
                                        ; implicit-def: $vgpr39
                                        ; implicit-def: $vgpr40
                                        ; implicit-def: $vgpr41
	s_and_saveexec_b32 s6, s1
	s_wait_alu 0xfffe
	s_xor_b32 s6, exec_lo, s6
	s_cbranch_execnz .LBB399_39
; %bb.13:                               ;   in Loop: Header=BB399_12 Depth=2
	s_wait_alu 0xfffe
	s_and_not1_saveexec_b32 s27, s6
	s_cbranch_execnz .LBB399_40
.LBB399_14:                             ;   in Loop: Header=BB399_12 Depth=2
	s_or_b32 exec_lo, exec_lo, s27
	s_and_saveexec_b32 s6, s3
.LBB399_15:                             ;   in Loop: Header=BB399_12 Depth=2
	ds_store_b32 v26, v0
.LBB399_16:                             ;   in Loop: Header=BB399_12 Depth=2
	s_wait_alu 0xfffe
	s_or_b32 exec_lo, exec_lo, s6
	s_wait_dscnt 0x0
	ds_bpermute_b32 v22, v29, v41
	s_wait_storecnt_dscnt 0x0
	s_barrier_signal -1
	s_barrier_wait -1
	global_inv scope:SCOPE_SE
	v_add_f32_e32 v22, v41, v22
	ds_bpermute_b32 v23, v32, v22
	s_wait_dscnt 0x0
	v_add_f32_e32 v22, v22, v23
	ds_bpermute_b32 v23, v33, v22
	s_wait_dscnt 0x0
	v_add_f32_e32 v22, v22, v23
	ds_bpermute_b32 v23, v34, v22
	s_wait_dscnt 0x0
	v_add_f32_e32 v22, v22, v23
	ds_bpermute_b32 v23, v35, v22
	s_and_saveexec_b32 s6, s4
	s_cbranch_execz .LBB399_18
; %bb.17:                               ;   in Loop: Header=BB399_12 Depth=2
	s_wait_dscnt 0x0
	v_add_f32_e32 v22, v22, v23
	ds_store_b32 v27, v22
.LBB399_18:                             ;   in Loop: Header=BB399_12 Depth=2
	s_wait_alu 0xfffe
	s_or_b32 exec_lo, exec_lo, s6
	v_mov_b32_e32 v22, 0
	s_wait_loadcnt_dscnt 0x0
	s_barrier_signal -1
	s_barrier_wait -1
	global_inv scope:SCOPE_SE
	s_and_saveexec_b32 s6, s5
	s_cbranch_execnz .LBB399_47
; %bb.19:                               ;   in Loop: Header=BB399_12 Depth=2
	s_wait_alu 0xfffe
	s_or_b32 exec_lo, exec_lo, s6
	s_and_saveexec_b32 s6, s3
	s_cbranch_execnz .LBB399_48
.LBB399_20:                             ;   in Loop: Header=BB399_12 Depth=2
	s_wait_alu 0xfffe
	s_or_b32 exec_lo, exec_lo, s6
	s_and_saveexec_b32 s6, s3
.LBB399_21:                             ;   in Loop: Header=BB399_12 Depth=2
	ds_store_b32 v26, v0
.LBB399_22:                             ;   in Loop: Header=BB399_12 Depth=2
	s_wait_alu 0xfffe
	s_or_b32 exec_lo, exec_lo, s6
	ds_bpermute_b32 v23, v29, v40
	s_wait_loadcnt_dscnt 0x0
	s_barrier_signal -1
	s_barrier_wait -1
	global_inv scope:SCOPE_SE
	v_add_f32_e32 v23, v40, v23
	ds_bpermute_b32 v40, v32, v23
	s_wait_dscnt 0x0
	v_add_f32_e32 v23, v23, v40
	ds_bpermute_b32 v40, v33, v23
	s_wait_dscnt 0x0
	;; [unrolled: 3-line block ×3, first 2 shown]
	v_add_f32_e32 v23, v23, v40
	ds_bpermute_b32 v40, v35, v23
	s_and_saveexec_b32 s6, s4
	s_cbranch_execz .LBB399_24
; %bb.23:                               ;   in Loop: Header=BB399_12 Depth=2
	s_wait_dscnt 0x0
	v_add_f32_e32 v23, v23, v40
	ds_store_b32 v27, v23
.LBB399_24:                             ;   in Loop: Header=BB399_12 Depth=2
	s_wait_alu 0xfffe
	s_or_b32 exec_lo, exec_lo, s6
	v_mov_b32_e32 v23, 0
	s_wait_loadcnt_dscnt 0x0
	s_barrier_signal -1
	s_barrier_wait -1
	global_inv scope:SCOPE_SE
	s_and_saveexec_b32 s6, s5
	s_cbranch_execnz .LBB399_49
; %bb.25:                               ;   in Loop: Header=BB399_12 Depth=2
	s_wait_alu 0xfffe
	s_or_b32 exec_lo, exec_lo, s6
	s_and_saveexec_b32 s6, s3
	s_cbranch_execnz .LBB399_50
.LBB399_26:                             ;   in Loop: Header=BB399_12 Depth=2
	s_wait_alu 0xfffe
	s_or_b32 exec_lo, exec_lo, s6
	s_and_saveexec_b32 s6, s3
.LBB399_27:                             ;   in Loop: Header=BB399_12 Depth=2
	ds_store_b32 v26, v0
.LBB399_28:                             ;   in Loop: Header=BB399_12 Depth=2
	s_wait_alu 0xfffe
	s_or_b32 exec_lo, exec_lo, s6
	ds_bpermute_b32 v40, v29, v39
	s_wait_loadcnt_dscnt 0x0
	s_barrier_signal -1
	s_barrier_wait -1
	global_inv scope:SCOPE_SE
	v_add_f32_e32 v39, v39, v40
	ds_bpermute_b32 v40, v32, v39
	s_wait_dscnt 0x0
	v_add_f32_e32 v39, v39, v40
	ds_bpermute_b32 v40, v33, v39
	s_wait_dscnt 0x0
	v_add_f32_e32 v39, v39, v40
	ds_bpermute_b32 v40, v34, v39
	s_wait_dscnt 0x0
	v_add_f32_e32 v39, v39, v40
	ds_bpermute_b32 v40, v35, v39
	s_and_saveexec_b32 s6, s4
	s_cbranch_execz .LBB399_30
; %bb.29:                               ;   in Loop: Header=BB399_12 Depth=2
	s_wait_dscnt 0x0
	v_add_f32_e32 v39, v39, v40
	ds_store_b32 v27, v39
.LBB399_30:                             ;   in Loop: Header=BB399_12 Depth=2
	s_wait_alu 0xfffe
	s_or_b32 exec_lo, exec_lo, s6
	v_mov_b32_e32 v39, 0
	s_wait_loadcnt_dscnt 0x0
	s_barrier_signal -1
	s_barrier_wait -1
	global_inv scope:SCOPE_SE
	s_and_saveexec_b32 s6, s5
	s_cbranch_execnz .LBB399_51
; %bb.31:                               ;   in Loop: Header=BB399_12 Depth=2
	s_wait_alu 0xfffe
	s_or_b32 exec_lo, exec_lo, s6
	s_and_saveexec_b32 s6, s3
	s_cbranch_execnz .LBB399_52
.LBB399_32:                             ;   in Loop: Header=BB399_12 Depth=2
	s_wait_alu 0xfffe
	s_or_b32 exec_lo, exec_lo, s6
	s_and_saveexec_b32 s6, s3
.LBB399_33:                             ;   in Loop: Header=BB399_12 Depth=2
	ds_store_b32 v26, v0
.LBB399_34:                             ;   in Loop: Header=BB399_12 Depth=2
	s_wait_alu 0xfffe
	s_or_b32 exec_lo, exec_lo, s6
	ds_bpermute_b32 v40, v29, v38
	s_wait_loadcnt_dscnt 0x0
	s_barrier_signal -1
	s_barrier_wait -1
	global_inv scope:SCOPE_SE
	v_add_f32_e32 v38, v38, v40
	ds_bpermute_b32 v40, v32, v38
	s_wait_dscnt 0x0
	v_add_f32_e32 v38, v38, v40
	ds_bpermute_b32 v40, v33, v38
	s_wait_dscnt 0x0
	;; [unrolled: 3-line block ×3, first 2 shown]
	v_add_f32_e32 v38, v38, v40
	ds_bpermute_b32 v40, v35, v38
	s_and_saveexec_b32 s6, s4
	s_cbranch_execz .LBB399_36
; %bb.35:                               ;   in Loop: Header=BB399_12 Depth=2
	s_wait_dscnt 0x0
	v_add_f32_e32 v38, v38, v40
	ds_store_b32 v27, v38
.LBB399_36:                             ;   in Loop: Header=BB399_12 Depth=2
	s_wait_alu 0xfffe
	s_or_b32 exec_lo, exec_lo, s6
	v_mov_b32_e32 v38, 0
	s_wait_loadcnt_dscnt 0x0
	s_barrier_signal -1
	s_barrier_wait -1
	global_inv scope:SCOPE_SE
	s_and_saveexec_b32 s6, s5
	s_cbranch_execnz .LBB399_53
; %bb.37:                               ;   in Loop: Header=BB399_12 Depth=2
	s_wait_alu 0xfffe
	s_or_b32 exec_lo, exec_lo, s6
	s_and_saveexec_b32 s6, s3
	s_cbranch_execnz .LBB399_54
.LBB399_38:                             ;   in Loop: Header=BB399_12 Depth=2
	s_wait_alu 0xfffe
	s_or_b32 exec_lo, exec_lo, s6
	s_and_saveexec_b32 s6, s0
	s_cbranch_execz .LBB399_11
	s_branch .LBB399_55
.LBB399_39:                             ;   in Loop: Header=BB399_12 Depth=2
	s_mul_i32 s66, s25, s30
	s_wait_alu 0xfffe
	s_ashr_i32 s67, s66, 31
	s_add_co_i32 s72, s66, s30
	s_wait_alu 0xfffe
	s_lshl_b64 s[66:67], s[66:67], 1
	s_ashr_i32 s73, s72, 31
	s_wait_alu 0xfffe
	v_add_co_u32 v1, vcc_lo, v30, s66
	s_wait_alu 0xfffd
	v_add_co_ci_u32_e64 v2, null, s67, v31, vcc_lo
	s_lshl_b64 s[66:67], s[72:73], 1
	s_add_co_i32 s72, s72, s30
	s_wait_alu 0xfffe
	v_add_co_u32 v3, vcc_lo, v30, s66
	s_ashr_i32 s73, s72, 31
	s_add_co_i32 s66, s72, s30
	s_wait_alu 0xfffd
	v_add_co_ci_u32_e64 v4, null, s67, v31, vcc_lo
	s_wait_alu 0xfffe
	s_lshl_b64 s[72:73], s[72:73], 1
	s_ashr_i32 s67, s66, 31
	s_wait_dscnt 0x0
	s_wait_alu 0xfffe
	v_add_co_u32 v22, vcc_lo, v30, s72
	s_lshl_b64 s[66:67], s[66:67], 1
	s_wait_alu 0xfffd
	v_add_co_ci_u32_e64 v23, null, s73, v31, vcc_lo
	s_wait_alu 0xfffe
	v_add_co_u32 v38, vcc_lo, v30, s66
	s_wait_alu 0xfffd
	v_add_co_ci_u32_e64 v39, null, s67, v31, vcc_lo
	global_load_u16 v46, v[14:15], off
	s_clause 0x3
	global_load_b64 v[40:41], v[1:2], off
	global_load_b64 v[42:43], v[3:4], off
	;; [unrolled: 1-line block ×4, first 2 shown]
	s_clause 0x2
	global_load_u16 v3, v[16:17], off
	global_load_u16 v4, v[18:19], off
	;; [unrolled: 1-line block ×3, first 2 shown]
	s_wait_loadcnt 0x7
	v_cvt_f32_f16_e32 v1, v46
	s_wait_loadcnt 0x6
	v_fma_mix_f32 v39, v46, v40, 0 op_sel_hi:[1,1,0]
	s_wait_loadcnt 0x5
	v_fma_mix_f32 v47, v46, v42, 0 op_sel_hi:[1,1,0]
	;; [unrolled: 2-line block ×4, first 2 shown]
	s_wait_loadcnt 0x2
	v_cvt_f32_f16_e32 v2, v3
	v_fma_mix_f32 v39, v3, v40, v39 op_sel:[0,1,0] op_sel_hi:[1,1,0]
	v_fma_mix_f32 v40, v3, v42, v47 op_sel:[0,1,0] op_sel_hi:[1,1,0]
	;; [unrolled: 1-line block ×4, first 2 shown]
	s_wait_loadcnt 0x1
	v_cvt_f32_f16_e32 v3, v4
	v_fma_mix_f32 v39, v4, v41, v39 op_sel_hi:[1,1,0]
	v_fma_mix_f32 v40, v4, v43, v40 op_sel_hi:[1,1,0]
	;; [unrolled: 1-line block ×4, first 2 shown]
	s_wait_loadcnt 0x0
	v_cvt_f32_f16_e32 v4, v38
	v_fma_mix_f32 v41, v38, v41, v39 op_sel:[0,1,0] op_sel_hi:[1,1,0]
	v_fma_mix_f32 v40, v38, v43, v40 op_sel:[0,1,0] op_sel_hi:[1,1,0]
	;; [unrolled: 1-line block ×4, first 2 shown]
	s_and_not1_saveexec_b32 s27, s6
	s_cbranch_execz .LBB399_14
.LBB399_40:                             ;   in Loop: Header=BB399_12 Depth=2
	s_wait_dscnt 0x0
	v_dual_mov_b32 v38, 0 :: v_dual_mov_b32 v39, 0
	v_dual_mov_b32 v40, 0 :: v_dual_mov_b32 v41, 0
	s_and_saveexec_b32 s34, s2
	s_cbranch_execz .LBB399_57
; %bb.41:                               ;   in Loop: Header=BB399_12 Depth=2
	s_and_not1_b32 vcc_lo, exec_lo, s20
	s_wait_alu 0xfffe
	s_cbranch_vccnz .LBB399_44
; %bb.42:                               ;   in Loop: Header=BB399_12 Depth=2
	v_mov_b32_e32 v22, v5
	s_mov_b64 s[66:67], 0
.LBB399_43:                             ;   Parent Loop BB399_3 Depth=1
                                        ;     Parent Loop BB399_12 Depth=2
                                        ; =>    This Inner Loop Header: Depth=3
	s_delay_alu instid0(VALU_DEP_1) | instskip(SKIP_2) | instid1(VALU_DEP_1)
	v_ashrrev_i32_e32 v23, 31, v22
	s_wait_alu 0xfffe
	s_cmp_eq_u32 s66, 3
	v_lshlrev_b64_e32 v[38:39], 1, v[22:23]
	s_delay_alu instid0(VALU_DEP_1) | instskip(SKIP_1) | instid1(VALU_DEP_2)
	v_add_co_u32 v38, vcc_lo, s54, v38
	s_wait_alu 0xfffd
	v_add_co_ci_u32_e64 v39, null, s55, v39, vcc_lo
	s_cselect_b32 vcc_lo, -1, 0
	s_cmp_eq_u32 s66, 2
	s_cselect_b32 s6, -1, 0
	global_load_u16 v23, v[38:39], off
	s_cmp_eq_u32 s66, 1
	s_cselect_b32 s7, -1, 0
	s_cmp_eq_u32 s66, 0
	s_add_nc_u64 s[66:67], s[66:67], 1
	s_wait_loadcnt 0x0
	v_cvt_f32_f16_e32 v23, v23
	s_wait_alu 0xfffe
	s_delay_alu instid0(VALU_DEP_1)
	v_cndmask_b32_e32 v4, v4, v23, vcc_lo
	s_cselect_b32 vcc_lo, -1, 0
	s_wait_alu 0xfffe
	v_dual_cndmask_b32 v1, v1, v23 :: v_dual_add_nc_u32 v22, s10, v22
	v_cndmask_b32_e64 v3, v3, v23, s6
	v_cndmask_b32_e64 v2, v2, v23, s7
	s_cmp_eq_u32 s69, s66
	s_cbranch_scc0 .LBB399_43
.LBB399_44:                             ;   in Loop: Header=BB399_12 Depth=2
	s_and_not1_b32 vcc_lo, exec_lo, s20
	s_wait_alu 0xfffe
	s_cbranch_vccnz .LBB399_56
; %bb.45:                               ;   in Loop: Header=BB399_12 Depth=2
	s_ashr_i32 s9, s8, 31
	v_dual_mov_b32 v41, 0 :: v_dual_mov_b32 v40, 0
	s_wait_alu 0xfffe
	s_lshl_b64 s[6:7], s[8:9], 1
	v_dual_mov_b32 v39, 0 :: v_dual_mov_b32 v38, 0
	s_wait_alu 0xfffe
	v_add_co_u32 v22, vcc_lo, v36, s6
	s_wait_alu 0xfffd
	v_add_co_ci_u32_e64 v23, null, s7, v37, vcc_lo
	s_mov_b64 s[66:67], 0
.LBB399_46:                             ;   Parent Loop BB399_3 Depth=1
                                        ;     Parent Loop BB399_12 Depth=2
                                        ; =>    This Inner Loop Header: Depth=3
	s_wait_alu 0xfffe
	s_cmp_eq_u32 s66, 1
	s_cselect_b32 vcc_lo, -1, 0
	s_cmp_eq_u32 s66, 2
	s_wait_alu 0xfffe
	v_cndmask_b32_e32 v42, v1, v2, vcc_lo
	s_cselect_b32 vcc_lo, -1, 0
	s_cmp_eq_u32 s66, 3
	s_wait_alu 0xfffe
	s_delay_alu instid0(VALU_DEP_1)
	v_cndmask_b32_e32 v48, v42, v3, vcc_lo
	s_cselect_b32 vcc_lo, -1, 0
	s_add_co_i32 s6, s64, s66
	s_add_co_i32 s72, s62, s66
	s_wait_alu 0xfffe
	s_ashr_i32 s7, s6, 31
	s_add_co_i32 s74, s60, s66
	s_ashr_i32 s73, s72, 31
	s_wait_alu 0xfffe
	s_lshl_b64 s[6:7], s[6:7], 1
	s_ashr_i32 s75, s74, 31
	s_lshl_b64 s[72:73], s[72:73], 1
	s_wait_alu 0xfffe
	v_add_co_u32 v42, s6, v30, s6
	s_lshl_b64 s[74:75], s[74:75], 1
	v_add_co_ci_u32_e64 v43, null, s7, v31, s6
	v_add_co_u32 v44, s6, v30, s72
	s_wait_alu 0xf1ff
	v_add_co_ci_u32_e64 v45, null, s73, v31, s6
	s_wait_alu 0xfffe
	v_add_co_u32 v46, s6, v30, s74
	s_wait_alu 0xf1ff
	v_add_co_ci_u32_e64 v47, null, s75, v31, s6
	global_load_u16 v49, v[22:23], off
	s_clause 0x2
	global_load_u16 v42, v[42:43], off
	global_load_u16 v43, v[44:45], off
	;; [unrolled: 1-line block ×3, first 2 shown]
	v_cndmask_b32_e32 v45, v48, v4, vcc_lo
	v_add_co_u32 v22, s6, v22, 2
	s_wait_alu 0xf1ff
	v_add_co_ci_u32_e64 v23, null, 0, v23, s6
	s_add_nc_u64 s[66:67], s[66:67], 1
	s_wait_alu 0xfffe
	s_cmp_lg_u32 s69, s66
	s_wait_loadcnt 0x3
	v_fma_mix_f32 v41, v45, v49, v41 op_sel_hi:[0,1,0]
	s_wait_loadcnt 0x2
	v_fma_mix_f32 v40, v45, v42, v40 op_sel_hi:[0,1,0]
	;; [unrolled: 2-line block ×4, first 2 shown]
	s_cbranch_scc1 .LBB399_46
	s_branch .LBB399_57
.LBB399_47:                             ;   in Loop: Header=BB399_12 Depth=2
	ds_load_b32 v22, v26
	s_wait_alu 0xfffe
	s_or_b32 exec_lo, exec_lo, s6
	s_and_saveexec_b32 s6, s3
	s_cbranch_execz .LBB399_20
.LBB399_48:                             ;   in Loop: Header=BB399_12 Depth=2
	s_wait_dscnt 0x0
	ds_bpermute_b32 v23, v33, v22
	s_wait_dscnt 0x0
	v_add_f32_e32 v22, v22, v23
	ds_bpermute_b32 v23, v34, v22
	s_wait_dscnt 0x0
	v_add_f32_e32 v22, v22, v23
	;; [unrolled: 3-line block ×3, first 2 shown]
	s_wait_alu 0xfffe
	s_or_b32 exec_lo, exec_lo, s6
	s_and_saveexec_b32 s6, s3
	s_cbranch_execnz .LBB399_21
	s_branch .LBB399_22
.LBB399_49:                             ;   in Loop: Header=BB399_12 Depth=2
	ds_load_b32 v23, v26
	s_wait_alu 0xfffe
	s_or_b32 exec_lo, exec_lo, s6
	s_and_saveexec_b32 s6, s3
	s_cbranch_execz .LBB399_26
.LBB399_50:                             ;   in Loop: Header=BB399_12 Depth=2
	s_wait_dscnt 0x0
	ds_bpermute_b32 v40, v33, v23
	s_wait_dscnt 0x0
	v_add_f32_e32 v23, v23, v40
	ds_bpermute_b32 v40, v34, v23
	s_wait_dscnt 0x0
	v_add_f32_e32 v23, v23, v40
	;; [unrolled: 3-line block ×3, first 2 shown]
	s_wait_alu 0xfffe
	s_or_b32 exec_lo, exec_lo, s6
	s_and_saveexec_b32 s6, s3
	s_cbranch_execnz .LBB399_27
	s_branch .LBB399_28
.LBB399_51:                             ;   in Loop: Header=BB399_12 Depth=2
	ds_load_b32 v39, v26
	s_wait_alu 0xfffe
	s_or_b32 exec_lo, exec_lo, s6
	s_and_saveexec_b32 s6, s3
	s_cbranch_execz .LBB399_32
.LBB399_52:                             ;   in Loop: Header=BB399_12 Depth=2
	s_wait_dscnt 0x0
	ds_bpermute_b32 v40, v33, v39
	s_wait_dscnt 0x0
	v_add_f32_e32 v39, v39, v40
	ds_bpermute_b32 v40, v34, v39
	s_wait_dscnt 0x0
	v_add_f32_e32 v39, v39, v40
	ds_bpermute_b32 v40, v35, v39
	s_wait_dscnt 0x0
	v_add_f32_e32 v39, v39, v40
	s_wait_alu 0xfffe
	s_or_b32 exec_lo, exec_lo, s6
	s_and_saveexec_b32 s6, s3
	s_cbranch_execnz .LBB399_33
	s_branch .LBB399_34
.LBB399_53:                             ;   in Loop: Header=BB399_12 Depth=2
	ds_load_b32 v38, v26
	s_wait_alu 0xfffe
	s_or_b32 exec_lo, exec_lo, s6
	s_and_saveexec_b32 s6, s3
	s_cbranch_execz .LBB399_38
.LBB399_54:                             ;   in Loop: Header=BB399_12 Depth=2
	s_wait_dscnt 0x0
	ds_bpermute_b32 v40, v33, v38
	s_wait_dscnt 0x0
	v_add_f32_e32 v38, v38, v40
	ds_bpermute_b32 v40, v34, v38
	s_wait_dscnt 0x0
	v_add_f32_e32 v38, v38, v40
	;; [unrolled: 3-line block ×3, first 2 shown]
	s_wait_alu 0xfffe
	s_or_b32 exec_lo, exec_lo, s6
	s_and_saveexec_b32 s6, s0
	s_cbranch_execz .LBB399_11
.LBB399_55:                             ;   in Loop: Header=BB399_12 Depth=2
	s_mul_i32 s7, s25, s28
	v_dual_mul_f32 v22, s22, v22 :: v_dual_mul_f32 v23, s22, v23
	s_wait_alu 0xfffe
	s_add_co_i32 s34, s7, s26
	s_wait_alu 0xfffe
	s_lshl_b64 s[66:67], s[34:35], 2
	s_add_co_i32 s34, s34, s28
	s_wait_alu 0xfffe
	s_add_nc_u64 s[66:67], s[58:59], s[66:67]
	s_lshl_b64 s[72:73], s[34:35], 2
	s_add_co_i32 s34, s34, s28
	s_wait_alu 0xfffe
	s_add_nc_u64 s[72:73], s[58:59], s[72:73]
	s_clause 0x1
	global_store_b32 v0, v22, s[66:67]
	global_store_b32 v0, v23, s[72:73]
	s_wait_dscnt 0x0
	v_dual_mul_f32 v22, s22, v39 :: v_dual_mul_f32 v23, s22, v38
	s_lshl_b64 s[66:67], s[34:35], 2
	s_add_co_i32 s34, s34, s28
	s_wait_alu 0xfffe
	s_add_nc_u64 s[66:67], s[58:59], s[66:67]
	s_lshl_b64 s[72:73], s[34:35], 2
	s_wait_alu 0xfffe
	s_add_nc_u64 s[72:73], s[58:59], s[72:73]
	s_clause 0x1
	global_store_b32 v0, v22, s[66:67]
	global_store_b32 v0, v23, s[72:73]
	s_branch .LBB399_11
.LBB399_56:                             ;   in Loop: Header=BB399_12 Depth=2
	v_dual_mov_b32 v38, 0 :: v_dual_mov_b32 v39, 0
	v_dual_mov_b32 v40, 0 :: v_dual_mov_b32 v41, 0
.LBB399_57:                             ;   in Loop: Header=BB399_12 Depth=2
	s_wait_alu 0xfffe
	s_or_b32 exec_lo, exec_lo, s34
	s_delay_alu instid0(SALU_CYCLE_1)
	s_or_b32 exec_lo, exec_lo, s27
	s_and_saveexec_b32 s6, s3
	s_cbranch_execnz .LBB399_15
	s_branch .LBB399_16
.LBB399_58:                             ;   in Loop: Header=BB399_3 Depth=1
	v_mov_b32_e32 v3, v0
	v_dual_mov_b32 v1, v0 :: v_dual_mov_b32 v2, v0
	s_mov_b32 s25, 0
	s_delay_alu instid0(VALU_DEP_2) | instskip(NEXT) | instid1(VALU_DEP_2)
	v_mov_b32_e32 v4, v3
	v_mov_b32_e32 v3, v2
	s_delay_alu instid0(VALU_DEP_3)
	v_mov_b32_e32 v2, v1
	v_mov_b32_e32 v1, v0
.LBB399_59:                             ;   in Loop: Header=BB399_3 Depth=1
	s_cmp_ge_i32 s25, s21
	s_cbranch_scc1 .LBB399_2
; %bb.60:                               ;   in Loop: Header=BB399_3 Depth=1
	v_cmp_gt_u32_e32 vcc_lo, 24, v28
	s_wait_alu 0xfffe
	s_add_nc_u64 s[8:9], s[58:59], s[38:39]
	s_mov_b32 s34, s25
	s_wait_alu 0xfffd
	v_cndmask_b32_e64 v14, 0, 8, vcc_lo
	v_cmp_gt_u32_e32 vcc_lo, 28, v28
	s_delay_alu instid0(VALU_DEP_2) | instskip(SKIP_3) | instid1(VALU_DEP_2)
	v_add_lshl_u32 v32, v14, v28, 2
	s_wait_alu 0xfffd
	v_cndmask_b32_e64 v15, 0, 4, vcc_lo
	v_cmp_gt_u32_e32 vcc_lo, 30, v28
	v_add_lshl_u32 v33, v15, v28, 2
	s_wait_alu 0xfffd
	v_cndmask_b32_e64 v16, 0, 2, vcc_lo
	v_cmp_ne_u32_e32 vcc_lo, 31, v28
	s_delay_alu instid0(VALU_DEP_2)
	v_add_lshl_u32 v34, v16, v28, 2
	s_wait_alu 0xfffd
	v_add_co_ci_u32_e64 v17, null, 0, v28, vcc_lo
	v_add_co_u32 v14, vcc_lo, s54, v6
	s_wait_alu 0xfffd
	v_add_co_ci_u32_e64 v15, null, s55, v7, vcc_lo
	v_add_co_u32 v16, vcc_lo, s54, v8
	v_lshlrev_b32_e32 v35, 2, v17
	s_wait_alu 0xfffd
	v_add_co_ci_u32_e64 v17, null, s55, v9, vcc_lo
	v_add_co_u32 v18, vcc_lo, s54, v10
	s_wait_alu 0xfffd
	v_add_co_ci_u32_e64 v19, null, s55, v11, vcc_lo
	v_add_co_u32 v20, vcc_lo, s54, v12
	;; [unrolled: 3-line block ×3, first 2 shown]
	s_wait_alu 0xfffd
	v_add_co_ci_u32_e64 v37, null, s57, v25, vcc_lo
	s_mul_i32 s56, s30, s25
	s_branch .LBB399_62
.LBB399_61:                             ;   in Loop: Header=BB399_62 Depth=2
	s_wait_alu 0xfffe
	s_or_b32 exec_lo, exec_lo, s6
	s_add_co_i32 s34, s34, 1
	s_add_co_i32 s56, s56, s30
	s_wait_alu 0xfffe
	s_cmp_ge_i32 s34, s21
	s_cbranch_scc1 .LBB399_2
.LBB399_62:                             ;   Parent Loop BB399_3 Depth=1
                                        ; =>  This Loop Header: Depth=2
                                        ;       Child Loop BB399_75 Depth 3
                                        ;       Child Loop BB399_78 Depth 3
	s_wait_dscnt 0x0
	v_mov_b32_e32 v38, s35
	s_and_saveexec_b32 s6, s1
	s_wait_alu 0xfffe
	s_xor_b32 s6, exec_lo, s6
	s_cbranch_execnz .LBB399_71
; %bb.63:                               ;   in Loop: Header=BB399_62 Depth=2
	s_wait_alu 0xfffe
	s_and_not1_saveexec_b32 s25, s6
	s_cbranch_execnz .LBB399_72
.LBB399_64:                             ;   in Loop: Header=BB399_62 Depth=2
	s_or_b32 exec_lo, exec_lo, s25
	s_and_saveexec_b32 s6, s3
.LBB399_65:                             ;   in Loop: Header=BB399_62 Depth=2
	ds_store_b32 v26, v0
.LBB399_66:                             ;   in Loop: Header=BB399_62 Depth=2
	s_wait_alu 0xfffe
	s_or_b32 exec_lo, exec_lo, s6
	ds_bpermute_b32 v22, v29, v38
	s_wait_storecnt 0x0
	s_wait_loadcnt_dscnt 0x0
	s_barrier_signal -1
	s_barrier_wait -1
	global_inv scope:SCOPE_SE
	v_add_f32_e32 v22, v38, v22
	ds_bpermute_b32 v23, v32, v22
	s_wait_dscnt 0x0
	v_add_f32_e32 v22, v22, v23
	ds_bpermute_b32 v23, v33, v22
	s_wait_dscnt 0x0
	;; [unrolled: 3-line block ×3, first 2 shown]
	v_add_f32_e32 v22, v22, v23
	ds_bpermute_b32 v23, v35, v22
	s_and_saveexec_b32 s6, s4
	s_cbranch_execz .LBB399_68
; %bb.67:                               ;   in Loop: Header=BB399_62 Depth=2
	s_wait_dscnt 0x0
	v_add_f32_e32 v22, v22, v23
	ds_store_b32 v27, v22
.LBB399_68:                             ;   in Loop: Header=BB399_62 Depth=2
	s_wait_alu 0xfffe
	s_or_b32 exec_lo, exec_lo, s6
	v_mov_b32_e32 v22, 0
	s_wait_loadcnt_dscnt 0x0
	s_barrier_signal -1
	s_barrier_wait -1
	global_inv scope:SCOPE_SE
	s_and_saveexec_b32 s6, s5
	s_cbranch_execnz .LBB399_80
; %bb.69:                               ;   in Loop: Header=BB399_62 Depth=2
	s_wait_alu 0xfffe
	s_or_b32 exec_lo, exec_lo, s6
	s_and_saveexec_b32 s6, s3
	s_cbranch_execnz .LBB399_81
.LBB399_70:                             ;   in Loop: Header=BB399_62 Depth=2
	s_wait_alu 0xfffe
	s_or_b32 exec_lo, exec_lo, s6
	s_and_saveexec_b32 s6, s0
	s_cbranch_execz .LBB399_61
	s_branch .LBB399_82
.LBB399_71:                             ;   in Loop: Header=BB399_62 Depth=2
	s_mul_i32 s58, s34, s30
	s_wait_alu 0xfffe
	s_ashr_i32 s59, s58, 31
	s_wait_alu 0xfffe
	s_lshl_b64 s[58:59], s[58:59], 1
	s_wait_alu 0xfffe
	v_add_co_u32 v1, vcc_lo, v30, s58
	s_wait_alu 0xfffd
	v_add_co_ci_u32_e64 v2, null, s59, v31, vcc_lo
	global_load_b64 v[22:23], v[1:2], off
	s_clause 0x3
	global_load_u16 v1, v[14:15], off
	global_load_u16 v2, v[16:17], off
	;; [unrolled: 1-line block ×4, first 2 shown]
	s_wait_loadcnt 0x3
	v_fma_mix_f32 v4, v1, v22, 0 op_sel_hi:[1,1,0]
	v_cvt_f32_f16_e32 v1, v1
	s_wait_loadcnt 0x2
	s_delay_alu instid0(VALU_DEP_2) | instskip(SKIP_2) | instid1(VALU_DEP_2)
	v_fma_mix_f32 v4, v2, v22, v4 op_sel:[0,1,0] op_sel_hi:[1,1,0]
	v_cvt_f32_f16_e32 v2, v2
	s_wait_loadcnt 0x1
	v_fma_mix_f32 v22, v3, v23, v4 op_sel_hi:[1,1,0]
	v_cvt_f32_f16_e32 v3, v3
	s_wait_loadcnt 0x0
	v_cvt_f32_f16_e32 v4, v38
	s_delay_alu instid0(VALU_DEP_3)
	v_fma_mix_f32 v38, v38, v23, v22 op_sel:[0,1,0] op_sel_hi:[1,1,0]
	s_and_not1_saveexec_b32 s25, s6
	s_cbranch_execz .LBB399_64
.LBB399_72:                             ;   in Loop: Header=BB399_62 Depth=2
	s_and_saveexec_b32 s27, s2
	s_cbranch_execz .LBB399_79
; %bb.73:                               ;   in Loop: Header=BB399_62 Depth=2
	s_and_not1_b32 vcc_lo, exec_lo, s20
	s_wait_alu 0xfffe
	s_cbranch_vccnz .LBB399_76
; %bb.74:                               ;   in Loop: Header=BB399_62 Depth=2
	v_mov_b32_e32 v22, v5
	s_mov_b64 s[58:59], 0
.LBB399_75:                             ;   Parent Loop BB399_3 Depth=1
                                        ;     Parent Loop BB399_62 Depth=2
                                        ; =>    This Inner Loop Header: Depth=3
	s_delay_alu instid0(VALU_DEP_1) | instskip(SKIP_2) | instid1(VALU_DEP_1)
	v_ashrrev_i32_e32 v23, 31, v22
	s_wait_alu 0xfffe
	s_cmp_eq_u32 s58, 3
	v_lshlrev_b64_e32 v[39:40], 1, v[22:23]
	s_delay_alu instid0(VALU_DEP_1) | instskip(SKIP_1) | instid1(VALU_DEP_2)
	v_add_co_u32 v39, vcc_lo, s54, v39
	s_wait_alu 0xfffd
	v_add_co_ci_u32_e64 v40, null, s55, v40, vcc_lo
	s_cselect_b32 vcc_lo, -1, 0
	s_cmp_eq_u32 s58, 2
	s_cselect_b32 s6, -1, 0
	global_load_u16 v23, v[39:40], off
	s_cmp_eq_u32 s58, 1
	s_cselect_b32 s7, -1, 0
	s_cmp_eq_u32 s58, 0
	s_add_nc_u64 s[58:59], s[58:59], 1
	s_wait_loadcnt 0x0
	v_cvt_f32_f16_e32 v23, v23
	s_wait_alu 0xfffe
	s_delay_alu instid0(VALU_DEP_1)
	v_cndmask_b32_e32 v4, v4, v23, vcc_lo
	s_cselect_b32 vcc_lo, -1, 0
	s_wait_alu 0xfffe
	v_dual_cndmask_b32 v1, v1, v23 :: v_dual_add_nc_u32 v22, s10, v22
	v_cndmask_b32_e64 v3, v3, v23, s6
	v_cndmask_b32_e64 v2, v2, v23, s7
	s_cmp_eq_u32 s69, s58
	s_cbranch_scc0 .LBB399_75
.LBB399_76:                             ;   in Loop: Header=BB399_62 Depth=2
	s_and_not1_b32 vcc_lo, exec_lo, s20
	s_wait_alu 0xfffe
	s_cbranch_vccnz .LBB399_79
; %bb.77:                               ;   in Loop: Header=BB399_62 Depth=2
	s_ashr_i32 s57, s56, 31
	s_wait_alu 0xfffe
	s_lshl_b64 s[6:7], s[56:57], 1
	s_wait_alu 0xfffe
	v_add_co_u32 v22, vcc_lo, v36, s6
	s_wait_alu 0xfffd
	v_add_co_ci_u32_e64 v23, null, s7, v37, vcc_lo
	s_mov_b64 s[6:7], 0
.LBB399_78:                             ;   Parent Loop BB399_3 Depth=1
                                        ;     Parent Loop BB399_62 Depth=2
                                        ; =>    This Inner Loop Header: Depth=3
	global_load_u16 v39, v[22:23], off
	s_wait_alu 0xfffe
	s_cmp_eq_u32 s6, 1
	s_cselect_b32 vcc_lo, -1, 0
	s_cmp_eq_u32 s6, 2
	s_wait_alu 0xfffe
	v_cndmask_b32_e32 v40, v1, v2, vcc_lo
	s_cselect_b32 vcc_lo, -1, 0
	s_cmp_eq_u32 s6, 3
	s_add_nc_u64 s[6:7], s[6:7], 1
	s_wait_alu 0xfffe
	v_cndmask_b32_e32 v40, v40, v3, vcc_lo
	s_cselect_b32 vcc_lo, -1, 0
	s_cmp_lg_u32 s69, s6
	s_wait_alu 0xfffe
	s_delay_alu instid0(VALU_DEP_1)
	v_cndmask_b32_e32 v40, v40, v4, vcc_lo
	v_add_co_u32 v22, vcc_lo, v22, 2
	s_wait_alu 0xfffd
	v_add_co_ci_u32_e64 v23, null, 0, v23, vcc_lo
	s_wait_loadcnt 0x0
	v_fma_mix_f32 v38, v40, v39, v38 op_sel_hi:[0,1,0]
	s_cbranch_scc1 .LBB399_78
.LBB399_79:                             ;   in Loop: Header=BB399_62 Depth=2
	s_or_b32 exec_lo, exec_lo, s27
	s_delay_alu instid0(SALU_CYCLE_1)
	s_or_b32 exec_lo, exec_lo, s25
	s_and_saveexec_b32 s6, s3
	s_cbranch_execnz .LBB399_65
	s_branch .LBB399_66
.LBB399_80:                             ;   in Loop: Header=BB399_62 Depth=2
	ds_load_b32 v22, v26
	s_wait_alu 0xfffe
	s_or_b32 exec_lo, exec_lo, s6
	s_and_saveexec_b32 s6, s3
	s_cbranch_execz .LBB399_70
.LBB399_81:                             ;   in Loop: Header=BB399_62 Depth=2
	s_wait_dscnt 0x0
	ds_bpermute_b32 v23, v33, v22
	s_wait_dscnt 0x0
	v_add_f32_e32 v22, v22, v23
	ds_bpermute_b32 v23, v34, v22
	s_wait_dscnt 0x0
	v_add_f32_e32 v22, v22, v23
	;; [unrolled: 3-line block ×3, first 2 shown]
	s_wait_alu 0xfffe
	s_or_b32 exec_lo, exec_lo, s6
	s_and_saveexec_b32 s6, s0
	s_cbranch_execz .LBB399_61
.LBB399_82:                             ;   in Loop: Header=BB399_62 Depth=2
	s_mul_u64 s[58:59], s[34:35], s[28:29]
	s_wait_dscnt 0x0
	v_mul_f32_e32 v22, s22, v22
	s_wait_alu 0xfffe
	s_lshl_b64 s[58:59], s[58:59], 2
	s_wait_alu 0xfffe
	s_add_nc_u64 s[58:59], s[8:9], s[58:59]
	global_store_b32 v0, v22, s[58:59]
	s_branch .LBB399_61
.LBB399_83:
	s_endpgm
	.section	.rodata,"a",@progbits
	.p2align	6, 0x0
	.amdhsa_kernel _ZL23rocblas_gemvt_sn_kernelILb0ELi256ELi4EiDF16_ffEviiT4_lPKT3_lilS3_lilPT5_i
		.amdhsa_group_segment_fixed_size 128
		.amdhsa_private_segment_fixed_size 0
		.amdhsa_kernarg_size 360
		.amdhsa_user_sgpr_count 2
		.amdhsa_user_sgpr_dispatch_ptr 0
		.amdhsa_user_sgpr_queue_ptr 0
		.amdhsa_user_sgpr_kernarg_segment_ptr 1
		.amdhsa_user_sgpr_dispatch_id 0
		.amdhsa_user_sgpr_private_segment_size 0
		.amdhsa_wavefront_size32 1
		.amdhsa_uses_dynamic_stack 0
		.amdhsa_enable_private_segment 0
		.amdhsa_system_sgpr_workgroup_id_x 1
		.amdhsa_system_sgpr_workgroup_id_y 0
		.amdhsa_system_sgpr_workgroup_id_z 1
		.amdhsa_system_sgpr_workgroup_info 0
		.amdhsa_system_vgpr_workitem_id 0
		.amdhsa_next_free_vgpr 50
		.amdhsa_next_free_sgpr 76
		.amdhsa_reserve_vcc 1
		.amdhsa_float_round_mode_32 0
		.amdhsa_float_round_mode_16_64 0
		.amdhsa_float_denorm_mode_32 3
		.amdhsa_float_denorm_mode_16_64 3
		.amdhsa_fp16_overflow 0
		.amdhsa_workgroup_processor_mode 1
		.amdhsa_memory_ordered 1
		.amdhsa_forward_progress 1
		.amdhsa_inst_pref_size 37
		.amdhsa_round_robin_scheduling 0
		.amdhsa_exception_fp_ieee_invalid_op 0
		.amdhsa_exception_fp_denorm_src 0
		.amdhsa_exception_fp_ieee_div_zero 0
		.amdhsa_exception_fp_ieee_overflow 0
		.amdhsa_exception_fp_ieee_underflow 0
		.amdhsa_exception_fp_ieee_inexact 0
		.amdhsa_exception_int_div_zero 0
	.end_amdhsa_kernel
	.section	.text._ZL23rocblas_gemvt_sn_kernelILb0ELi256ELi4EiDF16_ffEviiT4_lPKT3_lilS3_lilPT5_i,"axG",@progbits,_ZL23rocblas_gemvt_sn_kernelILb0ELi256ELi4EiDF16_ffEviiT4_lPKT3_lilS3_lilPT5_i,comdat
.Lfunc_end399:
	.size	_ZL23rocblas_gemvt_sn_kernelILb0ELi256ELi4EiDF16_ffEviiT4_lPKT3_lilS3_lilPT5_i, .Lfunc_end399-_ZL23rocblas_gemvt_sn_kernelILb0ELi256ELi4EiDF16_ffEviiT4_lPKT3_lilS3_lilPT5_i
                                        ; -- End function
	.set _ZL23rocblas_gemvt_sn_kernelILb0ELi256ELi4EiDF16_ffEviiT4_lPKT3_lilS3_lilPT5_i.num_vgpr, 50
	.set _ZL23rocblas_gemvt_sn_kernelILb0ELi256ELi4EiDF16_ffEviiT4_lPKT3_lilS3_lilPT5_i.num_agpr, 0
	.set _ZL23rocblas_gemvt_sn_kernelILb0ELi256ELi4EiDF16_ffEviiT4_lPKT3_lilS3_lilPT5_i.numbered_sgpr, 76
	.set _ZL23rocblas_gemvt_sn_kernelILb0ELi256ELi4EiDF16_ffEviiT4_lPKT3_lilS3_lilPT5_i.num_named_barrier, 0
	.set _ZL23rocblas_gemvt_sn_kernelILb0ELi256ELi4EiDF16_ffEviiT4_lPKT3_lilS3_lilPT5_i.private_seg_size, 0
	.set _ZL23rocblas_gemvt_sn_kernelILb0ELi256ELi4EiDF16_ffEviiT4_lPKT3_lilS3_lilPT5_i.uses_vcc, 1
	.set _ZL23rocblas_gemvt_sn_kernelILb0ELi256ELi4EiDF16_ffEviiT4_lPKT3_lilS3_lilPT5_i.uses_flat_scratch, 0
	.set _ZL23rocblas_gemvt_sn_kernelILb0ELi256ELi4EiDF16_ffEviiT4_lPKT3_lilS3_lilPT5_i.has_dyn_sized_stack, 0
	.set _ZL23rocblas_gemvt_sn_kernelILb0ELi256ELi4EiDF16_ffEviiT4_lPKT3_lilS3_lilPT5_i.has_recursion, 0
	.set _ZL23rocblas_gemvt_sn_kernelILb0ELi256ELi4EiDF16_ffEviiT4_lPKT3_lilS3_lilPT5_i.has_indirect_call, 0
	.section	.AMDGPU.csdata,"",@progbits
; Kernel info:
; codeLenInByte = 4616
; TotalNumSgprs: 78
; NumVgprs: 50
; ScratchSize: 0
; MemoryBound: 0
; FloatMode: 240
; IeeeMode: 1
; LDSByteSize: 128 bytes/workgroup (compile time only)
; SGPRBlocks: 0
; VGPRBlocks: 6
; NumSGPRsForWavesPerEU: 78
; NumVGPRsForWavesPerEU: 50
; Occupancy: 16
; WaveLimiterHint : 0
; COMPUTE_PGM_RSRC2:SCRATCH_EN: 0
; COMPUTE_PGM_RSRC2:USER_SGPR: 2
; COMPUTE_PGM_RSRC2:TRAP_HANDLER: 0
; COMPUTE_PGM_RSRC2:TGID_X_EN: 1
; COMPUTE_PGM_RSRC2:TGID_Y_EN: 0
; COMPUTE_PGM_RSRC2:TGID_Z_EN: 1
; COMPUTE_PGM_RSRC2:TIDIG_COMP_CNT: 0
	.section	.text._ZL23rocblas_gemvt_sn_kernelILb0ELi256ELi4ElDF16_ffEviiT4_lPKT3_lilS3_lilPT5_i,"axG",@progbits,_ZL23rocblas_gemvt_sn_kernelILb0ELi256ELi4ElDF16_ffEviiT4_lPKT3_lilS3_lilPT5_i,comdat
	.globl	_ZL23rocblas_gemvt_sn_kernelILb0ELi256ELi4ElDF16_ffEviiT4_lPKT3_lilS3_lilPT5_i ; -- Begin function _ZL23rocblas_gemvt_sn_kernelILb0ELi256ELi4ElDF16_ffEviiT4_lPKT3_lilS3_lilPT5_i
	.p2align	8
	.type	_ZL23rocblas_gemvt_sn_kernelILb0ELi256ELi4ElDF16_ffEviiT4_lPKT3_lilS3_lilPT5_i,@function
_ZL23rocblas_gemvt_sn_kernelILb0ELi256ELi4ElDF16_ffEviiT4_lPKT3_lilS3_lilPT5_i: ; @_ZL23rocblas_gemvt_sn_kernelILb0ELi256ELi4ElDF16_ffEviiT4_lPKT3_lilS3_lilPT5_i
; %bb.0:
	s_load_b32 s23, s[0:1], 0x60
	s_lshr_b32 s10, ttmp7, 16
	s_wait_kmcnt 0x0
	s_cmp_ge_u32 s10, s23
	s_cbranch_scc1 .LBB400_83
; %bb.1:
	s_clause 0x6
	s_load_b32 s26, s[0:1], 0x28
	s_load_b96 s[4:6], s[0:1], 0x40
	s_load_b128 s[36:39], s[0:1], 0x18
	s_load_b96 s[20:22], s[0:1], 0x0
	s_load_b128 s[12:15], s[0:1], 0x30
	s_load_b32 s28, s[0:1], 0x68
	s_load_b128 s[16:19], s[0:1], 0x50
	v_cmp_eq_u32_e64 s0, 0, v0
	v_mbcnt_lo_u32_b32 v33, -1, 0
	s_mov_b32 s25, 0
	s_mov_b32 s24, ttmp9
	s_mov_b32 s29, s25
	s_delay_alu instid0(VALU_DEP_1)
	v_lshl_or_b32 v34, v33, 2, 64
	s_wait_kmcnt 0x0
	s_ashr_i32 s27, s26, 31
	s_ashr_i32 s9, s6, 31
	s_lshl_b64 s[2:3], s[4:5], 1
	s_lshl_b64 s[4:5], s[38:39], 1
	s_ashr_i32 s35, s21, 31
	s_cmp_eq_f32 s22, 0
	s_add_nc_u64 s[14:15], s[14:15], s[2:3]
	s_add_nc_u64 s[2:3], s[36:37], s[4:5]
	s_mov_b32 s34, s21
	s_cselect_b32 s33, -1, 0
	s_cmp_gt_i32 s21, 0
	s_mov_b32 s8, s6
	s_cselect_b32 s1, -1, 0
	s_lshl_b32 s4, ttmp9, 10
	s_lshr_b32 s5, s35, 30
	v_lshl_or_b32 v1, v0, 2, s4
	s_ashr_i32 s4, s20, 31
	s_and_b32 s62, s0, s1
	s_wait_alu 0xfffe
	s_lshr_b32 s4, s4, 30
	s_add_co_i32 s1, s21, s5
	v_ashrrev_i32_e32 v2, 31, v1
	s_wait_alu 0xfffe
	s_add_co_i32 s4, s20, s4
	v_add_nc_u32_e32 v4, 4, v1
	v_cmp_gt_u32_e64 s5, 8, v0
	s_and_b32 s63, s1, -4
	v_lshlrev_b64_e32 v[2:3], 1, v[1:2]
	s_wait_alu 0xfffe
	s_and_b32 s1, s4, -4
	s_mul_u64 s[30:31], s[34:35], s[28:29]
	s_sub_co_i32 s64, s20, s1
	v_cmp_ge_i32_e64 s1, s20, v4
	v_add_nc_u32_e32 v5, s64, v1
	v_add_co_u32 v29, vcc_lo, s2, v2
	s_delay_alu instid0(VALU_DEP_1)
	v_add_co_ci_u32_e64 v30, null, s3, v3, vcc_lo
	v_and_b32_e32 v2, 31, v0
	v_lshrrev_b32_e32 v3, 3, v0
	v_cmp_gt_u32_e64 s3, 32, v0
	v_or_b32_e32 v0, 1, v1
	v_or_b32_e32 v4, 2, v1
	v_cmp_eq_u32_e64 s4, 0, v2
	v_lshlrev_b32_e32 v31, 2, v2
	v_and_b32_e32 v32, 28, v3
	v_mad_co_i64_i32 v[2:3], null, s6, v1, 0
	v_mad_co_i64_i32 v[9:10], null, s6, v0, 0
	v_or_b32_e32 v0, 3, v1
	v_cmp_ge_i32_e64 s2, s20, v5
	v_mad_co_i64_i32 v[11:12], null, s6, v4, 0
	v_lshlrev_b64_e32 v[5:6], 1, v[2:3]
	s_delay_alu instid0(VALU_DEP_4)
	v_mad_co_i64_i32 v[1:2], null, s6, v0, 0
	s_cmp_gt_i32 s63, 0
	v_lshlrev_b64_e32 v[9:10], 1, v[9:10]
	s_cselect_b32 s65, -1, 0
	v_add_co_u32 v7, vcc_lo, s14, v5
	s_cmp_gt_i32 s64, 0
	v_lshlrev_b64_e32 v[11:12], 1, v[11:12]
	v_lshlrev_b64_e32 v[13:14], 1, v[1:2]
	s_wait_alu 0xfffd
	v_add_co_ci_u32_e64 v8, null, s15, v6, vcc_lo
	v_mov_b32_e32 v0, 0
	s_cselect_b32 s20, -1, 0
	s_lshl_b64 s[34:35], s[24:25], 2
	s_lshl_b64 s[38:39], s[30:31], 2
	s_add_nc_u64 s[36:37], s[18:19], s[34:35]
	s_lshl_b64 s[40:41], s[28:29], 2
	s_lshl_b64 s[42:43], s[16:17], 1
	;; [unrolled: 1-line block ×4, first 2 shown]
	s_mul_u64 s[48:49], s[26:27], 6
	s_lshl_b64 s[50:51], s[26:27], 3
	s_lshl_b64 s[52:53], s[26:27], 1
	s_lshl_b64 s[54:55], s[26:27], 2
	s_branch .LBB400_3
.LBB400_2:                              ;   in Loop: Header=BB400_3 Depth=1
	s_add_co_i32 s10, s10, 0x10000
	s_wait_alu 0xfffe
	s_cmp_lt_u32 s10, s23
	s_cbranch_scc0 .LBB400_83
.LBB400_3:                              ; =>This Loop Header: Depth=1
                                        ;     Child Loop BB400_6 Depth 2
                                        ;     Child Loop BB400_12 Depth 2
                                        ;       Child Loop BB400_43 Depth 3
                                        ;       Child Loop BB400_46 Depth 3
                                        ;     Child Loop BB400_62 Depth 2
                                        ;       Child Loop BB400_75 Depth 3
                                        ;       Child Loop BB400_78 Depth 3
	s_mov_b32 s11, s25
	s_and_not1_b32 vcc_lo, exec_lo, s33
	s_mov_b32 s6, -1
	s_wait_alu 0xfffe
	s_cbranch_vccnz .LBB400_8
; %bb.4:                                ;   in Loop: Header=BB400_3 Depth=1
	s_and_saveexec_b32 s8, s62
	s_cbranch_execz .LBB400_7
; %bb.5:                                ;   in Loop: Header=BB400_3 Depth=1
	s_mul_u64 s[6:7], s[38:39], s[10:11]
	s_mov_b32 s9, s21
	s_wait_alu 0xfffe
	s_add_nc_u64 s[6:7], s[36:37], s[6:7]
.LBB400_6:                              ;   Parent Loop BB400_3 Depth=1
                                        ; =>  This Inner Loop Header: Depth=2
	s_add_co_i32 s9, s9, -1
	global_store_b32 v0, v0, s[6:7]
	s_wait_alu 0xfffe
	s_cmp_eq_u32 s9, 0
	s_add_nc_u64 s[6:7], s[6:7], s[40:41]
	s_cbranch_scc0 .LBB400_6
.LBB400_7:                              ;   in Loop: Header=BB400_3 Depth=1
	s_wait_alu 0xfffe
	s_or_b32 exec_lo, exec_lo, s8
	s_mov_b32 s6, 0
.LBB400_8:                              ;   in Loop: Header=BB400_3 Depth=1
	s_wait_alu 0xfffe
	s_and_not1_b32 vcc_lo, exec_lo, s6
	s_wait_alu 0xfffe
	s_cbranch_vccnz .LBB400_2
; %bb.9:                                ;   in Loop: Header=BB400_3 Depth=1
	v_mad_co_u64_u32 v[15:16], null, s42, s10, v[7:8]
	s_mul_u64 s[66:67], s[12:13], s[10:11]
	s_mul_u64 s[56:57], s[16:17], s[10:11]
	s_wait_alu 0xfffe
	s_lshl_b64 s[66:67], s[66:67], 1
	s_mul_u64 s[60:61], s[30:31], s[10:11]
	s_wait_alu 0xfffe
	v_add_co_u32 v35, vcc_lo, v29, s66
	v_mov_b32_e32 v1, v16
	s_lshl_b64 s[56:57], s[56:57], 1
	s_lshl_b64 s[68:69], s[60:61], 2
	v_cmp_gt_u32_e64 s7, 24, v33
	v_cmp_gt_u32_e64 s8, 28, v33
	v_mad_co_u64_u32 v[1:2], null, s43, s10, v[1:2]
	v_cmp_gt_u32_e64 s6, 30, v33
	s_wait_alu 0xfffd
	v_add_co_ci_u32_e64 v36, null, s67, v30, vcc_lo
	v_cmp_ne_u32_e64 s9, 31, v33
	s_add_nc_u64 s[60:61], s[14:15], s[56:57]
	s_add_nc_u64 s[56:57], s[18:19], s[68:69]
	v_mov_b32_e32 v16, v1
	s_mul_u64 s[58:59], s[46:47], s[10:11]
	s_and_not1_b32 vcc_lo, exec_lo, s65
	s_add_nc_u64 s[56:57], s[56:57], s[34:35]
	s_wait_alu 0xfffe
	s_cbranch_vccnz .LBB400_58
; %bb.10:                               ;   in Loop: Header=BB400_3 Depth=1
	v_cndmask_b32_e64 v2, 0, 4, s8
	v_cndmask_b32_e64 v3, 0, 2, s6
	v_add_co_u32 v17, vcc_lo, v29, s58
	s_wait_alu 0xfffd
	v_add_co_ci_u32_e64 v18, null, s59, v30, vcc_lo
	v_add_co_u32 v19, vcc_lo, s60, v5
	v_cndmask_b32_e64 v1, 0, 8, s7
	v_add_co_ci_u32_e64 v4, null, 0, v33, s9
	v_add_lshl_u32 v38, v2, v33, 2
	v_add_lshl_u32 v39, v3, v33, 2
	s_wait_alu 0xfffd
	v_add_co_ci_u32_e64 v20, null, s61, v6, vcc_lo
	v_add_co_u32 v21, vcc_lo, s60, v9
	v_dual_mov_b32 v2, v0 :: v_dual_mov_b32 v3, v0
	s_wait_alu 0xfffd
	v_add_co_ci_u32_e64 v22, null, s61, v10, vcc_lo
	v_add_co_u32 v23, vcc_lo, s60, v11
	v_add_lshl_u32 v37, v1, v33, 2
	v_dual_mov_b32 v1, v0 :: v_dual_lshlrev_b32 v40, 2, v4
	s_wait_alu 0xfffd
	v_add_co_ci_u32_e64 v24, null, s61, v12, vcc_lo
	v_add_co_u32 v25, vcc_lo, s60, v13
	v_mov_b32_e32 v4, v3
	s_wait_alu 0xfffd
	v_add_co_ci_u32_e64 v26, null, s61, v14, vcc_lo
	v_mov_b32_e32 v3, v2
	v_mov_b32_e32 v2, v1
	;; [unrolled: 1-line block ×3, first 2 shown]
	s_mov_b32 s24, 0
	s_branch .LBB400_12
.LBB400_11:                             ;   in Loop: Header=BB400_12 Depth=2
	s_wait_alu 0xfffe
	s_or_b32 exec_lo, exec_lo, s6
	v_add_co_u32 v17, vcc_lo, v17, s50
	s_wait_alu 0xfffd
	v_add_co_ci_u32_e64 v18, null, s51, v18, vcc_lo
	s_add_co_i32 s24, s24, 4
	s_wait_alu 0xfffe
	s_cmp_ge_i32 s24, s63
	s_cbranch_scc1 .LBB400_59
.LBB400_12:                             ;   Parent Loop BB400_3 Depth=1
                                        ; =>  This Loop Header: Depth=2
                                        ;       Child Loop BB400_43 Depth 3
                                        ;       Child Loop BB400_46 Depth 3
                                        ; implicit-def: $vgpr41
                                        ; implicit-def: $vgpr42
                                        ; implicit-def: $vgpr43
                                        ; implicit-def: $vgpr44
	s_and_saveexec_b32 s6, s1
	s_wait_alu 0xfffe
	s_xor_b32 s6, exec_lo, s6
	s_cbranch_execnz .LBB400_39
; %bb.13:                               ;   in Loop: Header=BB400_12 Depth=2
	s_wait_alu 0xfffe
	s_and_not1_saveexec_b32 s11, s6
	s_cbranch_execnz .LBB400_40
.LBB400_14:                             ;   in Loop: Header=BB400_12 Depth=2
	s_wait_alu 0xfffe
	s_or_b32 exec_lo, exec_lo, s11
	s_and_saveexec_b32 s6, s3
.LBB400_15:                             ;   in Loop: Header=BB400_12 Depth=2
	ds_store_b32 v31, v0
.LBB400_16:                             ;   in Loop: Header=BB400_12 Depth=2
	s_wait_alu 0xfffe
	s_or_b32 exec_lo, exec_lo, s6
	s_wait_dscnt 0x0
	ds_bpermute_b32 v27, v34, v44
	s_wait_storecnt_dscnt 0x0
	s_barrier_signal -1
	s_barrier_wait -1
	global_inv scope:SCOPE_SE
	v_add_f32_e32 v27, v44, v27
	ds_bpermute_b32 v28, v37, v27
	s_wait_dscnt 0x0
	v_add_f32_e32 v27, v27, v28
	ds_bpermute_b32 v28, v38, v27
	s_wait_dscnt 0x0
	;; [unrolled: 3-line block ×3, first 2 shown]
	v_add_f32_e32 v27, v27, v28
	ds_bpermute_b32 v28, v40, v27
	s_and_saveexec_b32 s6, s4
	s_cbranch_execz .LBB400_18
; %bb.17:                               ;   in Loop: Header=BB400_12 Depth=2
	s_wait_dscnt 0x0
	v_add_f32_e32 v27, v27, v28
	ds_store_b32 v32, v27
.LBB400_18:                             ;   in Loop: Header=BB400_12 Depth=2
	s_wait_alu 0xfffe
	s_or_b32 exec_lo, exec_lo, s6
	v_mov_b32_e32 v27, 0
	s_wait_loadcnt_dscnt 0x0
	s_barrier_signal -1
	s_barrier_wait -1
	global_inv scope:SCOPE_SE
	s_and_saveexec_b32 s6, s5
	s_cbranch_execnz .LBB400_47
; %bb.19:                               ;   in Loop: Header=BB400_12 Depth=2
	s_wait_alu 0xfffe
	s_or_b32 exec_lo, exec_lo, s6
	s_and_saveexec_b32 s6, s3
	s_cbranch_execnz .LBB400_48
.LBB400_20:                             ;   in Loop: Header=BB400_12 Depth=2
	s_wait_alu 0xfffe
	s_or_b32 exec_lo, exec_lo, s6
	s_and_saveexec_b32 s6, s3
.LBB400_21:                             ;   in Loop: Header=BB400_12 Depth=2
	ds_store_b32 v31, v0
.LBB400_22:                             ;   in Loop: Header=BB400_12 Depth=2
	s_wait_alu 0xfffe
	s_or_b32 exec_lo, exec_lo, s6
	ds_bpermute_b32 v28, v34, v43
	s_wait_loadcnt_dscnt 0x0
	s_barrier_signal -1
	s_barrier_wait -1
	global_inv scope:SCOPE_SE
	v_add_f32_e32 v28, v43, v28
	ds_bpermute_b32 v43, v37, v28
	s_wait_dscnt 0x0
	v_add_f32_e32 v28, v28, v43
	ds_bpermute_b32 v43, v38, v28
	s_wait_dscnt 0x0
	;; [unrolled: 3-line block ×3, first 2 shown]
	v_add_f32_e32 v28, v28, v43
	ds_bpermute_b32 v43, v40, v28
	s_and_saveexec_b32 s6, s4
	s_cbranch_execz .LBB400_24
; %bb.23:                               ;   in Loop: Header=BB400_12 Depth=2
	s_wait_dscnt 0x0
	v_add_f32_e32 v28, v28, v43
	ds_store_b32 v32, v28
.LBB400_24:                             ;   in Loop: Header=BB400_12 Depth=2
	s_wait_alu 0xfffe
	s_or_b32 exec_lo, exec_lo, s6
	v_mov_b32_e32 v28, 0
	s_wait_loadcnt_dscnt 0x0
	s_barrier_signal -1
	s_barrier_wait -1
	global_inv scope:SCOPE_SE
	s_and_saveexec_b32 s6, s5
	s_cbranch_execnz .LBB400_49
; %bb.25:                               ;   in Loop: Header=BB400_12 Depth=2
	s_wait_alu 0xfffe
	s_or_b32 exec_lo, exec_lo, s6
	s_and_saveexec_b32 s6, s3
	s_cbranch_execnz .LBB400_50
.LBB400_26:                             ;   in Loop: Header=BB400_12 Depth=2
	s_wait_alu 0xfffe
	s_or_b32 exec_lo, exec_lo, s6
	s_and_saveexec_b32 s6, s3
.LBB400_27:                             ;   in Loop: Header=BB400_12 Depth=2
	ds_store_b32 v31, v0
.LBB400_28:                             ;   in Loop: Header=BB400_12 Depth=2
	s_wait_alu 0xfffe
	s_or_b32 exec_lo, exec_lo, s6
	ds_bpermute_b32 v43, v34, v42
	s_wait_loadcnt_dscnt 0x0
	s_barrier_signal -1
	s_barrier_wait -1
	global_inv scope:SCOPE_SE
	v_add_f32_e32 v42, v42, v43
	ds_bpermute_b32 v43, v37, v42
	s_wait_dscnt 0x0
	v_add_f32_e32 v42, v42, v43
	ds_bpermute_b32 v43, v38, v42
	s_wait_dscnt 0x0
	;; [unrolled: 3-line block ×3, first 2 shown]
	v_add_f32_e32 v42, v42, v43
	ds_bpermute_b32 v43, v40, v42
	s_and_saveexec_b32 s6, s4
	s_cbranch_execz .LBB400_30
; %bb.29:                               ;   in Loop: Header=BB400_12 Depth=2
	s_wait_dscnt 0x0
	v_add_f32_e32 v42, v42, v43
	ds_store_b32 v32, v42
.LBB400_30:                             ;   in Loop: Header=BB400_12 Depth=2
	s_wait_alu 0xfffe
	s_or_b32 exec_lo, exec_lo, s6
	v_mov_b32_e32 v42, 0
	s_wait_loadcnt_dscnt 0x0
	s_barrier_signal -1
	s_barrier_wait -1
	global_inv scope:SCOPE_SE
	s_and_saveexec_b32 s6, s5
	s_cbranch_execnz .LBB400_51
; %bb.31:                               ;   in Loop: Header=BB400_12 Depth=2
	s_wait_alu 0xfffe
	s_or_b32 exec_lo, exec_lo, s6
	s_and_saveexec_b32 s6, s3
	s_cbranch_execnz .LBB400_52
.LBB400_32:                             ;   in Loop: Header=BB400_12 Depth=2
	s_wait_alu 0xfffe
	s_or_b32 exec_lo, exec_lo, s6
	s_and_saveexec_b32 s6, s3
.LBB400_33:                             ;   in Loop: Header=BB400_12 Depth=2
	ds_store_b32 v31, v0
.LBB400_34:                             ;   in Loop: Header=BB400_12 Depth=2
	s_wait_alu 0xfffe
	s_or_b32 exec_lo, exec_lo, s6
	ds_bpermute_b32 v43, v34, v41
	s_wait_loadcnt_dscnt 0x0
	s_barrier_signal -1
	s_barrier_wait -1
	global_inv scope:SCOPE_SE
	v_add_f32_e32 v41, v41, v43
	ds_bpermute_b32 v43, v37, v41
	s_wait_dscnt 0x0
	v_add_f32_e32 v41, v41, v43
	ds_bpermute_b32 v43, v38, v41
	s_wait_dscnt 0x0
	;; [unrolled: 3-line block ×3, first 2 shown]
	v_add_f32_e32 v41, v41, v43
	ds_bpermute_b32 v43, v40, v41
	s_and_saveexec_b32 s6, s4
	s_cbranch_execz .LBB400_36
; %bb.35:                               ;   in Loop: Header=BB400_12 Depth=2
	s_wait_dscnt 0x0
	v_add_f32_e32 v41, v41, v43
	ds_store_b32 v32, v41
.LBB400_36:                             ;   in Loop: Header=BB400_12 Depth=2
	s_wait_alu 0xfffe
	s_or_b32 exec_lo, exec_lo, s6
	v_mov_b32_e32 v41, 0
	s_wait_loadcnt_dscnt 0x0
	s_barrier_signal -1
	s_barrier_wait -1
	global_inv scope:SCOPE_SE
	s_and_saveexec_b32 s6, s5
	s_cbranch_execnz .LBB400_53
; %bb.37:                               ;   in Loop: Header=BB400_12 Depth=2
	s_wait_alu 0xfffe
	s_or_b32 exec_lo, exec_lo, s6
	s_and_saveexec_b32 s6, s3
	s_cbranch_execnz .LBB400_54
.LBB400_38:                             ;   in Loop: Header=BB400_12 Depth=2
	s_wait_alu 0xfffe
	s_or_b32 exec_lo, exec_lo, s6
	s_and_saveexec_b32 s6, s0
	s_cbranch_execz .LBB400_11
	s_branch .LBB400_55
.LBB400_39:                             ;   in Loop: Header=BB400_12 Depth=2
	s_mul_u64 s[8:9], s[24:25], s[26:27]
	s_or_b32 s66, s24, 1
	s_mov_b32 s67, s25
	s_wait_alu 0xfffe
	s_lshl_b64 s[8:9], s[8:9], 1
	s_mul_u64 s[66:67], s[66:67], s[26:27]
	s_wait_alu 0xfffe
	v_add_co_u32 v1, vcc_lo, v35, s8
	s_wait_alu 0xfffd
	v_add_co_ci_u32_e64 v2, null, s9, v36, vcc_lo
	s_lshl_b64 s[8:9], s[66:67], 1
	s_or_b32 s66, s24, 2
	s_mov_b32 s67, s25
	s_wait_alu 0xfffe
	v_add_co_u32 v3, vcc_lo, v35, s8
	s_wait_alu 0xfffd
	v_add_co_ci_u32_e64 v4, null, s9, v36, vcc_lo
	s_mul_u64 s[8:9], s[66:67], s[26:27]
	s_or_b32 s66, s24, 3
	s_wait_alu 0xfffe
	s_lshl_b64 s[8:9], s[8:9], 1
	s_mul_u64 s[66:67], s[66:67], s[26:27]
	s_wait_dscnt 0x0
	s_wait_alu 0xfffe
	v_add_co_u32 v27, vcc_lo, v35, s8
	s_wait_alu 0xfffd
	v_add_co_ci_u32_e64 v28, null, s9, v36, vcc_lo
	s_lshl_b64 s[8:9], s[66:67], 1
	s_wait_alu 0xfffe
	v_add_co_u32 v41, vcc_lo, v35, s8
	s_wait_alu 0xfffd
	v_add_co_ci_u32_e64 v42, null, s9, v36, vcc_lo
	global_load_u16 v49, v[19:20], off
	s_clause 0x3
	global_load_b64 v[43:44], v[1:2], off
	global_load_b64 v[45:46], v[3:4], off
	;; [unrolled: 1-line block ×4, first 2 shown]
	s_clause 0x2
	global_load_u16 v3, v[21:22], off
	global_load_u16 v4, v[23:24], off
	;; [unrolled: 1-line block ×3, first 2 shown]
	s_wait_loadcnt 0x7
	v_cvt_f32_f16_e32 v1, v49
	s_wait_loadcnt 0x6
	v_fma_mix_f32 v42, v49, v43, 0 op_sel_hi:[1,1,0]
	s_wait_loadcnt 0x5
	v_fma_mix_f32 v50, v49, v45, 0 op_sel_hi:[1,1,0]
	;; [unrolled: 2-line block ×4, first 2 shown]
	s_wait_loadcnt 0x2
	v_cvt_f32_f16_e32 v2, v3
	v_fma_mix_f32 v42, v3, v43, v42 op_sel:[0,1,0] op_sel_hi:[1,1,0]
	v_fma_mix_f32 v43, v3, v45, v50 op_sel:[0,1,0] op_sel_hi:[1,1,0]
	;; [unrolled: 1-line block ×4, first 2 shown]
	s_wait_loadcnt 0x1
	v_cvt_f32_f16_e32 v3, v4
	v_fma_mix_f32 v42, v4, v44, v42 op_sel_hi:[1,1,0]
	v_fma_mix_f32 v43, v4, v46, v43 op_sel_hi:[1,1,0]
	;; [unrolled: 1-line block ×4, first 2 shown]
	s_wait_loadcnt 0x0
	v_cvt_f32_f16_e32 v4, v41
	v_fma_mix_f32 v44, v41, v44, v42 op_sel:[0,1,0] op_sel_hi:[1,1,0]
	v_fma_mix_f32 v43, v41, v46, v43 op_sel:[0,1,0] op_sel_hi:[1,1,0]
	;; [unrolled: 1-line block ×4, first 2 shown]
	s_and_not1_saveexec_b32 s11, s6
	s_cbranch_execz .LBB400_14
.LBB400_40:                             ;   in Loop: Header=BB400_12 Depth=2
	s_wait_dscnt 0x0
	v_dual_mov_b32 v41, 0 :: v_dual_mov_b32 v42, 0
	v_dual_mov_b32 v43, 0 :: v_dual_mov_b32 v44, 0
	s_and_saveexec_b32 s66, s2
	s_cbranch_execz .LBB400_57
; %bb.41:                               ;   in Loop: Header=BB400_12 Depth=2
	s_and_not1_b32 vcc_lo, exec_lo, s20
	s_wait_alu 0xfffe
	s_cbranch_vccnz .LBB400_44
; %bb.42:                               ;   in Loop: Header=BB400_12 Depth=2
	v_dual_mov_b32 v28, v16 :: v_dual_mov_b32 v27, v15
	s_mov_b64 s[8:9], 0
.LBB400_43:                             ;   Parent Loop BB400_3 Depth=1
                                        ;     Parent Loop BB400_12 Depth=2
                                        ; =>    This Inner Loop Header: Depth=3
	global_load_u16 v41, v[27:28], off
	s_wait_alu 0xfffe
	s_cmp_eq_u32 s8, 3
	v_add_co_u32 v27, vcc_lo, v27, s44
	s_wait_alu 0xfffd
	v_add_co_ci_u32_e64 v28, null, s45, v28, vcc_lo
	s_cselect_b32 vcc_lo, -1, 0
	s_cmp_eq_u32 s8, 2
	s_cselect_b32 s6, -1, 0
	s_cmp_eq_u32 s8, 1
	s_cselect_b32 s7, -1, 0
	s_cmp_eq_u32 s8, 0
	s_add_nc_u64 s[8:9], s[8:9], 1
	s_wait_loadcnt 0x0
	v_cvt_f32_f16_e32 v41, v41
	s_wait_alu 0xfffe
	s_delay_alu instid0(VALU_DEP_1)
	v_cndmask_b32_e32 v4, v4, v41, vcc_lo
	s_cselect_b32 vcc_lo, -1, 0
	v_cndmask_b32_e64 v3, v3, v41, s6
	v_cndmask_b32_e64 v2, v2, v41, s7
	s_wait_alu 0xfffe
	v_cndmask_b32_e32 v1, v1, v41, vcc_lo
	s_cmp_eq_u32 s64, s8
	s_cbranch_scc0 .LBB400_43
.LBB400_44:                             ;   in Loop: Header=BB400_12 Depth=2
	s_and_not1_b32 vcc_lo, exec_lo, s20
	s_wait_alu 0xfffe
	s_cbranch_vccnz .LBB400_56
; %bb.45:                               ;   in Loop: Header=BB400_12 Depth=2
	v_dual_mov_b32 v28, v18 :: v_dual_mov_b32 v43, 0
	v_dual_mov_b32 v44, 0 :: v_dual_mov_b32 v27, v17
	;; [unrolled: 1-line block ×3, first 2 shown]
	s_mov_b64 s[8:9], 0
.LBB400_46:                             ;   Parent Loop BB400_3 Depth=1
                                        ;     Parent Loop BB400_12 Depth=2
                                        ; =>    This Inner Loop Header: Depth=3
	s_delay_alu instid0(VALU_DEP_2)
	v_add_co_u32 v45, vcc_lo, v27, s52
	s_wait_alu 0xfffd
	v_add_co_ci_u32_e64 v46, null, s53, v28, vcc_lo
	v_add_co_u32 v47, vcc_lo, v27, s54
	s_wait_alu 0xfffd
	v_add_co_ci_u32_e64 v48, null, s55, v28, vcc_lo
	v_add_co_u32 v49, vcc_lo, v27, s48
	s_wait_alu 0xfffd
	v_add_co_ci_u32_e64 v50, null, s49, v28, vcc_lo
	s_clause 0x3
	global_load_u16 v51, v[27:28], off
	global_load_u16 v45, v[45:46], off
	;; [unrolled: 1-line block ×4, first 2 shown]
	s_wait_alu 0xfffe
	s_cmp_eq_u32 s8, 1
	v_add_co_u32 v27, s6, v27, 2
	s_cselect_b32 vcc_lo, -1, 0
	s_cmp_eq_u32 s8, 2
	s_wait_alu 0xfffe
	v_cndmask_b32_e32 v48, v1, v2, vcc_lo
	s_cselect_b32 vcc_lo, -1, 0
	s_cmp_eq_u32 s8, 3
	v_add_co_ci_u32_e64 v28, null, 0, v28, s6
	s_wait_alu 0xfffe
	v_cndmask_b32_e32 v48, v48, v3, vcc_lo
	s_cselect_b32 vcc_lo, -1, 0
	s_add_nc_u64 s[8:9], s[8:9], 1
	s_wait_alu 0xfffe
	s_cmp_lg_u32 s64, s8
	v_cndmask_b32_e32 v48, v48, v4, vcc_lo
	s_wait_loadcnt 0x3
	s_delay_alu instid0(VALU_DEP_1)
	v_fma_mix_f32 v44, v48, v51, v44 op_sel_hi:[0,1,0]
	s_wait_loadcnt 0x2
	v_fma_mix_f32 v43, v48, v45, v43 op_sel_hi:[0,1,0]
	s_wait_loadcnt 0x1
	;; [unrolled: 2-line block ×3, first 2 shown]
	v_fma_mix_f32 v41, v48, v47, v41 op_sel_hi:[0,1,0]
	s_cbranch_scc1 .LBB400_46
	s_branch .LBB400_57
.LBB400_47:                             ;   in Loop: Header=BB400_12 Depth=2
	ds_load_b32 v27, v31
	s_wait_alu 0xfffe
	s_or_b32 exec_lo, exec_lo, s6
	s_and_saveexec_b32 s6, s3
	s_cbranch_execz .LBB400_20
.LBB400_48:                             ;   in Loop: Header=BB400_12 Depth=2
	s_wait_dscnt 0x0
	ds_bpermute_b32 v28, v38, v27
	s_wait_dscnt 0x0
	v_add_f32_e32 v27, v27, v28
	ds_bpermute_b32 v28, v39, v27
	s_wait_dscnt 0x0
	v_add_f32_e32 v27, v27, v28
	;; [unrolled: 3-line block ×3, first 2 shown]
	s_wait_alu 0xfffe
	s_or_b32 exec_lo, exec_lo, s6
	s_and_saveexec_b32 s6, s3
	s_cbranch_execnz .LBB400_21
	s_branch .LBB400_22
.LBB400_49:                             ;   in Loop: Header=BB400_12 Depth=2
	ds_load_b32 v28, v31
	s_wait_alu 0xfffe
	s_or_b32 exec_lo, exec_lo, s6
	s_and_saveexec_b32 s6, s3
	s_cbranch_execz .LBB400_26
.LBB400_50:                             ;   in Loop: Header=BB400_12 Depth=2
	s_wait_dscnt 0x0
	ds_bpermute_b32 v43, v38, v28
	s_wait_dscnt 0x0
	v_add_f32_e32 v28, v28, v43
	ds_bpermute_b32 v43, v39, v28
	s_wait_dscnt 0x0
	v_add_f32_e32 v28, v28, v43
	;; [unrolled: 3-line block ×3, first 2 shown]
	s_wait_alu 0xfffe
	s_or_b32 exec_lo, exec_lo, s6
	s_and_saveexec_b32 s6, s3
	s_cbranch_execnz .LBB400_27
	s_branch .LBB400_28
.LBB400_51:                             ;   in Loop: Header=BB400_12 Depth=2
	ds_load_b32 v42, v31
	s_wait_alu 0xfffe
	s_or_b32 exec_lo, exec_lo, s6
	s_and_saveexec_b32 s6, s3
	s_cbranch_execz .LBB400_32
.LBB400_52:                             ;   in Loop: Header=BB400_12 Depth=2
	s_wait_dscnt 0x0
	ds_bpermute_b32 v43, v38, v42
	s_wait_dscnt 0x0
	v_add_f32_e32 v42, v42, v43
	ds_bpermute_b32 v43, v39, v42
	s_wait_dscnt 0x0
	v_add_f32_e32 v42, v42, v43
	;; [unrolled: 3-line block ×3, first 2 shown]
	s_wait_alu 0xfffe
	s_or_b32 exec_lo, exec_lo, s6
	s_and_saveexec_b32 s6, s3
	s_cbranch_execnz .LBB400_33
	s_branch .LBB400_34
.LBB400_53:                             ;   in Loop: Header=BB400_12 Depth=2
	ds_load_b32 v41, v31
	s_wait_alu 0xfffe
	s_or_b32 exec_lo, exec_lo, s6
	s_and_saveexec_b32 s6, s3
	s_cbranch_execz .LBB400_38
.LBB400_54:                             ;   in Loop: Header=BB400_12 Depth=2
	s_wait_dscnt 0x0
	ds_bpermute_b32 v43, v38, v41
	s_wait_dscnt 0x0
	v_add_f32_e32 v41, v41, v43
	ds_bpermute_b32 v43, v39, v41
	s_wait_dscnt 0x0
	v_add_f32_e32 v41, v41, v43
	;; [unrolled: 3-line block ×3, first 2 shown]
	s_wait_alu 0xfffe
	s_or_b32 exec_lo, exec_lo, s6
	s_and_saveexec_b32 s6, s0
	s_cbranch_execz .LBB400_11
.LBB400_55:                             ;   in Loop: Header=BB400_12 Depth=2
	s_mul_u64 s[8:9], s[24:25], s[28:29]
	v_dual_mul_f32 v27, s22, v27 :: v_dual_mul_f32 v28, s22, v28
	s_or_b32 s66, s24, 1
	s_mov_b32 s67, s25
	s_wait_alu 0xfffe
	s_lshl_b64 s[8:9], s[8:9], 2
	s_mul_u64 s[66:67], s[66:67], s[28:29]
	s_wait_alu 0xfffe
	s_add_nc_u64 s[8:9], s[56:57], s[8:9]
	s_or_b32 s68, s24, 2
	s_mov_b32 s69, s25
	global_store_b32 v0, v27, s[8:9]
	s_lshl_b64 s[8:9], s[66:67], 2
	s_mul_u64 s[66:67], s[68:69], s[28:29]
	s_or_b32 s68, s24, 3
	s_wait_alu 0xfffe
	s_add_nc_u64 s[8:9], s[56:57], s[8:9]
	s_mul_u64 s[68:69], s[68:69], s[28:29]
	v_mul_f32_e32 v27, s22, v42
	global_store_b32 v0, v28, s[8:9]
	s_lshl_b64 s[8:9], s[66:67], 2
	s_wait_dscnt 0x0
	v_mul_f32_e32 v28, s22, v41
	s_lshl_b64 s[66:67], s[68:69], 2
	s_wait_alu 0xfffe
	s_add_nc_u64 s[8:9], s[56:57], s[8:9]
	s_add_nc_u64 s[66:67], s[56:57], s[66:67]
	s_clause 0x1
	global_store_b32 v0, v27, s[8:9]
	global_store_b32 v0, v28, s[66:67]
	s_branch .LBB400_11
.LBB400_56:                             ;   in Loop: Header=BB400_12 Depth=2
	v_dual_mov_b32 v41, 0 :: v_dual_mov_b32 v42, 0
	v_dual_mov_b32 v43, 0 :: v_dual_mov_b32 v44, 0
.LBB400_57:                             ;   in Loop: Header=BB400_12 Depth=2
	s_wait_alu 0xfffe
	s_or_b32 exec_lo, exec_lo, s66
	s_delay_alu instid0(SALU_CYCLE_1)
	s_or_b32 exec_lo, exec_lo, s11
	s_and_saveexec_b32 s6, s3
	s_cbranch_execnz .LBB400_15
	s_branch .LBB400_16
.LBB400_58:                             ;   in Loop: Header=BB400_3 Depth=1
	v_mov_b32_e32 v3, v0
	v_dual_mov_b32 v1, v0 :: v_dual_mov_b32 v2, v0
	s_mov_b32 s24, 0
	s_delay_alu instid0(VALU_DEP_2) | instskip(NEXT) | instid1(VALU_DEP_2)
	v_mov_b32_e32 v4, v3
	v_mov_b32_e32 v3, v2
	s_delay_alu instid0(VALU_DEP_3)
	v_mov_b32_e32 v2, v1
	v_mov_b32_e32 v1, v0
.LBB400_59:                             ;   in Loop: Header=BB400_3 Depth=1
	s_wait_alu 0xfffe
	s_cmp_ge_i32 s24, s21
	s_cbranch_scc1 .LBB400_2
; %bb.60:                               ;   in Loop: Header=BB400_3 Depth=1
	v_cmp_gt_u32_e32 vcc_lo, 24, v33
	s_mul_u64 s[6:7], s[52:53], s[24:25]
	s_wait_alu 0xfffe
	s_add_nc_u64 s[6:7], s[6:7], s[58:59]
	s_wait_alu 0xfffd
	v_cndmask_b32_e64 v17, 0, 8, vcc_lo
	v_cmp_gt_u32_e32 vcc_lo, 28, v33
	s_delay_alu instid0(VALU_DEP_2) | instskip(SKIP_3) | instid1(VALU_DEP_2)
	v_add_lshl_u32 v37, v17, v33, 2
	s_wait_alu 0xfffd
	v_cndmask_b32_e64 v18, 0, 4, vcc_lo
	v_cmp_gt_u32_e32 vcc_lo, 30, v33
	v_add_lshl_u32 v38, v18, v33, 2
	s_wait_alu 0xfffd
	v_cndmask_b32_e64 v19, 0, 2, vcc_lo
	v_cmp_ne_u32_e32 vcc_lo, 31, v33
	s_delay_alu instid0(VALU_DEP_2)
	v_add_lshl_u32 v39, v19, v33, 2
	s_wait_alu 0xfffd
	v_add_co_ci_u32_e64 v20, null, 0, v33, vcc_lo
	v_add_co_u32 v17, vcc_lo, s60, v5
	s_wait_alu 0xfffd
	v_add_co_ci_u32_e64 v18, null, s61, v6, vcc_lo
	v_add_co_u32 v19, vcc_lo, s60, v9
	v_lshlrev_b32_e32 v40, 2, v20
	s_wait_alu 0xfffd
	v_add_co_ci_u32_e64 v20, null, s61, v10, vcc_lo
	v_add_co_u32 v21, vcc_lo, s60, v11
	s_wait_alu 0xfffd
	v_add_co_ci_u32_e64 v22, null, s61, v12, vcc_lo
	v_add_co_u32 v23, vcc_lo, s60, v13
	s_wait_alu 0xfffd
	v_add_co_ci_u32_e64 v24, null, s61, v14, vcc_lo
	s_wait_alu 0xfffe
	v_add_co_u32 v25, vcc_lo, v29, s6
	s_wait_alu 0xfffd
	v_add_co_ci_u32_e64 v26, null, s7, v30, vcc_lo
	s_branch .LBB400_62
.LBB400_61:                             ;   in Loop: Header=BB400_62 Depth=2
	s_wait_alu 0xfffe
	s_or_b32 exec_lo, exec_lo, s6
	v_add_co_u32 v25, vcc_lo, v25, s52
	s_wait_alu 0xfffd
	v_add_co_ci_u32_e64 v26, null, s53, v26, vcc_lo
	s_add_co_i32 s24, s24, 1
	s_wait_alu 0xfffe
	s_cmp_ge_i32 s24, s21
	s_cbranch_scc1 .LBB400_2
.LBB400_62:                             ;   Parent Loop BB400_3 Depth=1
                                        ; =>  This Loop Header: Depth=2
                                        ;       Child Loop BB400_75 Depth 3
                                        ;       Child Loop BB400_78 Depth 3
	s_wait_dscnt 0x0
	v_mov_b32_e32 v41, s25
	s_and_saveexec_b32 s6, s1
	s_wait_alu 0xfffe
	s_xor_b32 s6, exec_lo, s6
	s_cbranch_execnz .LBB400_71
; %bb.63:                               ;   in Loop: Header=BB400_62 Depth=2
	s_wait_alu 0xfffe
	s_and_not1_saveexec_b32 s11, s6
	s_cbranch_execnz .LBB400_72
.LBB400_64:                             ;   in Loop: Header=BB400_62 Depth=2
	s_wait_alu 0xfffe
	s_or_b32 exec_lo, exec_lo, s11
	s_and_saveexec_b32 s6, s3
.LBB400_65:                             ;   in Loop: Header=BB400_62 Depth=2
	ds_store_b32 v31, v0
.LBB400_66:                             ;   in Loop: Header=BB400_62 Depth=2
	s_wait_alu 0xfffe
	s_or_b32 exec_lo, exec_lo, s6
	ds_bpermute_b32 v27, v34, v41
	s_wait_storecnt 0x0
	s_wait_loadcnt_dscnt 0x0
	s_barrier_signal -1
	s_barrier_wait -1
	global_inv scope:SCOPE_SE
	v_add_f32_e32 v27, v41, v27
	ds_bpermute_b32 v28, v37, v27
	s_wait_dscnt 0x0
	v_add_f32_e32 v27, v27, v28
	ds_bpermute_b32 v28, v38, v27
	s_wait_dscnt 0x0
	;; [unrolled: 3-line block ×3, first 2 shown]
	v_add_f32_e32 v27, v27, v28
	ds_bpermute_b32 v28, v40, v27
	s_and_saveexec_b32 s6, s4
	s_cbranch_execz .LBB400_68
; %bb.67:                               ;   in Loop: Header=BB400_62 Depth=2
	s_wait_dscnt 0x0
	v_add_f32_e32 v27, v27, v28
	ds_store_b32 v32, v27
.LBB400_68:                             ;   in Loop: Header=BB400_62 Depth=2
	s_wait_alu 0xfffe
	s_or_b32 exec_lo, exec_lo, s6
	v_mov_b32_e32 v27, 0
	s_wait_loadcnt_dscnt 0x0
	s_barrier_signal -1
	s_barrier_wait -1
	global_inv scope:SCOPE_SE
	s_and_saveexec_b32 s6, s5
	s_cbranch_execnz .LBB400_80
; %bb.69:                               ;   in Loop: Header=BB400_62 Depth=2
	s_wait_alu 0xfffe
	s_or_b32 exec_lo, exec_lo, s6
	s_and_saveexec_b32 s6, s3
	s_cbranch_execnz .LBB400_81
.LBB400_70:                             ;   in Loop: Header=BB400_62 Depth=2
	s_wait_alu 0xfffe
	s_or_b32 exec_lo, exec_lo, s6
	s_and_saveexec_b32 s6, s0
	s_cbranch_execz .LBB400_61
	s_branch .LBB400_82
.LBB400_71:                             ;   in Loop: Header=BB400_62 Depth=2
	s_mul_u64 s[8:9], s[24:25], s[26:27]
	s_wait_alu 0xfffe
	s_lshl_b64 s[8:9], s[8:9], 1
	s_wait_alu 0xfffe
	v_add_co_u32 v1, vcc_lo, v35, s8
	s_wait_alu 0xfffd
	v_add_co_ci_u32_e64 v2, null, s9, v36, vcc_lo
	global_load_b64 v[27:28], v[1:2], off
	s_clause 0x3
	global_load_u16 v1, v[17:18], off
	global_load_u16 v2, v[19:20], off
	;; [unrolled: 1-line block ×4, first 2 shown]
	s_wait_loadcnt 0x3
	v_fma_mix_f32 v4, v1, v27, 0 op_sel_hi:[1,1,0]
	v_cvt_f32_f16_e32 v1, v1
	s_wait_loadcnt 0x2
	s_delay_alu instid0(VALU_DEP_2) | instskip(SKIP_2) | instid1(VALU_DEP_2)
	v_fma_mix_f32 v4, v2, v27, v4 op_sel:[0,1,0] op_sel_hi:[1,1,0]
	v_cvt_f32_f16_e32 v2, v2
	s_wait_loadcnt 0x1
	v_fma_mix_f32 v27, v3, v28, v4 op_sel_hi:[1,1,0]
	v_cvt_f32_f16_e32 v3, v3
	s_wait_loadcnt 0x0
	v_cvt_f32_f16_e32 v4, v41
	s_delay_alu instid0(VALU_DEP_3)
	v_fma_mix_f32 v41, v41, v28, v27 op_sel:[0,1,0] op_sel_hi:[1,1,0]
	s_and_not1_saveexec_b32 s11, s6
	s_cbranch_execz .LBB400_64
.LBB400_72:                             ;   in Loop: Header=BB400_62 Depth=2
	s_and_saveexec_b32 s58, s2
	s_cbranch_execz .LBB400_79
; %bb.73:                               ;   in Loop: Header=BB400_62 Depth=2
	s_and_not1_b32 vcc_lo, exec_lo, s20
	s_wait_alu 0xfffe
	s_cbranch_vccnz .LBB400_76
; %bb.74:                               ;   in Loop: Header=BB400_62 Depth=2
	v_dual_mov_b32 v28, v16 :: v_dual_mov_b32 v27, v15
	s_mov_b64 s[8:9], 0
.LBB400_75:                             ;   Parent Loop BB400_3 Depth=1
                                        ;     Parent Loop BB400_62 Depth=2
                                        ; =>    This Inner Loop Header: Depth=3
	global_load_u16 v42, v[27:28], off
	s_wait_alu 0xfffe
	s_cmp_eq_u32 s8, 3
	v_add_co_u32 v27, vcc_lo, v27, s44
	s_wait_alu 0xfffd
	v_add_co_ci_u32_e64 v28, null, s45, v28, vcc_lo
	s_cselect_b32 vcc_lo, -1, 0
	s_cmp_eq_u32 s8, 2
	s_cselect_b32 s6, -1, 0
	s_cmp_eq_u32 s8, 1
	s_cselect_b32 s7, -1, 0
	s_cmp_eq_u32 s8, 0
	s_add_nc_u64 s[8:9], s[8:9], 1
	s_wait_loadcnt 0x0
	v_cvt_f32_f16_e32 v42, v42
	s_wait_alu 0xfffe
	s_delay_alu instid0(VALU_DEP_1)
	v_cndmask_b32_e32 v4, v4, v42, vcc_lo
	s_cselect_b32 vcc_lo, -1, 0
	v_cndmask_b32_e64 v3, v3, v42, s6
	v_cndmask_b32_e64 v2, v2, v42, s7
	s_wait_alu 0xfffe
	v_cndmask_b32_e32 v1, v1, v42, vcc_lo
	s_cmp_eq_u32 s64, s8
	s_cbranch_scc0 .LBB400_75
.LBB400_76:                             ;   in Loop: Header=BB400_62 Depth=2
	s_and_not1_b32 vcc_lo, exec_lo, s20
	s_wait_alu 0xfffe
	s_cbranch_vccnz .LBB400_79
; %bb.77:                               ;   in Loop: Header=BB400_62 Depth=2
	v_dual_mov_b32 v28, v26 :: v_dual_mov_b32 v27, v25
	s_mov_b64 s[6:7], 0
.LBB400_78:                             ;   Parent Loop BB400_3 Depth=1
                                        ;     Parent Loop BB400_62 Depth=2
                                        ; =>    This Inner Loop Header: Depth=3
	global_load_u16 v42, v[27:28], off
	s_wait_alu 0xfffe
	s_cmp_eq_u32 s6, 1
	s_cselect_b32 vcc_lo, -1, 0
	s_cmp_eq_u32 s6, 2
	s_wait_alu 0xfffe
	v_cndmask_b32_e32 v43, v1, v2, vcc_lo
	s_cselect_b32 vcc_lo, -1, 0
	s_cmp_eq_u32 s6, 3
	s_add_nc_u64 s[6:7], s[6:7], 1
	s_wait_alu 0xfffe
	v_cndmask_b32_e32 v43, v43, v3, vcc_lo
	s_cselect_b32 vcc_lo, -1, 0
	s_cmp_lg_u32 s64, s6
	s_wait_alu 0xfffe
	s_delay_alu instid0(VALU_DEP_1)
	v_cndmask_b32_e32 v43, v43, v4, vcc_lo
	v_add_co_u32 v27, vcc_lo, v27, 2
	s_wait_alu 0xfffd
	v_add_co_ci_u32_e64 v28, null, 0, v28, vcc_lo
	s_wait_loadcnt 0x0
	v_fma_mix_f32 v41, v43, v42, v41 op_sel_hi:[0,1,0]
	s_cbranch_scc1 .LBB400_78
.LBB400_79:                             ;   in Loop: Header=BB400_62 Depth=2
	s_wait_alu 0xfffe
	s_or_b32 exec_lo, exec_lo, s58
	s_delay_alu instid0(SALU_CYCLE_1)
	s_or_b32 exec_lo, exec_lo, s11
	s_and_saveexec_b32 s6, s3
	s_cbranch_execnz .LBB400_65
	s_branch .LBB400_66
.LBB400_80:                             ;   in Loop: Header=BB400_62 Depth=2
	ds_load_b32 v27, v31
	s_wait_alu 0xfffe
	s_or_b32 exec_lo, exec_lo, s6
	s_and_saveexec_b32 s6, s3
	s_cbranch_execz .LBB400_70
.LBB400_81:                             ;   in Loop: Header=BB400_62 Depth=2
	s_wait_dscnt 0x0
	ds_bpermute_b32 v28, v38, v27
	s_wait_dscnt 0x0
	v_add_f32_e32 v27, v27, v28
	ds_bpermute_b32 v28, v39, v27
	s_wait_dscnt 0x0
	v_add_f32_e32 v27, v27, v28
	;; [unrolled: 3-line block ×3, first 2 shown]
	s_wait_alu 0xfffe
	s_or_b32 exec_lo, exec_lo, s6
	s_and_saveexec_b32 s6, s0
	s_cbranch_execz .LBB400_61
.LBB400_82:                             ;   in Loop: Header=BB400_62 Depth=2
	s_mul_u64 s[8:9], s[24:25], s[28:29]
	s_wait_dscnt 0x0
	v_mul_f32_e32 v27, s22, v27
	s_wait_alu 0xfffe
	s_lshl_b64 s[8:9], s[8:9], 2
	s_wait_alu 0xfffe
	s_add_nc_u64 s[8:9], s[56:57], s[8:9]
	global_store_b32 v0, v27, s[8:9]
	s_branch .LBB400_61
.LBB400_83:
	s_endpgm
	.section	.rodata,"a",@progbits
	.p2align	6, 0x0
	.amdhsa_kernel _ZL23rocblas_gemvt_sn_kernelILb0ELi256ELi4ElDF16_ffEviiT4_lPKT3_lilS3_lilPT5_i
		.amdhsa_group_segment_fixed_size 128
		.amdhsa_private_segment_fixed_size 0
		.amdhsa_kernarg_size 360
		.amdhsa_user_sgpr_count 2
		.amdhsa_user_sgpr_dispatch_ptr 0
		.amdhsa_user_sgpr_queue_ptr 0
		.amdhsa_user_sgpr_kernarg_segment_ptr 1
		.amdhsa_user_sgpr_dispatch_id 0
		.amdhsa_user_sgpr_private_segment_size 0
		.amdhsa_wavefront_size32 1
		.amdhsa_uses_dynamic_stack 0
		.amdhsa_enable_private_segment 0
		.amdhsa_system_sgpr_workgroup_id_x 1
		.amdhsa_system_sgpr_workgroup_id_y 0
		.amdhsa_system_sgpr_workgroup_id_z 1
		.amdhsa_system_sgpr_workgroup_info 0
		.amdhsa_system_vgpr_workitem_id 0
		.amdhsa_next_free_vgpr 52
		.amdhsa_next_free_sgpr 70
		.amdhsa_reserve_vcc 1
		.amdhsa_float_round_mode_32 0
		.amdhsa_float_round_mode_16_64 0
		.amdhsa_float_denorm_mode_32 3
		.amdhsa_float_denorm_mode_16_64 3
		.amdhsa_fp16_overflow 0
		.amdhsa_workgroup_processor_mode 1
		.amdhsa_memory_ordered 1
		.amdhsa_forward_progress 1
		.amdhsa_inst_pref_size 36
		.amdhsa_round_robin_scheduling 0
		.amdhsa_exception_fp_ieee_invalid_op 0
		.amdhsa_exception_fp_denorm_src 0
		.amdhsa_exception_fp_ieee_div_zero 0
		.amdhsa_exception_fp_ieee_overflow 0
		.amdhsa_exception_fp_ieee_underflow 0
		.amdhsa_exception_fp_ieee_inexact 0
		.amdhsa_exception_int_div_zero 0
	.end_amdhsa_kernel
	.section	.text._ZL23rocblas_gemvt_sn_kernelILb0ELi256ELi4ElDF16_ffEviiT4_lPKT3_lilS3_lilPT5_i,"axG",@progbits,_ZL23rocblas_gemvt_sn_kernelILb0ELi256ELi4ElDF16_ffEviiT4_lPKT3_lilS3_lilPT5_i,comdat
.Lfunc_end400:
	.size	_ZL23rocblas_gemvt_sn_kernelILb0ELi256ELi4ElDF16_ffEviiT4_lPKT3_lilS3_lilPT5_i, .Lfunc_end400-_ZL23rocblas_gemvt_sn_kernelILb0ELi256ELi4ElDF16_ffEviiT4_lPKT3_lilS3_lilPT5_i
                                        ; -- End function
	.set _ZL23rocblas_gemvt_sn_kernelILb0ELi256ELi4ElDF16_ffEviiT4_lPKT3_lilS3_lilPT5_i.num_vgpr, 52
	.set _ZL23rocblas_gemvt_sn_kernelILb0ELi256ELi4ElDF16_ffEviiT4_lPKT3_lilS3_lilPT5_i.num_agpr, 0
	.set _ZL23rocblas_gemvt_sn_kernelILb0ELi256ELi4ElDF16_ffEviiT4_lPKT3_lilS3_lilPT5_i.numbered_sgpr, 70
	.set _ZL23rocblas_gemvt_sn_kernelILb0ELi256ELi4ElDF16_ffEviiT4_lPKT3_lilS3_lilPT5_i.num_named_barrier, 0
	.set _ZL23rocblas_gemvt_sn_kernelILb0ELi256ELi4ElDF16_ffEviiT4_lPKT3_lilS3_lilPT5_i.private_seg_size, 0
	.set _ZL23rocblas_gemvt_sn_kernelILb0ELi256ELi4ElDF16_ffEviiT4_lPKT3_lilS3_lilPT5_i.uses_vcc, 1
	.set _ZL23rocblas_gemvt_sn_kernelILb0ELi256ELi4ElDF16_ffEviiT4_lPKT3_lilS3_lilPT5_i.uses_flat_scratch, 0
	.set _ZL23rocblas_gemvt_sn_kernelILb0ELi256ELi4ElDF16_ffEviiT4_lPKT3_lilS3_lilPT5_i.has_dyn_sized_stack, 0
	.set _ZL23rocblas_gemvt_sn_kernelILb0ELi256ELi4ElDF16_ffEviiT4_lPKT3_lilS3_lilPT5_i.has_recursion, 0
	.set _ZL23rocblas_gemvt_sn_kernelILb0ELi256ELi4ElDF16_ffEviiT4_lPKT3_lilS3_lilPT5_i.has_indirect_call, 0
	.section	.AMDGPU.csdata,"",@progbits
; Kernel info:
; codeLenInByte = 4576
; TotalNumSgprs: 72
; NumVgprs: 52
; ScratchSize: 0
; MemoryBound: 0
; FloatMode: 240
; IeeeMode: 1
; LDSByteSize: 128 bytes/workgroup (compile time only)
; SGPRBlocks: 0
; VGPRBlocks: 6
; NumSGPRsForWavesPerEU: 72
; NumVGPRsForWavesPerEU: 52
; Occupancy: 16
; WaveLimiterHint : 0
; COMPUTE_PGM_RSRC2:SCRATCH_EN: 0
; COMPUTE_PGM_RSRC2:USER_SGPR: 2
; COMPUTE_PGM_RSRC2:TRAP_HANDLER: 0
; COMPUTE_PGM_RSRC2:TGID_X_EN: 1
; COMPUTE_PGM_RSRC2:TGID_Y_EN: 0
; COMPUTE_PGM_RSRC2:TGID_Z_EN: 1
; COMPUTE_PGM_RSRC2:TIDIG_COMP_CNT: 0
	.section	.text._ZL23rocblas_gemvt_sn_reduceILi256ELi8EffDF16_EviT2_lPT3_lilPT1_i,"axG",@progbits,_ZL23rocblas_gemvt_sn_reduceILi256ELi8EffDF16_EviT2_lPT3_lilPT1_i,comdat
	.globl	_ZL23rocblas_gemvt_sn_reduceILi256ELi8EffDF16_EviT2_lPT3_lilPT1_i ; -- Begin function _ZL23rocblas_gemvt_sn_reduceILi256ELi8EffDF16_EviT2_lPT3_lilPT1_i
	.p2align	8
	.type	_ZL23rocblas_gemvt_sn_reduceILi256ELi8EffDF16_EviT2_lPT3_lilPT1_i,@function
_ZL23rocblas_gemvt_sn_reduceILi256ELi8EffDF16_EviT2_lPT3_lilPT1_i: ; @_ZL23rocblas_gemvt_sn_reduceILi256ELi8EffDF16_EviT2_lPT3_lilPT1_i
; %bb.0:
	s_load_b32 s26, s[0:1], 0x38
	s_lshr_b32 s12, ttmp7, 16
	s_wait_kmcnt 0x0
	s_cmp_ge_u32 s12, s26
	s_cbranch_scc1 .LBB401_21
; %bb.1:
	s_clause 0x5
	s_load_b32 s27, s[0:1], 0x44
	s_load_b32 s4, s[0:1], 0x4c
	;; [unrolled: 1-line block ×3, first 2 shown]
	s_load_b128 s[20:23], s[0:1], 0x10
	s_load_b64 s[6:7], s[0:1], 0x0
	s_load_b128 s[8:11], s[0:1], 0x28
	v_mbcnt_lo_u32_b32 v4, -1, 0
	v_and_b32_e32 v3, 31, v0
	v_dual_mov_b32 v2, 0 :: v_dual_lshlrev_b32 v7, 3, v0
	v_cmp_gt_u32_e64 s0, 32, v0
	s_delay_alu instid0(VALU_DEP_4) | instskip(NEXT) | instid1(VALU_DEP_4)
	v_cmp_gt_u32_e32 vcc_lo, 24, v4
	v_lshlrev_b32_e32 v8, 2, v3
	v_cmp_eq_u32_e64 s5, 0, v0
	v_lshl_or_b32 v9, v4, 2, 64
	s_mov_b32 s13, 0
	v_cndmask_b32_e64 v5, 0, 8, vcc_lo
	v_cmp_gt_u32_e32 vcc_lo, 28, v4
	s_and_b32 s14, ttmp7, 0xffff
	s_mov_b32 s15, s13
	s_delay_alu instid0(VALU_DEP_2)
	v_add_lshl_u32 v10, v5, v4, 2
	s_wait_alu 0xfffd
	v_cndmask_b32_e64 v6, 0, 4, vcc_lo
	v_cmp_gt_u32_e32 vcc_lo, 30, v4
	s_wait_kmcnt 0x0
	s_ashr_i32 s17, s6, 31
	s_lshl_b64 s[2:3], s[22:23], 1
	s_lshr_b32 s1, s17, 29
	s_add_nc_u64 s[18:19], s[20:21], s[2:3]
	s_add_co_i32 s1, s6, s1
	v_cmp_eq_u32_e64 s3, 0, v3
	v_lshlrev_b32_e32 v3, 5, v0
	s_and_b32 s28, s1, -8
	s_wait_alu 0xfffd
	v_cndmask_b32_e64 v12, 0, 2, vcc_lo
	v_cmp_ne_u32_e32 vcc_lo, 31, v4
	s_sub_co_i32 s2, s6, s28
	s_mov_b32 s16, s6
	s_and_b32 s33, s4, 0xffff
	v_xad_u32 v1, v0, -1, s6
	v_cmp_gt_u32_e64 s2, s2, v0
	v_lshrrev_b32_e32 v5, 3, v0
	v_cmp_gt_u32_e64 s4, 8, v0
	v_add_co_u32 v0, s6, s10, v3
	s_wait_alu 0xfffd
	v_add_co_ci_u32_e64 v13, null, 0, v4, vcc_lo
	v_add_lshl_u32 v11, v6, v4, 2
	v_add_lshl_u32 v12, v12, v4, 2
	s_wait_alu 0xf1ff
	v_add_co_ci_u32_e64 v4, null, s11, 0, s6
	s_ashr_i32 s25, s24, 31
	s_lshl_b32 s29, s33, 3
	v_add_co_u32 v3, vcc_lo, v0, 28
	s_cmp_neq_f32 s7, 0
	v_lshlrev_b64_e32 v[0:1], 2, v[1:2]
	v_cmp_gt_i32_e64 s1, s28, v7
	v_lshlrev_b32_e32 v13, 2, v13
	v_and_b32_e32 v14, 28, v5
	s_wait_alu 0xfffd
	v_add_co_ci_u32_e64 v4, null, 0, v4, vcc_lo
	s_mul_u64 s[22:23], s[24:25], s[14:15]
	s_mul_i32 s6, s12, s27
	s_cselect_b32 s30, -1, 0
	s_lshl_b64 s[20:21], s[16:17], 2
	s_wait_alu 0xfffe
	s_add_co_i32 s15, s14, s6
	s_lshl_b32 s31, s27, 16
	s_lshl_b32 s33, s33, 5
	s_lshl_b64 s[22:23], s[22:23], 1
	s_branch .LBB401_4
.LBB401_2:                              ;   in Loop: Header=BB401_4 Depth=1
	s_wait_dscnt 0x0
	s_delay_alu instid0(VALU_DEP_1)
	v_cvt_f16_f32_e32 v5, v5
	global_store_b16 v2, v5, s[24:25]
.LBB401_3:                              ;   in Loop: Header=BB401_4 Depth=1
	s_wait_alu 0xfffe
	s_or_b32 exec_lo, exec_lo, s6
	s_add_co_i32 s12, s12, 0x10000
	s_add_co_i32 s15, s15, s31
	s_cmp_lt_u32 s12, s26
	s_cbranch_scc0 .LBB401_21
.LBB401_4:                              ; =>This Loop Header: Depth=1
                                        ;     Child Loop BB401_14 Depth 2
	v_mov_b32_e32 v15, 0
	s_and_saveexec_b32 s24, s1
	s_cbranch_execnz .LBB401_13
; %bb.5:                                ;   in Loop: Header=BB401_4 Depth=1
	s_wait_alu 0xfffe
	s_or_b32 exec_lo, exec_lo, s24
	s_and_saveexec_b32 s6, s2
	s_cbranch_execnz .LBB401_16
.LBB401_6:                              ;   in Loop: Header=BB401_4 Depth=1
	s_wait_alu 0xfffe
	s_or_b32 exec_lo, exec_lo, s6
	s_and_saveexec_b32 s6, s0
.LBB401_7:                              ;   in Loop: Header=BB401_4 Depth=1
	ds_store_b32 v8, v2
.LBB401_8:                              ;   in Loop: Header=BB401_4 Depth=1
	s_wait_alu 0xfffe
	s_or_b32 exec_lo, exec_lo, s6
	s_wait_dscnt 0x0
	ds_bpermute_b32 v5, v9, v15
	s_wait_dscnt 0x0
	s_barrier_signal -1
	s_barrier_wait -1
	global_inv scope:SCOPE_SE
	v_add_f32_e32 v5, v15, v5
	ds_bpermute_b32 v6, v10, v5
	s_wait_dscnt 0x0
	v_add_f32_e32 v5, v5, v6
	ds_bpermute_b32 v6, v11, v5
	s_wait_dscnt 0x0
	v_add_f32_e32 v5, v5, v6
	ds_bpermute_b32 v6, v12, v5
	s_wait_dscnt 0x0
	v_add_f32_e32 v5, v5, v6
	ds_bpermute_b32 v6, v13, v5
	s_and_saveexec_b32 s6, s3
	s_cbranch_execz .LBB401_10
; %bb.9:                                ;   in Loop: Header=BB401_4 Depth=1
	s_wait_dscnt 0x0
	v_add_f32_e32 v5, v5, v6
	ds_store_b32 v14, v5
.LBB401_10:                             ;   in Loop: Header=BB401_4 Depth=1
	s_wait_alu 0xfffe
	s_or_b32 exec_lo, exec_lo, s6
	v_mov_b32_e32 v5, 0
	s_wait_loadcnt_dscnt 0x0
	s_barrier_signal -1
	s_barrier_wait -1
	global_inv scope:SCOPE_SE
	s_and_saveexec_b32 s6, s4
	s_cbranch_execnz .LBB401_17
; %bb.11:                               ;   in Loop: Header=BB401_4 Depth=1
	s_wait_alu 0xfffe
	s_or_b32 exec_lo, exec_lo, s6
	s_and_saveexec_b32 s6, s0
	s_cbranch_execnz .LBB401_18
.LBB401_12:                             ;   in Loop: Header=BB401_4 Depth=1
	s_wait_alu 0xfffe
	s_or_b32 exec_lo, exec_lo, s6
	s_and_saveexec_b32 s6, s5
	s_cbranch_execz .LBB401_3
	s_branch .LBB401_19
.LBB401_13:                             ;   in Loop: Header=BB401_4 Depth=1
	s_wait_dscnt 0x0
	s_wait_alu 0xfffe
	v_mad_co_u64_u32 v[5:6], null, s20, s15, v[3:4]
	s_mov_b32 s25, 0
	v_mad_co_u64_u32 v[16:17], null, s21, s15, v[6:7]
	s_delay_alu instid0(VALU_DEP_1)
	v_dual_mov_b32 v15, 0 :: v_dual_mov_b32 v6, v16
	v_mov_b32_e32 v16, v7
.LBB401_14:                             ;   Parent Loop BB401_4 Depth=1
                                        ; =>  This Inner Loop Header: Depth=2
	s_clause 0x1
	global_load_b128 v[17:20], v[5:6], off offset:-28
	global_load_b128 v[21:24], v[5:6], off offset:-12
	v_add_co_u32 v5, vcc_lo, v5, s33
	s_wait_alu 0xfffd
	v_add_co_ci_u32_e64 v6, null, 0, v6, vcc_lo
	v_add_nc_u32_e32 v16, s29, v16
	s_delay_alu instid0(VALU_DEP_1) | instskip(SKIP_4) | instid1(VALU_DEP_1)
	v_cmp_le_i32_e64 s6, s28, v16
	s_wait_alu 0xfffe
	s_or_b32 s25, s6, s25
	s_wait_loadcnt 0x1
	v_add_f32_e32 v15, v15, v17
	v_add_f32_e32 v15, v15, v18
	s_delay_alu instid0(VALU_DEP_1) | instskip(NEXT) | instid1(VALU_DEP_1)
	v_add_f32_e32 v15, v15, v19
	v_add_f32_e32 v15, v15, v20
	s_wait_loadcnt 0x0
	s_delay_alu instid0(VALU_DEP_1) | instskip(NEXT) | instid1(VALU_DEP_1)
	v_add_f32_e32 v15, v15, v21
	v_add_f32_e32 v15, v15, v22
	s_delay_alu instid0(VALU_DEP_1) | instskip(NEXT) | instid1(VALU_DEP_1)
	v_add_f32_e32 v15, v15, v23
	v_add_f32_e32 v15, v15, v24
	s_wait_alu 0xfffe
	s_and_not1_b32 exec_lo, exec_lo, s25
	s_cbranch_execnz .LBB401_14
; %bb.15:                               ;   in Loop: Header=BB401_4 Depth=1
	s_or_b32 exec_lo, exec_lo, s25
	s_delay_alu instid0(SALU_CYCLE_1)
	s_or_b32 exec_lo, exec_lo, s24
	s_and_saveexec_b32 s6, s2
	s_cbranch_execz .LBB401_6
.LBB401_16:                             ;   in Loop: Header=BB401_4 Depth=1
	s_mul_i32 s24, s27, s12
	s_mov_b32 s25, s13
	s_wait_alu 0xfffe
	s_add_co_i32 s24, s24, s14
	s_wait_alu 0xfffe
	s_mul_u64 s[24:25], s[24:25], s[16:17]
	s_wait_alu 0xfffe
	s_lshl_b64 s[24:25], s[24:25], 2
	s_wait_alu 0xfffe
	s_add_nc_u64 s[24:25], s[10:11], s[24:25]
	s_wait_dscnt 0x0
	s_wait_alu 0xfffe
	v_add_co_u32 v5, vcc_lo, s24, v0
	s_wait_alu 0xfffd
	v_add_co_ci_u32_e64 v6, null, s25, v1, vcc_lo
	global_load_b32 v5, v[5:6], off
	s_wait_loadcnt 0x0
	v_add_f32_e32 v15, v15, v5
	s_or_b32 exec_lo, exec_lo, s6
	s_and_saveexec_b32 s6, s0
	s_cbranch_execnz .LBB401_7
	s_branch .LBB401_8
.LBB401_17:                             ;   in Loop: Header=BB401_4 Depth=1
	ds_load_b32 v5, v8
	s_wait_alu 0xfffe
	s_or_b32 exec_lo, exec_lo, s6
	s_and_saveexec_b32 s6, s0
	s_cbranch_execz .LBB401_12
.LBB401_18:                             ;   in Loop: Header=BB401_4 Depth=1
	s_wait_dscnt 0x0
	ds_bpermute_b32 v6, v11, v5
	s_wait_dscnt 0x0
	v_add_f32_e32 v5, v5, v6
	ds_bpermute_b32 v6, v12, v5
	s_wait_dscnt 0x0
	v_add_f32_e32 v5, v5, v6
	;; [unrolled: 3-line block ×3, first 2 shown]
	s_wait_alu 0xfffe
	s_or_b32 exec_lo, exec_lo, s6
	s_and_saveexec_b32 s6, s5
	s_cbranch_execz .LBB401_3
.LBB401_19:                             ;   in Loop: Header=BB401_4 Depth=1
	s_mul_u64 s[24:25], s[8:9], s[12:13]
	s_and_not1_b32 vcc_lo, exec_lo, s30
	s_wait_alu 0xfffe
	s_lshl_b64 s[24:25], s[24:25], 1
	s_wait_alu 0xfffe
	s_add_nc_u64 s[24:25], s[18:19], s[24:25]
	s_wait_alu 0xfffe
	s_add_nc_u64 s[24:25], s[24:25], s[22:23]
	s_cbranch_vccnz .LBB401_2
; %bb.20:                               ;   in Loop: Header=BB401_4 Depth=1
	global_load_u16 v6, v2, s[24:25]
	s_wait_loadcnt_dscnt 0x0
	v_fma_mix_f32 v5, s7, v6, v5 op_sel_hi:[0,1,0]
	s_branch .LBB401_2
.LBB401_21:
	s_endpgm
	.section	.rodata,"a",@progbits
	.p2align	6, 0x0
	.amdhsa_kernel _ZL23rocblas_gemvt_sn_reduceILi256ELi8EffDF16_EviT2_lPT3_lilPT1_i
		.amdhsa_group_segment_fixed_size 128
		.amdhsa_private_segment_fixed_size 0
		.amdhsa_kernarg_size 320
		.amdhsa_user_sgpr_count 2
		.amdhsa_user_sgpr_dispatch_ptr 0
		.amdhsa_user_sgpr_queue_ptr 0
		.amdhsa_user_sgpr_kernarg_segment_ptr 1
		.amdhsa_user_sgpr_dispatch_id 0
		.amdhsa_user_sgpr_private_segment_size 0
		.amdhsa_wavefront_size32 1
		.amdhsa_uses_dynamic_stack 0
		.amdhsa_enable_private_segment 0
		.amdhsa_system_sgpr_workgroup_id_x 1
		.amdhsa_system_sgpr_workgroup_id_y 1
		.amdhsa_system_sgpr_workgroup_id_z 1
		.amdhsa_system_sgpr_workgroup_info 0
		.amdhsa_system_vgpr_workitem_id 0
		.amdhsa_next_free_vgpr 25
		.amdhsa_next_free_sgpr 34
		.amdhsa_reserve_vcc 1
		.amdhsa_float_round_mode_32 0
		.amdhsa_float_round_mode_16_64 0
		.amdhsa_float_denorm_mode_32 3
		.amdhsa_float_denorm_mode_16_64 3
		.amdhsa_fp16_overflow 0
		.amdhsa_workgroup_processor_mode 1
		.amdhsa_memory_ordered 1
		.amdhsa_forward_progress 1
		.amdhsa_inst_pref_size 10
		.amdhsa_round_robin_scheduling 0
		.amdhsa_exception_fp_ieee_invalid_op 0
		.amdhsa_exception_fp_denorm_src 0
		.amdhsa_exception_fp_ieee_div_zero 0
		.amdhsa_exception_fp_ieee_overflow 0
		.amdhsa_exception_fp_ieee_underflow 0
		.amdhsa_exception_fp_ieee_inexact 0
		.amdhsa_exception_int_div_zero 0
	.end_amdhsa_kernel
	.section	.text._ZL23rocblas_gemvt_sn_reduceILi256ELi8EffDF16_EviT2_lPT3_lilPT1_i,"axG",@progbits,_ZL23rocblas_gemvt_sn_reduceILi256ELi8EffDF16_EviT2_lPT3_lilPT1_i,comdat
.Lfunc_end401:
	.size	_ZL23rocblas_gemvt_sn_reduceILi256ELi8EffDF16_EviT2_lPT3_lilPT1_i, .Lfunc_end401-_ZL23rocblas_gemvt_sn_reduceILi256ELi8EffDF16_EviT2_lPT3_lilPT1_i
                                        ; -- End function
	.set _ZL23rocblas_gemvt_sn_reduceILi256ELi8EffDF16_EviT2_lPT3_lilPT1_i.num_vgpr, 25
	.set _ZL23rocblas_gemvt_sn_reduceILi256ELi8EffDF16_EviT2_lPT3_lilPT1_i.num_agpr, 0
	.set _ZL23rocblas_gemvt_sn_reduceILi256ELi8EffDF16_EviT2_lPT3_lilPT1_i.numbered_sgpr, 34
	.set _ZL23rocblas_gemvt_sn_reduceILi256ELi8EffDF16_EviT2_lPT3_lilPT1_i.num_named_barrier, 0
	.set _ZL23rocblas_gemvt_sn_reduceILi256ELi8EffDF16_EviT2_lPT3_lilPT1_i.private_seg_size, 0
	.set _ZL23rocblas_gemvt_sn_reduceILi256ELi8EffDF16_EviT2_lPT3_lilPT1_i.uses_vcc, 1
	.set _ZL23rocblas_gemvt_sn_reduceILi256ELi8EffDF16_EviT2_lPT3_lilPT1_i.uses_flat_scratch, 0
	.set _ZL23rocblas_gemvt_sn_reduceILi256ELi8EffDF16_EviT2_lPT3_lilPT1_i.has_dyn_sized_stack, 0
	.set _ZL23rocblas_gemvt_sn_reduceILi256ELi8EffDF16_EviT2_lPT3_lilPT1_i.has_recursion, 0
	.set _ZL23rocblas_gemvt_sn_reduceILi256ELi8EffDF16_EviT2_lPT3_lilPT1_i.has_indirect_call, 0
	.section	.AMDGPU.csdata,"",@progbits
; Kernel info:
; codeLenInByte = 1200
; TotalNumSgprs: 36
; NumVgprs: 25
; ScratchSize: 0
; MemoryBound: 0
; FloatMode: 240
; IeeeMode: 1
; LDSByteSize: 128 bytes/workgroup (compile time only)
; SGPRBlocks: 0
; VGPRBlocks: 3
; NumSGPRsForWavesPerEU: 36
; NumVGPRsForWavesPerEU: 25
; Occupancy: 16
; WaveLimiterHint : 0
; COMPUTE_PGM_RSRC2:SCRATCH_EN: 0
; COMPUTE_PGM_RSRC2:USER_SGPR: 2
; COMPUTE_PGM_RSRC2:TRAP_HANDLER: 0
; COMPUTE_PGM_RSRC2:TGID_X_EN: 1
; COMPUTE_PGM_RSRC2:TGID_Y_EN: 1
; COMPUTE_PGM_RSRC2:TGID_Z_EN: 1
; COMPUTE_PGM_RSRC2:TIDIG_COMP_CNT: 0
	.section	.text._ZL32rocblas_gemvt_warp_reduce_kernelILb0ELi256EiDF16_PKfDF16_EviiT3_lPKT2_lT1_lS5_lS6_lS2_lPT4_lS6_li,"axG",@progbits,_ZL32rocblas_gemvt_warp_reduce_kernelILb0ELi256EiDF16_PKfDF16_EviiT3_lPKT2_lT1_lS5_lS6_lS2_lPT4_lS6_li,comdat
	.globl	_ZL32rocblas_gemvt_warp_reduce_kernelILb0ELi256EiDF16_PKfDF16_EviiT3_lPKT2_lT1_lS5_lS6_lS2_lPT4_lS6_li ; -- Begin function _ZL32rocblas_gemvt_warp_reduce_kernelILb0ELi256EiDF16_PKfDF16_EviiT3_lPKT2_lT1_lS5_lS6_lS2_lPT4_lS6_li
	.p2align	8
	.type	_ZL32rocblas_gemvt_warp_reduce_kernelILb0ELi256EiDF16_PKfDF16_EviiT3_lPKT2_lT1_lS5_lS6_lS2_lPT4_lS6_li,@function
_ZL32rocblas_gemvt_warp_reduce_kernelILb0ELi256EiDF16_PKfDF16_EviiT3_lPKT2_lT1_lS5_lS6_lS2_lPT4_lS6_li: ; @_ZL32rocblas_gemvt_warp_reduce_kernelILb0ELi256EiDF16_PKfDF16_EviiT3_lPKT2_lT1_lS5_lS6_lS2_lPT4_lS6_li
; %bb.0:
	s_load_b32 s7, s[0:1], 0x88
	s_lshr_b32 s28, ttmp7, 16
	s_wait_kmcnt 0x0
	s_cmp_ge_u32 s28, s7
	s_cbranch_scc1 .LBB402_34
; %bb.1:
	s_clause 0x7
	s_load_b96 s[4:6], s[0:1], 0x40
	s_load_b96 s[36:38], s[0:1], 0x70
	s_load_b256 s[8:15], s[0:1], 0x8
	s_load_b32 s33, s[0:1], 0x0
	s_load_b32 s39, s[0:1], 0x28
	s_load_b128 s[24:27], s[0:1], 0x30
	s_load_b256 s[16:23], s[0:1], 0x50
	s_load_b64 s[30:31], s[0:1], 0x80
	v_mov_b32_e32 v9, 0
	v_mbcnt_lo_u32_b32 v14, -1, 0
	v_cmp_eq_u32_e64 s0, 0, v0
	s_mov_b32 s29, 0
	v_lshl_or_b32 v16, v14, 2, 64
	s_wait_kmcnt 0x0
	s_lshl_b64 s[2:3], s[4:5], 1
	s_lshl_b64 s[4:5], s[36:37], 1
	;; [unrolled: 1-line block ×3, first 2 shown]
	v_cmp_gt_i32_e32 vcc_lo, s33, v0
	s_ashr_i32 s1, s33, 31
	s_add_nc_u64 s[14:15], s[26:27], s[2:3]
	s_lshr_b32 s1, s1, 24
	s_add_nc_u64 s[2:3], s[12:13], s[34:35]
	s_add_co_i32 s1, s33, s1
	v_cndmask_b32_e32 v1, 0, v0, vcc_lo
	s_and_b32 s26, s1, 0xffffff00
	s_mul_i32 s36, s38, ttmp9
	v_or_b32_e32 v2, s26, v0
	s_mul_i32 s38, s39, ttmp9
	v_lshlrev_b32_e32 v1, 1, v1
	s_ashr_i32 s39, s38, 31
	v_mul_lo_u32 v15, v0, s6
	v_mul_lo_u32 v3, s6, v2
	s_lshl_b64 s[38:39], s[38:39], 1
	v_add_co_u32 v4, s1, s2, v1
	s_delay_alu instid0(VALU_DEP_1)
	v_add_co_ci_u32_e64 v5, null, s3, 0, s1
	s_add_nc_u64 s[34:35], s[34:35], s[38:39]
	v_add_co_u32 v10, vcc_lo, v4, s38
	v_ashrrev_i32_e32 v4, 31, v3
	s_wait_alu 0xfffd
	v_add_co_ci_u32_e64 v11, null, s39, v5, vcc_lo
	v_cmp_gt_i32_e64 s2, s33, v2
	v_and_b32_e32 v2, 31, v0
	v_lshrrev_b32_e32 v5, 3, v0
	s_add_nc_u64 s[12:13], s[12:13], s[34:35]
	v_lshlrev_b64_e32 v[3:4], 1, v[3:4]
	v_add_co_u32 v1, s12, s12, v1
	s_add_nc_u64 s[22:23], s[22:23], s[4:5]
	v_cmp_gt_i32_e64 s1, s26, v0
	v_cmp_gt_u32_e64 s3, 32, v0
	v_lshlrev_b32_e32 v12, 2, v2
	v_cmp_eq_u32_e64 s4, 0, v2
	v_and_b32_e32 v13, 28, v5
	v_cmp_gt_u32_e64 s5, 8, v0
	s_wait_alu 0xf1ff
	v_add_co_ci_u32_e64 v2, null, s13, 0, s12
	s_ashr_i32 s37, s36, 31
	s_ashr_i32 s27, s26, 31
	s_lshl_b64 s[12:13], s[24:25], 1
	s_lshl_b32 s33, s6, 8
	s_lshl_b64 s[34:35], s[36:37], 1
	s_wait_alu 0xfffe
	s_lshl_b64 s[36:37], s[26:27], 1
	s_branch .LBB402_4
.LBB402_2:                              ;   in Loop: Header=BB402_4 Depth=1
	s_wait_alu 0xfffe
	s_or_b32 exec_lo, exec_lo, s6
.LBB402_3:                              ;   in Loop: Header=BB402_4 Depth=1
	s_add_co_i32 s28, s28, 0x10000
	s_wait_alu 0xfffe
	s_cmp_lt_u32 s28, s7
	s_cbranch_scc0 .LBB402_34
.LBB402_4:                              ; =>This Loop Header: Depth=1
                                        ;     Child Loop BB402_23 Depth 2
	s_mul_u64 s[38:39], s[10:11], s[28:29]
	s_mul_u64 s[40:41], s[20:21], s[28:29]
	s_wait_alu 0xfffe
	s_lshl_b64 s[38:39], s[38:39], 2
	s_lshl_b64 s[40:41], s[40:41], 2
	s_wait_alu 0xfffe
	s_add_nc_u64 s[38:39], s[8:9], s[38:39]
	s_add_nc_u64 s[40:41], s[18:19], s[40:41]
	s_clause 0x1
	global_load_b32 v17, v9, s[38:39]
	global_load_b32 v5, v9, s[40:41]
	s_wait_loadcnt 0x1
	v_cmp_eq_f32_e32 vcc_lo, 0, v17
	s_wait_loadcnt 0x0
	v_cmp_eq_f32_e64 s6, 1.0, v5
	v_readfirstlane_b32 s27, v5
	s_and_b32 s6, vcc_lo, s6
	s_wait_alu 0xfffe
	s_and_b32 vcc_lo, exec_lo, s6
	s_wait_alu 0xfffe
	s_cbranch_vccnz .LBB402_3
; %bb.5:                                ;   in Loop: Header=BB402_4 Depth=1
	v_cmp_neq_f32_e32 vcc_lo, 0, v17
	s_mul_u64 s[38:39], s[30:31], s[28:29]
	s_wait_alu 0xfffe
	s_lshl_b64 s[38:39], s[38:39], 1
	s_wait_alu 0xfffe
	s_add_nc_u64 s[38:39], s[22:23], s[38:39]
	s_cbranch_vccnz .LBB402_9
; %bb.6:                                ;   in Loop: Header=BB402_4 Depth=1
	s_mov_b32 s6, 0
	s_mov_b32 s42, 0
                                        ; implicit-def: $vgpr5
	s_and_saveexec_b32 s40, s0
	s_cbranch_execz .LBB402_10
; %bb.7:                                ;   in Loop: Header=BB402_4 Depth=1
	s_cmp_eq_f32 s27, 0
	s_cbranch_scc1 .LBB402_11
; %bb.8:                                ;   in Loop: Header=BB402_4 Depth=1
	s_wait_alu 0xfffe
	s_add_nc_u64 s[42:43], s[38:39], s[34:35]
	global_load_u16 v5, v9, s[42:43]
	s_wait_loadcnt 0x0
	v_fma_mixlo_f16 v5, s27, v5, 0 op_sel_hi:[0,1,0]
	s_branch .LBB402_12
.LBB402_9:                              ;   in Loop: Header=BB402_4 Depth=1
	s_mov_b32 s42, 0
                                        ; implicit-def: $vgpr5
	s_cbranch_execnz .LBB402_13
	s_branch .LBB402_32
.LBB402_10:                             ;   in Loop: Header=BB402_4 Depth=1
	s_wait_alu 0xfffe
	s_or_b32 exec_lo, exec_lo, s40
	s_delay_alu instid0(SALU_CYCLE_1)
	s_and_b32 vcc_lo, exec_lo, s6
	s_wait_alu 0xfffe
	s_cbranch_vccnz .LBB402_13
	s_branch .LBB402_32
.LBB402_11:                             ;   in Loop: Header=BB402_4 Depth=1
	v_mov_b32_e32 v5, 0
.LBB402_12:                             ;   in Loop: Header=BB402_4 Depth=1
	s_mov_b32 s42, exec_lo
	s_wait_alu 0xfffe
	s_or_b32 exec_lo, exec_lo, s40
	s_delay_alu instid0(SALU_CYCLE_1)
	s_and_b32 vcc_lo, exec_lo, s6
	s_wait_alu 0xfffe
	s_cbranch_vccz .LBB402_32
.LBB402_13:                             ;   in Loop: Header=BB402_4 Depth=1
	s_mul_u64 s[40:41], s[16:17], s[28:29]
	v_mov_b32_e32 v18, 0
	s_wait_alu 0xfffe
	s_lshl_b64 s[40:41], s[40:41], 1
	s_wait_alu 0xfffe
	s_add_nc_u64 s[40:41], s[14:15], s[40:41]
	s_and_saveexec_b32 s43, s1
	s_cbranch_execnz .LBB402_22
; %bb.14:                               ;   in Loop: Header=BB402_4 Depth=1
	s_or_b32 exec_lo, exec_lo, s43
	s_and_saveexec_b32 s6, s2
	s_cbranch_execnz .LBB402_25
.LBB402_15:                             ;   in Loop: Header=BB402_4 Depth=1
	s_wait_alu 0xfffe
	s_or_b32 exec_lo, exec_lo, s6
	s_and_saveexec_b32 s6, s3
.LBB402_16:                             ;   in Loop: Header=BB402_4 Depth=1
	ds_store_b32 v12, v9
.LBB402_17:                             ;   in Loop: Header=BB402_4 Depth=1
	s_wait_alu 0xfffe
	s_or_b32 exec_lo, exec_lo, s6
	ds_bpermute_b32 v5, v16, v18
	v_cmp_gt_u32_e32 vcc_lo, 24, v14
	s_wait_dscnt 0x0
	s_barrier_signal -1
	s_barrier_wait -1
	global_inv scope:SCOPE_SE
	s_wait_alu 0xfffd
	v_cndmask_b32_e64 v6, 0, 8, vcc_lo
	v_cmp_gt_u32_e32 vcc_lo, 28, v14
	s_delay_alu instid0(VALU_DEP_2)
	v_add_lshl_u32 v6, v6, v14, 2
	v_add_f32_e32 v7, v18, v5
	s_wait_alu 0xfffd
	v_cndmask_b32_e64 v5, 0, 4, vcc_lo
	v_cmp_gt_u32_e32 vcc_lo, 30, v14
	ds_bpermute_b32 v6, v6, v7
	v_add_lshl_u32 v5, v5, v14, 2
	s_wait_dscnt 0x0
	v_add_f32_e32 v7, v7, v6
	s_wait_alu 0xfffd
	v_cndmask_b32_e64 v6, 0, 2, vcc_lo
	v_cmp_ne_u32_e32 vcc_lo, 31, v14
	ds_bpermute_b32 v8, v5, v7
	v_add_lshl_u32 v6, v6, v14, 2
	s_wait_alu 0xfffd
	v_add_co_ci_u32_e64 v18, null, 0, v14, vcc_lo
	s_wait_dscnt 0x0
	v_add_f32_e32 v7, v7, v8
	ds_bpermute_b32 v8, v6, v7
	s_wait_dscnt 0x0
	v_dual_add_f32 v8, v7, v8 :: v_dual_lshlrev_b32 v7, 2, v18
	ds_bpermute_b32 v18, v7, v8
	s_and_saveexec_b32 s6, s4
	s_cbranch_execz .LBB402_19
; %bb.18:                               ;   in Loop: Header=BB402_4 Depth=1
	s_wait_dscnt 0x0
	v_add_f32_e32 v8, v8, v18
	ds_store_b32 v13, v8
.LBB402_19:                             ;   in Loop: Header=BB402_4 Depth=1
	s_wait_alu 0xfffe
	s_or_b32 exec_lo, exec_lo, s6
	v_mov_b32_e32 v8, 0
	s_wait_loadcnt_dscnt 0x0
	s_barrier_signal -1
	s_barrier_wait -1
	global_inv scope:SCOPE_SE
	s_and_saveexec_b32 s6, s5
	s_cbranch_execnz .LBB402_26
; %bb.20:                               ;   in Loop: Header=BB402_4 Depth=1
	s_wait_alu 0xfffe
	s_or_b32 exec_lo, exec_lo, s6
	s_and_saveexec_b32 s6, s3
	s_cbranch_execnz .LBB402_27
.LBB402_21:                             ;   in Loop: Header=BB402_4 Depth=1
	s_wait_alu 0xfffe
	s_or_b32 exec_lo, exec_lo, s6
                                        ; implicit-def: $vgpr5
	s_and_saveexec_b32 s6, s0
	s_cbranch_execnz .LBB402_28
	s_branch .LBB402_31
.LBB402_22:                             ;   in Loop: Header=BB402_4 Depth=1
	v_mad_co_u64_u32 v[5:6], null, s12, s28, v[1:2]
	v_dual_mov_b32 v18, 0 :: v_dual_mov_b32 v19, v0
	s_mov_b32 s44, 0
	s_delay_alu instid0(VALU_DEP_2)
	v_mad_co_u64_u32 v[6:7], null, s13, s28, v[6:7]
	v_mov_b32_e32 v7, v15
.LBB402_23:                             ;   Parent Loop BB402_4 Depth=1
                                        ; =>  This Inner Loop Header: Depth=2
	s_wait_dscnt 0x0
	s_delay_alu instid0(VALU_DEP_1) | instskip(NEXT) | instid1(VALU_DEP_1)
	v_ashrrev_i32_e32 v8, 31, v7
	v_lshlrev_b64_e32 v[20:21], 1, v[7:8]
	v_add_nc_u32_e32 v7, s33, v7
	s_wait_alu 0xfffe
	s_delay_alu instid0(VALU_DEP_2) | instskip(SKIP_1) | instid1(VALU_DEP_3)
	v_add_co_u32 v20, vcc_lo, s40, v20
	s_wait_alu 0xfffd
	v_add_co_ci_u32_e64 v21, null, s41, v21, vcc_lo
	global_load_u16 v8, v[5:6], off
	global_load_u16 v20, v[20:21], off
	v_add_co_u32 v5, vcc_lo, 0x200, v5
	s_wait_alu 0xfffd
	v_add_co_ci_u32_e64 v6, null, 0, v6, vcc_lo
	s_wait_loadcnt 0x0
	v_mul_f16_e32 v8, v8, v20
	s_delay_alu instid0(VALU_DEP_1) | instskip(NEXT) | instid1(VALU_DEP_1)
	v_cvt_f32_f16_e32 v8, v8
	v_dual_add_f32 v18, v18, v8 :: v_dual_add_nc_u32 v19, 0x100, v19
	s_delay_alu instid0(VALU_DEP_1)
	v_cmp_le_i32_e64 s6, s26, v19
	s_or_b32 s44, s6, s44
	s_wait_alu 0xfffe
	s_and_not1_b32 exec_lo, exec_lo, s44
	s_cbranch_execnz .LBB402_23
; %bb.24:                               ;   in Loop: Header=BB402_4 Depth=1
	s_or_b32 exec_lo, exec_lo, s44
	s_delay_alu instid0(SALU_CYCLE_1)
	s_or_b32 exec_lo, exec_lo, s43
	s_and_saveexec_b32 s6, s2
	s_cbranch_execz .LBB402_15
.LBB402_25:                             ;   in Loop: Header=BB402_4 Depth=1
	s_mul_u64 s[44:45], s[24:25], s[28:29]
	s_wait_alu 0xfffe
	s_lshl_b64 s[44:45], s[44:45], 1
	s_wait_alu 0xfffe
	v_add_co_u32 v5, vcc_lo, v10, s44
	s_wait_alu 0xfffd
	v_add_co_ci_u32_e64 v6, null, s45, v11, vcc_lo
	s_delay_alu instid0(VALU_DEP_2) | instskip(SKIP_1) | instid1(VALU_DEP_2)
	v_add_co_u32 v5, vcc_lo, v5, s36
	s_wait_alu 0xfffd
	v_add_co_ci_u32_e64 v6, null, s37, v6, vcc_lo
	v_add_co_u32 v7, vcc_lo, s40, v3
	s_wait_dscnt 0x0
	s_wait_alu 0xfffd
	v_add_co_ci_u32_e64 v8, null, s41, v4, vcc_lo
	global_load_u16 v5, v[5:6], off
	global_load_u16 v6, v[7:8], off
	s_wait_loadcnt 0x0
	v_mul_f16_e32 v5, v5, v6
	s_delay_alu instid0(VALU_DEP_1) | instskip(NEXT) | instid1(VALU_DEP_1)
	v_cvt_f32_f16_e32 v5, v5
	v_add_f32_e32 v18, v18, v5
	s_or_b32 exec_lo, exec_lo, s6
	s_and_saveexec_b32 s6, s3
	s_cbranch_execnz .LBB402_16
	s_branch .LBB402_17
.LBB402_26:                             ;   in Loop: Header=BB402_4 Depth=1
	ds_load_b32 v8, v12
	s_wait_alu 0xfffe
	s_or_b32 exec_lo, exec_lo, s6
	s_and_saveexec_b32 s6, s3
	s_cbranch_execz .LBB402_21
.LBB402_27:                             ;   in Loop: Header=BB402_4 Depth=1
	s_wait_dscnt 0x0
	ds_bpermute_b32 v5, v5, v8
	s_wait_dscnt 0x0
	v_add_f32_e32 v5, v8, v5
	ds_bpermute_b32 v6, v6, v5
	s_wait_dscnt 0x0
	v_add_f32_e32 v5, v5, v6
	;; [unrolled: 3-line block ×3, first 2 shown]
	s_wait_alu 0xfffe
	s_or_b32 exec_lo, exec_lo, s6
                                        ; implicit-def: $vgpr5
	s_and_saveexec_b32 s6, s0
	s_cbranch_execz .LBB402_31
.LBB402_28:                             ;   in Loop: Header=BB402_4 Depth=1
	s_wait_dscnt 0x0
	v_mul_f32_e32 v5, v17, v8
	s_cmp_eq_f32 s27, 0
	s_cbranch_scc1 .LBB402_30
; %bb.29:                               ;   in Loop: Header=BB402_4 Depth=1
	s_add_nc_u64 s[40:41], s[38:39], s[34:35]
	global_load_u16 v6, v9, s[40:41]
	s_wait_loadcnt 0x0
	v_fma_mix_f32 v5, s27, v6, v5 op_sel_hi:[0,1,0]
.LBB402_30:                             ;   in Loop: Header=BB402_4 Depth=1
	s_delay_alu instid0(VALU_DEP_1)
	v_cvt_f16_f32_e32 v5, v5
	s_or_b32 s42, s42, exec_lo
.LBB402_31:                             ;   in Loop: Header=BB402_4 Depth=1
	s_wait_alu 0xfffe
	s_or_b32 exec_lo, exec_lo, s6
.LBB402_32:                             ;   in Loop: Header=BB402_4 Depth=1
	s_and_saveexec_b32 s6, s42
	s_cbranch_execz .LBB402_2
; %bb.33:                               ;   in Loop: Header=BB402_4 Depth=1
	s_wait_alu 0xfffe
	s_add_nc_u64 s[38:39], s[38:39], s[34:35]
	global_store_b16 v9, v5, s[38:39]
	s_branch .LBB402_2
.LBB402_34:
	s_endpgm
	.section	.rodata,"a",@progbits
	.p2align	6, 0x0
	.amdhsa_kernel _ZL32rocblas_gemvt_warp_reduce_kernelILb0ELi256EiDF16_PKfDF16_EviiT3_lPKT2_lT1_lS5_lS6_lS2_lPT4_lS6_li
		.amdhsa_group_segment_fixed_size 128
		.amdhsa_private_segment_fixed_size 0
		.amdhsa_kernarg_size 140
		.amdhsa_user_sgpr_count 2
		.amdhsa_user_sgpr_dispatch_ptr 0
		.amdhsa_user_sgpr_queue_ptr 0
		.amdhsa_user_sgpr_kernarg_segment_ptr 1
		.amdhsa_user_sgpr_dispatch_id 0
		.amdhsa_user_sgpr_private_segment_size 0
		.amdhsa_wavefront_size32 1
		.amdhsa_uses_dynamic_stack 0
		.amdhsa_enable_private_segment 0
		.amdhsa_system_sgpr_workgroup_id_x 1
		.amdhsa_system_sgpr_workgroup_id_y 0
		.amdhsa_system_sgpr_workgroup_id_z 1
		.amdhsa_system_sgpr_workgroup_info 0
		.amdhsa_system_vgpr_workitem_id 0
		.amdhsa_next_free_vgpr 22
		.amdhsa_next_free_sgpr 46
		.amdhsa_reserve_vcc 1
		.amdhsa_float_round_mode_32 0
		.amdhsa_float_round_mode_16_64 0
		.amdhsa_float_denorm_mode_32 3
		.amdhsa_float_denorm_mode_16_64 3
		.amdhsa_fp16_overflow 0
		.amdhsa_workgroup_processor_mode 1
		.amdhsa_memory_ordered 1
		.amdhsa_forward_progress 1
		.amdhsa_inst_pref_size 13
		.amdhsa_round_robin_scheduling 0
		.amdhsa_exception_fp_ieee_invalid_op 0
		.amdhsa_exception_fp_denorm_src 0
		.amdhsa_exception_fp_ieee_div_zero 0
		.amdhsa_exception_fp_ieee_overflow 0
		.amdhsa_exception_fp_ieee_underflow 0
		.amdhsa_exception_fp_ieee_inexact 0
		.amdhsa_exception_int_div_zero 0
	.end_amdhsa_kernel
	.section	.text._ZL32rocblas_gemvt_warp_reduce_kernelILb0ELi256EiDF16_PKfDF16_EviiT3_lPKT2_lT1_lS5_lS6_lS2_lPT4_lS6_li,"axG",@progbits,_ZL32rocblas_gemvt_warp_reduce_kernelILb0ELi256EiDF16_PKfDF16_EviiT3_lPKT2_lT1_lS5_lS6_lS2_lPT4_lS6_li,comdat
.Lfunc_end402:
	.size	_ZL32rocblas_gemvt_warp_reduce_kernelILb0ELi256EiDF16_PKfDF16_EviiT3_lPKT2_lT1_lS5_lS6_lS2_lPT4_lS6_li, .Lfunc_end402-_ZL32rocblas_gemvt_warp_reduce_kernelILb0ELi256EiDF16_PKfDF16_EviiT3_lPKT2_lT1_lS5_lS6_lS2_lPT4_lS6_li
                                        ; -- End function
	.set _ZL32rocblas_gemvt_warp_reduce_kernelILb0ELi256EiDF16_PKfDF16_EviiT3_lPKT2_lT1_lS5_lS6_lS2_lPT4_lS6_li.num_vgpr, 22
	.set _ZL32rocblas_gemvt_warp_reduce_kernelILb0ELi256EiDF16_PKfDF16_EviiT3_lPKT2_lT1_lS5_lS6_lS2_lPT4_lS6_li.num_agpr, 0
	.set _ZL32rocblas_gemvt_warp_reduce_kernelILb0ELi256EiDF16_PKfDF16_EviiT3_lPKT2_lT1_lS5_lS6_lS2_lPT4_lS6_li.numbered_sgpr, 46
	.set _ZL32rocblas_gemvt_warp_reduce_kernelILb0ELi256EiDF16_PKfDF16_EviiT3_lPKT2_lT1_lS5_lS6_lS2_lPT4_lS6_li.num_named_barrier, 0
	.set _ZL32rocblas_gemvt_warp_reduce_kernelILb0ELi256EiDF16_PKfDF16_EviiT3_lPKT2_lT1_lS5_lS6_lS2_lPT4_lS6_li.private_seg_size, 0
	.set _ZL32rocblas_gemvt_warp_reduce_kernelILb0ELi256EiDF16_PKfDF16_EviiT3_lPKT2_lT1_lS5_lS6_lS2_lPT4_lS6_li.uses_vcc, 1
	.set _ZL32rocblas_gemvt_warp_reduce_kernelILb0ELi256EiDF16_PKfDF16_EviiT3_lPKT2_lT1_lS5_lS6_lS2_lPT4_lS6_li.uses_flat_scratch, 0
	.set _ZL32rocblas_gemvt_warp_reduce_kernelILb0ELi256EiDF16_PKfDF16_EviiT3_lPKT2_lT1_lS5_lS6_lS2_lPT4_lS6_li.has_dyn_sized_stack, 0
	.set _ZL32rocblas_gemvt_warp_reduce_kernelILb0ELi256EiDF16_PKfDF16_EviiT3_lPKT2_lT1_lS5_lS6_lS2_lPT4_lS6_li.has_recursion, 0
	.set _ZL32rocblas_gemvt_warp_reduce_kernelILb0ELi256EiDF16_PKfDF16_EviiT3_lPKT2_lT1_lS5_lS6_lS2_lPT4_lS6_li.has_indirect_call, 0
	.section	.AMDGPU.csdata,"",@progbits
; Kernel info:
; codeLenInByte = 1584
; TotalNumSgprs: 48
; NumVgprs: 22
; ScratchSize: 0
; MemoryBound: 0
; FloatMode: 240
; IeeeMode: 1
; LDSByteSize: 128 bytes/workgroup (compile time only)
; SGPRBlocks: 0
; VGPRBlocks: 2
; NumSGPRsForWavesPerEU: 48
; NumVGPRsForWavesPerEU: 22
; Occupancy: 16
; WaveLimiterHint : 0
; COMPUTE_PGM_RSRC2:SCRATCH_EN: 0
; COMPUTE_PGM_RSRC2:USER_SGPR: 2
; COMPUTE_PGM_RSRC2:TRAP_HANDLER: 0
; COMPUTE_PGM_RSRC2:TGID_X_EN: 1
; COMPUTE_PGM_RSRC2:TGID_Y_EN: 0
; COMPUTE_PGM_RSRC2:TGID_Z_EN: 1
; COMPUTE_PGM_RSRC2:TIDIG_COMP_CNT: 0
	.section	.text._ZL32rocblas_gemvt_warp_reduce_kernelILb0ELi256ElDF16_PKfDF16_EviiT3_lPKT2_lT1_lS5_lS6_lS2_lPT4_lS6_li,"axG",@progbits,_ZL32rocblas_gemvt_warp_reduce_kernelILb0ELi256ElDF16_PKfDF16_EviiT3_lPKT2_lT1_lS5_lS6_lS2_lPT4_lS6_li,comdat
	.globl	_ZL32rocblas_gemvt_warp_reduce_kernelILb0ELi256ElDF16_PKfDF16_EviiT3_lPKT2_lT1_lS5_lS6_lS2_lPT4_lS6_li ; -- Begin function _ZL32rocblas_gemvt_warp_reduce_kernelILb0ELi256ElDF16_PKfDF16_EviiT3_lPKT2_lT1_lS5_lS6_lS2_lPT4_lS6_li
	.p2align	8
	.type	_ZL32rocblas_gemvt_warp_reduce_kernelILb0ELi256ElDF16_PKfDF16_EviiT3_lPKT2_lT1_lS5_lS6_lS2_lPT4_lS6_li,@function
_ZL32rocblas_gemvt_warp_reduce_kernelILb0ELi256ElDF16_PKfDF16_EviiT3_lPKT2_lT1_lS5_lS6_lS2_lPT4_lS6_li: ; @_ZL32rocblas_gemvt_warp_reduce_kernelILb0ELi256ElDF16_PKfDF16_EviiT3_lPKT2_lT1_lS5_lS6_lS2_lPT4_lS6_li
; %bb.0:
	s_load_b32 s7, s[0:1], 0x88
	s_lshr_b32 s24, ttmp7, 16
	s_wait_kmcnt 0x0
	s_cmp_ge_u32 s24, s7
	s_cbranch_scc1 .LBB403_34
; %bb.1:
	s_clause 0x2
	s_load_b512 s[8:23], s[0:1], 0x8
	s_load_b512 s[36:51], s[0:1], 0x48
	s_load_b32 s6, s[0:1], 0x0
	s_mov_b32 s2, ttmp9
	s_ashr_i32 s3, ttmp9, 31
	v_mbcnt_lo_u32_b32 v16, -1, 0
	v_cmp_eq_u32_e64 s0, 0, v0
	s_mov_b32 s25, 0
	v_lshl_or_b32 v17, v16, 2, 64
	s_wait_kmcnt 0x0
	s_lshl_b64 s[4:5], s[22:23], 1
	s_lshl_b64 s[26:27], s[14:15], 1
	v_cmp_gt_i32_e32 vcc_lo, s6, v0
	s_ashr_i32 s1, s6, 31
	v_mad_co_u64_u32 v[1:2], null, s36, v0, 0
	s_lshr_b32 s1, s1, 24
	v_cndmask_b32_e32 v3, 0, v0, vcc_lo
	s_add_nc_u64 s[14:15], s[20:21], s[4:5]
	s_add_nc_u64 s[4:5], s[12:13], s[26:27]
	s_add_co_i32 s1, s6, s1
	s_lshl_b64 s[22:23], s[46:47], 1
	v_lshlrev_b32_e32 v7, 1, v3
	s_and_b32 s20, s1, 0xffffff00
	s_mul_u64 s[28:29], s[48:49], s[2:3]
	s_mul_u64 s[2:3], s[16:17], s[2:3]
	v_or_b32_e32 v4, s20, v0
	v_add_co_u32 v3, s1, s4, v7
	s_delay_alu instid0(VALU_DEP_1)
	v_add_co_ci_u32_e64 v5, null, s5, 0, s1
	s_add_nc_u64 s[16:17], s[44:45], s[22:23]
	s_lshl_b64 s[22:23], s[2:3], 1
	v_mul_lo_u32 v8, s37, v4
	v_add_co_u32 v12, vcc_lo, v3, s22
	v_mad_co_u64_u32 v[2:3], null, s37, v0, v[2:3]
	s_wait_alu 0xfffd
	v_add_co_ci_u32_e64 v13, null, s23, v5, vcc_lo
	v_mad_co_u64_u32 v[5:6], null, s36, v4, 0
	v_and_b32_e32 v3, 31, v0
	v_cmp_gt_i32_e64 s2, s6, v4
	v_lshrrev_b32_e32 v4, 3, v0
	s_ashr_i32 s21, s20, 31
	v_dual_mov_b32 v11, 0 :: v_dual_lshlrev_b32 v14, 2, v3
	s_wait_alu 0xfffe
	s_mul_i32 s3, s36, s21
	v_cmp_eq_u32_e64 s4, 0, v3
	v_and_b32_e32 v15, 28, v4
	v_lshlrev_b64_e32 v[3:4], 1, v[1:2]
	v_add3_u32 v6, v6, s3, v8
	s_add_nc_u64 s[22:23], s[22:23], s[26:27]
	v_cmp_gt_i32_e64 s1, s20, v0
	s_wait_alu 0xfffe
	s_add_nc_u64 s[12:13], s[12:13], s[22:23]
	v_cmp_gt_u32_e64 s3, 32, v0
	v_add_co_u32 v1, s6, s12, v7
	v_add_co_u32 v3, vcc_lo, s14, v3
	v_lshlrev_b64_e32 v[5:6], 1, v[5:6]
	v_cmp_gt_u32_e64 s5, 8, v0
	s_wait_alu 0xf1ff
	v_add_co_ci_u32_e64 v2, null, s13, 0, s6
	s_wait_alu 0xfffd
	v_add_co_ci_u32_e64 v4, null, s15, v4, vcc_lo
	s_lshl_b64 s[12:13], s[18:19], 1
	s_lshl_b64 s[22:23], s[38:39], 1
	;; [unrolled: 1-line block ×5, first 2 shown]
	s_branch .LBB403_4
.LBB403_2:                              ;   in Loop: Header=BB403_4 Depth=1
	s_wait_alu 0xfffe
	s_or_b32 exec_lo, exec_lo, s6
.LBB403_3:                              ;   in Loop: Header=BB403_4 Depth=1
	s_add_co_i32 s24, s24, 0x10000
	s_wait_alu 0xfffe
	s_cmp_lt_u32 s24, s7
	s_cbranch_scc0 .LBB403_34
.LBB403_4:                              ; =>This Loop Header: Depth=1
                                        ;     Child Loop BB403_23 Depth 2
	s_mul_u64 s[34:35], s[10:11], s[24:25]
	s_mul_u64 s[36:37], s[42:43], s[24:25]
	s_lshl_b64 s[34:35], s[34:35], 2
	s_wait_alu 0xfffe
	s_lshl_b64 s[36:37], s[36:37], 2
	s_add_nc_u64 s[34:35], s[8:9], s[34:35]
	s_wait_alu 0xfffe
	s_add_nc_u64 s[36:37], s[40:41], s[36:37]
	s_clause 0x1
	global_load_b32 v18, v11, s[34:35]
	global_load_b32 v7, v11, s[36:37]
	s_wait_loadcnt 0x1
	v_cmp_eq_f32_e32 vcc_lo, 0, v18
	s_wait_loadcnt 0x0
	v_cmp_eq_f32_e64 s6, 1.0, v7
	v_readfirstlane_b32 s21, v7
	s_and_b32 s6, vcc_lo, s6
	s_wait_alu 0xfffe
	s_and_b32 vcc_lo, exec_lo, s6
	s_wait_alu 0xfffe
	s_cbranch_vccnz .LBB403_3
; %bb.5:                                ;   in Loop: Header=BB403_4 Depth=1
	v_cmp_neq_f32_e32 vcc_lo, 0, v18
	s_mul_u64 s[34:35], s[50:51], s[24:25]
	s_delay_alu instid0(SALU_CYCLE_1) | instskip(NEXT) | instid1(SALU_CYCLE_1)
	s_lshl_b64 s[34:35], s[34:35], 1
	s_add_nc_u64 s[34:35], s[16:17], s[34:35]
	s_cbranch_vccnz .LBB403_9
; %bb.6:                                ;   in Loop: Header=BB403_4 Depth=1
	s_mov_b32 s6, 0
	s_mov_b32 s33, 0
                                        ; implicit-def: $vgpr7
	s_and_saveexec_b32 s36, s0
	s_cbranch_execz .LBB403_10
; %bb.7:                                ;   in Loop: Header=BB403_4 Depth=1
	s_cmp_eq_f32 s21, 0
	s_cbranch_scc1 .LBB403_11
; %bb.8:                                ;   in Loop: Header=BB403_4 Depth=1
	s_add_nc_u64 s[44:45], s[34:35], s[28:29]
	global_load_u16 v7, v11, s[44:45]
	s_wait_loadcnt 0x0
	v_fma_mixlo_f16 v7, s21, v7, 0 op_sel_hi:[0,1,0]
	s_branch .LBB403_12
.LBB403_9:                              ;   in Loop: Header=BB403_4 Depth=1
	s_mov_b32 s33, 0
                                        ; implicit-def: $vgpr7
	s_cbranch_execnz .LBB403_13
	s_branch .LBB403_32
.LBB403_10:                             ;   in Loop: Header=BB403_4 Depth=1
	s_wait_alu 0xfffe
	s_or_b32 exec_lo, exec_lo, s36
	s_delay_alu instid0(SALU_CYCLE_1)
	s_and_b32 vcc_lo, exec_lo, s6
	s_wait_alu 0xfffe
	s_cbranch_vccnz .LBB403_13
	s_branch .LBB403_32
.LBB403_11:                             ;   in Loop: Header=BB403_4 Depth=1
	v_mov_b32_e32 v7, 0
.LBB403_12:                             ;   in Loop: Header=BB403_4 Depth=1
	s_mov_b32 s33, exec_lo
	s_wait_alu 0xfffe
	s_or_b32 exec_lo, exec_lo, s36
	s_delay_alu instid0(SALU_CYCLE_1)
	s_and_b32 vcc_lo, exec_lo, s6
	s_wait_alu 0xfffe
	s_cbranch_vccz .LBB403_32
.LBB403_13:                             ;   in Loop: Header=BB403_4 Depth=1
	v_mov_b32_e32 v19, 0
	s_and_saveexec_b32 s36, s1
	s_cbranch_execnz .LBB403_22
; %bb.14:                               ;   in Loop: Header=BB403_4 Depth=1
	s_wait_alu 0xfffe
	s_or_b32 exec_lo, exec_lo, s36
	s_and_saveexec_b32 s6, s2
	s_cbranch_execnz .LBB403_25
.LBB403_15:                             ;   in Loop: Header=BB403_4 Depth=1
	s_wait_alu 0xfffe
	s_or_b32 exec_lo, exec_lo, s6
	s_and_saveexec_b32 s6, s3
.LBB403_16:                             ;   in Loop: Header=BB403_4 Depth=1
	ds_store_b32 v14, v11
.LBB403_17:                             ;   in Loop: Header=BB403_4 Depth=1
	s_wait_alu 0xfffe
	s_or_b32 exec_lo, exec_lo, s6
	ds_bpermute_b32 v7, v17, v19
	v_cmp_gt_u32_e32 vcc_lo, 24, v16
	s_wait_dscnt 0x0
	s_barrier_signal -1
	s_barrier_wait -1
	global_inv scope:SCOPE_SE
	s_wait_alu 0xfffd
	v_cndmask_b32_e64 v8, 0, 8, vcc_lo
	v_cmp_gt_u32_e32 vcc_lo, 28, v16
	s_delay_alu instid0(VALU_DEP_2)
	v_add_lshl_u32 v8, v8, v16, 2
	v_add_f32_e32 v9, v19, v7
	s_wait_alu 0xfffd
	v_cndmask_b32_e64 v7, 0, 4, vcc_lo
	v_cmp_gt_u32_e32 vcc_lo, 30, v16
	ds_bpermute_b32 v8, v8, v9
	v_add_lshl_u32 v7, v7, v16, 2
	s_wait_dscnt 0x0
	v_add_f32_e32 v9, v9, v8
	s_wait_alu 0xfffd
	v_cndmask_b32_e64 v8, 0, 2, vcc_lo
	v_cmp_ne_u32_e32 vcc_lo, 31, v16
	ds_bpermute_b32 v10, v7, v9
	v_add_lshl_u32 v8, v8, v16, 2
	s_wait_alu 0xfffd
	v_add_co_ci_u32_e64 v19, null, 0, v16, vcc_lo
	s_wait_dscnt 0x0
	v_add_f32_e32 v9, v9, v10
	ds_bpermute_b32 v10, v8, v9
	s_wait_dscnt 0x0
	v_dual_add_f32 v10, v9, v10 :: v_dual_lshlrev_b32 v9, 2, v19
	ds_bpermute_b32 v19, v9, v10
	s_and_saveexec_b32 s6, s4
	s_cbranch_execz .LBB403_19
; %bb.18:                               ;   in Loop: Header=BB403_4 Depth=1
	s_wait_dscnt 0x0
	v_add_f32_e32 v10, v10, v19
	ds_store_b32 v15, v10
.LBB403_19:                             ;   in Loop: Header=BB403_4 Depth=1
	s_wait_alu 0xfffe
	s_or_b32 exec_lo, exec_lo, s6
	v_mov_b32_e32 v10, 0
	s_wait_loadcnt_dscnt 0x0
	s_barrier_signal -1
	s_barrier_wait -1
	global_inv scope:SCOPE_SE
	s_and_saveexec_b32 s6, s5
	s_cbranch_execnz .LBB403_26
; %bb.20:                               ;   in Loop: Header=BB403_4 Depth=1
	s_wait_alu 0xfffe
	s_or_b32 exec_lo, exec_lo, s6
	s_and_saveexec_b32 s6, s3
	s_cbranch_execnz .LBB403_27
.LBB403_21:                             ;   in Loop: Header=BB403_4 Depth=1
	s_wait_alu 0xfffe
	s_or_b32 exec_lo, exec_lo, s6
                                        ; implicit-def: $vgpr7
	s_and_saveexec_b32 s6, s0
	s_cbranch_execnz .LBB403_28
	s_branch .LBB403_31
.LBB403_22:                             ;   in Loop: Header=BB403_4 Depth=1
	v_mad_co_u64_u32 v[7:8], null, s12, s24, v[1:2]
	s_wait_dscnt 0x0
	v_mad_co_u64_u32 v[9:10], null, s22, s24, v[3:4]
	s_mov_b32 s37, 0
	v_mad_co_u64_u32 v[20:21], null, s13, s24, v[8:9]
	v_mad_co_u64_u32 v[21:22], null, s23, s24, v[10:11]
	s_delay_alu instid0(VALU_DEP_2) | instskip(SKIP_1) | instid1(VALU_DEP_3)
	v_dual_mov_b32 v19, 0 :: v_dual_mov_b32 v8, v20
	v_mov_b32_e32 v20, v0
	v_mov_b32_e32 v10, v21
.LBB403_23:                             ;   Parent Loop BB403_4 Depth=1
                                        ; =>  This Inner Loop Header: Depth=2
	global_load_u16 v21, v[7:8], off
	global_load_u16 v22, v[9:10], off
	v_add_co_u32 v7, vcc_lo, 0x200, v7
	s_wait_alu 0xfffd
	v_add_co_ci_u32_e64 v8, null, 0, v8, vcc_lo
	v_add_co_u32 v9, vcc_lo, v9, s26
	s_wait_alu 0xfffd
	v_add_co_ci_u32_e64 v10, null, s27, v10, vcc_lo
	s_wait_loadcnt 0x0
	v_mul_f16_e32 v21, v21, v22
	s_delay_alu instid0(VALU_DEP_1) | instskip(NEXT) | instid1(VALU_DEP_1)
	v_cvt_f32_f16_e32 v21, v21
	v_dual_add_f32 v19, v19, v21 :: v_dual_add_nc_u32 v20, 0x100, v20
	s_delay_alu instid0(VALU_DEP_1)
	v_cmp_le_i32_e64 s6, s20, v20
	s_wait_alu 0xfffe
	s_or_b32 s37, s6, s37
	s_wait_alu 0xfffe
	s_and_not1_b32 exec_lo, exec_lo, s37
	s_cbranch_execnz .LBB403_23
; %bb.24:                               ;   in Loop: Header=BB403_4 Depth=1
	s_or_b32 exec_lo, exec_lo, s37
	s_delay_alu instid0(SALU_CYCLE_1)
	s_or_b32 exec_lo, exec_lo, s36
	s_and_saveexec_b32 s6, s2
	s_cbranch_execz .LBB403_15
.LBB403_25:                             ;   in Loop: Header=BB403_4 Depth=1
	s_mul_u64 s[36:37], s[18:19], s[24:25]
	s_mul_u64 s[44:45], s[38:39], s[24:25]
	s_wait_alu 0xfffe
	s_lshl_b64 s[36:37], s[36:37], 1
	s_lshl_b64 s[44:45], s[44:45], 1
	s_wait_alu 0xfffe
	v_add_co_u32 v7, vcc_lo, v12, s36
	s_wait_alu 0xfffd
	v_add_co_ci_u32_e64 v8, null, s37, v13, vcc_lo
	s_add_nc_u64 s[36:37], s[14:15], s[44:45]
	v_add_co_u32 v7, vcc_lo, v7, s30
	s_wait_alu 0xfffd
	v_add_co_ci_u32_e64 v8, null, s31, v8, vcc_lo
	s_wait_alu 0xfffe
	v_add_co_u32 v9, vcc_lo, s36, v5
	s_wait_dscnt 0x0
	s_wait_alu 0xfffd
	v_add_co_ci_u32_e64 v10, null, s37, v6, vcc_lo
	global_load_u16 v7, v[7:8], off
	global_load_u16 v8, v[9:10], off
	s_wait_loadcnt 0x0
	v_mul_f16_e32 v7, v7, v8
	s_delay_alu instid0(VALU_DEP_1) | instskip(NEXT) | instid1(VALU_DEP_1)
	v_cvt_f32_f16_e32 v7, v7
	v_add_f32_e32 v19, v19, v7
	s_or_b32 exec_lo, exec_lo, s6
	s_and_saveexec_b32 s6, s3
	s_cbranch_execnz .LBB403_16
	s_branch .LBB403_17
.LBB403_26:                             ;   in Loop: Header=BB403_4 Depth=1
	ds_load_b32 v10, v14
	s_wait_alu 0xfffe
	s_or_b32 exec_lo, exec_lo, s6
	s_and_saveexec_b32 s6, s3
	s_cbranch_execz .LBB403_21
.LBB403_27:                             ;   in Loop: Header=BB403_4 Depth=1
	s_wait_dscnt 0x0
	ds_bpermute_b32 v7, v7, v10
	s_wait_dscnt 0x0
	v_add_f32_e32 v7, v10, v7
	ds_bpermute_b32 v8, v8, v7
	s_wait_dscnt 0x0
	v_add_f32_e32 v7, v7, v8
	;; [unrolled: 3-line block ×3, first 2 shown]
	s_wait_alu 0xfffe
	s_or_b32 exec_lo, exec_lo, s6
                                        ; implicit-def: $vgpr7
	s_and_saveexec_b32 s6, s0
	s_cbranch_execz .LBB403_31
.LBB403_28:                             ;   in Loop: Header=BB403_4 Depth=1
	s_wait_dscnt 0x0
	v_mul_f32_e32 v7, v18, v10
	s_cmp_eq_f32 s21, 0
	s_cbranch_scc1 .LBB403_30
; %bb.29:                               ;   in Loop: Header=BB403_4 Depth=1
	s_add_nc_u64 s[36:37], s[34:35], s[28:29]
	global_load_u16 v8, v11, s[36:37]
	s_wait_loadcnt 0x0
	v_fma_mix_f32 v7, s21, v8, v7 op_sel_hi:[0,1,0]
.LBB403_30:                             ;   in Loop: Header=BB403_4 Depth=1
	s_delay_alu instid0(VALU_DEP_1)
	v_cvt_f16_f32_e32 v7, v7
	s_or_b32 s33, s33, exec_lo
.LBB403_31:                             ;   in Loop: Header=BB403_4 Depth=1
	s_wait_alu 0xfffe
	s_or_b32 exec_lo, exec_lo, s6
.LBB403_32:                             ;   in Loop: Header=BB403_4 Depth=1
	s_and_saveexec_b32 s6, s33
	s_cbranch_execz .LBB403_2
; %bb.33:                               ;   in Loop: Header=BB403_4 Depth=1
	s_add_nc_u64 s[34:35], s[34:35], s[28:29]
	global_store_b16 v11, v7, s[34:35]
	s_branch .LBB403_2
.LBB403_34:
	s_endpgm
	.section	.rodata,"a",@progbits
	.p2align	6, 0x0
	.amdhsa_kernel _ZL32rocblas_gemvt_warp_reduce_kernelILb0ELi256ElDF16_PKfDF16_EviiT3_lPKT2_lT1_lS5_lS6_lS2_lPT4_lS6_li
		.amdhsa_group_segment_fixed_size 128
		.amdhsa_private_segment_fixed_size 0
		.amdhsa_kernarg_size 140
		.amdhsa_user_sgpr_count 2
		.amdhsa_user_sgpr_dispatch_ptr 0
		.amdhsa_user_sgpr_queue_ptr 0
		.amdhsa_user_sgpr_kernarg_segment_ptr 1
		.amdhsa_user_sgpr_dispatch_id 0
		.amdhsa_user_sgpr_private_segment_size 0
		.amdhsa_wavefront_size32 1
		.amdhsa_uses_dynamic_stack 0
		.amdhsa_enable_private_segment 0
		.amdhsa_system_sgpr_workgroup_id_x 1
		.amdhsa_system_sgpr_workgroup_id_y 0
		.amdhsa_system_sgpr_workgroup_id_z 1
		.amdhsa_system_sgpr_workgroup_info 0
		.amdhsa_system_vgpr_workitem_id 0
		.amdhsa_next_free_vgpr 23
		.amdhsa_next_free_sgpr 52
		.amdhsa_reserve_vcc 1
		.amdhsa_float_round_mode_32 0
		.amdhsa_float_round_mode_16_64 0
		.amdhsa_float_denorm_mode_32 3
		.amdhsa_float_denorm_mode_16_64 3
		.amdhsa_fp16_overflow 0
		.amdhsa_workgroup_processor_mode 1
		.amdhsa_memory_ordered 1
		.amdhsa_forward_progress 1
		.amdhsa_inst_pref_size 13
		.amdhsa_round_robin_scheduling 0
		.amdhsa_exception_fp_ieee_invalid_op 0
		.amdhsa_exception_fp_denorm_src 0
		.amdhsa_exception_fp_ieee_div_zero 0
		.amdhsa_exception_fp_ieee_overflow 0
		.amdhsa_exception_fp_ieee_underflow 0
		.amdhsa_exception_fp_ieee_inexact 0
		.amdhsa_exception_int_div_zero 0
	.end_amdhsa_kernel
	.section	.text._ZL32rocblas_gemvt_warp_reduce_kernelILb0ELi256ElDF16_PKfDF16_EviiT3_lPKT2_lT1_lS5_lS6_lS2_lPT4_lS6_li,"axG",@progbits,_ZL32rocblas_gemvt_warp_reduce_kernelILb0ELi256ElDF16_PKfDF16_EviiT3_lPKT2_lT1_lS5_lS6_lS2_lPT4_lS6_li,comdat
.Lfunc_end403:
	.size	_ZL32rocblas_gemvt_warp_reduce_kernelILb0ELi256ElDF16_PKfDF16_EviiT3_lPKT2_lT1_lS5_lS6_lS2_lPT4_lS6_li, .Lfunc_end403-_ZL32rocblas_gemvt_warp_reduce_kernelILb0ELi256ElDF16_PKfDF16_EviiT3_lPKT2_lT1_lS5_lS6_lS2_lPT4_lS6_li
                                        ; -- End function
	.set _ZL32rocblas_gemvt_warp_reduce_kernelILb0ELi256ElDF16_PKfDF16_EviiT3_lPKT2_lT1_lS5_lS6_lS2_lPT4_lS6_li.num_vgpr, 23
	.set _ZL32rocblas_gemvt_warp_reduce_kernelILb0ELi256ElDF16_PKfDF16_EviiT3_lPKT2_lT1_lS5_lS6_lS2_lPT4_lS6_li.num_agpr, 0
	.set _ZL32rocblas_gemvt_warp_reduce_kernelILb0ELi256ElDF16_PKfDF16_EviiT3_lPKT2_lT1_lS5_lS6_lS2_lPT4_lS6_li.numbered_sgpr, 52
	.set _ZL32rocblas_gemvt_warp_reduce_kernelILb0ELi256ElDF16_PKfDF16_EviiT3_lPKT2_lT1_lS5_lS6_lS2_lPT4_lS6_li.num_named_barrier, 0
	.set _ZL32rocblas_gemvt_warp_reduce_kernelILb0ELi256ElDF16_PKfDF16_EviiT3_lPKT2_lT1_lS5_lS6_lS2_lPT4_lS6_li.private_seg_size, 0
	.set _ZL32rocblas_gemvt_warp_reduce_kernelILb0ELi256ElDF16_PKfDF16_EviiT3_lPKT2_lT1_lS5_lS6_lS2_lPT4_lS6_li.uses_vcc, 1
	.set _ZL32rocblas_gemvt_warp_reduce_kernelILb0ELi256ElDF16_PKfDF16_EviiT3_lPKT2_lT1_lS5_lS6_lS2_lPT4_lS6_li.uses_flat_scratch, 0
	.set _ZL32rocblas_gemvt_warp_reduce_kernelILb0ELi256ElDF16_PKfDF16_EviiT3_lPKT2_lT1_lS5_lS6_lS2_lPT4_lS6_li.has_dyn_sized_stack, 0
	.set _ZL32rocblas_gemvt_warp_reduce_kernelILb0ELi256ElDF16_PKfDF16_EviiT3_lPKT2_lT1_lS5_lS6_lS2_lPT4_lS6_li.has_recursion, 0
	.set _ZL32rocblas_gemvt_warp_reduce_kernelILb0ELi256ElDF16_PKfDF16_EviiT3_lPKT2_lT1_lS5_lS6_lS2_lPT4_lS6_li.has_indirect_call, 0
	.section	.AMDGPU.csdata,"",@progbits
; Kernel info:
; codeLenInByte = 1584
; TotalNumSgprs: 54
; NumVgprs: 23
; ScratchSize: 0
; MemoryBound: 0
; FloatMode: 240
; IeeeMode: 1
; LDSByteSize: 128 bytes/workgroup (compile time only)
; SGPRBlocks: 0
; VGPRBlocks: 2
; NumSGPRsForWavesPerEU: 54
; NumVGPRsForWavesPerEU: 23
; Occupancy: 16
; WaveLimiterHint : 0
; COMPUTE_PGM_RSRC2:SCRATCH_EN: 0
; COMPUTE_PGM_RSRC2:USER_SGPR: 2
; COMPUTE_PGM_RSRC2:TRAP_HANDLER: 0
; COMPUTE_PGM_RSRC2:TGID_X_EN: 1
; COMPUTE_PGM_RSRC2:TGID_Y_EN: 0
; COMPUTE_PGM_RSRC2:TGID_Z_EN: 1
; COMPUTE_PGM_RSRC2:TIDIG_COMP_CNT: 0
	.section	.text._ZL32rocblas_gemvt_warp_reduce_kernelILb0ELi256EiDF16_fDF16_EviiT3_lPKT2_lT1_lS3_lS4_lS0_lPT4_lS4_li,"axG",@progbits,_ZL32rocblas_gemvt_warp_reduce_kernelILb0ELi256EiDF16_fDF16_EviiT3_lPKT2_lT1_lS3_lS4_lS0_lPT4_lS4_li,comdat
	.globl	_ZL32rocblas_gemvt_warp_reduce_kernelILb0ELi256EiDF16_fDF16_EviiT3_lPKT2_lT1_lS3_lS4_lS0_lPT4_lS4_li ; -- Begin function _ZL32rocblas_gemvt_warp_reduce_kernelILb0ELi256EiDF16_fDF16_EviiT3_lPKT2_lT1_lS3_lS4_lS0_lPT4_lS4_li
	.p2align	8
	.type	_ZL32rocblas_gemvt_warp_reduce_kernelILb0ELi256EiDF16_fDF16_EviiT3_lPKT2_lT1_lS3_lS4_lS0_lPT4_lS4_li,@function
_ZL32rocblas_gemvt_warp_reduce_kernelILb0ELi256EiDF16_fDF16_EviiT3_lPKT2_lT1_lS3_lS4_lS0_lPT4_lS4_li: ; @_ZL32rocblas_gemvt_warp_reduce_kernelILb0ELi256EiDF16_fDF16_EviiT3_lPKT2_lT1_lS3_lS4_lS0_lPT4_lS4_li
; %bb.0:
	s_load_b32 s19, s[0:1], 0x88
	s_lshr_b32 s24, ttmp7, 16
	s_wait_kmcnt 0x0
	s_cmp_ge_u32 s24, s19
	s_cbranch_scc1 .LBB404_34
; %bb.1:
	s_clause 0x9
	s_load_b96 s[20:22], s[0:1], 0x40
	s_load_b128 s[4:7], s[0:1], 0x68
	s_load_b128 s[12:15], s[0:1], 0x18
	s_load_b32 s33, s[0:1], 0x8
	s_load_b96 s[16:18], s[0:1], 0x50
	s_load_b128 s[8:11], s[0:1], 0x30
	s_load_b32 s23, s[0:1], 0x0
	s_load_b32 s35, s[0:1], 0x28
	;; [unrolled: 1-line block ×3, first 2 shown]
	s_load_b64 s[26:27], s[0:1], 0x80
	v_and_b32_e32 v1, 31, v0
	v_lshrrev_b32_e32 v2, 3, v0
	v_mov_b32_e32 v9, 0
	v_mbcnt_lo_u32_b32 v15, -1, 0
	v_cmp_eq_u32_e64 s0, 0, v0
	v_lshlrev_b32_e32 v10, 2, v1
	v_cmp_eq_u32_e64 s3, 0, v1
	v_and_b32_e32 v11, 28, v2
	v_cmp_gt_u32_e64 s1, 32, v0
	v_cmp_gt_u32_e64 s2, 8, v0
	s_wait_kmcnt 0x0
	s_lshl_b64 s[20:21], s[20:21], 1
	s_lshl_b64 s[28:29], s[6:7], 1
	;; [unrolled: 1-line block ×3, first 2 shown]
	s_cmp_eq_f32 s33, 0
	v_mul_lo_u32 v14, v0, s22
	s_add_nc_u64 s[10:11], s[10:11], s[20:21]
	v_cmp_gt_i32_e32 vcc_lo, s23, v0
	s_cselect_b32 s7, -1, 0
	s_cmp_neq_f32 s33, 0
	s_mul_i32 s38, s35, ttmp9
	s_mul_i32 s34, s34, ttmp9
	v_cndmask_b32_e32 v1, 0, v0, vcc_lo
	s_cselect_b32 s6, -1, 0
	s_cmp_neq_f32 s18, 1.0
	v_lshl_or_b32 v16, v15, 2, 64
	s_mov_b32 s25, 0
	v_lshlrev_b32_e32 v1, 1, v1
	s_cselect_b32 s14, -1, 0
	s_delay_alu instid0(SALU_CYCLE_1)
	s_or_b32 s36, s6, s14
	s_cmp_neq_f32 s18, 0
	s_add_nc_u64 s[14:15], s[4:5], s[28:29]
	s_cselect_b32 s37, -1, 0
	s_ashr_i32 s6, s23, 31
	s_ashr_i32 s39, s38, 31
	s_lshr_b32 s6, s6, 24
	s_ashr_i32 s35, s34, 31
	s_add_co_i32 s4, s23, s6
	s_delay_alu instid0(SALU_CYCLE_1)
	s_and_b32 s20, s4, 0xffffff00
	s_add_nc_u64 s[4:5], s[12:13], s[30:31]
	v_or_b32_e32 v2, s20, v0
	v_add_co_u32 v4, s4, s4, v1
	s_wait_alu 0xf1ff
	v_add_co_ci_u32_e64 v5, null, s5, 0, s4
	s_delay_alu instid0(VALU_DEP_3)
	v_mul_lo_u32 v3, s22, v2
	s_lshl_b64 s[4:5], s[38:39], 1
	s_ashr_i32 s21, s20, 31
	s_wait_alu 0xfffe
	v_add_co_u32 v12, vcc_lo, v4, s4
	s_add_nc_u64 s[28:29], s[30:31], s[4:5]
	s_wait_alu 0xfffd
	v_add_co_ci_u32_e64 v13, null, s5, v5, vcc_lo
	v_ashrrev_i32_e32 v4, 31, v3
	s_add_nc_u64 s[12:13], s[12:13], s[28:29]
	v_cmp_gt_i32_e64 s4, s20, v0
	v_add_co_u32 v1, s6, s12, v1
	s_delay_alu instid0(VALU_DEP_3)
	v_lshlrev_b64_e32 v[3:4], 1, v[3:4]
	v_cmp_gt_i32_e64 s5, s23, v2
	v_add_co_ci_u32_e64 v2, null, s13, 0, s6
	s_lshl_b64 s[12:13], s[8:9], 1
	s_lshl_b32 s38, s22, 8
	s_lshl_b64 s[22:23], s[34:35], 1
	s_lshl_b64 s[28:29], s[20:21], 1
	s_branch .LBB404_4
.LBB404_2:                              ;   in Loop: Header=BB404_4 Depth=1
	s_wait_alu 0xfffe
	s_or_b32 exec_lo, exec_lo, s6
.LBB404_3:                              ;   in Loop: Header=BB404_4 Depth=1
	s_add_co_i32 s24, s24, 0x10000
	s_wait_alu 0xfffe
	s_cmp_lt_u32 s24, s19
	s_cbranch_scc0 .LBB404_34
.LBB404_4:                              ; =>This Loop Header: Depth=1
                                        ;     Child Loop BB404_23 Depth 2
	s_and_not1_b32 vcc_lo, exec_lo, s36
	s_wait_alu 0xfffe
	s_cbranch_vccnz .LBB404_3
; %bb.5:                                ;   in Loop: Header=BB404_4 Depth=1
	s_mul_u64 s[30:31], s[26:27], s[24:25]
	s_and_not1_b32 vcc_lo, exec_lo, s7
	s_lshl_b64 s[30:31], s[30:31], 1
	s_delay_alu instid0(SALU_CYCLE_1)
	s_add_nc_u64 s[30:31], s[14:15], s[30:31]
	s_wait_alu 0xfffe
	s_cbranch_vccnz .LBB404_9
; %bb.6:                                ;   in Loop: Header=BB404_4 Depth=1
	s_mov_b32 s6, 0
	s_mov_b32 s21, 0
                                        ; implicit-def: $vgpr5
	s_and_saveexec_b32 s34, s0
	s_cbranch_execz .LBB404_10
; %bb.7:                                ;   in Loop: Header=BB404_4 Depth=1
	s_and_not1_b32 vcc_lo, exec_lo, s37
	s_wait_alu 0xfffe
	s_cbranch_vccnz .LBB404_11
; %bb.8:                                ;   in Loop: Header=BB404_4 Depth=1
	s_add_nc_u64 s[40:41], s[30:31], s[22:23]
	global_load_u16 v5, v9, s[40:41]
	s_wait_loadcnt 0x0
	v_fma_mixlo_f16 v5, s18, v5, 0 op_sel_hi:[0,1,0]
	s_branch .LBB404_12
.LBB404_9:                              ;   in Loop: Header=BB404_4 Depth=1
	s_mov_b32 s21, 0
                                        ; implicit-def: $vgpr5
	s_cbranch_execnz .LBB404_13
	s_branch .LBB404_32
.LBB404_10:                             ;   in Loop: Header=BB404_4 Depth=1
	s_wait_alu 0xfffe
	s_or_b32 exec_lo, exec_lo, s34
	s_delay_alu instid0(SALU_CYCLE_1)
	s_and_b32 vcc_lo, exec_lo, s6
	s_wait_alu 0xfffe
	s_cbranch_vccnz .LBB404_13
	s_branch .LBB404_32
.LBB404_11:                             ;   in Loop: Header=BB404_4 Depth=1
	v_mov_b32_e32 v5, 0
.LBB404_12:                             ;   in Loop: Header=BB404_4 Depth=1
	s_mov_b32 s21, exec_lo
	s_or_b32 exec_lo, exec_lo, s34
	s_delay_alu instid0(SALU_CYCLE_1)
	s_and_b32 vcc_lo, exec_lo, s6
	s_wait_alu 0xfffe
	s_cbranch_vccz .LBB404_32
.LBB404_13:                             ;   in Loop: Header=BB404_4 Depth=1
	s_mul_u64 s[34:35], s[16:17], s[24:25]
	v_mov_b32_e32 v17, 0
	s_wait_alu 0xfffe
	s_lshl_b64 s[34:35], s[34:35], 1
	s_wait_alu 0xfffe
	s_add_nc_u64 s[34:35], s[10:11], s[34:35]
	s_and_saveexec_b32 s39, s4
	s_cbranch_execnz .LBB404_22
; %bb.14:                               ;   in Loop: Header=BB404_4 Depth=1
	s_wait_alu 0xfffe
	s_or_b32 exec_lo, exec_lo, s39
	s_and_saveexec_b32 s6, s5
	s_cbranch_execnz .LBB404_25
.LBB404_15:                             ;   in Loop: Header=BB404_4 Depth=1
	s_wait_alu 0xfffe
	s_or_b32 exec_lo, exec_lo, s6
	s_and_saveexec_b32 s6, s1
.LBB404_16:                             ;   in Loop: Header=BB404_4 Depth=1
	ds_store_b32 v10, v9
.LBB404_17:                             ;   in Loop: Header=BB404_4 Depth=1
	s_wait_alu 0xfffe
	s_or_b32 exec_lo, exec_lo, s6
	ds_bpermute_b32 v5, v16, v17
	v_cmp_gt_u32_e32 vcc_lo, 24, v15
	s_wait_dscnt 0x0
	s_barrier_signal -1
	s_barrier_wait -1
	global_inv scope:SCOPE_SE
	s_wait_alu 0xfffd
	v_cndmask_b32_e64 v6, 0, 8, vcc_lo
	v_cmp_gt_u32_e32 vcc_lo, 28, v15
	s_delay_alu instid0(VALU_DEP_2)
	v_add_lshl_u32 v6, v6, v15, 2
	v_add_f32_e32 v7, v17, v5
	s_wait_alu 0xfffd
	v_cndmask_b32_e64 v5, 0, 4, vcc_lo
	v_cmp_gt_u32_e32 vcc_lo, 30, v15
	ds_bpermute_b32 v6, v6, v7
	v_add_lshl_u32 v5, v5, v15, 2
	s_wait_dscnt 0x0
	v_add_f32_e32 v7, v7, v6
	s_wait_alu 0xfffd
	v_cndmask_b32_e64 v6, 0, 2, vcc_lo
	v_cmp_ne_u32_e32 vcc_lo, 31, v15
	ds_bpermute_b32 v8, v5, v7
	v_add_lshl_u32 v6, v6, v15, 2
	s_wait_alu 0xfffd
	v_add_co_ci_u32_e64 v17, null, 0, v15, vcc_lo
	s_wait_dscnt 0x0
	v_add_f32_e32 v7, v7, v8
	ds_bpermute_b32 v8, v6, v7
	s_wait_dscnt 0x0
	v_dual_add_f32 v8, v7, v8 :: v_dual_lshlrev_b32 v7, 2, v17
	ds_bpermute_b32 v17, v7, v8
	s_and_saveexec_b32 s6, s3
	s_cbranch_execz .LBB404_19
; %bb.18:                               ;   in Loop: Header=BB404_4 Depth=1
	s_wait_dscnt 0x0
	v_add_f32_e32 v8, v8, v17
	ds_store_b32 v11, v8
.LBB404_19:                             ;   in Loop: Header=BB404_4 Depth=1
	s_wait_alu 0xfffe
	s_or_b32 exec_lo, exec_lo, s6
	v_mov_b32_e32 v8, 0
	s_wait_loadcnt_dscnt 0x0
	s_barrier_signal -1
	s_barrier_wait -1
	global_inv scope:SCOPE_SE
	s_and_saveexec_b32 s6, s2
	s_cbranch_execnz .LBB404_26
; %bb.20:                               ;   in Loop: Header=BB404_4 Depth=1
	s_wait_alu 0xfffe
	s_or_b32 exec_lo, exec_lo, s6
	s_and_saveexec_b32 s6, s1
	s_cbranch_execnz .LBB404_27
.LBB404_21:                             ;   in Loop: Header=BB404_4 Depth=1
	s_wait_alu 0xfffe
	s_or_b32 exec_lo, exec_lo, s6
                                        ; implicit-def: $vgpr5
	s_and_saveexec_b32 s6, s0
	s_cbranch_execnz .LBB404_28
	s_branch .LBB404_31
.LBB404_22:                             ;   in Loop: Header=BB404_4 Depth=1
	v_mad_co_u64_u32 v[5:6], null, s12, s24, v[1:2]
	v_dual_mov_b32 v17, 0 :: v_dual_mov_b32 v18, v0
	s_mov_b32 s40, 0
	s_delay_alu instid0(VALU_DEP_2)
	v_mad_co_u64_u32 v[6:7], null, s13, s24, v[6:7]
	v_mov_b32_e32 v7, v14
.LBB404_23:                             ;   Parent Loop BB404_4 Depth=1
                                        ; =>  This Inner Loop Header: Depth=2
	s_wait_dscnt 0x0
	s_delay_alu instid0(VALU_DEP_1) | instskip(NEXT) | instid1(VALU_DEP_1)
	v_ashrrev_i32_e32 v8, 31, v7
	v_lshlrev_b64_e32 v[19:20], 1, v[7:8]
	v_add_nc_u32_e32 v7, s38, v7
	s_wait_alu 0xfffe
	s_delay_alu instid0(VALU_DEP_2) | instskip(SKIP_1) | instid1(VALU_DEP_3)
	v_add_co_u32 v19, vcc_lo, s34, v19
	s_wait_alu 0xfffd
	v_add_co_ci_u32_e64 v20, null, s35, v20, vcc_lo
	global_load_u16 v8, v[5:6], off
	global_load_u16 v19, v[19:20], off
	v_add_co_u32 v5, vcc_lo, 0x200, v5
	s_wait_alu 0xfffd
	v_add_co_ci_u32_e64 v6, null, 0, v6, vcc_lo
	s_wait_loadcnt 0x0
	v_mul_f16_e32 v8, v8, v19
	s_delay_alu instid0(VALU_DEP_1) | instskip(NEXT) | instid1(VALU_DEP_1)
	v_cvt_f32_f16_e32 v8, v8
	v_dual_add_f32 v17, v17, v8 :: v_dual_add_nc_u32 v18, 0x100, v18
	s_delay_alu instid0(VALU_DEP_1)
	v_cmp_le_i32_e64 s6, s20, v18
	s_or_b32 s40, s6, s40
	s_wait_alu 0xfffe
	s_and_not1_b32 exec_lo, exec_lo, s40
	s_cbranch_execnz .LBB404_23
; %bb.24:                               ;   in Loop: Header=BB404_4 Depth=1
	s_or_b32 exec_lo, exec_lo, s40
	s_delay_alu instid0(SALU_CYCLE_1)
	s_or_b32 exec_lo, exec_lo, s39
	s_and_saveexec_b32 s6, s5
	s_cbranch_execz .LBB404_15
.LBB404_25:                             ;   in Loop: Header=BB404_4 Depth=1
	s_mul_u64 s[40:41], s[8:9], s[24:25]
	s_wait_alu 0xfffe
	s_lshl_b64 s[40:41], s[40:41], 1
	s_wait_alu 0xfffe
	v_add_co_u32 v5, vcc_lo, v12, s40
	s_wait_alu 0xfffd
	v_add_co_ci_u32_e64 v6, null, s41, v13, vcc_lo
	s_delay_alu instid0(VALU_DEP_2) | instskip(SKIP_1) | instid1(VALU_DEP_2)
	v_add_co_u32 v5, vcc_lo, v5, s28
	s_wait_alu 0xfffd
	v_add_co_ci_u32_e64 v6, null, s29, v6, vcc_lo
	v_add_co_u32 v7, vcc_lo, s34, v3
	s_wait_dscnt 0x0
	s_wait_alu 0xfffd
	v_add_co_ci_u32_e64 v8, null, s35, v4, vcc_lo
	global_load_u16 v5, v[5:6], off
	global_load_u16 v6, v[7:8], off
	s_wait_loadcnt 0x0
	v_mul_f16_e32 v5, v5, v6
	s_delay_alu instid0(VALU_DEP_1) | instskip(NEXT) | instid1(VALU_DEP_1)
	v_cvt_f32_f16_e32 v5, v5
	v_add_f32_e32 v17, v17, v5
	s_or_b32 exec_lo, exec_lo, s6
	s_and_saveexec_b32 s6, s1
	s_cbranch_execnz .LBB404_16
	s_branch .LBB404_17
.LBB404_26:                             ;   in Loop: Header=BB404_4 Depth=1
	ds_load_b32 v8, v10
	s_wait_alu 0xfffe
	s_or_b32 exec_lo, exec_lo, s6
	s_and_saveexec_b32 s6, s1
	s_cbranch_execz .LBB404_21
.LBB404_27:                             ;   in Loop: Header=BB404_4 Depth=1
	s_wait_dscnt 0x0
	ds_bpermute_b32 v5, v5, v8
	s_wait_dscnt 0x0
	v_add_f32_e32 v5, v8, v5
	ds_bpermute_b32 v6, v6, v5
	s_wait_dscnt 0x0
	v_add_f32_e32 v5, v5, v6
	ds_bpermute_b32 v6, v7, v5
	s_wait_dscnt 0x0
	v_add_f32_e32 v8, v5, v6
	s_wait_alu 0xfffe
	s_or_b32 exec_lo, exec_lo, s6
                                        ; implicit-def: $vgpr5
	s_and_saveexec_b32 s6, s0
	s_cbranch_execz .LBB404_31
.LBB404_28:                             ;   in Loop: Header=BB404_4 Depth=1
	s_wait_dscnt 0x0
	v_mul_f32_e32 v5, s33, v8
	s_and_not1_b32 vcc_lo, exec_lo, s37
	s_wait_alu 0xfffe
	s_cbranch_vccnz .LBB404_30
; %bb.29:                               ;   in Loop: Header=BB404_4 Depth=1
	s_add_nc_u64 s[34:35], s[30:31], s[22:23]
	global_load_u16 v6, v9, s[34:35]
	s_wait_loadcnt 0x0
	v_fma_mix_f32 v5, s18, v6, v5 op_sel_hi:[0,1,0]
.LBB404_30:                             ;   in Loop: Header=BB404_4 Depth=1
	s_delay_alu instid0(VALU_DEP_1)
	v_cvt_f16_f32_e32 v5, v5
	s_or_b32 s21, s21, exec_lo
.LBB404_31:                             ;   in Loop: Header=BB404_4 Depth=1
	s_wait_alu 0xfffe
	s_or_b32 exec_lo, exec_lo, s6
.LBB404_32:                             ;   in Loop: Header=BB404_4 Depth=1
	s_wait_alu 0xfffe
	s_and_saveexec_b32 s6, s21
	s_cbranch_execz .LBB404_2
; %bb.33:                               ;   in Loop: Header=BB404_4 Depth=1
	s_add_nc_u64 s[30:31], s[30:31], s[22:23]
	global_store_b16 v9, v5, s[30:31]
	s_branch .LBB404_2
.LBB404_34:
	s_endpgm
	.section	.rodata,"a",@progbits
	.p2align	6, 0x0
	.amdhsa_kernel _ZL32rocblas_gemvt_warp_reduce_kernelILb0ELi256EiDF16_fDF16_EviiT3_lPKT2_lT1_lS3_lS4_lS0_lPT4_lS4_li
		.amdhsa_group_segment_fixed_size 128
		.amdhsa_private_segment_fixed_size 0
		.amdhsa_kernarg_size 140
		.amdhsa_user_sgpr_count 2
		.amdhsa_user_sgpr_dispatch_ptr 0
		.amdhsa_user_sgpr_queue_ptr 0
		.amdhsa_user_sgpr_kernarg_segment_ptr 1
		.amdhsa_user_sgpr_dispatch_id 0
		.amdhsa_user_sgpr_private_segment_size 0
		.amdhsa_wavefront_size32 1
		.amdhsa_uses_dynamic_stack 0
		.amdhsa_enable_private_segment 0
		.amdhsa_system_sgpr_workgroup_id_x 1
		.amdhsa_system_sgpr_workgroup_id_y 0
		.amdhsa_system_sgpr_workgroup_id_z 1
		.amdhsa_system_sgpr_workgroup_info 0
		.amdhsa_system_vgpr_workitem_id 0
		.amdhsa_next_free_vgpr 21
		.amdhsa_next_free_sgpr 42
		.amdhsa_reserve_vcc 1
		.amdhsa_float_round_mode_32 0
		.amdhsa_float_round_mode_16_64 0
		.amdhsa_float_denorm_mode_32 3
		.amdhsa_float_denorm_mode_16_64 3
		.amdhsa_fp16_overflow 0
		.amdhsa_workgroup_processor_mode 1
		.amdhsa_memory_ordered 1
		.amdhsa_forward_progress 1
		.amdhsa_inst_pref_size 13
		.amdhsa_round_robin_scheduling 0
		.amdhsa_exception_fp_ieee_invalid_op 0
		.amdhsa_exception_fp_denorm_src 0
		.amdhsa_exception_fp_ieee_div_zero 0
		.amdhsa_exception_fp_ieee_overflow 0
		.amdhsa_exception_fp_ieee_underflow 0
		.amdhsa_exception_fp_ieee_inexact 0
		.amdhsa_exception_int_div_zero 0
	.end_amdhsa_kernel
	.section	.text._ZL32rocblas_gemvt_warp_reduce_kernelILb0ELi256EiDF16_fDF16_EviiT3_lPKT2_lT1_lS3_lS4_lS0_lPT4_lS4_li,"axG",@progbits,_ZL32rocblas_gemvt_warp_reduce_kernelILb0ELi256EiDF16_fDF16_EviiT3_lPKT2_lT1_lS3_lS4_lS0_lPT4_lS4_li,comdat
.Lfunc_end404:
	.size	_ZL32rocblas_gemvt_warp_reduce_kernelILb0ELi256EiDF16_fDF16_EviiT3_lPKT2_lT1_lS3_lS4_lS0_lPT4_lS4_li, .Lfunc_end404-_ZL32rocblas_gemvt_warp_reduce_kernelILb0ELi256EiDF16_fDF16_EviiT3_lPKT2_lT1_lS3_lS4_lS0_lPT4_lS4_li
                                        ; -- End function
	.set _ZL32rocblas_gemvt_warp_reduce_kernelILb0ELi256EiDF16_fDF16_EviiT3_lPKT2_lT1_lS3_lS4_lS0_lPT4_lS4_li.num_vgpr, 21
	.set _ZL32rocblas_gemvt_warp_reduce_kernelILb0ELi256EiDF16_fDF16_EviiT3_lPKT2_lT1_lS3_lS4_lS0_lPT4_lS4_li.num_agpr, 0
	.set _ZL32rocblas_gemvt_warp_reduce_kernelILb0ELi256EiDF16_fDF16_EviiT3_lPKT2_lT1_lS3_lS4_lS0_lPT4_lS4_li.numbered_sgpr, 42
	.set _ZL32rocblas_gemvt_warp_reduce_kernelILb0ELi256EiDF16_fDF16_EviiT3_lPKT2_lT1_lS3_lS4_lS0_lPT4_lS4_li.num_named_barrier, 0
	.set _ZL32rocblas_gemvt_warp_reduce_kernelILb0ELi256EiDF16_fDF16_EviiT3_lPKT2_lT1_lS3_lS4_lS0_lPT4_lS4_li.private_seg_size, 0
	.set _ZL32rocblas_gemvt_warp_reduce_kernelILb0ELi256EiDF16_fDF16_EviiT3_lPKT2_lT1_lS3_lS4_lS0_lPT4_lS4_li.uses_vcc, 1
	.set _ZL32rocblas_gemvt_warp_reduce_kernelILb0ELi256EiDF16_fDF16_EviiT3_lPKT2_lT1_lS3_lS4_lS0_lPT4_lS4_li.uses_flat_scratch, 0
	.set _ZL32rocblas_gemvt_warp_reduce_kernelILb0ELi256EiDF16_fDF16_EviiT3_lPKT2_lT1_lS3_lS4_lS0_lPT4_lS4_li.has_dyn_sized_stack, 0
	.set _ZL32rocblas_gemvt_warp_reduce_kernelILb0ELi256EiDF16_fDF16_EviiT3_lPKT2_lT1_lS3_lS4_lS0_lPT4_lS4_li.has_recursion, 0
	.set _ZL32rocblas_gemvt_warp_reduce_kernelILb0ELi256EiDF16_fDF16_EviiT3_lPKT2_lT1_lS3_lS4_lS0_lPT4_lS4_li.has_indirect_call, 0
	.section	.AMDGPU.csdata,"",@progbits
; Kernel info:
; codeLenInByte = 1560
; TotalNumSgprs: 44
; NumVgprs: 21
; ScratchSize: 0
; MemoryBound: 0
; FloatMode: 240
; IeeeMode: 1
; LDSByteSize: 128 bytes/workgroup (compile time only)
; SGPRBlocks: 0
; VGPRBlocks: 2
; NumSGPRsForWavesPerEU: 44
; NumVGPRsForWavesPerEU: 21
; Occupancy: 16
; WaveLimiterHint : 0
; COMPUTE_PGM_RSRC2:SCRATCH_EN: 0
; COMPUTE_PGM_RSRC2:USER_SGPR: 2
; COMPUTE_PGM_RSRC2:TRAP_HANDLER: 0
; COMPUTE_PGM_RSRC2:TGID_X_EN: 1
; COMPUTE_PGM_RSRC2:TGID_Y_EN: 0
; COMPUTE_PGM_RSRC2:TGID_Z_EN: 1
; COMPUTE_PGM_RSRC2:TIDIG_COMP_CNT: 0
	.section	.text._ZL32rocblas_gemvt_warp_reduce_kernelILb0ELi256ElDF16_fDF16_EviiT3_lPKT2_lT1_lS3_lS4_lS0_lPT4_lS4_li,"axG",@progbits,_ZL32rocblas_gemvt_warp_reduce_kernelILb0ELi256ElDF16_fDF16_EviiT3_lPKT2_lT1_lS3_lS4_lS0_lPT4_lS4_li,comdat
	.globl	_ZL32rocblas_gemvt_warp_reduce_kernelILb0ELi256ElDF16_fDF16_EviiT3_lPKT2_lT1_lS3_lS4_lS0_lPT4_lS4_li ; -- Begin function _ZL32rocblas_gemvt_warp_reduce_kernelILb0ELi256ElDF16_fDF16_EviiT3_lPKT2_lT1_lS3_lS4_lS0_lPT4_lS4_li
	.p2align	8
	.type	_ZL32rocblas_gemvt_warp_reduce_kernelILb0ELi256ElDF16_fDF16_EviiT3_lPKT2_lT1_lS3_lS4_lS0_lPT4_lS4_li,@function
_ZL32rocblas_gemvt_warp_reduce_kernelILb0ELi256ElDF16_fDF16_EviiT3_lPKT2_lT1_lS3_lS4_lS0_lPT4_lS4_li: ; @_ZL32rocblas_gemvt_warp_reduce_kernelILb0ELi256ElDF16_fDF16_EviiT3_lPKT2_lT1_lS3_lS4_lS0_lPT4_lS4_li
; %bb.0:
	s_load_b32 s7, s[0:1], 0x88
	s_lshr_b32 s34, ttmp7, 16
	s_wait_kmcnt 0x0
	s_cmp_ge_u32 s34, s7
	s_cbranch_scc1 .LBB405_34
; %bb.1:
	s_clause 0x4
	s_load_b512 s[8:23], s[0:1], 0x18
	s_load_b256 s[24:31], s[0:1], 0x68
	s_load_b32 s33, s[0:1], 0x8
	s_load_b32 s36, s[0:1], 0x58
	;; [unrolled: 1-line block ×3, first 2 shown]
	v_and_b32_e32 v1, 31, v0
	v_mov_b32_e32 v11, 0
	s_mov_b32 s4, ttmp9
	v_lshrrev_b32_e32 v4, 3, v0
	v_mbcnt_lo_u32_b32 v16, -1, 0
	v_lshlrev_b32_e32 v12, 2, v1
	v_cmp_eq_u32_e64 s2, 0, v1
	v_cmp_eq_u32_e64 s0, 0, v0
	v_and_b32_e32 v15, 28, v4
	v_cmp_gt_u32_e64 s1, 32, v0
	v_lshl_or_b32 v17, v16, 2, 64
	s_mov_b32 s35, 0
	s_wait_kmcnt 0x0
	s_lshl_b64 s[18:19], s[18:19], 1
	s_lshl_b64 s[26:27], s[26:27], 1
	;; [unrolled: 1-line block ×3, first 2 shown]
	s_cmp_eq_f32 s33, 0
	v_cmp_gt_i32_e32 vcc_lo, s6, v0
	v_mad_co_u64_u32 v[1:2], null, s20, v0, 0
	s_cselect_b32 s37, -1, 0
	s_cmp_neq_f32 s33, 0
	v_cndmask_b32_e32 v3, 0, v0, vcc_lo
	s_add_nc_u64 s[10:11], s[16:17], s[18:19]
	s_add_nc_u64 s[18:19], s[8:9], s[40:41]
	s_cselect_b32 s3, -1, 0
	s_cmp_neq_f32 s36, 1.0
	v_lshlrev_b32_e32 v7, 1, v3
	v_mad_co_u64_u32 v[2:3], null, s21, v0, v[2:3]
	s_cselect_b32 s5, -1, 0
	s_add_nc_u64 s[16:17], s[24:25], s[26:27]
	s_or_b32 s38, s3, s5
	s_cmp_neq_f32 s36, 0
	v_add_co_u32 v8, s5, s18, v7
	s_delay_alu instid0(VALU_DEP_1)
	v_add_co_ci_u32_e64 v9, null, s19, 0, s5
	s_cselect_b32 s39, -1, 0
	s_ashr_i32 s3, s6, 31
	s_ashr_i32 s5, ttmp9, 31
	s_lshr_b32 s3, s3, 24
	s_wait_alu 0xfffe
	s_mul_u64 s[12:13], s[12:13], s[4:5]
	s_add_co_i32 s3, s6, s3
	s_mul_u64 s[24:25], s[28:29], s[4:5]
	s_and_b32 s18, s3, 0xffffff00
	s_lshl_b64 s[12:13], s[12:13], 1
	s_wait_alu 0xfffe
	v_or_b32_e32 v10, s18, v0
	s_ashr_i32 s19, s18, 31
	v_add_co_u32 v13, vcc_lo, v8, s12
	s_wait_alu 0xfffe
	s_mul_i32 s5, s20, s19
	v_mul_lo_u32 v3, s21, v10
	v_mad_co_u64_u32 v[5:6], null, s20, v10, 0
	s_wait_alu 0xfffd
	v_add_co_ci_u32_e64 v14, null, s13, v9, vcc_lo
	s_add_nc_u64 s[12:13], s[12:13], s[40:41]
	v_cmp_gt_i32_e64 s4, s6, v10
	s_wait_alu 0xfffe
	s_add_nc_u64 s[8:9], s[8:9], s[12:13]
	v_cmp_gt_i32_e64 s3, s18, v0
	v_add3_u32 v6, v6, s5, v3
	v_lshlrev_b64_e32 v[3:4], 1, v[1:2]
	v_add_co_u32 v1, s6, s8, v7
	v_cmp_gt_u32_e64 s5, 8, v0
	s_delay_alu instid0(VALU_DEP_4)
	v_lshlrev_b64_e32 v[5:6], 1, v[5:6]
	s_wait_alu 0xf1ff
	v_add_co_ci_u32_e64 v2, null, s9, 0, s6
	v_add_co_u32 v3, vcc_lo, s10, v3
	s_wait_alu 0xfffd
	v_add_co_ci_u32_e64 v4, null, s11, v4, vcc_lo
	s_lshl_b64 s[8:9], s[14:15], 1
	s_lshl_b64 s[12:13], s[22:23], 1
	;; [unrolled: 1-line block ×5, first 2 shown]
	s_branch .LBB405_4
.LBB405_2:                              ;   in Loop: Header=BB405_4 Depth=1
	s_wait_alu 0xfffe
	s_or_b32 exec_lo, exec_lo, s6
.LBB405_3:                              ;   in Loop: Header=BB405_4 Depth=1
	s_add_co_i32 s34, s34, 0x10000
	s_wait_alu 0xfffe
	s_cmp_lt_u32 s34, s7
	s_cbranch_scc0 .LBB405_34
.LBB405_4:                              ; =>This Loop Header: Depth=1
                                        ;     Child Loop BB405_23 Depth 2
	s_and_not1_b32 vcc_lo, exec_lo, s38
	s_wait_alu 0xfffe
	s_cbranch_vccnz .LBB405_3
; %bb.5:                                ;   in Loop: Header=BB405_4 Depth=1
	s_mul_u64 s[28:29], s[30:31], s[34:35]
	s_and_not1_b32 vcc_lo, exec_lo, s37
	s_lshl_b64 s[28:29], s[28:29], 1
	s_delay_alu instid0(SALU_CYCLE_1)
	s_add_nc_u64 s[28:29], s[16:17], s[28:29]
	s_wait_alu 0xfffe
	s_cbranch_vccnz .LBB405_9
; %bb.6:                                ;   in Loop: Header=BB405_4 Depth=1
	s_mov_b32 s6, 0
	s_mov_b32 s19, 0
                                        ; implicit-def: $vgpr7
	s_and_saveexec_b32 s40, s0
	s_cbranch_execz .LBB405_10
; %bb.7:                                ;   in Loop: Header=BB405_4 Depth=1
	s_and_not1_b32 vcc_lo, exec_lo, s39
	s_wait_alu 0xfffe
	s_cbranch_vccnz .LBB405_11
; %bb.8:                                ;   in Loop: Header=BB405_4 Depth=1
	s_add_nc_u64 s[42:43], s[28:29], s[24:25]
	global_load_u16 v7, v11, s[42:43]
	s_wait_loadcnt 0x0
	v_fma_mixlo_f16 v7, s36, v7, 0 op_sel_hi:[0,1,0]
	s_branch .LBB405_12
.LBB405_9:                              ;   in Loop: Header=BB405_4 Depth=1
	s_mov_b32 s19, 0
                                        ; implicit-def: $vgpr7
	s_cbranch_execnz .LBB405_13
	s_branch .LBB405_32
.LBB405_10:                             ;   in Loop: Header=BB405_4 Depth=1
	s_wait_alu 0xfffe
	s_or_b32 exec_lo, exec_lo, s40
	s_delay_alu instid0(SALU_CYCLE_1)
	s_and_b32 vcc_lo, exec_lo, s6
	s_wait_alu 0xfffe
	s_cbranch_vccnz .LBB405_13
	s_branch .LBB405_32
.LBB405_11:                             ;   in Loop: Header=BB405_4 Depth=1
	v_mov_b32_e32 v7, 0
.LBB405_12:                             ;   in Loop: Header=BB405_4 Depth=1
	s_mov_b32 s19, exec_lo
	s_or_b32 exec_lo, exec_lo, s40
	s_delay_alu instid0(SALU_CYCLE_1)
	s_and_b32 vcc_lo, exec_lo, s6
	s_wait_alu 0xfffe
	s_cbranch_vccz .LBB405_32
.LBB405_13:                             ;   in Loop: Header=BB405_4 Depth=1
	v_mov_b32_e32 v18, 0
	s_and_saveexec_b32 s40, s3
	s_cbranch_execnz .LBB405_22
; %bb.14:                               ;   in Loop: Header=BB405_4 Depth=1
	s_wait_alu 0xfffe
	s_or_b32 exec_lo, exec_lo, s40
	s_and_saveexec_b32 s6, s4
	s_cbranch_execnz .LBB405_25
.LBB405_15:                             ;   in Loop: Header=BB405_4 Depth=1
	s_wait_alu 0xfffe
	s_or_b32 exec_lo, exec_lo, s6
	s_and_saveexec_b32 s6, s1
.LBB405_16:                             ;   in Loop: Header=BB405_4 Depth=1
	ds_store_b32 v12, v11
.LBB405_17:                             ;   in Loop: Header=BB405_4 Depth=1
	s_wait_alu 0xfffe
	s_or_b32 exec_lo, exec_lo, s6
	ds_bpermute_b32 v7, v17, v18
	v_cmp_gt_u32_e32 vcc_lo, 24, v16
	s_wait_dscnt 0x0
	s_barrier_signal -1
	s_barrier_wait -1
	global_inv scope:SCOPE_SE
	s_wait_alu 0xfffd
	v_cndmask_b32_e64 v8, 0, 8, vcc_lo
	v_cmp_gt_u32_e32 vcc_lo, 28, v16
	s_delay_alu instid0(VALU_DEP_2)
	v_add_lshl_u32 v8, v8, v16, 2
	v_add_f32_e32 v9, v18, v7
	s_wait_alu 0xfffd
	v_cndmask_b32_e64 v7, 0, 4, vcc_lo
	v_cmp_gt_u32_e32 vcc_lo, 30, v16
	ds_bpermute_b32 v8, v8, v9
	v_add_lshl_u32 v7, v7, v16, 2
	s_wait_dscnt 0x0
	v_add_f32_e32 v9, v9, v8
	s_wait_alu 0xfffd
	v_cndmask_b32_e64 v8, 0, 2, vcc_lo
	v_cmp_ne_u32_e32 vcc_lo, 31, v16
	ds_bpermute_b32 v10, v7, v9
	v_add_lshl_u32 v8, v8, v16, 2
	s_wait_alu 0xfffd
	v_add_co_ci_u32_e64 v18, null, 0, v16, vcc_lo
	s_wait_dscnt 0x0
	v_add_f32_e32 v9, v9, v10
	ds_bpermute_b32 v10, v8, v9
	s_wait_dscnt 0x0
	v_add_f32_e32 v10, v9, v10
	v_lshlrev_b32_e32 v9, 2, v18
	ds_bpermute_b32 v18, v9, v10
	s_and_saveexec_b32 s6, s2
	s_cbranch_execz .LBB405_19
; %bb.18:                               ;   in Loop: Header=BB405_4 Depth=1
	s_wait_dscnt 0x0
	v_add_f32_e32 v10, v10, v18
	ds_store_b32 v15, v10
.LBB405_19:                             ;   in Loop: Header=BB405_4 Depth=1
	s_wait_alu 0xfffe
	s_or_b32 exec_lo, exec_lo, s6
	v_mov_b32_e32 v10, 0
	s_wait_loadcnt_dscnt 0x0
	s_barrier_signal -1
	s_barrier_wait -1
	global_inv scope:SCOPE_SE
	s_and_saveexec_b32 s6, s5
	s_cbranch_execnz .LBB405_26
; %bb.20:                               ;   in Loop: Header=BB405_4 Depth=1
	s_wait_alu 0xfffe
	s_or_b32 exec_lo, exec_lo, s6
	s_and_saveexec_b32 s6, s1
	s_cbranch_execnz .LBB405_27
.LBB405_21:                             ;   in Loop: Header=BB405_4 Depth=1
	s_wait_alu 0xfffe
	s_or_b32 exec_lo, exec_lo, s6
                                        ; implicit-def: $vgpr7
	s_and_saveexec_b32 s6, s0
	s_cbranch_execnz .LBB405_28
	s_branch .LBB405_31
.LBB405_22:                             ;   in Loop: Header=BB405_4 Depth=1
	v_mad_co_u64_u32 v[7:8], null, s8, s34, v[1:2]
	s_wait_dscnt 0x0
	v_mad_co_u64_u32 v[9:10], null, s12, s34, v[3:4]
	v_mov_b32_e32 v18, 0
	s_mov_b32 s41, 0
	s_delay_alu instid0(VALU_DEP_2) | instskip(NEXT) | instid1(VALU_DEP_3)
	v_mad_co_u64_u32 v[19:20], null, s9, s34, v[8:9]
	v_mad_co_u64_u32 v[20:21], null, s13, s34, v[10:11]
	s_delay_alu instid0(VALU_DEP_2) | instskip(NEXT) | instid1(VALU_DEP_2)
	v_dual_mov_b32 v8, v19 :: v_dual_mov_b32 v19, v0
	v_mov_b32_e32 v10, v20
.LBB405_23:                             ;   Parent Loop BB405_4 Depth=1
                                        ; =>  This Inner Loop Header: Depth=2
	global_load_u16 v20, v[7:8], off
	global_load_u16 v21, v[9:10], off
	v_add_co_u32 v7, vcc_lo, 0x200, v7
	s_wait_alu 0xfffd
	v_add_co_ci_u32_e64 v8, null, 0, v8, vcc_lo
	v_add_co_u32 v9, vcc_lo, v9, s20
	s_wait_alu 0xfffd
	v_add_co_ci_u32_e64 v10, null, s21, v10, vcc_lo
	s_wait_loadcnt 0x0
	v_mul_f16_e32 v20, v20, v21
	s_delay_alu instid0(VALU_DEP_1) | instskip(NEXT) | instid1(VALU_DEP_1)
	v_cvt_f32_f16_e32 v20, v20
	v_dual_add_f32 v18, v18, v20 :: v_dual_add_nc_u32 v19, 0x100, v19
	s_delay_alu instid0(VALU_DEP_1)
	v_cmp_le_i32_e64 s6, s18, v19
	s_wait_alu 0xfffe
	s_or_b32 s41, s6, s41
	s_wait_alu 0xfffe
	s_and_not1_b32 exec_lo, exec_lo, s41
	s_cbranch_execnz .LBB405_23
; %bb.24:                               ;   in Loop: Header=BB405_4 Depth=1
	s_or_b32 exec_lo, exec_lo, s41
	s_delay_alu instid0(SALU_CYCLE_1)
	s_or_b32 exec_lo, exec_lo, s40
	s_and_saveexec_b32 s6, s4
	s_cbranch_execz .LBB405_15
.LBB405_25:                             ;   in Loop: Header=BB405_4 Depth=1
	s_mul_u64 s[40:41], s[14:15], s[34:35]
	s_mul_u64 s[42:43], s[22:23], s[34:35]
	s_wait_alu 0xfffe
	s_lshl_b64 s[40:41], s[40:41], 1
	s_lshl_b64 s[42:43], s[42:43], 1
	s_wait_alu 0xfffe
	v_add_co_u32 v7, vcc_lo, v13, s40
	s_wait_alu 0xfffd
	v_add_co_ci_u32_e64 v8, null, s41, v14, vcc_lo
	s_add_nc_u64 s[40:41], s[10:11], s[42:43]
	v_add_co_u32 v7, vcc_lo, v7, s26
	s_wait_alu 0xfffd
	v_add_co_ci_u32_e64 v8, null, s27, v8, vcc_lo
	s_wait_alu 0xfffe
	v_add_co_u32 v9, vcc_lo, s40, v5
	s_wait_dscnt 0x0
	s_wait_alu 0xfffd
	v_add_co_ci_u32_e64 v10, null, s41, v6, vcc_lo
	global_load_u16 v7, v[7:8], off
	global_load_u16 v8, v[9:10], off
	s_wait_loadcnt 0x0
	v_mul_f16_e32 v7, v7, v8
	s_delay_alu instid0(VALU_DEP_1) | instskip(NEXT) | instid1(VALU_DEP_1)
	v_cvt_f32_f16_e32 v7, v7
	v_add_f32_e32 v18, v18, v7
	s_or_b32 exec_lo, exec_lo, s6
	s_and_saveexec_b32 s6, s1
	s_cbranch_execnz .LBB405_16
	s_branch .LBB405_17
.LBB405_26:                             ;   in Loop: Header=BB405_4 Depth=1
	ds_load_b32 v10, v12
	s_wait_alu 0xfffe
	s_or_b32 exec_lo, exec_lo, s6
	s_and_saveexec_b32 s6, s1
	s_cbranch_execz .LBB405_21
.LBB405_27:                             ;   in Loop: Header=BB405_4 Depth=1
	s_wait_dscnt 0x0
	ds_bpermute_b32 v7, v7, v10
	s_wait_dscnt 0x0
	v_add_f32_e32 v7, v10, v7
	ds_bpermute_b32 v8, v8, v7
	s_wait_dscnt 0x0
	v_add_f32_e32 v7, v7, v8
	;; [unrolled: 3-line block ×3, first 2 shown]
	s_wait_alu 0xfffe
	s_or_b32 exec_lo, exec_lo, s6
                                        ; implicit-def: $vgpr7
	s_and_saveexec_b32 s6, s0
	s_cbranch_execz .LBB405_31
.LBB405_28:                             ;   in Loop: Header=BB405_4 Depth=1
	s_wait_dscnt 0x0
	v_mul_f32_e32 v7, s33, v10
	s_and_not1_b32 vcc_lo, exec_lo, s39
	s_wait_alu 0xfffe
	s_cbranch_vccnz .LBB405_30
; %bb.29:                               ;   in Loop: Header=BB405_4 Depth=1
	s_add_nc_u64 s[40:41], s[28:29], s[24:25]
	global_load_u16 v8, v11, s[40:41]
	s_wait_loadcnt 0x0
	v_fma_mix_f32 v7, s36, v8, v7 op_sel_hi:[0,1,0]
.LBB405_30:                             ;   in Loop: Header=BB405_4 Depth=1
	s_delay_alu instid0(VALU_DEP_1)
	v_cvt_f16_f32_e32 v7, v7
	s_or_b32 s19, s19, exec_lo
.LBB405_31:                             ;   in Loop: Header=BB405_4 Depth=1
	s_wait_alu 0xfffe
	s_or_b32 exec_lo, exec_lo, s6
.LBB405_32:                             ;   in Loop: Header=BB405_4 Depth=1
	s_wait_alu 0xfffe
	s_and_saveexec_b32 s6, s19
	s_cbranch_execz .LBB405_2
; %bb.33:                               ;   in Loop: Header=BB405_4 Depth=1
	s_add_nc_u64 s[28:29], s[28:29], s[24:25]
	global_store_b16 v11, v7, s[28:29]
	s_branch .LBB405_2
.LBB405_34:
	s_endpgm
	.section	.rodata,"a",@progbits
	.p2align	6, 0x0
	.amdhsa_kernel _ZL32rocblas_gemvt_warp_reduce_kernelILb0ELi256ElDF16_fDF16_EviiT3_lPKT2_lT1_lS3_lS4_lS0_lPT4_lS4_li
		.amdhsa_group_segment_fixed_size 128
		.amdhsa_private_segment_fixed_size 0
		.amdhsa_kernarg_size 140
		.amdhsa_user_sgpr_count 2
		.amdhsa_user_sgpr_dispatch_ptr 0
		.amdhsa_user_sgpr_queue_ptr 0
		.amdhsa_user_sgpr_kernarg_segment_ptr 1
		.amdhsa_user_sgpr_dispatch_id 0
		.amdhsa_user_sgpr_private_segment_size 0
		.amdhsa_wavefront_size32 1
		.amdhsa_uses_dynamic_stack 0
		.amdhsa_enable_private_segment 0
		.amdhsa_system_sgpr_workgroup_id_x 1
		.amdhsa_system_sgpr_workgroup_id_y 0
		.amdhsa_system_sgpr_workgroup_id_z 1
		.amdhsa_system_sgpr_workgroup_info 0
		.amdhsa_system_vgpr_workitem_id 0
		.amdhsa_next_free_vgpr 22
		.amdhsa_next_free_sgpr 44
		.amdhsa_reserve_vcc 1
		.amdhsa_float_round_mode_32 0
		.amdhsa_float_round_mode_16_64 0
		.amdhsa_float_denorm_mode_32 3
		.amdhsa_float_denorm_mode_16_64 3
		.amdhsa_fp16_overflow 0
		.amdhsa_workgroup_processor_mode 1
		.amdhsa_memory_ordered 1
		.amdhsa_forward_progress 1
		.amdhsa_inst_pref_size 13
		.amdhsa_round_robin_scheduling 0
		.amdhsa_exception_fp_ieee_invalid_op 0
		.amdhsa_exception_fp_denorm_src 0
		.amdhsa_exception_fp_ieee_div_zero 0
		.amdhsa_exception_fp_ieee_overflow 0
		.amdhsa_exception_fp_ieee_underflow 0
		.amdhsa_exception_fp_ieee_inexact 0
		.amdhsa_exception_int_div_zero 0
	.end_amdhsa_kernel
	.section	.text._ZL32rocblas_gemvt_warp_reduce_kernelILb0ELi256ElDF16_fDF16_EviiT3_lPKT2_lT1_lS3_lS4_lS0_lPT4_lS4_li,"axG",@progbits,_ZL32rocblas_gemvt_warp_reduce_kernelILb0ELi256ElDF16_fDF16_EviiT3_lPKT2_lT1_lS3_lS4_lS0_lPT4_lS4_li,comdat
.Lfunc_end405:
	.size	_ZL32rocblas_gemvt_warp_reduce_kernelILb0ELi256ElDF16_fDF16_EviiT3_lPKT2_lT1_lS3_lS4_lS0_lPT4_lS4_li, .Lfunc_end405-_ZL32rocblas_gemvt_warp_reduce_kernelILb0ELi256ElDF16_fDF16_EviiT3_lPKT2_lT1_lS3_lS4_lS0_lPT4_lS4_li
                                        ; -- End function
	.set _ZL32rocblas_gemvt_warp_reduce_kernelILb0ELi256ElDF16_fDF16_EviiT3_lPKT2_lT1_lS3_lS4_lS0_lPT4_lS4_li.num_vgpr, 22
	.set _ZL32rocblas_gemvt_warp_reduce_kernelILb0ELi256ElDF16_fDF16_EviiT3_lPKT2_lT1_lS3_lS4_lS0_lPT4_lS4_li.num_agpr, 0
	.set _ZL32rocblas_gemvt_warp_reduce_kernelILb0ELi256ElDF16_fDF16_EviiT3_lPKT2_lT1_lS3_lS4_lS0_lPT4_lS4_li.numbered_sgpr, 44
	.set _ZL32rocblas_gemvt_warp_reduce_kernelILb0ELi256ElDF16_fDF16_EviiT3_lPKT2_lT1_lS3_lS4_lS0_lPT4_lS4_li.num_named_barrier, 0
	.set _ZL32rocblas_gemvt_warp_reduce_kernelILb0ELi256ElDF16_fDF16_EviiT3_lPKT2_lT1_lS3_lS4_lS0_lPT4_lS4_li.private_seg_size, 0
	.set _ZL32rocblas_gemvt_warp_reduce_kernelILb0ELi256ElDF16_fDF16_EviiT3_lPKT2_lT1_lS3_lS4_lS0_lPT4_lS4_li.uses_vcc, 1
	.set _ZL32rocblas_gemvt_warp_reduce_kernelILb0ELi256ElDF16_fDF16_EviiT3_lPKT2_lT1_lS3_lS4_lS0_lPT4_lS4_li.uses_flat_scratch, 0
	.set _ZL32rocblas_gemvt_warp_reduce_kernelILb0ELi256ElDF16_fDF16_EviiT3_lPKT2_lT1_lS3_lS4_lS0_lPT4_lS4_li.has_dyn_sized_stack, 0
	.set _ZL32rocblas_gemvt_warp_reduce_kernelILb0ELi256ElDF16_fDF16_EviiT3_lPKT2_lT1_lS3_lS4_lS0_lPT4_lS4_li.has_recursion, 0
	.set _ZL32rocblas_gemvt_warp_reduce_kernelILb0ELi256ElDF16_fDF16_EviiT3_lPKT2_lT1_lS3_lS4_lS0_lPT4_lS4_li.has_indirect_call, 0
	.section	.AMDGPU.csdata,"",@progbits
; Kernel info:
; codeLenInByte = 1572
; TotalNumSgprs: 46
; NumVgprs: 22
; ScratchSize: 0
; MemoryBound: 0
; FloatMode: 240
; IeeeMode: 1
; LDSByteSize: 128 bytes/workgroup (compile time only)
; SGPRBlocks: 0
; VGPRBlocks: 2
; NumSGPRsForWavesPerEU: 46
; NumVGPRsForWavesPerEU: 22
; Occupancy: 16
; WaveLimiterHint : 0
; COMPUTE_PGM_RSRC2:SCRATCH_EN: 0
; COMPUTE_PGM_RSRC2:USER_SGPR: 2
; COMPUTE_PGM_RSRC2:TRAP_HANDLER: 0
; COMPUTE_PGM_RSRC2:TGID_X_EN: 1
; COMPUTE_PGM_RSRC2:TGID_Y_EN: 0
; COMPUTE_PGM_RSRC2:TGID_Z_EN: 1
; COMPUTE_PGM_RSRC2:TIDIG_COMP_CNT: 0
	.section	.text._ZL20rocblas_gemvt_kernelILb0ELi256EDF16_PKfDF16_EviiT2_lPKT1_lilS5_lilS2_lPT3_lili,"axG",@progbits,_ZL20rocblas_gemvt_kernelILb0ELi256EDF16_PKfDF16_EviiT2_lPKT1_lilS5_lilS2_lPT3_lili,comdat
	.globl	_ZL20rocblas_gemvt_kernelILb0ELi256EDF16_PKfDF16_EviiT2_lPKT1_lilS5_lilS2_lPT3_lili ; -- Begin function _ZL20rocblas_gemvt_kernelILb0ELi256EDF16_PKfDF16_EviiT2_lPKT1_lilS5_lilS2_lPT3_lili
	.p2align	8
	.type	_ZL20rocblas_gemvt_kernelILb0ELi256EDF16_PKfDF16_EviiT2_lPKT1_lilS5_lilS2_lPT3_lili,@function
_ZL20rocblas_gemvt_kernelILb0ELi256EDF16_PKfDF16_EviiT2_lPKT1_lilS5_lilS2_lPT3_lili: ; @_ZL20rocblas_gemvt_kernelILb0ELi256EDF16_PKfDF16_EviiT2_lPKT1_lilS5_lilS2_lPT3_lili
; %bb.0:
	s_load_b32 s33, s[0:1], 0x88
	s_lshr_b32 s10, ttmp7, 16
	s_wait_kmcnt 0x0
	s_cmp_ge_u32 s10, s33
	s_cbranch_scc1 .LBB406_41
; %bb.1:
	s_clause 0x7
	s_load_b32 s8, s[0:1], 0x28
	s_load_b96 s[4:6], s[0:1], 0x40
	s_load_b96 s[36:38], s[0:1], 0x70
	s_load_b256 s[12:19], s[0:1], 0x8
	s_load_b32 s7, s[0:1], 0x0
	s_load_b128 s[28:31], s[0:1], 0x30
	s_load_b256 s[20:27], s[0:1], 0x50
	s_load_b64 s[34:35], s[0:1], 0x80
	s_mov_b32 s2, ttmp9
	s_ashr_i32 s3, ttmp9, 31
	v_lshlrev_b32_e32 v13, 2, v0
	s_mov_b32 s11, 0
	v_mov_b32_e32 v10, 0
	s_wait_kmcnt 0x0
	s_ashr_i32 s9, s8, 31
	s_lshl_b64 s[0:1], s[4:5], 1
	s_lshl_b64 s[4:5], s[36:37], 1
	;; [unrolled: 1-line block ×3, first 2 shown]
	v_cmp_gt_i32_e32 vcc_lo, s7, v0
	s_ashr_i32 s39, s38, 31
	s_add_nc_u64 s[26:27], s[26:27], s[4:5]
	s_add_nc_u64 s[4:5], s[16:17], s[42:43]
	s_mul_u64 s[44:45], s[38:39], s[2:3]
	v_cndmask_b32_e32 v1, 0, v0, vcc_lo
	s_mul_u64 s[2:3], s[8:9], s[2:3]
	s_add_nc_u64 s[18:19], s[30:31], s[0:1]
	s_ashr_i32 s1, s7, 31
	s_lshl_b64 s[38:39], s[2:3], 1
	v_lshlrev_b32_e32 v3, 1, v1
	s_lshr_b32 s1, s1, 24
	s_add_nc_u64 s[42:43], s[38:39], s[42:43]
	s_add_co_i32 s1, s7, s1
	s_ashr_i32 s41, s6, 31
	v_add_co_u32 v1, s4, s4, v3
	s_wait_alu 0xf1ff
	v_add_co_ci_u32_e64 v2, null, s5, 0, s4
	s_and_b32 s30, s1, 0xffffff00
	v_add_co_u32 v11, vcc_lo, v1, s38
	s_wait_alu 0xfffd
	v_add_co_ci_u32_e64 v12, null, s39, v2, vcc_lo
	v_mad_co_i64_i32 v[1:2], null, s6, v0, 0
	v_or_b32_e32 v4, s30, v0
	s_mov_b32 s40, s6
	v_cmp_eq_u32_e64 s0, 0, v0
	s_cmp_gt_i32 s7, 0xff
	v_cmp_gt_u32_e64 s2, 0x80, v0
	v_cmp_gt_i32_e64 s1, s7, v4
	v_lshlrev_b64_e32 v[1:2], 1, v[1:2]
	v_mad_co_i64_i32 v[4:5], null, s6, v4, 0
	v_cmp_gt_u32_e64 s3, 64, v0
	v_cmp_gt_u32_e64 s4, 32, v0
	;; [unrolled: 1-line block ×6, first 2 shown]
	v_add_co_u32 v0, vcc_lo, s18, v1
	s_add_nc_u64 s[16:17], s[16:17], s[42:43]
	s_wait_alu 0xfffd
	v_add_co_ci_u32_e64 v1, null, s19, v2, vcc_lo
	v_add_co_u32 v2, s9, s16, v3
	v_lshlrev_b64_e32 v[4:5], 1, v[4:5]
	v_add_co_ci_u32_e64 v3, null, s17, 0, s9
	s_cselect_b32 s46, -1, 0
	s_ashr_i32 s31, s30, 31
	s_lshl_b64 s[36:37], s[20:21], 1
	s_lshl_b64 s[38:39], s[40:41], 9
	;; [unrolled: 1-line block ×4, first 2 shown]
	s_wait_alu 0xfffe
	s_lshl_b64 s[42:43], s[30:31], 1
	s_branch .LBB406_4
.LBB406_2:                              ;   in Loop: Header=BB406_4 Depth=1
	s_wait_alu 0xfffe
	s_or_b32 exec_lo, exec_lo, s9
.LBB406_3:                              ;   in Loop: Header=BB406_4 Depth=1
	s_add_co_i32 s10, s10, 0x10000
	s_wait_alu 0xfffe
	s_cmp_lt_u32 s10, s33
	s_cbranch_scc0 .LBB406_41
.LBB406_4:                              ; =>This Loop Header: Depth=1
                                        ;     Child Loop BB406_15 Depth 2
	s_mul_u64 s[44:45], s[14:15], s[10:11]
	s_mul_u64 s[48:49], s[24:25], s[10:11]
	s_lshl_b64 s[44:45], s[44:45], 2
	s_wait_alu 0xfffe
	s_lshl_b64 s[48:49], s[48:49], 2
	s_add_nc_u64 s[44:45], s[12:13], s[44:45]
	s_wait_alu 0xfffe
	s_add_nc_u64 s[48:49], s[22:23], s[48:49]
	s_clause 0x1
	global_load_b32 v14, v10, s[44:45]
	global_load_b32 v6, v10, s[48:49]
	s_wait_loadcnt 0x1
	v_cmp_eq_f32_e32 vcc_lo, 0, v14
	s_wait_loadcnt 0x0
	v_cmp_eq_f32_e64 s9, 1.0, v6
	s_and_b32 s31, vcc_lo, s9
	v_readfirstlane_b32 s9, v6
	s_wait_alu 0xfffe
	s_and_b32 vcc_lo, exec_lo, s31
	s_wait_alu 0xfffe
	s_cbranch_vccnz .LBB406_3
; %bb.5:                                ;   in Loop: Header=BB406_4 Depth=1
	v_cmp_neq_f32_e32 vcc_lo, 0, v14
	s_mul_u64 s[44:45], s[34:35], s[10:11]
	s_delay_alu instid0(SALU_CYCLE_1) | instskip(NEXT) | instid1(SALU_CYCLE_1)
	s_lshl_b64 s[44:45], s[44:45], 1
	s_add_nc_u64 s[44:45], s[26:27], s[44:45]
	s_cbranch_vccnz .LBB406_9
; %bb.6:                                ;   in Loop: Header=BB406_4 Depth=1
	s_mov_b32 s47, 0
	s_mov_b32 s31, 0
                                        ; implicit-def: $vgpr6
	s_and_saveexec_b32 s48, s0
	s_cbranch_execz .LBB406_10
; %bb.7:                                ;   in Loop: Header=BB406_4 Depth=1
	s_cmp_eq_f32 s9, 0
	s_cbranch_scc1 .LBB406_11
; %bb.8:                                ;   in Loop: Header=BB406_4 Depth=1
	s_add_nc_u64 s[50:51], s[44:45], s[40:41]
	global_load_u16 v6, v10, s[50:51]
	s_wait_loadcnt 0x0
	v_fma_mixlo_f16 v6, s9, v6, 0 op_sel_hi:[0,1,0]
	s_branch .LBB406_12
.LBB406_9:                              ;   in Loop: Header=BB406_4 Depth=1
	s_mov_b32 s31, 0
                                        ; implicit-def: $vgpr6
	s_cbranch_execnz .LBB406_13
	s_branch .LBB406_39
.LBB406_10:                             ;   in Loop: Header=BB406_4 Depth=1
	s_wait_alu 0xfffe
	s_or_b32 exec_lo, exec_lo, s48
	s_delay_alu instid0(SALU_CYCLE_1)
	s_and_b32 vcc_lo, exec_lo, s47
	s_wait_alu 0xfffe
	s_cbranch_vccnz .LBB406_13
	s_branch .LBB406_39
.LBB406_11:                             ;   in Loop: Header=BB406_4 Depth=1
	v_mov_b32_e32 v6, 0
.LBB406_12:                             ;   in Loop: Header=BB406_4 Depth=1
	s_mov_b32 s31, exec_lo
	s_wait_alu 0xfffe
	s_or_b32 exec_lo, exec_lo, s48
	s_delay_alu instid0(SALU_CYCLE_1)
	s_and_b32 vcc_lo, exec_lo, s47
	s_wait_alu 0xfffe
	s_cbranch_vccz .LBB406_39
.LBB406_13:                             ;   in Loop: Header=BB406_4 Depth=1
	v_mov_b32_e32 v15, 0
	s_and_not1_b32 vcc_lo, exec_lo, s46
	s_wait_alu 0xfffe
	s_cbranch_vccnz .LBB406_16
; %bb.14:                               ;   in Loop: Header=BB406_4 Depth=1
	v_mad_co_u64_u32 v[6:7], null, s36, s10, v[0:1]
	v_mad_co_u64_u32 v[8:9], null, s16, s10, v[2:3]
	s_mov_b32 s47, 0
	v_mad_co_u64_u32 v[15:16], null, s37, s10, v[7:8]
	v_mad_co_u64_u32 v[16:17], null, s17, s10, v[9:10]
	s_delay_alu instid0(VALU_DEP_2) | instskip(SKIP_1) | instid1(VALU_DEP_3)
	v_mov_b32_e32 v7, v15
	v_mov_b32_e32 v15, 0
	v_mov_b32_e32 v9, v16
.LBB406_15:                             ;   Parent Loop BB406_4 Depth=1
                                        ; =>  This Inner Loop Header: Depth=2
	global_load_u16 v16, v[8:9], off
	global_load_u16 v17, v[6:7], off
	v_add_co_u32 v6, vcc_lo, v6, s38
	s_wait_alu 0xfffd
	v_add_co_ci_u32_e64 v7, null, s39, v7, vcc_lo
	v_add_co_u32 v8, vcc_lo, 0x200, v8
	s_wait_alu 0xfffd
	v_add_co_ci_u32_e64 v9, null, 0, v9, vcc_lo
	s_addk_co_i32 s47, 0x100
	s_delay_alu instid0(SALU_CYCLE_1) | instskip(SKIP_2) | instid1(VALU_DEP_1)
	s_cmp_ge_i32 s47, s30
	s_wait_loadcnt 0x0
	v_mul_f16_e32 v16, v16, v17
	v_cvt_f32_f16_e32 v16, v16
	s_delay_alu instid0(VALU_DEP_1)
	v_add_f32_e32 v15, v15, v16
	s_cbranch_scc0 .LBB406_15
.LBB406_16:                             ;   in Loop: Header=BB406_4 Depth=1
	s_and_saveexec_b32 s47, s1
	s_cbranch_execz .LBB406_18
; %bb.17:                               ;   in Loop: Header=BB406_4 Depth=1
	s_mul_u64 s[48:49], s[28:29], s[10:11]
	s_mul_u64 s[50:51], s[20:21], s[10:11]
	s_wait_alu 0xfffe
	s_lshl_b64 s[48:49], s[48:49], 1
	s_lshl_b64 s[50:51], s[50:51], 1
	s_wait_alu 0xfffe
	v_add_co_u32 v6, vcc_lo, v11, s48
	s_wait_alu 0xfffd
	v_add_co_ci_u32_e64 v7, null, s49, v12, vcc_lo
	s_add_nc_u64 s[48:49], s[18:19], s[50:51]
	v_add_co_u32 v6, vcc_lo, v6, s42
	s_wait_alu 0xfffd
	v_add_co_ci_u32_e64 v7, null, s43, v7, vcc_lo
	s_wait_alu 0xfffe
	v_add_co_u32 v8, vcc_lo, s48, v4
	s_wait_alu 0xfffd
	v_add_co_ci_u32_e64 v9, null, s49, v5, vcc_lo
	global_load_u16 v6, v[6:7], off
	global_load_u16 v7, v[8:9], off
	s_wait_loadcnt 0x0
	v_mul_f16_e32 v6, v6, v7
	s_delay_alu instid0(VALU_DEP_1) | instskip(NEXT) | instid1(VALU_DEP_1)
	v_cvt_f32_f16_e32 v6, v6
	v_add_f32_e32 v15, v15, v6
.LBB406_18:                             ;   in Loop: Header=BB406_4 Depth=1
	s_or_b32 exec_lo, exec_lo, s47
	ds_store_b32 v13, v15
	s_wait_dscnt 0x0
	s_barrier_signal -1
	s_barrier_wait -1
	global_inv scope:SCOPE_SE
	s_and_saveexec_b32 s47, s2
	s_cbranch_execz .LBB406_20
; %bb.19:                               ;   in Loop: Header=BB406_4 Depth=1
	ds_load_2addr_stride64_b32 v[6:7], v13 offset1:2
	s_wait_dscnt 0x0
	v_add_f32_e32 v6, v7, v6
	ds_store_b32 v13, v6
.LBB406_20:                             ;   in Loop: Header=BB406_4 Depth=1
	s_or_b32 exec_lo, exec_lo, s47
	s_wait_loadcnt_dscnt 0x0
	s_barrier_signal -1
	s_barrier_wait -1
	global_inv scope:SCOPE_SE
	s_and_saveexec_b32 s47, s3
	s_cbranch_execz .LBB406_22
; %bb.21:                               ;   in Loop: Header=BB406_4 Depth=1
	ds_load_2addr_stride64_b32 v[6:7], v13 offset1:1
	s_wait_dscnt 0x0
	v_add_f32_e32 v6, v7, v6
	ds_store_b32 v13, v6
.LBB406_22:                             ;   in Loop: Header=BB406_4 Depth=1
	s_or_b32 exec_lo, exec_lo, s47
	s_wait_loadcnt_dscnt 0x0
	s_barrier_signal -1
	s_barrier_wait -1
	global_inv scope:SCOPE_SE
	s_and_saveexec_b32 s47, s4
	s_cbranch_execz .LBB406_24
; %bb.23:                               ;   in Loop: Header=BB406_4 Depth=1
	ds_load_2addr_b32 v[6:7], v13 offset1:32
	s_wait_dscnt 0x0
	v_add_f32_e32 v6, v7, v6
	ds_store_b32 v13, v6
.LBB406_24:                             ;   in Loop: Header=BB406_4 Depth=1
	s_or_b32 exec_lo, exec_lo, s47
	s_wait_loadcnt_dscnt 0x0
	s_barrier_signal -1
	s_barrier_wait -1
	global_inv scope:SCOPE_SE
	s_and_saveexec_b32 s47, s5
	s_cbranch_execz .LBB406_26
; %bb.25:                               ;   in Loop: Header=BB406_4 Depth=1
	ds_load_2addr_b32 v[6:7], v13 offset1:16
	s_wait_dscnt 0x0
	v_add_f32_e32 v6, v7, v6
	ds_store_b32 v13, v6
.LBB406_26:                             ;   in Loop: Header=BB406_4 Depth=1
	;; [unrolled: 13-line block ×5, first 2 shown]
	s_or_b32 exec_lo, exec_lo, s47
	s_wait_loadcnt_dscnt 0x0
	s_barrier_signal -1
	s_barrier_wait -1
	global_inv scope:SCOPE_SE
	s_and_saveexec_b32 s47, s0
	s_cbranch_execz .LBB406_34
; %bb.33:                               ;   in Loop: Header=BB406_4 Depth=1
	ds_load_b64 v[6:7], v10
	s_wait_dscnt 0x0
	v_add_f32_e32 v6, v7, v6
	ds_store_b32 v10, v6
.LBB406_34:                             ;   in Loop: Header=BB406_4 Depth=1
	s_or_b32 exec_lo, exec_lo, s47
	s_wait_loadcnt_dscnt 0x0
	s_barrier_signal -1
	s_barrier_wait -1
	global_inv scope:SCOPE_SE
                                        ; implicit-def: $vgpr6
	s_and_saveexec_b32 s47, s0
	s_cbranch_execz .LBB406_38
; %bb.35:                               ;   in Loop: Header=BB406_4 Depth=1
	ds_load_b32 v6, v10
	s_cmp_eq_f32 s9, 0
	s_wait_dscnt 0x0
	v_mul_f32_e32 v6, v14, v6
	s_cbranch_scc1 .LBB406_37
; %bb.36:                               ;   in Loop: Header=BB406_4 Depth=1
	s_add_nc_u64 s[48:49], s[44:45], s[40:41]
	global_load_u16 v7, v10, s[48:49]
	s_wait_loadcnt 0x0
	v_fma_mix_f32 v6, s9, v7, v6 op_sel_hi:[0,1,0]
.LBB406_37:                             ;   in Loop: Header=BB406_4 Depth=1
	s_delay_alu instid0(VALU_DEP_1)
	v_cvt_f16_f32_e32 v6, v6
	s_or_b32 s31, s31, exec_lo
.LBB406_38:                             ;   in Loop: Header=BB406_4 Depth=1
	s_or_b32 exec_lo, exec_lo, s47
.LBB406_39:                             ;   in Loop: Header=BB406_4 Depth=1
	s_wait_alu 0xfffe
	s_and_saveexec_b32 s9, s31
	s_cbranch_execz .LBB406_2
; %bb.40:                               ;   in Loop: Header=BB406_4 Depth=1
	s_add_nc_u64 s[44:45], s[44:45], s[40:41]
	global_store_b16 v10, v6, s[44:45]
	s_branch .LBB406_2
.LBB406_41:
	s_endpgm
	.section	.rodata,"a",@progbits
	.p2align	6, 0x0
	.amdhsa_kernel _ZL20rocblas_gemvt_kernelILb0ELi256EDF16_PKfDF16_EviiT2_lPKT1_lilS5_lilS2_lPT3_lili
		.amdhsa_group_segment_fixed_size 1024
		.amdhsa_private_segment_fixed_size 0
		.amdhsa_kernarg_size 140
		.amdhsa_user_sgpr_count 2
		.amdhsa_user_sgpr_dispatch_ptr 0
		.amdhsa_user_sgpr_queue_ptr 0
		.amdhsa_user_sgpr_kernarg_segment_ptr 1
		.amdhsa_user_sgpr_dispatch_id 0
		.amdhsa_user_sgpr_private_segment_size 0
		.amdhsa_wavefront_size32 1
		.amdhsa_uses_dynamic_stack 0
		.amdhsa_enable_private_segment 0
		.amdhsa_system_sgpr_workgroup_id_x 1
		.amdhsa_system_sgpr_workgroup_id_y 0
		.amdhsa_system_sgpr_workgroup_id_z 1
		.amdhsa_system_sgpr_workgroup_info 0
		.amdhsa_system_vgpr_workitem_id 0
		.amdhsa_next_free_vgpr 18
		.amdhsa_next_free_sgpr 52
		.amdhsa_reserve_vcc 1
		.amdhsa_float_round_mode_32 0
		.amdhsa_float_round_mode_16_64 0
		.amdhsa_float_denorm_mode_32 3
		.amdhsa_float_denorm_mode_16_64 3
		.amdhsa_fp16_overflow 0
		.amdhsa_workgroup_processor_mode 1
		.amdhsa_memory_ordered 1
		.amdhsa_forward_progress 1
		.amdhsa_inst_pref_size 13
		.amdhsa_round_robin_scheduling 0
		.amdhsa_exception_fp_ieee_invalid_op 0
		.amdhsa_exception_fp_denorm_src 0
		.amdhsa_exception_fp_ieee_div_zero 0
		.amdhsa_exception_fp_ieee_overflow 0
		.amdhsa_exception_fp_ieee_underflow 0
		.amdhsa_exception_fp_ieee_inexact 0
		.amdhsa_exception_int_div_zero 0
	.end_amdhsa_kernel
	.section	.text._ZL20rocblas_gemvt_kernelILb0ELi256EDF16_PKfDF16_EviiT2_lPKT1_lilS5_lilS2_lPT3_lili,"axG",@progbits,_ZL20rocblas_gemvt_kernelILb0ELi256EDF16_PKfDF16_EviiT2_lPKT1_lilS5_lilS2_lPT3_lili,comdat
.Lfunc_end406:
	.size	_ZL20rocblas_gemvt_kernelILb0ELi256EDF16_PKfDF16_EviiT2_lPKT1_lilS5_lilS2_lPT3_lili, .Lfunc_end406-_ZL20rocblas_gemvt_kernelILb0ELi256EDF16_PKfDF16_EviiT2_lPKT1_lilS5_lilS2_lPT3_lili
                                        ; -- End function
	.set _ZL20rocblas_gemvt_kernelILb0ELi256EDF16_PKfDF16_EviiT2_lPKT1_lilS5_lilS2_lPT3_lili.num_vgpr, 18
	.set _ZL20rocblas_gemvt_kernelILb0ELi256EDF16_PKfDF16_EviiT2_lPKT1_lilS5_lilS2_lPT3_lili.num_agpr, 0
	.set _ZL20rocblas_gemvt_kernelILb0ELi256EDF16_PKfDF16_EviiT2_lPKT1_lilS5_lilS2_lPT3_lili.numbered_sgpr, 52
	.set _ZL20rocblas_gemvt_kernelILb0ELi256EDF16_PKfDF16_EviiT2_lPKT1_lilS5_lilS2_lPT3_lili.num_named_barrier, 0
	.set _ZL20rocblas_gemvt_kernelILb0ELi256EDF16_PKfDF16_EviiT2_lPKT1_lilS5_lilS2_lPT3_lili.private_seg_size, 0
	.set _ZL20rocblas_gemvt_kernelILb0ELi256EDF16_PKfDF16_EviiT2_lPKT1_lilS5_lilS2_lPT3_lili.uses_vcc, 1
	.set _ZL20rocblas_gemvt_kernelILb0ELi256EDF16_PKfDF16_EviiT2_lPKT1_lilS5_lilS2_lPT3_lili.uses_flat_scratch, 0
	.set _ZL20rocblas_gemvt_kernelILb0ELi256EDF16_PKfDF16_EviiT2_lPKT1_lilS5_lilS2_lPT3_lili.has_dyn_sized_stack, 0
	.set _ZL20rocblas_gemvt_kernelILb0ELi256EDF16_PKfDF16_EviiT2_lPKT1_lilS5_lilS2_lPT3_lili.has_recursion, 0
	.set _ZL20rocblas_gemvt_kernelILb0ELi256EDF16_PKfDF16_EviiT2_lPKT1_lilS5_lilS2_lPT3_lili.has_indirect_call, 0
	.section	.AMDGPU.csdata,"",@progbits
; Kernel info:
; codeLenInByte = 1660
; TotalNumSgprs: 54
; NumVgprs: 18
; ScratchSize: 0
; MemoryBound: 0
; FloatMode: 240
; IeeeMode: 1
; LDSByteSize: 1024 bytes/workgroup (compile time only)
; SGPRBlocks: 0
; VGPRBlocks: 2
; NumSGPRsForWavesPerEU: 54
; NumVGPRsForWavesPerEU: 18
; Occupancy: 16
; WaveLimiterHint : 0
; COMPUTE_PGM_RSRC2:SCRATCH_EN: 0
; COMPUTE_PGM_RSRC2:USER_SGPR: 2
; COMPUTE_PGM_RSRC2:TRAP_HANDLER: 0
; COMPUTE_PGM_RSRC2:TGID_X_EN: 1
; COMPUTE_PGM_RSRC2:TGID_Y_EN: 0
; COMPUTE_PGM_RSRC2:TGID_Z_EN: 1
; COMPUTE_PGM_RSRC2:TIDIG_COMP_CNT: 0
	.section	.text._ZL20rocblas_gemvt_kernelILb0ELi256EDF16_fDF16_EviiT2_lPKT1_lilS3_lilS0_lPT3_lili,"axG",@progbits,_ZL20rocblas_gemvt_kernelILb0ELi256EDF16_fDF16_EviiT2_lPKT1_lilS3_lilS0_lPT3_lili,comdat
	.globl	_ZL20rocblas_gemvt_kernelILb0ELi256EDF16_fDF16_EviiT2_lPKT1_lilS3_lilS0_lPT3_lili ; -- Begin function _ZL20rocblas_gemvt_kernelILb0ELi256EDF16_fDF16_EviiT2_lPKT1_lilS3_lilS0_lPT3_lili
	.p2align	8
	.type	_ZL20rocblas_gemvt_kernelILb0ELi256EDF16_fDF16_EviiT2_lPKT1_lilS3_lilS0_lPT3_lili,@function
_ZL20rocblas_gemvt_kernelILb0ELi256EDF16_fDF16_EviiT2_lPKT1_lilS3_lilS0_lPT3_lili: ; @_ZL20rocblas_gemvt_kernelILb0ELi256EDF16_fDF16_EviiT2_lPKT1_lilS3_lilS0_lPT3_lili
; %bb.0:
	s_load_b32 s9, s[0:1], 0x88
	s_lshr_b32 s10, ttmp7, 16
	s_wait_kmcnt 0x0
	s_cmp_ge_u32 s10, s9
	s_cbranch_scc1 .LBB407_41
; %bb.1:
	s_clause 0x9
	s_load_b32 s26, s[0:1], 0x28
	s_load_b96 s[4:6], s[0:1], 0x40
	s_load_b32 s34, s[0:1], 0x78
	s_load_b128 s[28:31], s[0:1], 0x68
	s_load_b128 s[16:19], s[0:1], 0x18
	s_load_b32 s23, s[0:1], 0x8
	s_load_b96 s[20:22], s[0:1], 0x50
	s_load_b32 s7, s[0:1], 0x0
	s_load_b128 s[12:15], s[0:1], 0x30
	s_load_b64 s[24:25], s[0:1], 0x80
	s_mov_b32 s2, ttmp9
	v_cmp_eq_u32_e64 s0, 0, v0
	v_lshlrev_b32_e32 v13, 2, v0
	v_cmp_gt_u32_e64 s8, 2, v0
	s_mov_b32 s11, 0
	s_wait_kmcnt 0x0
	s_ashr_i32 s27, s26, 31
	s_ashr_i32 s37, s6, 31
	;; [unrolled: 1-line block ×3, first 2 shown]
	s_lshl_b64 s[4:5], s[4:5], 1
	s_lshl_b64 s[30:31], s[30:31], 1
	;; [unrolled: 1-line block ×3, first 2 shown]
	s_cmp_eq_f32 s23, 0
	v_cmp_gt_i32_e32 vcc_lo, s7, v0
	v_mov_b32_e32 v10, 0
	s_add_nc_u64 s[14:15], s[14:15], s[4:5]
	s_cselect_b32 s33, -1, 0
	s_cmp_neq_f32 s23, 0
	v_cndmask_b32_e32 v1, 0, v0, vcc_lo
	s_add_nc_u64 s[4:5], s[16:17], s[38:39]
	s_add_nc_u64 s[18:19], s[28:29], s[30:31]
	s_cselect_b32 s1, -1, 0
	s_cmp_neq_f32 s22, 1.0
	v_lshlrev_b32_e32 v3, 1, v1
	s_mov_b32 s36, s6
	s_cselect_b32 s3, -1, 0
	s_delay_alu instid0(SALU_CYCLE_1)
	s_or_b32 s40, s1, s3
	s_cmp_neq_f32 s22, 0
	v_add_co_u32 v1, s4, s4, v3
	s_wait_alu 0xf1ff
	v_add_co_ci_u32_e64 v2, null, s5, 0, s4
	s_cselect_b32 s41, -1, 0
	s_ashr_i32 s3, ttmp9, 31
	s_ashr_i32 s1, s7, 31
	s_mul_u64 s[28:29], s[26:27], s[2:3]
	s_lshr_b32 s1, s1, 24
	s_lshl_b64 s[30:31], s[28:29], 1
	s_add_co_i32 s1, s7, s1
	v_add_co_u32 v11, vcc_lo, v1, s30
	s_wait_alu 0xfffd
	v_add_co_ci_u32_e64 v12, null, s31, v2, vcc_lo
	v_mad_co_i64_i32 v[1:2], null, s6, v0, 0
	s_and_b32 s26, s1, 0xffffff00
	s_add_nc_u64 s[38:39], s[30:31], s[38:39]
	v_or_b32_e32 v4, s26, v0
	s_mul_u64 s[34:35], s[34:35], s[2:3]
	s_cmp_gt_i32 s7, 0xff
	v_cmp_gt_u32_e64 s2, 0x80, v0
	v_lshlrev_b64_e32 v[1:2], 1, v[1:2]
	v_cmp_gt_i32_e64 s1, s7, v4
	v_mad_co_i64_i32 v[4:5], null, s6, v4, 0
	v_cmp_gt_u32_e64 s3, 64, v0
	v_cmp_gt_u32_e64 s4, 32, v0
	v_cmp_gt_u32_e64 s5, 16, v0
	v_cmp_gt_u32_e64 s6, 8, v0
	v_cmp_gt_u32_e64 s7, 4, v0
	v_add_co_u32 v0, vcc_lo, s14, v1
	s_add_nc_u64 s[16:17], s[16:17], s[38:39]
	s_wait_alu 0xfffd
	v_add_co_ci_u32_e64 v1, null, s15, v2, vcc_lo
	v_add_co_u32 v2, s16, s16, v3
	v_lshlrev_b64_e32 v[4:5], 1, v[4:5]
	s_wait_alu 0xf1ff
	v_add_co_ci_u32_e64 v3, null, s17, 0, s16
	s_cselect_b32 s42, -1, 0
	s_ashr_i32 s27, s26, 31
	s_lshl_b64 s[28:29], s[20:21], 1
	s_lshl_b64 s[30:31], s[36:37], 9
	;; [unrolled: 1-line block ×4, first 2 shown]
	s_wait_alu 0xfffe
	s_lshl_b64 s[36:37], s[26:27], 1
	s_branch .LBB407_4
.LBB407_2:                              ;   in Loop: Header=BB407_4 Depth=1
	s_or_b32 exec_lo, exec_lo, s43
.LBB407_3:                              ;   in Loop: Header=BB407_4 Depth=1
	s_add_co_i32 s10, s10, 0x10000
	s_wait_alu 0xfffe
	s_cmp_lt_u32 s10, s9
	s_cbranch_scc0 .LBB407_41
.LBB407_4:                              ; =>This Loop Header: Depth=1
                                        ;     Child Loop BB407_15 Depth 2
	s_and_not1_b32 vcc_lo, exec_lo, s40
	s_wait_alu 0xfffe
	s_cbranch_vccnz .LBB407_3
; %bb.5:                                ;   in Loop: Header=BB407_4 Depth=1
	s_mul_u64 s[38:39], s[24:25], s[10:11]
	s_and_not1_b32 vcc_lo, exec_lo, s33
	s_lshl_b64 s[38:39], s[38:39], 1
	s_delay_alu instid0(SALU_CYCLE_1)
	s_add_nc_u64 s[38:39], s[18:19], s[38:39]
	s_wait_alu 0xfffe
	s_cbranch_vccnz .LBB407_9
; %bb.6:                                ;   in Loop: Header=BB407_4 Depth=1
	s_mov_b32 s43, 0
	s_mov_b32 s27, 0
                                        ; implicit-def: $vgpr6
	s_and_saveexec_b32 s44, s0
	s_cbranch_execz .LBB407_10
; %bb.7:                                ;   in Loop: Header=BB407_4 Depth=1
	s_and_not1_b32 vcc_lo, exec_lo, s41
	s_wait_alu 0xfffe
	s_cbranch_vccnz .LBB407_11
; %bb.8:                                ;   in Loop: Header=BB407_4 Depth=1
	s_add_nc_u64 s[46:47], s[38:39], s[34:35]
	global_load_u16 v6, v10, s[46:47]
	s_wait_loadcnt 0x0
	v_fma_mixlo_f16 v6, s22, v6, 0 op_sel_hi:[0,1,0]
	s_branch .LBB407_12
.LBB407_9:                              ;   in Loop: Header=BB407_4 Depth=1
	s_mov_b32 s27, 0
                                        ; implicit-def: $vgpr6
	s_cbranch_execnz .LBB407_13
	s_branch .LBB407_39
.LBB407_10:                             ;   in Loop: Header=BB407_4 Depth=1
	s_wait_alu 0xfffe
	s_or_b32 exec_lo, exec_lo, s44
	s_delay_alu instid0(SALU_CYCLE_1)
	s_and_b32 vcc_lo, exec_lo, s43
	s_wait_alu 0xfffe
	s_cbranch_vccnz .LBB407_13
	s_branch .LBB407_39
.LBB407_11:                             ;   in Loop: Header=BB407_4 Depth=1
	v_mov_b32_e32 v6, 0
.LBB407_12:                             ;   in Loop: Header=BB407_4 Depth=1
	s_mov_b32 s27, exec_lo
	s_or_b32 exec_lo, exec_lo, s44
	s_delay_alu instid0(SALU_CYCLE_1)
	s_and_b32 vcc_lo, exec_lo, s43
	s_wait_alu 0xfffe
	s_cbranch_vccz .LBB407_39
.LBB407_13:                             ;   in Loop: Header=BB407_4 Depth=1
	v_mov_b32_e32 v14, 0
	s_and_not1_b32 vcc_lo, exec_lo, s42
	s_wait_alu 0xfffe
	s_cbranch_vccnz .LBB407_16
; %bb.14:                               ;   in Loop: Header=BB407_4 Depth=1
	v_mad_co_u64_u32 v[6:7], null, s28, s10, v[0:1]
	v_mad_co_u64_u32 v[8:9], null, s16, s10, v[2:3]
	s_mov_b32 s43, 0
	v_mad_co_u64_u32 v[14:15], null, s29, s10, v[7:8]
	v_mad_co_u64_u32 v[15:16], null, s17, s10, v[9:10]
	s_delay_alu instid0(VALU_DEP_2) | instskip(NEXT) | instid1(VALU_DEP_2)
	v_dual_mov_b32 v7, v14 :: v_dual_mov_b32 v14, 0
	v_mov_b32_e32 v9, v15
.LBB407_15:                             ;   Parent Loop BB407_4 Depth=1
                                        ; =>  This Inner Loop Header: Depth=2
	global_load_u16 v15, v[8:9], off
	global_load_u16 v16, v[6:7], off
	v_add_co_u32 v6, vcc_lo, v6, s30
	s_wait_alu 0xfffd
	v_add_co_ci_u32_e64 v7, null, s31, v7, vcc_lo
	v_add_co_u32 v8, vcc_lo, 0x200, v8
	s_wait_alu 0xfffd
	v_add_co_ci_u32_e64 v9, null, 0, v9, vcc_lo
	s_addk_co_i32 s43, 0x100
	s_delay_alu instid0(SALU_CYCLE_1) | instskip(SKIP_2) | instid1(VALU_DEP_1)
	s_cmp_ge_i32 s43, s26
	s_wait_loadcnt 0x0
	v_mul_f16_e32 v15, v15, v16
	v_cvt_f32_f16_e32 v15, v15
	s_delay_alu instid0(VALU_DEP_1)
	v_add_f32_e32 v14, v14, v15
	s_cbranch_scc0 .LBB407_15
.LBB407_16:                             ;   in Loop: Header=BB407_4 Depth=1
	s_and_saveexec_b32 s43, s1
	s_cbranch_execz .LBB407_18
; %bb.17:                               ;   in Loop: Header=BB407_4 Depth=1
	s_mul_u64 s[44:45], s[12:13], s[10:11]
	s_mul_u64 s[46:47], s[20:21], s[10:11]
	s_wait_alu 0xfffe
	s_lshl_b64 s[44:45], s[44:45], 1
	s_lshl_b64 s[46:47], s[46:47], 1
	s_wait_alu 0xfffe
	v_add_co_u32 v6, vcc_lo, v11, s44
	s_wait_alu 0xfffd
	v_add_co_ci_u32_e64 v7, null, s45, v12, vcc_lo
	s_add_nc_u64 s[44:45], s[14:15], s[46:47]
	v_add_co_u32 v6, vcc_lo, v6, s36
	s_wait_alu 0xfffd
	v_add_co_ci_u32_e64 v7, null, s37, v7, vcc_lo
	s_wait_alu 0xfffe
	v_add_co_u32 v8, vcc_lo, s44, v4
	s_wait_alu 0xfffd
	v_add_co_ci_u32_e64 v9, null, s45, v5, vcc_lo
	global_load_u16 v6, v[6:7], off
	global_load_u16 v7, v[8:9], off
	s_wait_loadcnt 0x0
	v_mul_f16_e32 v6, v6, v7
	s_delay_alu instid0(VALU_DEP_1) | instskip(NEXT) | instid1(VALU_DEP_1)
	v_cvt_f32_f16_e32 v6, v6
	v_add_f32_e32 v14, v14, v6
.LBB407_18:                             ;   in Loop: Header=BB407_4 Depth=1
	s_or_b32 exec_lo, exec_lo, s43
	ds_store_b32 v13, v14
	s_wait_dscnt 0x0
	s_barrier_signal -1
	s_barrier_wait -1
	global_inv scope:SCOPE_SE
	s_and_saveexec_b32 s43, s2
	s_cbranch_execz .LBB407_20
; %bb.19:                               ;   in Loop: Header=BB407_4 Depth=1
	ds_load_2addr_stride64_b32 v[6:7], v13 offset1:2
	s_wait_dscnt 0x0
	v_add_f32_e32 v6, v7, v6
	ds_store_b32 v13, v6
.LBB407_20:                             ;   in Loop: Header=BB407_4 Depth=1
	s_or_b32 exec_lo, exec_lo, s43
	s_wait_loadcnt_dscnt 0x0
	s_barrier_signal -1
	s_barrier_wait -1
	global_inv scope:SCOPE_SE
	s_and_saveexec_b32 s43, s3
	s_cbranch_execz .LBB407_22
; %bb.21:                               ;   in Loop: Header=BB407_4 Depth=1
	ds_load_2addr_stride64_b32 v[6:7], v13 offset1:1
	s_wait_dscnt 0x0
	v_add_f32_e32 v6, v7, v6
	ds_store_b32 v13, v6
.LBB407_22:                             ;   in Loop: Header=BB407_4 Depth=1
	s_or_b32 exec_lo, exec_lo, s43
	s_wait_loadcnt_dscnt 0x0
	s_barrier_signal -1
	s_barrier_wait -1
	global_inv scope:SCOPE_SE
	s_and_saveexec_b32 s43, s4
	s_cbranch_execz .LBB407_24
; %bb.23:                               ;   in Loop: Header=BB407_4 Depth=1
	ds_load_2addr_b32 v[6:7], v13 offset1:32
	s_wait_dscnt 0x0
	v_add_f32_e32 v6, v7, v6
	ds_store_b32 v13, v6
.LBB407_24:                             ;   in Loop: Header=BB407_4 Depth=1
	s_or_b32 exec_lo, exec_lo, s43
	s_wait_loadcnt_dscnt 0x0
	s_barrier_signal -1
	s_barrier_wait -1
	global_inv scope:SCOPE_SE
	s_and_saveexec_b32 s43, s5
	s_cbranch_execz .LBB407_26
; %bb.25:                               ;   in Loop: Header=BB407_4 Depth=1
	ds_load_2addr_b32 v[6:7], v13 offset1:16
	s_wait_dscnt 0x0
	v_add_f32_e32 v6, v7, v6
	ds_store_b32 v13, v6
.LBB407_26:                             ;   in Loop: Header=BB407_4 Depth=1
	;; [unrolled: 13-line block ×5, first 2 shown]
	s_or_b32 exec_lo, exec_lo, s43
	s_wait_loadcnt_dscnt 0x0
	s_barrier_signal -1
	s_barrier_wait -1
	global_inv scope:SCOPE_SE
	s_and_saveexec_b32 s43, s0
	s_cbranch_execz .LBB407_34
; %bb.33:                               ;   in Loop: Header=BB407_4 Depth=1
	ds_load_b64 v[6:7], v10
	s_wait_dscnt 0x0
	v_add_f32_e32 v6, v7, v6
	ds_store_b32 v10, v6
.LBB407_34:                             ;   in Loop: Header=BB407_4 Depth=1
	s_or_b32 exec_lo, exec_lo, s43
	s_wait_loadcnt_dscnt 0x0
	s_barrier_signal -1
	s_barrier_wait -1
	global_inv scope:SCOPE_SE
                                        ; implicit-def: $vgpr6
	s_and_saveexec_b32 s43, s0
	s_cbranch_execz .LBB407_38
; %bb.35:                               ;   in Loop: Header=BB407_4 Depth=1
	ds_load_b32 v6, v10
	s_and_not1_b32 vcc_lo, exec_lo, s41
	s_wait_dscnt 0x0
	v_mul_f32_e32 v6, s23, v6
	s_wait_alu 0xfffe
	s_cbranch_vccnz .LBB407_37
; %bb.36:                               ;   in Loop: Header=BB407_4 Depth=1
	s_add_nc_u64 s[44:45], s[38:39], s[34:35]
	global_load_u16 v7, v10, s[44:45]
	s_wait_loadcnt 0x0
	v_fma_mix_f32 v6, s22, v7, v6 op_sel_hi:[0,1,0]
.LBB407_37:                             ;   in Loop: Header=BB407_4 Depth=1
	s_delay_alu instid0(VALU_DEP_1)
	v_cvt_f16_f32_e32 v6, v6
	s_or_b32 s27, s27, exec_lo
.LBB407_38:                             ;   in Loop: Header=BB407_4 Depth=1
	s_or_b32 exec_lo, exec_lo, s43
.LBB407_39:                             ;   in Loop: Header=BB407_4 Depth=1
	s_wait_alu 0xfffe
	s_and_saveexec_b32 s43, s27
	s_cbranch_execz .LBB407_2
; %bb.40:                               ;   in Loop: Header=BB407_4 Depth=1
	s_add_nc_u64 s[38:39], s[38:39], s[34:35]
	global_store_b16 v10, v6, s[38:39]
	s_branch .LBB407_2
.LBB407_41:
	s_endpgm
	.section	.rodata,"a",@progbits
	.p2align	6, 0x0
	.amdhsa_kernel _ZL20rocblas_gemvt_kernelILb0ELi256EDF16_fDF16_EviiT2_lPKT1_lilS3_lilS0_lPT3_lili
		.amdhsa_group_segment_fixed_size 1024
		.amdhsa_private_segment_fixed_size 0
		.amdhsa_kernarg_size 140
		.amdhsa_user_sgpr_count 2
		.amdhsa_user_sgpr_dispatch_ptr 0
		.amdhsa_user_sgpr_queue_ptr 0
		.amdhsa_user_sgpr_kernarg_segment_ptr 1
		.amdhsa_user_sgpr_dispatch_id 0
		.amdhsa_user_sgpr_private_segment_size 0
		.amdhsa_wavefront_size32 1
		.amdhsa_uses_dynamic_stack 0
		.amdhsa_enable_private_segment 0
		.amdhsa_system_sgpr_workgroup_id_x 1
		.amdhsa_system_sgpr_workgroup_id_y 0
		.amdhsa_system_sgpr_workgroup_id_z 1
		.amdhsa_system_sgpr_workgroup_info 0
		.amdhsa_system_vgpr_workitem_id 0
		.amdhsa_next_free_vgpr 17
		.amdhsa_next_free_sgpr 48
		.amdhsa_reserve_vcc 1
		.amdhsa_float_round_mode_32 0
		.amdhsa_float_round_mode_16_64 0
		.amdhsa_float_denorm_mode_32 3
		.amdhsa_float_denorm_mode_16_64 3
		.amdhsa_fp16_overflow 0
		.amdhsa_workgroup_processor_mode 1
		.amdhsa_memory_ordered 1
		.amdhsa_forward_progress 1
		.amdhsa_inst_pref_size 13
		.amdhsa_round_robin_scheduling 0
		.amdhsa_exception_fp_ieee_invalid_op 0
		.amdhsa_exception_fp_denorm_src 0
		.amdhsa_exception_fp_ieee_div_zero 0
		.amdhsa_exception_fp_ieee_overflow 0
		.amdhsa_exception_fp_ieee_underflow 0
		.amdhsa_exception_fp_ieee_inexact 0
		.amdhsa_exception_int_div_zero 0
	.end_amdhsa_kernel
	.section	.text._ZL20rocblas_gemvt_kernelILb0ELi256EDF16_fDF16_EviiT2_lPKT1_lilS3_lilS0_lPT3_lili,"axG",@progbits,_ZL20rocblas_gemvt_kernelILb0ELi256EDF16_fDF16_EviiT2_lPKT1_lilS3_lilS0_lPT3_lili,comdat
.Lfunc_end407:
	.size	_ZL20rocblas_gemvt_kernelILb0ELi256EDF16_fDF16_EviiT2_lPKT1_lilS3_lilS0_lPT3_lili, .Lfunc_end407-_ZL20rocblas_gemvt_kernelILb0ELi256EDF16_fDF16_EviiT2_lPKT1_lilS3_lilS0_lPT3_lili
                                        ; -- End function
	.set _ZL20rocblas_gemvt_kernelILb0ELi256EDF16_fDF16_EviiT2_lPKT1_lilS3_lilS0_lPT3_lili.num_vgpr, 17
	.set _ZL20rocblas_gemvt_kernelILb0ELi256EDF16_fDF16_EviiT2_lPKT1_lilS3_lilS0_lPT3_lili.num_agpr, 0
	.set _ZL20rocblas_gemvt_kernelILb0ELi256EDF16_fDF16_EviiT2_lPKT1_lilS3_lilS0_lPT3_lili.numbered_sgpr, 48
	.set _ZL20rocblas_gemvt_kernelILb0ELi256EDF16_fDF16_EviiT2_lPKT1_lilS3_lilS0_lPT3_lili.num_named_barrier, 0
	.set _ZL20rocblas_gemvt_kernelILb0ELi256EDF16_fDF16_EviiT2_lPKT1_lilS3_lilS0_lPT3_lili.private_seg_size, 0
	.set _ZL20rocblas_gemvt_kernelILb0ELi256EDF16_fDF16_EviiT2_lPKT1_lilS3_lilS0_lPT3_lili.uses_vcc, 1
	.set _ZL20rocblas_gemvt_kernelILb0ELi256EDF16_fDF16_EviiT2_lPKT1_lilS3_lilS0_lPT3_lili.uses_flat_scratch, 0
	.set _ZL20rocblas_gemvt_kernelILb0ELi256EDF16_fDF16_EviiT2_lPKT1_lilS3_lilS0_lPT3_lili.has_dyn_sized_stack, 0
	.set _ZL20rocblas_gemvt_kernelILb0ELi256EDF16_fDF16_EviiT2_lPKT1_lilS3_lilS0_lPT3_lili.has_recursion, 0
	.set _ZL20rocblas_gemvt_kernelILb0ELi256EDF16_fDF16_EviiT2_lPKT1_lilS3_lilS0_lPT3_lili.has_indirect_call, 0
	.section	.AMDGPU.csdata,"",@progbits
; Kernel info:
; codeLenInByte = 1632
; TotalNumSgprs: 50
; NumVgprs: 17
; ScratchSize: 0
; MemoryBound: 0
; FloatMode: 240
; IeeeMode: 1
; LDSByteSize: 1024 bytes/workgroup (compile time only)
; SGPRBlocks: 0
; VGPRBlocks: 2
; NumSGPRsForWavesPerEU: 50
; NumVGPRsForWavesPerEU: 17
; Occupancy: 16
; WaveLimiterHint : 0
; COMPUTE_PGM_RSRC2:SCRATCH_EN: 0
; COMPUTE_PGM_RSRC2:USER_SGPR: 2
; COMPUTE_PGM_RSRC2:TRAP_HANDLER: 0
; COMPUTE_PGM_RSRC2:TGID_X_EN: 1
; COMPUTE_PGM_RSRC2:TGID_Y_EN: 0
; COMPUTE_PGM_RSRC2:TGID_Z_EN: 1
; COMPUTE_PGM_RSRC2:TIDIG_COMP_CNT: 0
	.section	.text._ZL32rocblas_gemvt_warp_reduce_kernelILb0ELi1024EiDF16_PKfDF16_EviiT3_lPKT2_lT1_lS5_lS6_lS2_lPT4_lS6_li,"axG",@progbits,_ZL32rocblas_gemvt_warp_reduce_kernelILb0ELi1024EiDF16_PKfDF16_EviiT3_lPKT2_lT1_lS5_lS6_lS2_lPT4_lS6_li,comdat
	.globl	_ZL32rocblas_gemvt_warp_reduce_kernelILb0ELi1024EiDF16_PKfDF16_EviiT3_lPKT2_lT1_lS5_lS6_lS2_lPT4_lS6_li ; -- Begin function _ZL32rocblas_gemvt_warp_reduce_kernelILb0ELi1024EiDF16_PKfDF16_EviiT3_lPKT2_lT1_lS5_lS6_lS2_lPT4_lS6_li
	.p2align	8
	.type	_ZL32rocblas_gemvt_warp_reduce_kernelILb0ELi1024EiDF16_PKfDF16_EviiT3_lPKT2_lT1_lS5_lS6_lS2_lPT4_lS6_li,@function
_ZL32rocblas_gemvt_warp_reduce_kernelILb0ELi1024EiDF16_PKfDF16_EviiT3_lPKT2_lT1_lS5_lS6_lS2_lPT4_lS6_li: ; @_ZL32rocblas_gemvt_warp_reduce_kernelILb0ELi1024EiDF16_PKfDF16_EviiT3_lPKT2_lT1_lS5_lS6_lS2_lPT4_lS6_li
; %bb.0:
	s_load_b32 s33, s[0:1], 0x88
	s_lshr_b32 s28, ttmp7, 16
	s_wait_kmcnt 0x0
	s_cmp_ge_u32 s28, s33
	s_cbranch_scc1 .LBB408_34
; %bb.1:
	s_clause 0x7
	s_load_b96 s[4:6], s[0:1], 0x40
	s_load_b96 s[36:38], s[0:1], 0x70
	s_load_b256 s[8:15], s[0:1], 0x8
	s_load_b32 s7, s[0:1], 0x0
	s_load_b32 s39, s[0:1], 0x28
	s_load_b128 s[24:27], s[0:1], 0x30
	s_load_b256 s[16:23], s[0:1], 0x50
	s_load_b64 s[30:31], s[0:1], 0x80
	v_mov_b32_e32 v9, 0
	v_mbcnt_lo_u32_b32 v15, -1, 0
	v_cmp_eq_u32_e64 s0, 0, v0
	s_mov_b32 s29, 0
	v_lshl_or_b32 v16, v15, 2, 64
	s_wait_kmcnt 0x0
	s_lshl_b64 s[2:3], s[4:5], 1
	s_lshl_b64 s[4:5], s[36:37], 1
	;; [unrolled: 1-line block ×3, first 2 shown]
	v_cmp_gt_i32_e32 vcc_lo, s7, v0
	s_ashr_i32 s1, s7, 31
	s_add_nc_u64 s[14:15], s[26:27], s[2:3]
	s_lshr_b32 s1, s1, 22
	s_add_nc_u64 s[2:3], s[12:13], s[34:35]
	s_add_co_i32 s1, s7, s1
	v_cndmask_b32_e32 v1, 0, v0, vcc_lo
	s_and_b32 s26, s1, 0xfffffc00
	s_mul_i32 s36, s38, ttmp9
	v_or_b32_e32 v2, s26, v0
	s_mul_i32 s38, s39, ttmp9
	v_lshlrev_b32_e32 v1, 1, v1
	s_ashr_i32 s39, s38, 31
	v_mul_lo_u32 v14, v0, s6
	v_mul_lo_u32 v3, s6, v2
	s_lshl_b64 s[38:39], s[38:39], 1
	v_add_co_u32 v4, s1, s2, v1
	s_delay_alu instid0(VALU_DEP_1)
	v_add_co_ci_u32_e64 v5, null, s3, 0, s1
	s_add_nc_u64 s[34:35], s[34:35], s[38:39]
	v_add_co_u32 v10, vcc_lo, v4, s38
	v_ashrrev_i32_e32 v4, 31, v3
	s_wait_alu 0xfffd
	v_add_co_ci_u32_e64 v11, null, s39, v5, vcc_lo
	v_cmp_gt_i32_e64 s2, s7, v2
	v_and_b32_e32 v2, 31, v0
	v_lshrrev_b32_e32 v5, 3, v0
	s_lshl_b32 s40, s6, 10
	s_add_nc_u64 s[6:7], s[12:13], s[34:35]
	s_add_nc_u64 s[22:23], s[22:23], s[4:5]
	s_wait_alu 0xfffe
	v_add_co_u32 v1, s5, s6, v1
	v_lshlrev_b64_e32 v[3:4], 1, v[3:4]
	v_cmp_gt_i32_e64 s1, s26, v0
	v_cmp_gt_u32_e64 s3, 32, v0
	v_lshlrev_b32_e32 v12, 2, v2
	v_cmp_eq_u32_e64 s4, 0, v2
	v_and_b32_e32 v13, 0x7c, v5
	v_add_co_ci_u32_e64 v2, null, s7, 0, s5
	s_ashr_i32 s37, s36, 31
	s_ashr_i32 s27, s26, 31
	s_lshl_b64 s[6:7], s[24:25], 1
	s_lshl_b64 s[12:13], s[36:37], 1
	s_wait_alu 0xfffe
	s_lshl_b64 s[34:35], s[26:27], 1
	s_branch .LBB408_4
.LBB408_2:                              ;   in Loop: Header=BB408_4 Depth=1
	s_wait_alu 0xfffe
	s_or_b32 exec_lo, exec_lo, s5
.LBB408_3:                              ;   in Loop: Header=BB408_4 Depth=1
	s_add_co_i32 s28, s28, 0x10000
	s_wait_alu 0xfffe
	s_cmp_lt_u32 s28, s33
	s_cbranch_scc0 .LBB408_34
.LBB408_4:                              ; =>This Loop Header: Depth=1
                                        ;     Child Loop BB408_23 Depth 2
	s_mul_u64 s[36:37], s[10:11], s[28:29]
	s_mul_u64 s[38:39], s[20:21], s[28:29]
	s_lshl_b64 s[36:37], s[36:37], 2
	s_wait_alu 0xfffe
	s_lshl_b64 s[38:39], s[38:39], 2
	s_add_nc_u64 s[36:37], s[8:9], s[36:37]
	s_wait_alu 0xfffe
	s_add_nc_u64 s[38:39], s[18:19], s[38:39]
	s_clause 0x1
	global_load_b32 v17, v9, s[36:37]
	global_load_b32 v5, v9, s[38:39]
	s_wait_loadcnt 0x1
	v_cmp_eq_f32_e32 vcc_lo, 0, v17
	s_wait_loadcnt 0x0
	v_cmp_eq_f32_e64 s5, 1.0, v5
	v_readfirstlane_b32 s27, v5
	s_and_b32 s5, vcc_lo, s5
	s_wait_alu 0xfffe
	s_and_b32 vcc_lo, exec_lo, s5
	s_wait_alu 0xfffe
	s_cbranch_vccnz .LBB408_3
; %bb.5:                                ;   in Loop: Header=BB408_4 Depth=1
	v_cmp_neq_f32_e32 vcc_lo, 0, v17
	s_mul_u64 s[36:37], s[30:31], s[28:29]
	s_delay_alu instid0(SALU_CYCLE_1) | instskip(NEXT) | instid1(SALU_CYCLE_1)
	s_lshl_b64 s[36:37], s[36:37], 1
	s_add_nc_u64 s[36:37], s[22:23], s[36:37]
	s_cbranch_vccnz .LBB408_9
; %bb.6:                                ;   in Loop: Header=BB408_4 Depth=1
	s_mov_b32 s5, 0
	s_mov_b32 s41, 0
                                        ; implicit-def: $vgpr5
	s_and_saveexec_b32 s38, s0
	s_cbranch_execz .LBB408_10
; %bb.7:                                ;   in Loop: Header=BB408_4 Depth=1
	s_cmp_eq_f32 s27, 0
	s_cbranch_scc1 .LBB408_11
; %bb.8:                                ;   in Loop: Header=BB408_4 Depth=1
	s_add_nc_u64 s[42:43], s[36:37], s[12:13]
	global_load_u16 v5, v9, s[42:43]
	s_wait_loadcnt 0x0
	v_fma_mixlo_f16 v5, s27, v5, 0 op_sel_hi:[0,1,0]
	s_branch .LBB408_12
.LBB408_9:                              ;   in Loop: Header=BB408_4 Depth=1
	s_mov_b32 s41, 0
                                        ; implicit-def: $vgpr5
	s_cbranch_execnz .LBB408_13
	s_branch .LBB408_32
.LBB408_10:                             ;   in Loop: Header=BB408_4 Depth=1
	s_wait_alu 0xfffe
	s_or_b32 exec_lo, exec_lo, s38
	s_delay_alu instid0(SALU_CYCLE_1)
	s_and_b32 vcc_lo, exec_lo, s5
	s_wait_alu 0xfffe
	s_cbranch_vccnz .LBB408_13
	s_branch .LBB408_32
.LBB408_11:                             ;   in Loop: Header=BB408_4 Depth=1
	v_mov_b32_e32 v5, 0
.LBB408_12:                             ;   in Loop: Header=BB408_4 Depth=1
	s_mov_b32 s41, exec_lo
	s_wait_alu 0xfffe
	s_or_b32 exec_lo, exec_lo, s38
	s_delay_alu instid0(SALU_CYCLE_1)
	s_and_b32 vcc_lo, exec_lo, s5
	s_wait_alu 0xfffe
	s_cbranch_vccz .LBB408_32
.LBB408_13:                             ;   in Loop: Header=BB408_4 Depth=1
	s_mul_u64 s[38:39], s[16:17], s[28:29]
	s_wait_dscnt 0x0
	v_mov_b32_e32 v18, 0
	s_wait_alu 0xfffe
	s_lshl_b64 s[38:39], s[38:39], 1
	s_wait_alu 0xfffe
	s_add_nc_u64 s[38:39], s[14:15], s[38:39]
	s_and_saveexec_b32 s42, s1
	s_cbranch_execnz .LBB408_22
; %bb.14:                               ;   in Loop: Header=BB408_4 Depth=1
	s_wait_alu 0xfffe
	s_or_b32 exec_lo, exec_lo, s42
	s_and_saveexec_b32 s5, s2
	s_cbranch_execnz .LBB408_25
.LBB408_15:                             ;   in Loop: Header=BB408_4 Depth=1
	s_wait_alu 0xfffe
	s_or_b32 exec_lo, exec_lo, s5
	s_and_saveexec_b32 s5, s3
.LBB408_16:                             ;   in Loop: Header=BB408_4 Depth=1
	ds_store_b32 v12, v9
.LBB408_17:                             ;   in Loop: Header=BB408_4 Depth=1
	s_wait_alu 0xfffe
	s_or_b32 exec_lo, exec_lo, s5
	ds_bpermute_b32 v6, v16, v18
	v_cmp_gt_u32_e32 vcc_lo, 24, v15
	s_wait_dscnt 0x0
	s_barrier_signal -1
	s_barrier_wait -1
	global_inv scope:SCOPE_SE
	s_wait_alu 0xfffd
	v_cndmask_b32_e64 v5, 0, 8, vcc_lo
	v_cmp_gt_u32_e32 vcc_lo, 28, v15
	s_delay_alu instid0(VALU_DEP_2)
	v_add_lshl_u32 v5, v5, v15, 2
	v_add_f32_e32 v7, v18, v6
	s_wait_alu 0xfffd
	v_cndmask_b32_e64 v6, 0, 4, vcc_lo
	v_cmp_gt_u32_e32 vcc_lo, 30, v15
	ds_bpermute_b32 v8, v5, v7
	v_add_lshl_u32 v6, v6, v15, 2
	s_wait_dscnt 0x0
	v_add_f32_e32 v8, v7, v8
	s_wait_alu 0xfffd
	v_cndmask_b32_e64 v7, 0, 2, vcc_lo
	v_cmp_ne_u32_e32 vcc_lo, 31, v15
	ds_bpermute_b32 v18, v6, v8
	v_add_lshl_u32 v7, v7, v15, 2
	s_wait_alu 0xfffd
	v_add_co_ci_u32_e64 v19, null, 0, v15, vcc_lo
	s_wait_dscnt 0x0
	v_add_f32_e32 v8, v8, v18
	ds_bpermute_b32 v18, v7, v8
	s_wait_dscnt 0x0
	v_add_f32_e32 v18, v8, v18
	v_lshlrev_b32_e32 v8, 2, v19
	ds_bpermute_b32 v19, v8, v18
	s_and_saveexec_b32 s5, s4
	s_cbranch_execz .LBB408_19
; %bb.18:                               ;   in Loop: Header=BB408_4 Depth=1
	s_wait_dscnt 0x0
	v_add_f32_e32 v18, v18, v19
	ds_store_b32 v13, v18
.LBB408_19:                             ;   in Loop: Header=BB408_4 Depth=1
	s_wait_alu 0xfffe
	s_or_b32 exec_lo, exec_lo, s5
	v_mov_b32_e32 v18, 0
	s_wait_loadcnt_dscnt 0x0
	s_barrier_signal -1
	s_barrier_wait -1
	global_inv scope:SCOPE_SE
	s_and_saveexec_b32 s5, s3
	s_cbranch_execnz .LBB408_26
; %bb.20:                               ;   in Loop: Header=BB408_4 Depth=1
	s_wait_alu 0xfffe
	s_or_b32 exec_lo, exec_lo, s5
	s_and_saveexec_b32 s5, s3
	s_cbranch_execnz .LBB408_27
.LBB408_21:                             ;   in Loop: Header=BB408_4 Depth=1
	s_wait_alu 0xfffe
	s_or_b32 exec_lo, exec_lo, s5
                                        ; implicit-def: $vgpr5
	s_and_saveexec_b32 s5, s0
	s_cbranch_execnz .LBB408_28
	s_branch .LBB408_31
.LBB408_22:                             ;   in Loop: Header=BB408_4 Depth=1
	v_mad_co_u64_u32 v[5:6], null, s6, s28, v[1:2]
	v_dual_mov_b32 v18, 0 :: v_dual_mov_b32 v19, v0
	s_mov_b32 s43, 0
	s_delay_alu instid0(VALU_DEP_2)
	v_mad_co_u64_u32 v[6:7], null, s7, s28, v[6:7]
	v_mov_b32_e32 v7, v14
.LBB408_23:                             ;   Parent Loop BB408_4 Depth=1
                                        ; =>  This Inner Loop Header: Depth=2
	s_delay_alu instid0(VALU_DEP_1) | instskip(NEXT) | instid1(VALU_DEP_1)
	v_ashrrev_i32_e32 v8, 31, v7
	v_lshlrev_b64_e32 v[20:21], 1, v[7:8]
	v_add_nc_u32_e32 v7, s40, v7
	s_wait_alu 0xfffe
	s_delay_alu instid0(VALU_DEP_2) | instskip(SKIP_1) | instid1(VALU_DEP_3)
	v_add_co_u32 v20, vcc_lo, s38, v20
	s_wait_alu 0xfffd
	v_add_co_ci_u32_e64 v21, null, s39, v21, vcc_lo
	global_load_u16 v8, v[5:6], off
	global_load_u16 v20, v[20:21], off
	v_add_co_u32 v5, vcc_lo, 0x800, v5
	s_wait_alu 0xfffd
	v_add_co_ci_u32_e64 v6, null, 0, v6, vcc_lo
	s_wait_loadcnt 0x0
	v_mul_f16_e32 v8, v8, v20
	s_delay_alu instid0(VALU_DEP_1) | instskip(NEXT) | instid1(VALU_DEP_1)
	v_cvt_f32_f16_e32 v8, v8
	v_dual_add_f32 v18, v18, v8 :: v_dual_add_nc_u32 v19, 0x400, v19
	s_delay_alu instid0(VALU_DEP_1)
	v_cmp_le_i32_e64 s5, s26, v19
	s_or_b32 s43, s5, s43
	s_wait_alu 0xfffe
	s_and_not1_b32 exec_lo, exec_lo, s43
	s_cbranch_execnz .LBB408_23
; %bb.24:                               ;   in Loop: Header=BB408_4 Depth=1
	s_or_b32 exec_lo, exec_lo, s43
	s_delay_alu instid0(SALU_CYCLE_1)
	s_or_b32 exec_lo, exec_lo, s42
	s_and_saveexec_b32 s5, s2
	s_cbranch_execz .LBB408_15
.LBB408_25:                             ;   in Loop: Header=BB408_4 Depth=1
	s_mul_u64 s[42:43], s[24:25], s[28:29]
	s_wait_alu 0xfffe
	s_lshl_b64 s[42:43], s[42:43], 1
	s_wait_alu 0xfffe
	v_add_co_u32 v5, vcc_lo, v10, s42
	s_wait_alu 0xfffd
	v_add_co_ci_u32_e64 v6, null, s43, v11, vcc_lo
	s_delay_alu instid0(VALU_DEP_2) | instskip(SKIP_1) | instid1(VALU_DEP_2)
	v_add_co_u32 v5, vcc_lo, v5, s34
	s_wait_alu 0xfffd
	v_add_co_ci_u32_e64 v6, null, s35, v6, vcc_lo
	v_add_co_u32 v7, vcc_lo, s38, v3
	s_wait_alu 0xfffd
	v_add_co_ci_u32_e64 v8, null, s39, v4, vcc_lo
	global_load_u16 v5, v[5:6], off
	global_load_u16 v6, v[7:8], off
	s_wait_loadcnt 0x0
	v_mul_f16_e32 v5, v5, v6
	s_delay_alu instid0(VALU_DEP_1) | instskip(NEXT) | instid1(VALU_DEP_1)
	v_cvt_f32_f16_e32 v5, v5
	v_add_f32_e32 v18, v18, v5
	s_or_b32 exec_lo, exec_lo, s5
	s_and_saveexec_b32 s5, s3
	s_cbranch_execnz .LBB408_16
	s_branch .LBB408_17
.LBB408_26:                             ;   in Loop: Header=BB408_4 Depth=1
	ds_load_b32 v18, v12
	s_wait_alu 0xfffe
	s_or_b32 exec_lo, exec_lo, s5
	s_and_saveexec_b32 s5, s3
	s_cbranch_execz .LBB408_21
.LBB408_27:                             ;   in Loop: Header=BB408_4 Depth=1
	s_wait_dscnt 0x0
	ds_bpermute_b32 v19, v16, v18
	s_wait_dscnt 0x0
	v_add_f32_e32 v18, v18, v19
	ds_bpermute_b32 v5, v5, v18
	s_wait_dscnt 0x0
	v_add_f32_e32 v5, v18, v5
	;; [unrolled: 3-line block ×5, first 2 shown]
	s_wait_alu 0xfffe
	s_or_b32 exec_lo, exec_lo, s5
                                        ; implicit-def: $vgpr5
	s_and_saveexec_b32 s5, s0
	s_cbranch_execz .LBB408_31
.LBB408_28:                             ;   in Loop: Header=BB408_4 Depth=1
	s_wait_dscnt 0x0
	v_mul_f32_e32 v5, v17, v18
	s_cmp_eq_f32 s27, 0
	s_cbranch_scc1 .LBB408_30
; %bb.29:                               ;   in Loop: Header=BB408_4 Depth=1
	s_add_nc_u64 s[38:39], s[36:37], s[12:13]
	global_load_u16 v6, v9, s[38:39]
	s_wait_loadcnt 0x0
	v_fma_mix_f32 v5, s27, v6, v5 op_sel_hi:[0,1,0]
.LBB408_30:                             ;   in Loop: Header=BB408_4 Depth=1
	s_delay_alu instid0(VALU_DEP_1)
	v_cvt_f16_f32_e32 v5, v5
	s_or_b32 s41, s41, exec_lo
.LBB408_31:                             ;   in Loop: Header=BB408_4 Depth=1
	s_wait_alu 0xfffe
	s_or_b32 exec_lo, exec_lo, s5
.LBB408_32:                             ;   in Loop: Header=BB408_4 Depth=1
	s_wait_alu 0xfffe
	s_and_saveexec_b32 s5, s41
	s_cbranch_execz .LBB408_2
; %bb.33:                               ;   in Loop: Header=BB408_4 Depth=1
	s_add_nc_u64 s[36:37], s[36:37], s[12:13]
	global_store_b16 v9, v5, s[36:37]
	s_branch .LBB408_2
.LBB408_34:
	s_endpgm
	.section	.rodata,"a",@progbits
	.p2align	6, 0x0
	.amdhsa_kernel _ZL32rocblas_gemvt_warp_reduce_kernelILb0ELi1024EiDF16_PKfDF16_EviiT3_lPKT2_lT1_lS5_lS6_lS2_lPT4_lS6_li
		.amdhsa_group_segment_fixed_size 128
		.amdhsa_private_segment_fixed_size 0
		.amdhsa_kernarg_size 140
		.amdhsa_user_sgpr_count 2
		.amdhsa_user_sgpr_dispatch_ptr 0
		.amdhsa_user_sgpr_queue_ptr 0
		.amdhsa_user_sgpr_kernarg_segment_ptr 1
		.amdhsa_user_sgpr_dispatch_id 0
		.amdhsa_user_sgpr_private_segment_size 0
		.amdhsa_wavefront_size32 1
		.amdhsa_uses_dynamic_stack 0
		.amdhsa_enable_private_segment 0
		.amdhsa_system_sgpr_workgroup_id_x 1
		.amdhsa_system_sgpr_workgroup_id_y 0
		.amdhsa_system_sgpr_workgroup_id_z 1
		.amdhsa_system_sgpr_workgroup_info 0
		.amdhsa_system_vgpr_workitem_id 0
		.amdhsa_next_free_vgpr 22
		.amdhsa_next_free_sgpr 44
		.amdhsa_reserve_vcc 1
		.amdhsa_float_round_mode_32 0
		.amdhsa_float_round_mode_16_64 0
		.amdhsa_float_denorm_mode_32 3
		.amdhsa_float_denorm_mode_16_64 3
		.amdhsa_fp16_overflow 0
		.amdhsa_workgroup_processor_mode 1
		.amdhsa_memory_ordered 1
		.amdhsa_forward_progress 1
		.amdhsa_inst_pref_size 13
		.amdhsa_round_robin_scheduling 0
		.amdhsa_exception_fp_ieee_invalid_op 0
		.amdhsa_exception_fp_denorm_src 0
		.amdhsa_exception_fp_ieee_div_zero 0
		.amdhsa_exception_fp_ieee_overflow 0
		.amdhsa_exception_fp_ieee_underflow 0
		.amdhsa_exception_fp_ieee_inexact 0
		.amdhsa_exception_int_div_zero 0
	.end_amdhsa_kernel
	.section	.text._ZL32rocblas_gemvt_warp_reduce_kernelILb0ELi1024EiDF16_PKfDF16_EviiT3_lPKT2_lT1_lS5_lS6_lS2_lPT4_lS6_li,"axG",@progbits,_ZL32rocblas_gemvt_warp_reduce_kernelILb0ELi1024EiDF16_PKfDF16_EviiT3_lPKT2_lT1_lS5_lS6_lS2_lPT4_lS6_li,comdat
.Lfunc_end408:
	.size	_ZL32rocblas_gemvt_warp_reduce_kernelILb0ELi1024EiDF16_PKfDF16_EviiT3_lPKT2_lT1_lS5_lS6_lS2_lPT4_lS6_li, .Lfunc_end408-_ZL32rocblas_gemvt_warp_reduce_kernelILb0ELi1024EiDF16_PKfDF16_EviiT3_lPKT2_lT1_lS5_lS6_lS2_lPT4_lS6_li
                                        ; -- End function
	.set _ZL32rocblas_gemvt_warp_reduce_kernelILb0ELi1024EiDF16_PKfDF16_EviiT3_lPKT2_lT1_lS5_lS6_lS2_lPT4_lS6_li.num_vgpr, 22
	.set _ZL32rocblas_gemvt_warp_reduce_kernelILb0ELi1024EiDF16_PKfDF16_EviiT3_lPKT2_lT1_lS5_lS6_lS2_lPT4_lS6_li.num_agpr, 0
	.set _ZL32rocblas_gemvt_warp_reduce_kernelILb0ELi1024EiDF16_PKfDF16_EviiT3_lPKT2_lT1_lS5_lS6_lS2_lPT4_lS6_li.numbered_sgpr, 44
	.set _ZL32rocblas_gemvt_warp_reduce_kernelILb0ELi1024EiDF16_PKfDF16_EviiT3_lPKT2_lT1_lS5_lS6_lS2_lPT4_lS6_li.num_named_barrier, 0
	.set _ZL32rocblas_gemvt_warp_reduce_kernelILb0ELi1024EiDF16_PKfDF16_EviiT3_lPKT2_lT1_lS5_lS6_lS2_lPT4_lS6_li.private_seg_size, 0
	.set _ZL32rocblas_gemvt_warp_reduce_kernelILb0ELi1024EiDF16_PKfDF16_EviiT3_lPKT2_lT1_lS5_lS6_lS2_lPT4_lS6_li.uses_vcc, 1
	.set _ZL32rocblas_gemvt_warp_reduce_kernelILb0ELi1024EiDF16_PKfDF16_EviiT3_lPKT2_lT1_lS5_lS6_lS2_lPT4_lS6_li.uses_flat_scratch, 0
	.set _ZL32rocblas_gemvt_warp_reduce_kernelILb0ELi1024EiDF16_PKfDF16_EviiT3_lPKT2_lT1_lS5_lS6_lS2_lPT4_lS6_li.has_dyn_sized_stack, 0
	.set _ZL32rocblas_gemvt_warp_reduce_kernelILb0ELi1024EiDF16_PKfDF16_EviiT3_lPKT2_lT1_lS5_lS6_lS2_lPT4_lS6_li.has_recursion, 0
	.set _ZL32rocblas_gemvt_warp_reduce_kernelILb0ELi1024EiDF16_PKfDF16_EviiT3_lPKT2_lT1_lS5_lS6_lS2_lPT4_lS6_li.has_indirect_call, 0
	.section	.AMDGPU.csdata,"",@progbits
; Kernel info:
; codeLenInByte = 1604
; TotalNumSgprs: 46
; NumVgprs: 22
; ScratchSize: 0
; MemoryBound: 0
; FloatMode: 240
; IeeeMode: 1
; LDSByteSize: 128 bytes/workgroup (compile time only)
; SGPRBlocks: 0
; VGPRBlocks: 2
; NumSGPRsForWavesPerEU: 46
; NumVGPRsForWavesPerEU: 22
; Occupancy: 16
; WaveLimiterHint : 0
; COMPUTE_PGM_RSRC2:SCRATCH_EN: 0
; COMPUTE_PGM_RSRC2:USER_SGPR: 2
; COMPUTE_PGM_RSRC2:TRAP_HANDLER: 0
; COMPUTE_PGM_RSRC2:TGID_X_EN: 1
; COMPUTE_PGM_RSRC2:TGID_Y_EN: 0
; COMPUTE_PGM_RSRC2:TGID_Z_EN: 1
; COMPUTE_PGM_RSRC2:TIDIG_COMP_CNT: 0
	.section	.text._ZL32rocblas_gemvt_warp_reduce_kernelILb0ELi1024ElDF16_PKfDF16_EviiT3_lPKT2_lT1_lS5_lS6_lS2_lPT4_lS6_li,"axG",@progbits,_ZL32rocblas_gemvt_warp_reduce_kernelILb0ELi1024ElDF16_PKfDF16_EviiT3_lPKT2_lT1_lS5_lS6_lS2_lPT4_lS6_li,comdat
	.globl	_ZL32rocblas_gemvt_warp_reduce_kernelILb0ELi1024ElDF16_PKfDF16_EviiT3_lPKT2_lT1_lS5_lS6_lS2_lPT4_lS6_li ; -- Begin function _ZL32rocblas_gemvt_warp_reduce_kernelILb0ELi1024ElDF16_PKfDF16_EviiT3_lPKT2_lT1_lS5_lS6_lS2_lPT4_lS6_li
	.p2align	8
	.type	_ZL32rocblas_gemvt_warp_reduce_kernelILb0ELi1024ElDF16_PKfDF16_EviiT3_lPKT2_lT1_lS5_lS6_lS2_lPT4_lS6_li,@function
_ZL32rocblas_gemvt_warp_reduce_kernelILb0ELi1024ElDF16_PKfDF16_EviiT3_lPKT2_lT1_lS5_lS6_lS2_lPT4_lS6_li: ; @_ZL32rocblas_gemvt_warp_reduce_kernelILb0ELi1024ElDF16_PKfDF16_EviiT3_lPKT2_lT1_lS5_lS6_lS2_lPT4_lS6_li
; %bb.0:
	s_load_b32 s33, s[0:1], 0x88
	s_lshr_b32 s6, ttmp7, 16
	s_wait_kmcnt 0x0
	s_cmp_ge_u32 s6, s33
	s_cbranch_scc1 .LBB409_34
; %bb.1:
	s_clause 0x2
	s_load_b512 s[8:23], s[0:1], 0x8
	s_load_b512 s[36:51], s[0:1], 0x48
	s_load_b32 s28, s[0:1], 0x0
	s_mov_b32 s2, ttmp9
	s_ashr_i32 s3, ttmp9, 31
	v_mbcnt_lo_u32_b32 v16, -1, 0
	v_cmp_eq_u32_e64 s0, 0, v0
	s_mov_b32 s7, 0
	v_lshl_or_b32 v17, v16, 2, 64
	s_wait_kmcnt 0x0
	s_lshl_b64 s[4:5], s[22:23], 1
	s_lshl_b64 s[24:25], s[14:15], 1
	v_cmp_gt_i32_e32 vcc_lo, s28, v0
	s_ashr_i32 s1, s28, 31
	v_mad_co_u64_u32 v[1:2], null, s36, v0, 0
	s_lshr_b32 s1, s1, 22
	v_cndmask_b32_e32 v3, 0, v0, vcc_lo
	s_add_nc_u64 s[14:15], s[20:21], s[4:5]
	s_add_nc_u64 s[4:5], s[12:13], s[24:25]
	s_add_co_i32 s1, s28, s1
	s_lshl_b64 s[22:23], s[46:47], 1
	v_lshlrev_b32_e32 v7, 1, v3
	s_and_b32 s20, s1, 0xfffffc00
	s_mul_u64 s[26:27], s[48:49], s[2:3]
	s_mul_u64 s[2:3], s[16:17], s[2:3]
	v_or_b32_e32 v4, s20, v0
	v_add_co_u32 v3, s1, s4, v7
	s_delay_alu instid0(VALU_DEP_1)
	v_add_co_ci_u32_e64 v5, null, s5, 0, s1
	s_add_nc_u64 s[16:17], s[44:45], s[22:23]
	s_lshl_b64 s[22:23], s[2:3], 1
	v_mul_lo_u32 v8, s37, v4
	v_add_co_u32 v12, vcc_lo, v3, s22
	v_mad_co_u64_u32 v[2:3], null, s37, v0, v[2:3]
	s_wait_alu 0xfffd
	v_add_co_ci_u32_e64 v13, null, s23, v5, vcc_lo
	v_mad_co_u64_u32 v[5:6], null, s36, v4, 0
	v_and_b32_e32 v3, 31, v0
	v_cmp_gt_i32_e64 s2, s28, v4
	v_lshrrev_b32_e32 v4, 3, v0
	s_ashr_i32 s21, s20, 31
	v_dual_mov_b32 v11, 0 :: v_dual_lshlrev_b32 v14, 2, v3
	s_wait_alu 0xfffe
	s_mul_i32 s3, s36, s21
	v_cmp_eq_u32_e64 s4, 0, v3
	v_and_b32_e32 v15, 0x7c, v4
	v_lshlrev_b64_e32 v[3:4], 1, v[1:2]
	v_add3_u32 v6, v6, s3, v8
	s_add_nc_u64 s[22:23], s[22:23], s[24:25]
	v_cmp_gt_i32_e64 s1, s20, v0
	s_wait_alu 0xfffe
	s_add_nc_u64 s[12:13], s[12:13], s[22:23]
	v_cmp_gt_u32_e64 s3, 32, v0
	v_add_co_u32 v1, s5, s12, v7
	v_add_co_u32 v3, vcc_lo, s14, v3
	v_lshlrev_b64_e32 v[5:6], 1, v[5:6]
	s_wait_alu 0xf1ff
	v_add_co_ci_u32_e64 v2, null, s13, 0, s5
	s_wait_alu 0xfffd
	v_add_co_ci_u32_e64 v4, null, s15, v4, vcc_lo
	s_lshl_b64 s[12:13], s[18:19], 1
	s_lshl_b64 s[22:23], s[38:39], 1
	;; [unrolled: 1-line block ×5, first 2 shown]
	s_branch .LBB409_4
.LBB409_2:                              ;   in Loop: Header=BB409_4 Depth=1
	s_wait_alu 0xfffe
	s_or_b32 exec_lo, exec_lo, s5
.LBB409_3:                              ;   in Loop: Header=BB409_4 Depth=1
	s_add_co_i32 s6, s6, 0x10000
	s_wait_alu 0xfffe
	s_cmp_lt_u32 s6, s33
	s_cbranch_scc0 .LBB409_34
.LBB409_4:                              ; =>This Loop Header: Depth=1
                                        ;     Child Loop BB409_23 Depth 2
	s_mul_u64 s[30:31], s[10:11], s[6:7]
	s_mul_u64 s[34:35], s[42:43], s[6:7]
	s_lshl_b64 s[30:31], s[30:31], 2
	s_lshl_b64 s[34:35], s[34:35], 2
	s_add_nc_u64 s[30:31], s[8:9], s[30:31]
	s_add_nc_u64 s[34:35], s[40:41], s[34:35]
	s_clause 0x1
	global_load_b32 v18, v11, s[30:31]
	global_load_b32 v7, v11, s[34:35]
	s_wait_loadcnt 0x1
	v_cmp_eq_f32_e32 vcc_lo, 0, v18
	s_wait_loadcnt 0x0
	v_cmp_eq_f32_e64 s5, 1.0, v7
	v_readfirstlane_b32 s21, v7
	s_and_b32 s5, vcc_lo, s5
	s_wait_alu 0xfffe
	s_and_b32 vcc_lo, exec_lo, s5
	s_wait_alu 0xfffe
	s_cbranch_vccnz .LBB409_3
; %bb.5:                                ;   in Loop: Header=BB409_4 Depth=1
	v_cmp_neq_f32_e32 vcc_lo, 0, v18
	s_mul_u64 s[30:31], s[50:51], s[6:7]
	s_delay_alu instid0(SALU_CYCLE_1) | instskip(NEXT) | instid1(SALU_CYCLE_1)
	s_lshl_b64 s[30:31], s[30:31], 1
	s_add_nc_u64 s[30:31], s[16:17], s[30:31]
	s_cbranch_vccnz .LBB409_9
; %bb.6:                                ;   in Loop: Header=BB409_4 Depth=1
	s_mov_b32 s5, 0
	s_mov_b32 s34, 0
                                        ; implicit-def: $vgpr7
	s_and_saveexec_b32 s35, s0
	s_cbranch_execz .LBB409_10
; %bb.7:                                ;   in Loop: Header=BB409_4 Depth=1
	s_cmp_eq_f32 s21, 0
	s_cbranch_scc1 .LBB409_11
; %bb.8:                                ;   in Loop: Header=BB409_4 Depth=1
	s_add_nc_u64 s[36:37], s[30:31], s[26:27]
	global_load_u16 v7, v11, s[36:37]
	s_wait_loadcnt 0x0
	v_fma_mixlo_f16 v7, s21, v7, 0 op_sel_hi:[0,1,0]
	s_branch .LBB409_12
.LBB409_9:                              ;   in Loop: Header=BB409_4 Depth=1
	s_mov_b32 s34, 0
                                        ; implicit-def: $vgpr7
	s_cbranch_execnz .LBB409_13
	s_branch .LBB409_32
.LBB409_10:                             ;   in Loop: Header=BB409_4 Depth=1
	s_or_b32 exec_lo, exec_lo, s35
	s_wait_alu 0xfffe
	s_and_b32 vcc_lo, exec_lo, s5
	s_wait_alu 0xfffe
	s_cbranch_vccnz .LBB409_13
	s_branch .LBB409_32
.LBB409_11:                             ;   in Loop: Header=BB409_4 Depth=1
	v_mov_b32_e32 v7, 0
.LBB409_12:                             ;   in Loop: Header=BB409_4 Depth=1
	s_mov_b32 s34, exec_lo
	s_or_b32 exec_lo, exec_lo, s35
	s_wait_alu 0xfffe
	s_and_b32 vcc_lo, exec_lo, s5
	s_wait_alu 0xfffe
	s_cbranch_vccz .LBB409_32
.LBB409_13:                             ;   in Loop: Header=BB409_4 Depth=1
	s_wait_dscnt 0x0
	v_mov_b32_e32 v19, 0
	s_and_saveexec_b32 s35, s1
	s_cbranch_execnz .LBB409_22
; %bb.14:                               ;   in Loop: Header=BB409_4 Depth=1
	s_or_b32 exec_lo, exec_lo, s35
	s_and_saveexec_b32 s5, s2
	s_cbranch_execnz .LBB409_25
.LBB409_15:                             ;   in Loop: Header=BB409_4 Depth=1
	s_wait_alu 0xfffe
	s_or_b32 exec_lo, exec_lo, s5
	s_and_saveexec_b32 s5, s3
.LBB409_16:                             ;   in Loop: Header=BB409_4 Depth=1
	ds_store_b32 v14, v11
.LBB409_17:                             ;   in Loop: Header=BB409_4 Depth=1
	s_wait_alu 0xfffe
	s_or_b32 exec_lo, exec_lo, s5
	ds_bpermute_b32 v8, v17, v19
	v_cmp_gt_u32_e32 vcc_lo, 24, v16
	s_wait_dscnt 0x0
	s_barrier_signal -1
	s_barrier_wait -1
	global_inv scope:SCOPE_SE
	s_wait_alu 0xfffd
	v_cndmask_b32_e64 v7, 0, 8, vcc_lo
	v_cmp_gt_u32_e32 vcc_lo, 28, v16
	s_delay_alu instid0(VALU_DEP_2)
	v_add_lshl_u32 v7, v7, v16, 2
	v_add_f32_e32 v9, v19, v8
	s_wait_alu 0xfffd
	v_cndmask_b32_e64 v8, 0, 4, vcc_lo
	v_cmp_gt_u32_e32 vcc_lo, 30, v16
	ds_bpermute_b32 v10, v7, v9
	v_add_lshl_u32 v8, v8, v16, 2
	s_wait_dscnt 0x0
	v_add_f32_e32 v10, v9, v10
	s_wait_alu 0xfffd
	v_cndmask_b32_e64 v9, 0, 2, vcc_lo
	v_cmp_ne_u32_e32 vcc_lo, 31, v16
	ds_bpermute_b32 v19, v8, v10
	v_add_lshl_u32 v9, v9, v16, 2
	s_wait_alu 0xfffd
	v_add_co_ci_u32_e64 v20, null, 0, v16, vcc_lo
	s_wait_dscnt 0x0
	v_add_f32_e32 v10, v10, v19
	ds_bpermute_b32 v19, v9, v10
	s_wait_dscnt 0x0
	v_dual_add_f32 v19, v10, v19 :: v_dual_lshlrev_b32 v10, 2, v20
	ds_bpermute_b32 v20, v10, v19
	s_and_saveexec_b32 s5, s4
	s_cbranch_execz .LBB409_19
; %bb.18:                               ;   in Loop: Header=BB409_4 Depth=1
	s_wait_dscnt 0x0
	v_add_f32_e32 v19, v19, v20
	ds_store_b32 v15, v19
.LBB409_19:                             ;   in Loop: Header=BB409_4 Depth=1
	s_wait_alu 0xfffe
	s_or_b32 exec_lo, exec_lo, s5
	v_mov_b32_e32 v19, 0
	s_wait_loadcnt_dscnt 0x0
	s_barrier_signal -1
	s_barrier_wait -1
	global_inv scope:SCOPE_SE
	s_and_saveexec_b32 s5, s3
	s_cbranch_execnz .LBB409_26
; %bb.20:                               ;   in Loop: Header=BB409_4 Depth=1
	s_wait_alu 0xfffe
	s_or_b32 exec_lo, exec_lo, s5
	s_and_saveexec_b32 s5, s3
	s_cbranch_execnz .LBB409_27
.LBB409_21:                             ;   in Loop: Header=BB409_4 Depth=1
	s_wait_alu 0xfffe
	s_or_b32 exec_lo, exec_lo, s5
                                        ; implicit-def: $vgpr7
	s_and_saveexec_b32 s5, s0
	s_cbranch_execnz .LBB409_28
	s_branch .LBB409_31
.LBB409_22:                             ;   in Loop: Header=BB409_4 Depth=1
	v_mad_co_u64_u32 v[7:8], null, s12, s6, v[1:2]
	v_mad_co_u64_u32 v[9:10], null, s22, s6, v[3:4]
	s_mov_b32 s36, 0
	v_mad_co_u64_u32 v[20:21], null, s13, s6, v[8:9]
	v_mad_co_u64_u32 v[21:22], null, s23, s6, v[10:11]
	s_delay_alu instid0(VALU_DEP_2) | instskip(SKIP_1) | instid1(VALU_DEP_3)
	v_dual_mov_b32 v19, 0 :: v_dual_mov_b32 v8, v20
	v_mov_b32_e32 v20, v0
	v_mov_b32_e32 v10, v21
.LBB409_23:                             ;   Parent Loop BB409_4 Depth=1
                                        ; =>  This Inner Loop Header: Depth=2
	global_load_u16 v21, v[7:8], off
	global_load_u16 v22, v[9:10], off
	v_add_co_u32 v7, vcc_lo, 0x800, v7
	s_wait_alu 0xfffd
	v_add_co_ci_u32_e64 v8, null, 0, v8, vcc_lo
	v_add_co_u32 v9, vcc_lo, v9, s24
	s_wait_alu 0xfffd
	v_add_co_ci_u32_e64 v10, null, s25, v10, vcc_lo
	s_wait_loadcnt 0x0
	v_mul_f16_e32 v21, v21, v22
	s_delay_alu instid0(VALU_DEP_1) | instskip(NEXT) | instid1(VALU_DEP_1)
	v_cvt_f32_f16_e32 v21, v21
	v_dual_add_f32 v19, v19, v21 :: v_dual_add_nc_u32 v20, 0x400, v20
	s_delay_alu instid0(VALU_DEP_1)
	v_cmp_le_i32_e64 s5, s20, v20
	s_wait_alu 0xfffe
	s_or_b32 s36, s5, s36
	s_wait_alu 0xfffe
	s_and_not1_b32 exec_lo, exec_lo, s36
	s_cbranch_execnz .LBB409_23
; %bb.24:                               ;   in Loop: Header=BB409_4 Depth=1
	s_or_b32 exec_lo, exec_lo, s36
	s_delay_alu instid0(SALU_CYCLE_1)
	s_or_b32 exec_lo, exec_lo, s35
	s_and_saveexec_b32 s5, s2
	s_cbranch_execz .LBB409_15
.LBB409_25:                             ;   in Loop: Header=BB409_4 Depth=1
	s_mul_u64 s[36:37], s[18:19], s[6:7]
	s_mul_u64 s[44:45], s[38:39], s[6:7]
	s_wait_alu 0xfffe
	s_lshl_b64 s[36:37], s[36:37], 1
	s_lshl_b64 s[44:45], s[44:45], 1
	s_wait_alu 0xfffe
	v_add_co_u32 v7, vcc_lo, v12, s36
	s_wait_alu 0xfffd
	v_add_co_ci_u32_e64 v8, null, s37, v13, vcc_lo
	s_add_nc_u64 s[36:37], s[14:15], s[44:45]
	v_add_co_u32 v7, vcc_lo, v7, s28
	s_wait_alu 0xfffd
	v_add_co_ci_u32_e64 v8, null, s29, v8, vcc_lo
	s_wait_alu 0xfffe
	v_add_co_u32 v9, vcc_lo, s36, v5
	s_wait_alu 0xfffd
	v_add_co_ci_u32_e64 v10, null, s37, v6, vcc_lo
	global_load_u16 v7, v[7:8], off
	global_load_u16 v8, v[9:10], off
	s_wait_loadcnt 0x0
	v_mul_f16_e32 v7, v7, v8
	s_delay_alu instid0(VALU_DEP_1) | instskip(NEXT) | instid1(VALU_DEP_1)
	v_cvt_f32_f16_e32 v7, v7
	v_add_f32_e32 v19, v19, v7
	s_or_b32 exec_lo, exec_lo, s5
	s_and_saveexec_b32 s5, s3
	s_cbranch_execnz .LBB409_16
	s_branch .LBB409_17
.LBB409_26:                             ;   in Loop: Header=BB409_4 Depth=1
	ds_load_b32 v19, v14
	s_wait_alu 0xfffe
	s_or_b32 exec_lo, exec_lo, s5
	s_and_saveexec_b32 s5, s3
	s_cbranch_execz .LBB409_21
.LBB409_27:                             ;   in Loop: Header=BB409_4 Depth=1
	s_wait_dscnt 0x0
	ds_bpermute_b32 v20, v17, v19
	s_wait_dscnt 0x0
	v_add_f32_e32 v19, v19, v20
	ds_bpermute_b32 v7, v7, v19
	s_wait_dscnt 0x0
	v_add_f32_e32 v7, v19, v7
	;; [unrolled: 3-line block ×5, first 2 shown]
	s_wait_alu 0xfffe
	s_or_b32 exec_lo, exec_lo, s5
                                        ; implicit-def: $vgpr7
	s_and_saveexec_b32 s5, s0
	s_cbranch_execz .LBB409_31
.LBB409_28:                             ;   in Loop: Header=BB409_4 Depth=1
	s_wait_dscnt 0x0
	v_mul_f32_e32 v7, v18, v19
	s_cmp_eq_f32 s21, 0
	s_cbranch_scc1 .LBB409_30
; %bb.29:                               ;   in Loop: Header=BB409_4 Depth=1
	s_add_nc_u64 s[36:37], s[30:31], s[26:27]
	global_load_u16 v8, v11, s[36:37]
	s_wait_loadcnt 0x0
	v_fma_mix_f32 v7, s21, v8, v7 op_sel_hi:[0,1,0]
.LBB409_30:                             ;   in Loop: Header=BB409_4 Depth=1
	s_delay_alu instid0(VALU_DEP_1)
	v_cvt_f16_f32_e32 v7, v7
	s_or_b32 s34, s34, exec_lo
.LBB409_31:                             ;   in Loop: Header=BB409_4 Depth=1
	s_wait_alu 0xfffe
	s_or_b32 exec_lo, exec_lo, s5
.LBB409_32:                             ;   in Loop: Header=BB409_4 Depth=1
	s_and_saveexec_b32 s5, s34
	s_cbranch_execz .LBB409_2
; %bb.33:                               ;   in Loop: Header=BB409_4 Depth=1
	s_add_nc_u64 s[30:31], s[30:31], s[26:27]
	global_store_b16 v11, v7, s[30:31]
	s_branch .LBB409_2
.LBB409_34:
	s_endpgm
	.section	.rodata,"a",@progbits
	.p2align	6, 0x0
	.amdhsa_kernel _ZL32rocblas_gemvt_warp_reduce_kernelILb0ELi1024ElDF16_PKfDF16_EviiT3_lPKT2_lT1_lS5_lS6_lS2_lPT4_lS6_li
		.amdhsa_group_segment_fixed_size 128
		.amdhsa_private_segment_fixed_size 0
		.amdhsa_kernarg_size 140
		.amdhsa_user_sgpr_count 2
		.amdhsa_user_sgpr_dispatch_ptr 0
		.amdhsa_user_sgpr_queue_ptr 0
		.amdhsa_user_sgpr_kernarg_segment_ptr 1
		.amdhsa_user_sgpr_dispatch_id 0
		.amdhsa_user_sgpr_private_segment_size 0
		.amdhsa_wavefront_size32 1
		.amdhsa_uses_dynamic_stack 0
		.amdhsa_enable_private_segment 0
		.amdhsa_system_sgpr_workgroup_id_x 1
		.amdhsa_system_sgpr_workgroup_id_y 0
		.amdhsa_system_sgpr_workgroup_id_z 1
		.amdhsa_system_sgpr_workgroup_info 0
		.amdhsa_system_vgpr_workitem_id 0
		.amdhsa_next_free_vgpr 23
		.amdhsa_next_free_sgpr 52
		.amdhsa_reserve_vcc 1
		.amdhsa_float_round_mode_32 0
		.amdhsa_float_round_mode_16_64 0
		.amdhsa_float_denorm_mode_32 3
		.amdhsa_float_denorm_mode_16_64 3
		.amdhsa_fp16_overflow 0
		.amdhsa_workgroup_processor_mode 1
		.amdhsa_memory_ordered 1
		.amdhsa_forward_progress 1
		.amdhsa_inst_pref_size 13
		.amdhsa_round_robin_scheduling 0
		.amdhsa_exception_fp_ieee_invalid_op 0
		.amdhsa_exception_fp_denorm_src 0
		.amdhsa_exception_fp_ieee_div_zero 0
		.amdhsa_exception_fp_ieee_overflow 0
		.amdhsa_exception_fp_ieee_underflow 0
		.amdhsa_exception_fp_ieee_inexact 0
		.amdhsa_exception_int_div_zero 0
	.end_amdhsa_kernel
	.section	.text._ZL32rocblas_gemvt_warp_reduce_kernelILb0ELi1024ElDF16_PKfDF16_EviiT3_lPKT2_lT1_lS5_lS6_lS2_lPT4_lS6_li,"axG",@progbits,_ZL32rocblas_gemvt_warp_reduce_kernelILb0ELi1024ElDF16_PKfDF16_EviiT3_lPKT2_lT1_lS5_lS6_lS2_lPT4_lS6_li,comdat
.Lfunc_end409:
	.size	_ZL32rocblas_gemvt_warp_reduce_kernelILb0ELi1024ElDF16_PKfDF16_EviiT3_lPKT2_lT1_lS5_lS6_lS2_lPT4_lS6_li, .Lfunc_end409-_ZL32rocblas_gemvt_warp_reduce_kernelILb0ELi1024ElDF16_PKfDF16_EviiT3_lPKT2_lT1_lS5_lS6_lS2_lPT4_lS6_li
                                        ; -- End function
	.set _ZL32rocblas_gemvt_warp_reduce_kernelILb0ELi1024ElDF16_PKfDF16_EviiT3_lPKT2_lT1_lS5_lS6_lS2_lPT4_lS6_li.num_vgpr, 23
	.set _ZL32rocblas_gemvt_warp_reduce_kernelILb0ELi1024ElDF16_PKfDF16_EviiT3_lPKT2_lT1_lS5_lS6_lS2_lPT4_lS6_li.num_agpr, 0
	.set _ZL32rocblas_gemvt_warp_reduce_kernelILb0ELi1024ElDF16_PKfDF16_EviiT3_lPKT2_lT1_lS5_lS6_lS2_lPT4_lS6_li.numbered_sgpr, 52
	.set _ZL32rocblas_gemvt_warp_reduce_kernelILb0ELi1024ElDF16_PKfDF16_EviiT3_lPKT2_lT1_lS5_lS6_lS2_lPT4_lS6_li.num_named_barrier, 0
	.set _ZL32rocblas_gemvt_warp_reduce_kernelILb0ELi1024ElDF16_PKfDF16_EviiT3_lPKT2_lT1_lS5_lS6_lS2_lPT4_lS6_li.private_seg_size, 0
	.set _ZL32rocblas_gemvt_warp_reduce_kernelILb0ELi1024ElDF16_PKfDF16_EviiT3_lPKT2_lT1_lS5_lS6_lS2_lPT4_lS6_li.uses_vcc, 1
	.set _ZL32rocblas_gemvt_warp_reduce_kernelILb0ELi1024ElDF16_PKfDF16_EviiT3_lPKT2_lT1_lS5_lS6_lS2_lPT4_lS6_li.uses_flat_scratch, 0
	.set _ZL32rocblas_gemvt_warp_reduce_kernelILb0ELi1024ElDF16_PKfDF16_EviiT3_lPKT2_lT1_lS5_lS6_lS2_lPT4_lS6_li.has_dyn_sized_stack, 0
	.set _ZL32rocblas_gemvt_warp_reduce_kernelILb0ELi1024ElDF16_PKfDF16_EviiT3_lPKT2_lT1_lS5_lS6_lS2_lPT4_lS6_li.has_recursion, 0
	.set _ZL32rocblas_gemvt_warp_reduce_kernelILb0ELi1024ElDF16_PKfDF16_EviiT3_lPKT2_lT1_lS5_lS6_lS2_lPT4_lS6_li.has_indirect_call, 0
	.section	.AMDGPU.csdata,"",@progbits
; Kernel info:
; codeLenInByte = 1588
; TotalNumSgprs: 54
; NumVgprs: 23
; ScratchSize: 0
; MemoryBound: 0
; FloatMode: 240
; IeeeMode: 1
; LDSByteSize: 128 bytes/workgroup (compile time only)
; SGPRBlocks: 0
; VGPRBlocks: 2
; NumSGPRsForWavesPerEU: 54
; NumVGPRsForWavesPerEU: 23
; Occupancy: 16
; WaveLimiterHint : 0
; COMPUTE_PGM_RSRC2:SCRATCH_EN: 0
; COMPUTE_PGM_RSRC2:USER_SGPR: 2
; COMPUTE_PGM_RSRC2:TRAP_HANDLER: 0
; COMPUTE_PGM_RSRC2:TGID_X_EN: 1
; COMPUTE_PGM_RSRC2:TGID_Y_EN: 0
; COMPUTE_PGM_RSRC2:TGID_Z_EN: 1
; COMPUTE_PGM_RSRC2:TIDIG_COMP_CNT: 0
	.section	.text._ZL32rocblas_gemvt_warp_reduce_kernelILb0ELi1024EiDF16_fDF16_EviiT3_lPKT2_lT1_lS3_lS4_lS0_lPT4_lS4_li,"axG",@progbits,_ZL32rocblas_gemvt_warp_reduce_kernelILb0ELi1024EiDF16_fDF16_EviiT3_lPKT2_lT1_lS3_lS4_lS0_lPT4_lS4_li,comdat
	.globl	_ZL32rocblas_gemvt_warp_reduce_kernelILb0ELi1024EiDF16_fDF16_EviiT3_lPKT2_lT1_lS3_lS4_lS0_lPT4_lS4_li ; -- Begin function _ZL32rocblas_gemvt_warp_reduce_kernelILb0ELi1024EiDF16_fDF16_EviiT3_lPKT2_lT1_lS3_lS4_lS0_lPT4_lS4_li
	.p2align	8
	.type	_ZL32rocblas_gemvt_warp_reduce_kernelILb0ELi1024EiDF16_fDF16_EviiT3_lPKT2_lT1_lS3_lS4_lS0_lPT4_lS4_li,@function
_ZL32rocblas_gemvt_warp_reduce_kernelILb0ELi1024EiDF16_fDF16_EviiT3_lPKT2_lT1_lS3_lS4_lS0_lPT4_lS4_li: ; @_ZL32rocblas_gemvt_warp_reduce_kernelILb0ELi1024EiDF16_fDF16_EviiT3_lPKT2_lT1_lS3_lS4_lS0_lPT4_lS4_li
; %bb.0:
	s_load_b32 s19, s[0:1], 0x88
	s_lshr_b32 s24, ttmp7, 16
	s_wait_kmcnt 0x0
	s_cmp_ge_u32 s24, s19
	s_cbranch_scc1 .LBB410_34
; %bb.1:
	s_clause 0x9
	s_load_b96 s[20:22], s[0:1], 0x40
	s_load_b128 s[4:7], s[0:1], 0x68
	s_load_b128 s[12:15], s[0:1], 0x18
	s_load_b32 s33, s[0:1], 0x8
	s_load_b96 s[16:18], s[0:1], 0x50
	s_load_b128 s[8:11], s[0:1], 0x30
	s_load_b32 s23, s[0:1], 0x0
	s_load_b32 s3, s[0:1], 0x28
	;; [unrolled: 1-line block ×3, first 2 shown]
	s_load_b64 s[26:27], s[0:1], 0x80
	v_and_b32_e32 v1, 31, v0
	v_lshrrev_b32_e32 v2, 3, v0
	v_mov_b32_e32 v9, 0
	v_mbcnt_lo_u32_b32 v15, -1, 0
	v_cmp_eq_u32_e64 s0, 0, v0
	v_lshlrev_b32_e32 v10, 2, v1
	v_cmp_eq_u32_e64 s2, 0, v1
	v_and_b32_e32 v11, 0x7c, v2
	v_cmp_gt_u32_e64 s1, 32, v0
	v_lshl_or_b32 v16, v15, 2, 64
	s_wait_kmcnt 0x0
	s_lshl_b64 s[20:21], s[20:21], 1
	s_lshl_b64 s[28:29], s[6:7], 1
	;; [unrolled: 1-line block ×3, first 2 shown]
	s_cmp_eq_f32 s33, 0
	v_mul_lo_u32 v12, v0, s22
	s_mov_b32 s25, 0
	v_cmp_gt_i32_e32 vcc_lo, s23, v0
	s_cselect_b32 s34, -1, 0
	s_cmp_neq_f32 s33, 0
	s_mul_i32 s38, s35, ttmp9
	s_mul_i32 s40, s3, ttmp9
	v_cndmask_b32_e32 v1, 0, v0, vcc_lo
	s_cselect_b32 s6, -1, 0
	s_cmp_neq_f32 s18, 1.0
	s_delay_alu instid0(VALU_DEP_1) | instskip(SKIP_1) | instid1(SALU_CYCLE_1)
	v_lshlrev_b32_e32 v1, 1, v1
	s_cselect_b32 s7, -1, 0
	s_or_b32 s35, s6, s7
	s_cmp_neq_f32 s18, 0
	s_add_nc_u64 s[6:7], s[10:11], s[20:21]
	s_add_nc_u64 s[10:11], s[4:5], s[28:29]
	;; [unrolled: 1-line block ×3, first 2 shown]
	s_cselect_b32 s36, -1, 0
	s_ashr_i32 s3, s23, 31
	s_ashr_i32 s41, s40, 31
	s_lshr_b32 s3, s3, 22
	s_ashr_i32 s39, s38, 31
	s_add_co_i32 s3, s23, s3
	s_lshl_b32 s37, s22, 10
	s_and_b32 s14, s3, 0xfffffc00
	v_add_co_u32 v4, s3, s4, v1
	v_or_b32_e32 v2, s14, v0
	v_add_co_ci_u32_e64 v5, null, s5, 0, s3
	s_lshl_b64 s[4:5], s[40:41], 1
	v_cmp_gt_i32_e64 s3, s14, v0
	v_mul_lo_u32 v3, s22, v2
	s_wait_alu 0xfffe
	v_add_co_u32 v13, vcc_lo, v4, s4
	s_add_nc_u64 s[20:21], s[30:31], s[4:5]
	s_wait_alu 0xfffd
	v_add_co_ci_u32_e64 v14, null, s5, v5, vcc_lo
	s_add_nc_u64 s[12:13], s[12:13], s[20:21]
	v_cmp_gt_i32_e64 s4, s23, v2
	v_ashrrev_i32_e32 v4, 31, v3
	v_add_co_u32 v1, s5, s12, v1
	s_wait_alu 0xf1ff
	v_add_co_ci_u32_e64 v2, null, s13, 0, s5
	s_delay_alu instid0(VALU_DEP_3)
	v_lshlrev_b64_e32 v[3:4], 1, v[3:4]
	s_ashr_i32 s15, s14, 31
	s_lshl_b64 s[12:13], s[8:9], 1
	s_lshl_b64 s[20:21], s[38:39], 1
	s_wait_alu 0xfffe
	s_lshl_b64 s[22:23], s[14:15], 1
	s_branch .LBB410_4
.LBB410_2:                              ;   in Loop: Header=BB410_4 Depth=1
	s_wait_alu 0xfffe
	s_or_b32 exec_lo, exec_lo, s5
.LBB410_3:                              ;   in Loop: Header=BB410_4 Depth=1
	s_add_co_i32 s24, s24, 0x10000
	s_wait_alu 0xfffe
	s_cmp_lt_u32 s24, s19
	s_cbranch_scc0 .LBB410_34
.LBB410_4:                              ; =>This Loop Header: Depth=1
                                        ;     Child Loop BB410_23 Depth 2
	s_and_not1_b32 vcc_lo, exec_lo, s35
	s_wait_alu 0xfffe
	s_cbranch_vccnz .LBB410_3
; %bb.5:                                ;   in Loop: Header=BB410_4 Depth=1
	s_mul_u64 s[28:29], s[26:27], s[24:25]
	s_and_not1_b32 vcc_lo, exec_lo, s34
	s_lshl_b64 s[28:29], s[28:29], 1
	s_delay_alu instid0(SALU_CYCLE_1)
	s_add_nc_u64 s[28:29], s[10:11], s[28:29]
	s_wait_alu 0xfffe
	s_cbranch_vccnz .LBB410_9
; %bb.6:                                ;   in Loop: Header=BB410_4 Depth=1
	s_mov_b32 s5, 0
	s_mov_b32 s15, 0
                                        ; implicit-def: $vgpr5
	s_and_saveexec_b32 s30, s0
	s_cbranch_execz .LBB410_10
; %bb.7:                                ;   in Loop: Header=BB410_4 Depth=1
	s_and_not1_b32 vcc_lo, exec_lo, s36
	s_wait_alu 0xfffe
	s_cbranch_vccnz .LBB410_11
; %bb.8:                                ;   in Loop: Header=BB410_4 Depth=1
	s_add_nc_u64 s[38:39], s[28:29], s[20:21]
	global_load_u16 v5, v9, s[38:39]
	s_wait_loadcnt 0x0
	v_fma_mixlo_f16 v5, s18, v5, 0 op_sel_hi:[0,1,0]
	s_branch .LBB410_12
.LBB410_9:                              ;   in Loop: Header=BB410_4 Depth=1
	s_mov_b32 s15, 0
                                        ; implicit-def: $vgpr5
	s_cbranch_execnz .LBB410_13
	s_branch .LBB410_32
.LBB410_10:                             ;   in Loop: Header=BB410_4 Depth=1
	s_wait_alu 0xfffe
	s_or_b32 exec_lo, exec_lo, s30
	s_delay_alu instid0(SALU_CYCLE_1)
	s_and_b32 vcc_lo, exec_lo, s5
	s_wait_alu 0xfffe
	s_cbranch_vccnz .LBB410_13
	s_branch .LBB410_32
.LBB410_11:                             ;   in Loop: Header=BB410_4 Depth=1
	v_mov_b32_e32 v5, 0
.LBB410_12:                             ;   in Loop: Header=BB410_4 Depth=1
	s_mov_b32 s15, exec_lo
	s_or_b32 exec_lo, exec_lo, s30
	s_delay_alu instid0(SALU_CYCLE_1)
	s_and_b32 vcc_lo, exec_lo, s5
	s_wait_alu 0xfffe
	s_cbranch_vccz .LBB410_32
.LBB410_13:                             ;   in Loop: Header=BB410_4 Depth=1
	s_mul_u64 s[30:31], s[16:17], s[24:25]
	s_wait_dscnt 0x0
	v_mov_b32_e32 v17, 0
	s_wait_alu 0xfffe
	s_lshl_b64 s[30:31], s[30:31], 1
	s_wait_alu 0xfffe
	s_add_nc_u64 s[30:31], s[6:7], s[30:31]
	s_and_saveexec_b32 s38, s3
	s_cbranch_execnz .LBB410_22
; %bb.14:                               ;   in Loop: Header=BB410_4 Depth=1
	s_wait_alu 0xfffe
	s_or_b32 exec_lo, exec_lo, s38
	s_and_saveexec_b32 s5, s4
	s_cbranch_execnz .LBB410_25
.LBB410_15:                             ;   in Loop: Header=BB410_4 Depth=1
	s_wait_alu 0xfffe
	s_or_b32 exec_lo, exec_lo, s5
	s_and_saveexec_b32 s5, s1
.LBB410_16:                             ;   in Loop: Header=BB410_4 Depth=1
	ds_store_b32 v10, v9
.LBB410_17:                             ;   in Loop: Header=BB410_4 Depth=1
	s_wait_alu 0xfffe
	s_or_b32 exec_lo, exec_lo, s5
	ds_bpermute_b32 v6, v16, v17
	v_cmp_gt_u32_e32 vcc_lo, 24, v15
	s_wait_dscnt 0x0
	s_barrier_signal -1
	s_barrier_wait -1
	global_inv scope:SCOPE_SE
	s_wait_alu 0xfffd
	v_cndmask_b32_e64 v5, 0, 8, vcc_lo
	v_cmp_gt_u32_e32 vcc_lo, 28, v15
	s_delay_alu instid0(VALU_DEP_2)
	v_add_lshl_u32 v5, v5, v15, 2
	v_add_f32_e32 v7, v17, v6
	s_wait_alu 0xfffd
	v_cndmask_b32_e64 v6, 0, 4, vcc_lo
	v_cmp_gt_u32_e32 vcc_lo, 30, v15
	ds_bpermute_b32 v8, v5, v7
	v_add_lshl_u32 v6, v6, v15, 2
	s_wait_dscnt 0x0
	v_add_f32_e32 v8, v7, v8
	s_wait_alu 0xfffd
	v_cndmask_b32_e64 v7, 0, 2, vcc_lo
	v_cmp_ne_u32_e32 vcc_lo, 31, v15
	ds_bpermute_b32 v17, v6, v8
	v_add_lshl_u32 v7, v7, v15, 2
	s_wait_alu 0xfffd
	v_add_co_ci_u32_e64 v18, null, 0, v15, vcc_lo
	s_wait_dscnt 0x0
	v_add_f32_e32 v8, v8, v17
	ds_bpermute_b32 v17, v7, v8
	s_wait_dscnt 0x0
	v_dual_add_f32 v17, v8, v17 :: v_dual_lshlrev_b32 v8, 2, v18
	ds_bpermute_b32 v18, v8, v17
	s_and_saveexec_b32 s5, s2
	s_cbranch_execz .LBB410_19
; %bb.18:                               ;   in Loop: Header=BB410_4 Depth=1
	s_wait_dscnt 0x0
	v_add_f32_e32 v17, v17, v18
	ds_store_b32 v11, v17
.LBB410_19:                             ;   in Loop: Header=BB410_4 Depth=1
	s_wait_alu 0xfffe
	s_or_b32 exec_lo, exec_lo, s5
	v_mov_b32_e32 v17, 0
	s_wait_loadcnt_dscnt 0x0
	s_barrier_signal -1
	s_barrier_wait -1
	global_inv scope:SCOPE_SE
	s_and_saveexec_b32 s5, s1
	s_cbranch_execnz .LBB410_26
; %bb.20:                               ;   in Loop: Header=BB410_4 Depth=1
	s_wait_alu 0xfffe
	s_or_b32 exec_lo, exec_lo, s5
	s_and_saveexec_b32 s5, s1
	s_cbranch_execnz .LBB410_27
.LBB410_21:                             ;   in Loop: Header=BB410_4 Depth=1
	s_wait_alu 0xfffe
	s_or_b32 exec_lo, exec_lo, s5
                                        ; implicit-def: $vgpr5
	s_and_saveexec_b32 s5, s0
	s_cbranch_execnz .LBB410_28
	s_branch .LBB410_31
.LBB410_22:                             ;   in Loop: Header=BB410_4 Depth=1
	v_mad_co_u64_u32 v[5:6], null, s12, s24, v[1:2]
	v_dual_mov_b32 v17, 0 :: v_dual_mov_b32 v18, v0
	s_mov_b32 s39, 0
	s_delay_alu instid0(VALU_DEP_2)
	v_mad_co_u64_u32 v[6:7], null, s13, s24, v[6:7]
	v_mov_b32_e32 v7, v12
.LBB410_23:                             ;   Parent Loop BB410_4 Depth=1
                                        ; =>  This Inner Loop Header: Depth=2
	s_delay_alu instid0(VALU_DEP_1) | instskip(NEXT) | instid1(VALU_DEP_1)
	v_ashrrev_i32_e32 v8, 31, v7
	v_lshlrev_b64_e32 v[19:20], 1, v[7:8]
	v_add_nc_u32_e32 v7, s37, v7
	s_wait_alu 0xfffe
	s_delay_alu instid0(VALU_DEP_2) | instskip(SKIP_1) | instid1(VALU_DEP_3)
	v_add_co_u32 v19, vcc_lo, s30, v19
	s_wait_alu 0xfffd
	v_add_co_ci_u32_e64 v20, null, s31, v20, vcc_lo
	global_load_u16 v8, v[5:6], off
	global_load_u16 v19, v[19:20], off
	v_add_co_u32 v5, vcc_lo, 0x800, v5
	s_wait_alu 0xfffd
	v_add_co_ci_u32_e64 v6, null, 0, v6, vcc_lo
	s_wait_loadcnt 0x0
	v_mul_f16_e32 v8, v8, v19
	s_delay_alu instid0(VALU_DEP_1) | instskip(NEXT) | instid1(VALU_DEP_1)
	v_cvt_f32_f16_e32 v8, v8
	v_dual_add_f32 v17, v17, v8 :: v_dual_add_nc_u32 v18, 0x400, v18
	s_delay_alu instid0(VALU_DEP_1)
	v_cmp_le_i32_e64 s5, s14, v18
	s_or_b32 s39, s5, s39
	s_wait_alu 0xfffe
	s_and_not1_b32 exec_lo, exec_lo, s39
	s_cbranch_execnz .LBB410_23
; %bb.24:                               ;   in Loop: Header=BB410_4 Depth=1
	s_or_b32 exec_lo, exec_lo, s39
	s_delay_alu instid0(SALU_CYCLE_1)
	s_or_b32 exec_lo, exec_lo, s38
	s_and_saveexec_b32 s5, s4
	s_cbranch_execz .LBB410_15
.LBB410_25:                             ;   in Loop: Header=BB410_4 Depth=1
	s_mul_u64 s[38:39], s[8:9], s[24:25]
	s_wait_alu 0xfffe
	s_lshl_b64 s[38:39], s[38:39], 1
	s_wait_alu 0xfffe
	v_add_co_u32 v5, vcc_lo, v13, s38
	s_wait_alu 0xfffd
	v_add_co_ci_u32_e64 v6, null, s39, v14, vcc_lo
	s_delay_alu instid0(VALU_DEP_2) | instskip(SKIP_1) | instid1(VALU_DEP_2)
	v_add_co_u32 v5, vcc_lo, v5, s22
	s_wait_alu 0xfffd
	v_add_co_ci_u32_e64 v6, null, s23, v6, vcc_lo
	v_add_co_u32 v7, vcc_lo, s30, v3
	s_wait_alu 0xfffd
	v_add_co_ci_u32_e64 v8, null, s31, v4, vcc_lo
	global_load_u16 v5, v[5:6], off
	global_load_u16 v6, v[7:8], off
	s_wait_loadcnt 0x0
	v_mul_f16_e32 v5, v5, v6
	s_delay_alu instid0(VALU_DEP_1) | instskip(NEXT) | instid1(VALU_DEP_1)
	v_cvt_f32_f16_e32 v5, v5
	v_add_f32_e32 v17, v17, v5
	s_or_b32 exec_lo, exec_lo, s5
	s_and_saveexec_b32 s5, s1
	s_cbranch_execnz .LBB410_16
	s_branch .LBB410_17
.LBB410_26:                             ;   in Loop: Header=BB410_4 Depth=1
	ds_load_b32 v17, v10
	s_wait_alu 0xfffe
	s_or_b32 exec_lo, exec_lo, s5
	s_and_saveexec_b32 s5, s1
	s_cbranch_execz .LBB410_21
.LBB410_27:                             ;   in Loop: Header=BB410_4 Depth=1
	s_wait_dscnt 0x0
	ds_bpermute_b32 v18, v16, v17
	s_wait_dscnt 0x0
	v_add_f32_e32 v17, v17, v18
	ds_bpermute_b32 v5, v5, v17
	s_wait_dscnt 0x0
	v_add_f32_e32 v5, v17, v5
	;; [unrolled: 3-line block ×5, first 2 shown]
	s_wait_alu 0xfffe
	s_or_b32 exec_lo, exec_lo, s5
                                        ; implicit-def: $vgpr5
	s_and_saveexec_b32 s5, s0
	s_cbranch_execz .LBB410_31
.LBB410_28:                             ;   in Loop: Header=BB410_4 Depth=1
	s_wait_dscnt 0x0
	v_mul_f32_e32 v5, s33, v17
	s_and_not1_b32 vcc_lo, exec_lo, s36
	s_wait_alu 0xfffe
	s_cbranch_vccnz .LBB410_30
; %bb.29:                               ;   in Loop: Header=BB410_4 Depth=1
	s_add_nc_u64 s[30:31], s[28:29], s[20:21]
	global_load_u16 v6, v9, s[30:31]
	s_wait_loadcnt 0x0
	v_fma_mix_f32 v5, s18, v6, v5 op_sel_hi:[0,1,0]
.LBB410_30:                             ;   in Loop: Header=BB410_4 Depth=1
	s_delay_alu instid0(VALU_DEP_1)
	v_cvt_f16_f32_e32 v5, v5
	s_or_b32 s15, s15, exec_lo
.LBB410_31:                             ;   in Loop: Header=BB410_4 Depth=1
	s_wait_alu 0xfffe
	s_or_b32 exec_lo, exec_lo, s5
.LBB410_32:                             ;   in Loop: Header=BB410_4 Depth=1
	s_wait_alu 0xfffe
	s_and_saveexec_b32 s5, s15
	s_cbranch_execz .LBB410_2
; %bb.33:                               ;   in Loop: Header=BB410_4 Depth=1
	s_add_nc_u64 s[28:29], s[28:29], s[20:21]
	global_store_b16 v9, v5, s[28:29]
	s_branch .LBB410_2
.LBB410_34:
	s_endpgm
	.section	.rodata,"a",@progbits
	.p2align	6, 0x0
	.amdhsa_kernel _ZL32rocblas_gemvt_warp_reduce_kernelILb0ELi1024EiDF16_fDF16_EviiT3_lPKT2_lT1_lS3_lS4_lS0_lPT4_lS4_li
		.amdhsa_group_segment_fixed_size 128
		.amdhsa_private_segment_fixed_size 0
		.amdhsa_kernarg_size 140
		.amdhsa_user_sgpr_count 2
		.amdhsa_user_sgpr_dispatch_ptr 0
		.amdhsa_user_sgpr_queue_ptr 0
		.amdhsa_user_sgpr_kernarg_segment_ptr 1
		.amdhsa_user_sgpr_dispatch_id 0
		.amdhsa_user_sgpr_private_segment_size 0
		.amdhsa_wavefront_size32 1
		.amdhsa_uses_dynamic_stack 0
		.amdhsa_enable_private_segment 0
		.amdhsa_system_sgpr_workgroup_id_x 1
		.amdhsa_system_sgpr_workgroup_id_y 0
		.amdhsa_system_sgpr_workgroup_id_z 1
		.amdhsa_system_sgpr_workgroup_info 0
		.amdhsa_system_vgpr_workitem_id 0
		.amdhsa_next_free_vgpr 21
		.amdhsa_next_free_sgpr 42
		.amdhsa_reserve_vcc 1
		.amdhsa_float_round_mode_32 0
		.amdhsa_float_round_mode_16_64 0
		.amdhsa_float_denorm_mode_32 3
		.amdhsa_float_denorm_mode_16_64 3
		.amdhsa_fp16_overflow 0
		.amdhsa_workgroup_processor_mode 1
		.amdhsa_memory_ordered 1
		.amdhsa_forward_progress 1
		.amdhsa_inst_pref_size 13
		.amdhsa_round_robin_scheduling 0
		.amdhsa_exception_fp_ieee_invalid_op 0
		.amdhsa_exception_fp_denorm_src 0
		.amdhsa_exception_fp_ieee_div_zero 0
		.amdhsa_exception_fp_ieee_overflow 0
		.amdhsa_exception_fp_ieee_underflow 0
		.amdhsa_exception_fp_ieee_inexact 0
		.amdhsa_exception_int_div_zero 0
	.end_amdhsa_kernel
	.section	.text._ZL32rocblas_gemvt_warp_reduce_kernelILb0ELi1024EiDF16_fDF16_EviiT3_lPKT2_lT1_lS3_lS4_lS0_lPT4_lS4_li,"axG",@progbits,_ZL32rocblas_gemvt_warp_reduce_kernelILb0ELi1024EiDF16_fDF16_EviiT3_lPKT2_lT1_lS3_lS4_lS0_lPT4_lS4_li,comdat
.Lfunc_end410:
	.size	_ZL32rocblas_gemvt_warp_reduce_kernelILb0ELi1024EiDF16_fDF16_EviiT3_lPKT2_lT1_lS3_lS4_lS0_lPT4_lS4_li, .Lfunc_end410-_ZL32rocblas_gemvt_warp_reduce_kernelILb0ELi1024EiDF16_fDF16_EviiT3_lPKT2_lT1_lS3_lS4_lS0_lPT4_lS4_li
                                        ; -- End function
	.set _ZL32rocblas_gemvt_warp_reduce_kernelILb0ELi1024EiDF16_fDF16_EviiT3_lPKT2_lT1_lS3_lS4_lS0_lPT4_lS4_li.num_vgpr, 21
	.set _ZL32rocblas_gemvt_warp_reduce_kernelILb0ELi1024EiDF16_fDF16_EviiT3_lPKT2_lT1_lS3_lS4_lS0_lPT4_lS4_li.num_agpr, 0
	.set _ZL32rocblas_gemvt_warp_reduce_kernelILb0ELi1024EiDF16_fDF16_EviiT3_lPKT2_lT1_lS3_lS4_lS0_lPT4_lS4_li.numbered_sgpr, 42
	.set _ZL32rocblas_gemvt_warp_reduce_kernelILb0ELi1024EiDF16_fDF16_EviiT3_lPKT2_lT1_lS3_lS4_lS0_lPT4_lS4_li.num_named_barrier, 0
	.set _ZL32rocblas_gemvt_warp_reduce_kernelILb0ELi1024EiDF16_fDF16_EviiT3_lPKT2_lT1_lS3_lS4_lS0_lPT4_lS4_li.private_seg_size, 0
	.set _ZL32rocblas_gemvt_warp_reduce_kernelILb0ELi1024EiDF16_fDF16_EviiT3_lPKT2_lT1_lS3_lS4_lS0_lPT4_lS4_li.uses_vcc, 1
	.set _ZL32rocblas_gemvt_warp_reduce_kernelILb0ELi1024EiDF16_fDF16_EviiT3_lPKT2_lT1_lS3_lS4_lS0_lPT4_lS4_li.uses_flat_scratch, 0
	.set _ZL32rocblas_gemvt_warp_reduce_kernelILb0ELi1024EiDF16_fDF16_EviiT3_lPKT2_lT1_lS3_lS4_lS0_lPT4_lS4_li.has_dyn_sized_stack, 0
	.set _ZL32rocblas_gemvt_warp_reduce_kernelILb0ELi1024EiDF16_fDF16_EviiT3_lPKT2_lT1_lS3_lS4_lS0_lPT4_lS4_li.has_recursion, 0
	.set _ZL32rocblas_gemvt_warp_reduce_kernelILb0ELi1024EiDF16_fDF16_EviiT3_lPKT2_lT1_lS3_lS4_lS0_lPT4_lS4_li.has_indirect_call, 0
	.section	.AMDGPU.csdata,"",@progbits
; Kernel info:
; codeLenInByte = 1580
; TotalNumSgprs: 44
; NumVgprs: 21
; ScratchSize: 0
; MemoryBound: 0
; FloatMode: 240
; IeeeMode: 1
; LDSByteSize: 128 bytes/workgroup (compile time only)
; SGPRBlocks: 0
; VGPRBlocks: 2
; NumSGPRsForWavesPerEU: 44
; NumVGPRsForWavesPerEU: 21
; Occupancy: 16
; WaveLimiterHint : 0
; COMPUTE_PGM_RSRC2:SCRATCH_EN: 0
; COMPUTE_PGM_RSRC2:USER_SGPR: 2
; COMPUTE_PGM_RSRC2:TRAP_HANDLER: 0
; COMPUTE_PGM_RSRC2:TGID_X_EN: 1
; COMPUTE_PGM_RSRC2:TGID_Y_EN: 0
; COMPUTE_PGM_RSRC2:TGID_Z_EN: 1
; COMPUTE_PGM_RSRC2:TIDIG_COMP_CNT: 0
	.section	.text._ZL32rocblas_gemvt_warp_reduce_kernelILb0ELi1024ElDF16_fDF16_EviiT3_lPKT2_lT1_lS3_lS4_lS0_lPT4_lS4_li,"axG",@progbits,_ZL32rocblas_gemvt_warp_reduce_kernelILb0ELi1024ElDF16_fDF16_EviiT3_lPKT2_lT1_lS3_lS4_lS0_lPT4_lS4_li,comdat
	.globl	_ZL32rocblas_gemvt_warp_reduce_kernelILb0ELi1024ElDF16_fDF16_EviiT3_lPKT2_lT1_lS3_lS4_lS0_lPT4_lS4_li ; -- Begin function _ZL32rocblas_gemvt_warp_reduce_kernelILb0ELi1024ElDF16_fDF16_EviiT3_lPKT2_lT1_lS3_lS4_lS0_lPT4_lS4_li
	.p2align	8
	.type	_ZL32rocblas_gemvt_warp_reduce_kernelILb0ELi1024ElDF16_fDF16_EviiT3_lPKT2_lT1_lS3_lS4_lS0_lPT4_lS4_li,@function
_ZL32rocblas_gemvt_warp_reduce_kernelILb0ELi1024ElDF16_fDF16_EviiT3_lPKT2_lT1_lS3_lS4_lS0_lPT4_lS4_li: ; @_ZL32rocblas_gemvt_warp_reduce_kernelILb0ELi1024ElDF16_fDF16_EviiT3_lPKT2_lT1_lS3_lS4_lS0_lPT4_lS4_li
; %bb.0:
	s_load_b32 s33, s[0:1], 0x88
	s_lshr_b32 s6, ttmp7, 16
	s_wait_kmcnt 0x0
	s_cmp_ge_u32 s6, s33
	s_cbranch_scc1 .LBB411_34
; %bb.1:
	s_clause 0x4
	s_load_b512 s[8:23], s[0:1], 0x18
	s_load_b256 s[24:31], s[0:1], 0x68
	s_load_b32 s34, s[0:1], 0x8
	s_load_b32 s35, s[0:1], 0x58
	;; [unrolled: 1-line block ×3, first 2 shown]
	s_mov_b32 s2, ttmp9
	v_dual_mov_b32 v11, 0 :: v_dual_and_b32 v4, 31, v0
	v_lshrrev_b32_e32 v7, 3, v0
	v_mbcnt_lo_u32_b32 v16, -1, 0
	v_cmp_eq_u32_e64 s0, 0, v0
	v_cmp_gt_u32_e64 s1, 32, v0
	v_lshlrev_b32_e32 v12, 2, v4
	s_mov_b32 s7, 0
	v_lshl_or_b32 v17, v16, 2, 64
	s_wait_kmcnt 0x0
	s_lshl_b64 s[4:5], s[18:19], 1
	s_lshl_b64 s[18:19], s[26:27], 1
	;; [unrolled: 1-line block ×3, first 2 shown]
	s_cmp_eq_f32 s34, 0
	v_cmp_gt_i32_e32 vcc_lo, s39, v0
	v_mad_co_u64_u32 v[1:2], null, s20, v0, 0
	s_cselect_b32 s36, -1, 0
	s_cmp_neq_f32 s34, 0
	v_cndmask_b32_e32 v3, 0, v0, vcc_lo
	s_add_nc_u64 s[10:11], s[16:17], s[4:5]
	s_add_nc_u64 s[16:17], s[24:25], s[18:19]
	s_cselect_b32 s3, -1, 0
	s_cmp_neq_f32 s35, 1.0
	v_lshlrev_b32_e32 v8, 1, v3
	s_add_nc_u64 s[4:5], s[8:9], s[26:27]
	v_mad_co_u64_u32 v[2:3], null, s21, v0, v[2:3]
	s_cselect_b32 s37, -1, 0
	v_add_co_u32 v3, s4, s4, v8
	s_or_b32 s37, s3, s37
	s_cmp_neq_f32 s35, 0
	s_wait_alu 0xf1ff
	v_add_co_ci_u32_e64 v9, null, s5, 0, s4
	s_cselect_b32 s38, -1, 0
	s_ashr_i32 s3, s39, 31
	s_delay_alu instid0(SALU_CYCLE_1) | instskip(NEXT) | instid1(SALU_CYCLE_1)
	s_lshr_b32 s3, s3, 22
	s_add_co_i32 s3, s39, s3
	s_delay_alu instid0(SALU_CYCLE_1)
	s_and_b32 s18, s3, 0xfffffc00
	s_ashr_i32 s3, ttmp9, 31
	v_or_b32_e32 v10, s18, v0
	s_mul_u64 s[4:5], s[12:13], s[2:3]
	s_ashr_i32 s19, s18, 31
	s_wait_alu 0xfffe
	s_lshl_b64 s[12:13], s[4:5], 1
	s_mul_i32 s4, s20, s19
	v_mul_lo_u32 v15, s21, v10
	v_mad_co_u64_u32 v[5:6], null, s20, v10, 0
	v_add_co_u32 v13, vcc_lo, v3, s12
	s_wait_alu 0xfffd
	v_add_co_ci_u32_e64 v14, null, s13, v9, vcc_lo
	s_add_nc_u64 s[12:13], s[12:13], s[26:27]
	s_mul_u64 s[24:25], s[28:29], s[2:3]
	s_wait_alu 0xfffe
	v_add3_u32 v6, v6, s4, v15
	v_cmp_eq_u32_e64 s4, 0, v4
	v_lshlrev_b64_e32 v[3:4], 1, v[1:2]
	s_add_nc_u64 s[8:9], s[8:9], s[12:13]
	v_cmp_gt_i32_e64 s2, s18, v0
	v_add_co_u32 v1, s5, s8, v8
	v_lshlrev_b64_e32 v[5:6], 1, v[5:6]
	s_delay_alu instid0(VALU_DEP_4)
	v_add_co_u32 v3, vcc_lo, s10, v3
	v_cmp_gt_i32_e64 s3, s39, v10
	v_and_b32_e32 v15, 0x7c, v7
	s_wait_alu 0xf1ff
	v_add_co_ci_u32_e64 v2, null, s9, 0, s5
	s_wait_alu 0xfffd
	v_add_co_ci_u32_e64 v4, null, s11, v4, vcc_lo
	s_lshl_b64 s[8:9], s[14:15], 1
	s_lshl_b64 s[12:13], s[22:23], 1
	;; [unrolled: 1-line block ×5, first 2 shown]
	s_branch .LBB411_4
.LBB411_2:                              ;   in Loop: Header=BB411_4 Depth=1
	s_wait_alu 0xfffe
	s_or_b32 exec_lo, exec_lo, s5
.LBB411_3:                              ;   in Loop: Header=BB411_4 Depth=1
	s_add_co_i32 s6, s6, 0x10000
	s_wait_alu 0xfffe
	s_cmp_lt_u32 s6, s33
	s_cbranch_scc0 .LBB411_34
.LBB411_4:                              ; =>This Loop Header: Depth=1
                                        ;     Child Loop BB411_23 Depth 2
	s_and_not1_b32 vcc_lo, exec_lo, s37
	s_wait_alu 0xfffe
	s_cbranch_vccnz .LBB411_3
; %bb.5:                                ;   in Loop: Header=BB411_4 Depth=1
	s_mul_u64 s[28:29], s[30:31], s[6:7]
	s_and_not1_b32 vcc_lo, exec_lo, s36
	s_lshl_b64 s[28:29], s[28:29], 1
	s_delay_alu instid0(SALU_CYCLE_1)
	s_add_nc_u64 s[28:29], s[16:17], s[28:29]
	s_wait_alu 0xfffe
	s_cbranch_vccnz .LBB411_9
; %bb.6:                                ;   in Loop: Header=BB411_4 Depth=1
	s_mov_b32 s5, 0
	s_mov_b32 s19, 0
                                        ; implicit-def: $vgpr7
	s_and_saveexec_b32 s39, s0
	s_cbranch_execz .LBB411_10
; %bb.7:                                ;   in Loop: Header=BB411_4 Depth=1
	s_and_not1_b32 vcc_lo, exec_lo, s38
	s_wait_alu 0xfffe
	s_cbranch_vccnz .LBB411_11
; %bb.8:                                ;   in Loop: Header=BB411_4 Depth=1
	s_add_nc_u64 s[40:41], s[28:29], s[24:25]
	global_load_u16 v7, v11, s[40:41]
	s_wait_loadcnt 0x0
	v_fma_mixlo_f16 v7, s35, v7, 0 op_sel_hi:[0,1,0]
	s_branch .LBB411_12
.LBB411_9:                              ;   in Loop: Header=BB411_4 Depth=1
	s_mov_b32 s19, 0
                                        ; implicit-def: $vgpr7
	s_cbranch_execnz .LBB411_13
	s_branch .LBB411_32
.LBB411_10:                             ;   in Loop: Header=BB411_4 Depth=1
	s_wait_alu 0xfffe
	s_or_b32 exec_lo, exec_lo, s39
	s_delay_alu instid0(SALU_CYCLE_1)
	s_and_b32 vcc_lo, exec_lo, s5
	s_wait_alu 0xfffe
	s_cbranch_vccnz .LBB411_13
	s_branch .LBB411_32
.LBB411_11:                             ;   in Loop: Header=BB411_4 Depth=1
	v_mov_b32_e32 v7, 0
.LBB411_12:                             ;   in Loop: Header=BB411_4 Depth=1
	s_mov_b32 s19, exec_lo
	s_or_b32 exec_lo, exec_lo, s39
	s_delay_alu instid0(SALU_CYCLE_1)
	s_and_b32 vcc_lo, exec_lo, s5
	s_wait_alu 0xfffe
	s_cbranch_vccz .LBB411_32
.LBB411_13:                             ;   in Loop: Header=BB411_4 Depth=1
	s_wait_dscnt 0x0
	v_mov_b32_e32 v18, 0
	s_and_saveexec_b32 s39, s2
	s_cbranch_execnz .LBB411_22
; %bb.14:                               ;   in Loop: Header=BB411_4 Depth=1
	s_wait_alu 0xfffe
	s_or_b32 exec_lo, exec_lo, s39
	s_and_saveexec_b32 s5, s3
	s_cbranch_execnz .LBB411_25
.LBB411_15:                             ;   in Loop: Header=BB411_4 Depth=1
	s_wait_alu 0xfffe
	s_or_b32 exec_lo, exec_lo, s5
	s_and_saveexec_b32 s5, s1
.LBB411_16:                             ;   in Loop: Header=BB411_4 Depth=1
	ds_store_b32 v12, v11
.LBB411_17:                             ;   in Loop: Header=BB411_4 Depth=1
	s_wait_alu 0xfffe
	s_or_b32 exec_lo, exec_lo, s5
	ds_bpermute_b32 v8, v17, v18
	v_cmp_gt_u32_e32 vcc_lo, 24, v16
	s_wait_dscnt 0x0
	s_barrier_signal -1
	s_barrier_wait -1
	global_inv scope:SCOPE_SE
	s_wait_alu 0xfffd
	v_cndmask_b32_e64 v7, 0, 8, vcc_lo
	v_cmp_gt_u32_e32 vcc_lo, 28, v16
	s_delay_alu instid0(VALU_DEP_2)
	v_add_lshl_u32 v7, v7, v16, 2
	v_add_f32_e32 v9, v18, v8
	s_wait_alu 0xfffd
	v_cndmask_b32_e64 v8, 0, 4, vcc_lo
	v_cmp_gt_u32_e32 vcc_lo, 30, v16
	ds_bpermute_b32 v10, v7, v9
	v_add_lshl_u32 v8, v8, v16, 2
	s_wait_dscnt 0x0
	v_add_f32_e32 v10, v9, v10
	s_wait_alu 0xfffd
	v_cndmask_b32_e64 v9, 0, 2, vcc_lo
	v_cmp_ne_u32_e32 vcc_lo, 31, v16
	ds_bpermute_b32 v18, v8, v10
	v_add_lshl_u32 v9, v9, v16, 2
	s_wait_alu 0xfffd
	v_add_co_ci_u32_e64 v19, null, 0, v16, vcc_lo
	s_wait_dscnt 0x0
	v_add_f32_e32 v10, v10, v18
	ds_bpermute_b32 v18, v9, v10
	s_wait_dscnt 0x0
	v_add_f32_e32 v18, v10, v18
	v_lshlrev_b32_e32 v10, 2, v19
	ds_bpermute_b32 v19, v10, v18
	s_and_saveexec_b32 s5, s4
	s_cbranch_execz .LBB411_19
; %bb.18:                               ;   in Loop: Header=BB411_4 Depth=1
	s_wait_dscnt 0x0
	v_add_f32_e32 v18, v18, v19
	ds_store_b32 v15, v18
.LBB411_19:                             ;   in Loop: Header=BB411_4 Depth=1
	s_wait_alu 0xfffe
	s_or_b32 exec_lo, exec_lo, s5
	v_mov_b32_e32 v18, 0
	s_wait_loadcnt_dscnt 0x0
	s_barrier_signal -1
	s_barrier_wait -1
	global_inv scope:SCOPE_SE
	s_and_saveexec_b32 s5, s1
	s_cbranch_execnz .LBB411_26
; %bb.20:                               ;   in Loop: Header=BB411_4 Depth=1
	s_wait_alu 0xfffe
	s_or_b32 exec_lo, exec_lo, s5
	s_and_saveexec_b32 s5, s1
	s_cbranch_execnz .LBB411_27
.LBB411_21:                             ;   in Loop: Header=BB411_4 Depth=1
	s_wait_alu 0xfffe
	s_or_b32 exec_lo, exec_lo, s5
                                        ; implicit-def: $vgpr7
	s_and_saveexec_b32 s5, s0
	s_cbranch_execnz .LBB411_28
	s_branch .LBB411_31
.LBB411_22:                             ;   in Loop: Header=BB411_4 Depth=1
	v_mad_co_u64_u32 v[7:8], null, s8, s6, v[1:2]
	v_mad_co_u64_u32 v[9:10], null, s12, s6, v[3:4]
	v_mov_b32_e32 v18, 0
	s_mov_b32 s40, 0
	s_delay_alu instid0(VALU_DEP_2) | instskip(NEXT) | instid1(VALU_DEP_3)
	v_mad_co_u64_u32 v[19:20], null, s9, s6, v[8:9]
	v_mad_co_u64_u32 v[20:21], null, s13, s6, v[10:11]
	s_delay_alu instid0(VALU_DEP_2) | instskip(NEXT) | instid1(VALU_DEP_2)
	v_dual_mov_b32 v8, v19 :: v_dual_mov_b32 v19, v0
	v_mov_b32_e32 v10, v20
.LBB411_23:                             ;   Parent Loop BB411_4 Depth=1
                                        ; =>  This Inner Loop Header: Depth=2
	global_load_u16 v20, v[7:8], off
	global_load_u16 v21, v[9:10], off
	v_add_co_u32 v7, vcc_lo, 0x800, v7
	s_wait_alu 0xfffd
	v_add_co_ci_u32_e64 v8, null, 0, v8, vcc_lo
	v_add_co_u32 v9, vcc_lo, v9, s20
	s_wait_alu 0xfffd
	v_add_co_ci_u32_e64 v10, null, s21, v10, vcc_lo
	s_wait_loadcnt 0x0
	v_mul_f16_e32 v20, v20, v21
	s_delay_alu instid0(VALU_DEP_1) | instskip(NEXT) | instid1(VALU_DEP_1)
	v_cvt_f32_f16_e32 v20, v20
	v_dual_add_f32 v18, v18, v20 :: v_dual_add_nc_u32 v19, 0x400, v19
	s_delay_alu instid0(VALU_DEP_1)
	v_cmp_le_i32_e64 s5, s18, v19
	s_wait_alu 0xfffe
	s_or_b32 s40, s5, s40
	s_wait_alu 0xfffe
	s_and_not1_b32 exec_lo, exec_lo, s40
	s_cbranch_execnz .LBB411_23
; %bb.24:                               ;   in Loop: Header=BB411_4 Depth=1
	s_or_b32 exec_lo, exec_lo, s40
	s_delay_alu instid0(SALU_CYCLE_1)
	s_or_b32 exec_lo, exec_lo, s39
	s_and_saveexec_b32 s5, s3
	s_cbranch_execz .LBB411_15
.LBB411_25:                             ;   in Loop: Header=BB411_4 Depth=1
	s_mul_u64 s[40:41], s[14:15], s[6:7]
	s_mul_u64 s[42:43], s[22:23], s[6:7]
	s_wait_alu 0xfffe
	s_lshl_b64 s[40:41], s[40:41], 1
	s_lshl_b64 s[42:43], s[42:43], 1
	s_wait_alu 0xfffe
	v_add_co_u32 v7, vcc_lo, v13, s40
	s_wait_alu 0xfffd
	v_add_co_ci_u32_e64 v8, null, s41, v14, vcc_lo
	s_add_nc_u64 s[40:41], s[10:11], s[42:43]
	v_add_co_u32 v7, vcc_lo, v7, s26
	s_wait_alu 0xfffd
	v_add_co_ci_u32_e64 v8, null, s27, v8, vcc_lo
	s_wait_alu 0xfffe
	v_add_co_u32 v9, vcc_lo, s40, v5
	s_wait_alu 0xfffd
	v_add_co_ci_u32_e64 v10, null, s41, v6, vcc_lo
	global_load_u16 v7, v[7:8], off
	global_load_u16 v8, v[9:10], off
	s_wait_loadcnt 0x0
	v_mul_f16_e32 v7, v7, v8
	s_delay_alu instid0(VALU_DEP_1) | instskip(NEXT) | instid1(VALU_DEP_1)
	v_cvt_f32_f16_e32 v7, v7
	v_add_f32_e32 v18, v18, v7
	s_or_b32 exec_lo, exec_lo, s5
	s_and_saveexec_b32 s5, s1
	s_cbranch_execnz .LBB411_16
	s_branch .LBB411_17
.LBB411_26:                             ;   in Loop: Header=BB411_4 Depth=1
	ds_load_b32 v18, v12
	s_wait_alu 0xfffe
	s_or_b32 exec_lo, exec_lo, s5
	s_and_saveexec_b32 s5, s1
	s_cbranch_execz .LBB411_21
.LBB411_27:                             ;   in Loop: Header=BB411_4 Depth=1
	s_wait_dscnt 0x0
	ds_bpermute_b32 v19, v17, v18
	s_wait_dscnt 0x0
	v_add_f32_e32 v18, v18, v19
	ds_bpermute_b32 v7, v7, v18
	s_wait_dscnt 0x0
	v_add_f32_e32 v7, v18, v7
	;; [unrolled: 3-line block ×5, first 2 shown]
	s_wait_alu 0xfffe
	s_or_b32 exec_lo, exec_lo, s5
                                        ; implicit-def: $vgpr7
	s_and_saveexec_b32 s5, s0
	s_cbranch_execz .LBB411_31
.LBB411_28:                             ;   in Loop: Header=BB411_4 Depth=1
	s_wait_dscnt 0x0
	v_mul_f32_e32 v7, s34, v18
	s_and_not1_b32 vcc_lo, exec_lo, s38
	s_wait_alu 0xfffe
	s_cbranch_vccnz .LBB411_30
; %bb.29:                               ;   in Loop: Header=BB411_4 Depth=1
	s_add_nc_u64 s[40:41], s[28:29], s[24:25]
	global_load_u16 v8, v11, s[40:41]
	s_wait_loadcnt 0x0
	v_fma_mix_f32 v7, s35, v8, v7 op_sel_hi:[0,1,0]
.LBB411_30:                             ;   in Loop: Header=BB411_4 Depth=1
	s_delay_alu instid0(VALU_DEP_1)
	v_cvt_f16_f32_e32 v7, v7
	s_or_b32 s19, s19, exec_lo
.LBB411_31:                             ;   in Loop: Header=BB411_4 Depth=1
	s_wait_alu 0xfffe
	s_or_b32 exec_lo, exec_lo, s5
.LBB411_32:                             ;   in Loop: Header=BB411_4 Depth=1
	s_wait_alu 0xfffe
	s_and_saveexec_b32 s5, s19
	s_cbranch_execz .LBB411_2
; %bb.33:                               ;   in Loop: Header=BB411_4 Depth=1
	s_add_nc_u64 s[28:29], s[28:29], s[24:25]
	global_store_b16 v11, v7, s[28:29]
	s_branch .LBB411_2
.LBB411_34:
	s_endpgm
	.section	.rodata,"a",@progbits
	.p2align	6, 0x0
	.amdhsa_kernel _ZL32rocblas_gemvt_warp_reduce_kernelILb0ELi1024ElDF16_fDF16_EviiT3_lPKT2_lT1_lS3_lS4_lS0_lPT4_lS4_li
		.amdhsa_group_segment_fixed_size 128
		.amdhsa_private_segment_fixed_size 0
		.amdhsa_kernarg_size 140
		.amdhsa_user_sgpr_count 2
		.amdhsa_user_sgpr_dispatch_ptr 0
		.amdhsa_user_sgpr_queue_ptr 0
		.amdhsa_user_sgpr_kernarg_segment_ptr 1
		.amdhsa_user_sgpr_dispatch_id 0
		.amdhsa_user_sgpr_private_segment_size 0
		.amdhsa_wavefront_size32 1
		.amdhsa_uses_dynamic_stack 0
		.amdhsa_enable_private_segment 0
		.amdhsa_system_sgpr_workgroup_id_x 1
		.amdhsa_system_sgpr_workgroup_id_y 0
		.amdhsa_system_sgpr_workgroup_id_z 1
		.amdhsa_system_sgpr_workgroup_info 0
		.amdhsa_system_vgpr_workitem_id 0
		.amdhsa_next_free_vgpr 22
		.amdhsa_next_free_sgpr 44
		.amdhsa_reserve_vcc 1
		.amdhsa_float_round_mode_32 0
		.amdhsa_float_round_mode_16_64 0
		.amdhsa_float_denorm_mode_32 3
		.amdhsa_float_denorm_mode_16_64 3
		.amdhsa_fp16_overflow 0
		.amdhsa_workgroup_processor_mode 1
		.amdhsa_memory_ordered 1
		.amdhsa_forward_progress 1
		.amdhsa_inst_pref_size 13
		.amdhsa_round_robin_scheduling 0
		.amdhsa_exception_fp_ieee_invalid_op 0
		.amdhsa_exception_fp_denorm_src 0
		.amdhsa_exception_fp_ieee_div_zero 0
		.amdhsa_exception_fp_ieee_overflow 0
		.amdhsa_exception_fp_ieee_underflow 0
		.amdhsa_exception_fp_ieee_inexact 0
		.amdhsa_exception_int_div_zero 0
	.end_amdhsa_kernel
	.section	.text._ZL32rocblas_gemvt_warp_reduce_kernelILb0ELi1024ElDF16_fDF16_EviiT3_lPKT2_lT1_lS3_lS4_lS0_lPT4_lS4_li,"axG",@progbits,_ZL32rocblas_gemvt_warp_reduce_kernelILb0ELi1024ElDF16_fDF16_EviiT3_lPKT2_lT1_lS3_lS4_lS0_lPT4_lS4_li,comdat
.Lfunc_end411:
	.size	_ZL32rocblas_gemvt_warp_reduce_kernelILb0ELi1024ElDF16_fDF16_EviiT3_lPKT2_lT1_lS3_lS4_lS0_lPT4_lS4_li, .Lfunc_end411-_ZL32rocblas_gemvt_warp_reduce_kernelILb0ELi1024ElDF16_fDF16_EviiT3_lPKT2_lT1_lS3_lS4_lS0_lPT4_lS4_li
                                        ; -- End function
	.set _ZL32rocblas_gemvt_warp_reduce_kernelILb0ELi1024ElDF16_fDF16_EviiT3_lPKT2_lT1_lS3_lS4_lS0_lPT4_lS4_li.num_vgpr, 22
	.set _ZL32rocblas_gemvt_warp_reduce_kernelILb0ELi1024ElDF16_fDF16_EviiT3_lPKT2_lT1_lS3_lS4_lS0_lPT4_lS4_li.num_agpr, 0
	.set _ZL32rocblas_gemvt_warp_reduce_kernelILb0ELi1024ElDF16_fDF16_EviiT3_lPKT2_lT1_lS3_lS4_lS0_lPT4_lS4_li.numbered_sgpr, 44
	.set _ZL32rocblas_gemvt_warp_reduce_kernelILb0ELi1024ElDF16_fDF16_EviiT3_lPKT2_lT1_lS3_lS4_lS0_lPT4_lS4_li.num_named_barrier, 0
	.set _ZL32rocblas_gemvt_warp_reduce_kernelILb0ELi1024ElDF16_fDF16_EviiT3_lPKT2_lT1_lS3_lS4_lS0_lPT4_lS4_li.private_seg_size, 0
	.set _ZL32rocblas_gemvt_warp_reduce_kernelILb0ELi1024ElDF16_fDF16_EviiT3_lPKT2_lT1_lS3_lS4_lS0_lPT4_lS4_li.uses_vcc, 1
	.set _ZL32rocblas_gemvt_warp_reduce_kernelILb0ELi1024ElDF16_fDF16_EviiT3_lPKT2_lT1_lS3_lS4_lS0_lPT4_lS4_li.uses_flat_scratch, 0
	.set _ZL32rocblas_gemvt_warp_reduce_kernelILb0ELi1024ElDF16_fDF16_EviiT3_lPKT2_lT1_lS3_lS4_lS0_lPT4_lS4_li.has_dyn_sized_stack, 0
	.set _ZL32rocblas_gemvt_warp_reduce_kernelILb0ELi1024ElDF16_fDF16_EviiT3_lPKT2_lT1_lS3_lS4_lS0_lPT4_lS4_li.has_recursion, 0
	.set _ZL32rocblas_gemvt_warp_reduce_kernelILb0ELi1024ElDF16_fDF16_EviiT3_lPKT2_lT1_lS3_lS4_lS0_lPT4_lS4_li.has_indirect_call, 0
	.section	.AMDGPU.csdata,"",@progbits
; Kernel info:
; codeLenInByte = 1596
; TotalNumSgprs: 46
; NumVgprs: 22
; ScratchSize: 0
; MemoryBound: 0
; FloatMode: 240
; IeeeMode: 1
; LDSByteSize: 128 bytes/workgroup (compile time only)
; SGPRBlocks: 0
; VGPRBlocks: 2
; NumSGPRsForWavesPerEU: 46
; NumVGPRsForWavesPerEU: 22
; Occupancy: 16
; WaveLimiterHint : 0
; COMPUTE_PGM_RSRC2:SCRATCH_EN: 0
; COMPUTE_PGM_RSRC2:USER_SGPR: 2
; COMPUTE_PGM_RSRC2:TRAP_HANDLER: 0
; COMPUTE_PGM_RSRC2:TGID_X_EN: 1
; COMPUTE_PGM_RSRC2:TGID_Y_EN: 0
; COMPUTE_PGM_RSRC2:TGID_Z_EN: 1
; COMPUTE_PGM_RSRC2:TIDIG_COMP_CNT: 0
	.section	.text._ZL22rocblas_gemvtsm_kernelILb1ELi256EDF16_PKfDF16_EviiT2_lPKT1_lilS5_lilS2_lPT3_lil,"axG",@progbits,_ZL22rocblas_gemvtsm_kernelILb1ELi256EDF16_PKfDF16_EviiT2_lPKT1_lilS5_lilS2_lPT3_lil,comdat
	.globl	_ZL22rocblas_gemvtsm_kernelILb1ELi256EDF16_PKfDF16_EviiT2_lPKT1_lilS5_lilS2_lPT3_lil ; -- Begin function _ZL22rocblas_gemvtsm_kernelILb1ELi256EDF16_PKfDF16_EviiT2_lPKT1_lilS5_lilS2_lPT3_lil
	.p2align	8
	.type	_ZL22rocblas_gemvtsm_kernelILb1ELi256EDF16_PKfDF16_EviiT2_lPKT1_lilS5_lilS2_lPT3_lil,@function
_ZL22rocblas_gemvtsm_kernelILb1ELi256EDF16_PKfDF16_EviiT2_lPKT1_lilS5_lilS2_lPT3_lil: ; @_ZL22rocblas_gemvtsm_kernelILb1ELi256EDF16_PKfDF16_EviiT2_lPKT1_lilS5_lilS2_lPT3_lil
; %bb.0:
	s_clause 0x1
	s_load_b256 s[4:11], s[0:1], 0x8
	s_load_b256 s[12:19], s[0:1], 0x50
	s_mov_b32 s24, ttmp9
	s_mov_b32 s25, 0
	s_wait_kmcnt 0x0
	s_mul_u64 s[2:3], s[6:7], s[24:25]
	s_delay_alu instid0(SALU_CYCLE_1) | instskip(NEXT) | instid1(SALU_CYCLE_1)
	s_lshl_b64 s[2:3], s[2:3], 2
	s_add_nc_u64 s[2:3], s[4:5], s[2:3]
	s_mul_u64 s[4:5], s[16:17], s[24:25]
	s_load_b32 s26, s[2:3], 0x0
	s_lshl_b64 s[2:3], s[4:5], 2
	s_delay_alu instid0(SALU_CYCLE_1)
	s_add_nc_u64 s[2:3], s[14:15], s[2:3]
	s_load_b32 s23, s[2:3], 0x0
	s_wait_kmcnt 0x0
	s_cmp_eq_f32 s26, 0
	s_cselect_b32 s2, -1, 0
	s_cmp_eq_f32 s23, 1.0
	s_cselect_b32 s3, -1, 0
	s_delay_alu instid0(SALU_CYCLE_1) | instskip(NEXT) | instid1(SALU_CYCLE_1)
	s_and_b32 s2, s2, s3
	s_and_b32 vcc_lo, exec_lo, s2
	s_cbranch_vccnz .LBB412_34
; %bb.1:
	s_clause 0x2
	s_load_b64 s[4:5], s[0:1], 0x80
	s_load_b96 s[20:22], s[0:1], 0x70
	s_load_b64 s[2:3], s[0:1], 0x0
	s_cmp_neq_f32 s26, 0
	s_wait_kmcnt 0x0
	s_mul_u64 s[14:15], s[4:5], s[24:25]
	s_cbranch_scc1 .LBB412_9
; %bb.2:
	s_cmp_gt_i32 s3, 0
	s_cselect_b32 s6, -1, 0
	s_cmp_neq_f32 s23, 0
	v_cndmask_b32_e64 v1, 0, 1, s6
	s_delay_alu instid0(VALU_DEP_1)
	v_cmp_ne_u32_e32 vcc_lo, 1, v1
	s_cbranch_scc1 .LBB412_10
; %bb.3:
	s_and_b32 vcc_lo, exec_lo, vcc_lo
	s_cbranch_vccnz .LBB412_8
; %bb.4:
	v_mad_co_i64_i32 v[1:2], null, s22, v0, 0
	s_lshl_b64 s[16:17], s[20:21], 1
	s_lshl_b64 s[28:29], s[14:15], 1
	s_add_nc_u64 s[16:17], s[18:19], s[16:17]
	v_mov_b32_e32 v3, 0
	s_add_nc_u64 s[16:17], s[16:17], s[28:29]
	s_ashr_i32 s5, s22, 31
	v_lshlrev_b64_e32 v[1:2], 1, v[1:2]
	s_mov_b32 s4, s22
	s_mov_b32 s7, 0
	s_lshl_b64 s[4:5], s[4:5], 9
	s_delay_alu instid0(VALU_DEP_1) | instskip(NEXT) | instid1(VALU_DEP_1)
	v_add_co_u32 v1, vcc_lo, s16, v1
	v_add_co_ci_u32_e64 v2, null, s17, v2, vcc_lo
	s_branch .LBB412_6
.LBB412_5:                              ;   in Loop: Header=BB412_6 Depth=1
	s_wait_alu 0xfffe
	s_or_b32 exec_lo, exec_lo, s16
	v_add_co_u32 v1, vcc_lo, v1, s4
	s_wait_alu 0xfffd
	v_add_co_ci_u32_e64 v2, null, s5, v2, vcc_lo
	s_addk_co_i32 s7, 0x100
	s_wait_alu 0xfffe
	s_cmp_ge_i32 s7, s3
	s_cbranch_scc1 .LBB412_8
.LBB412_6:                              ; =>This Inner Loop Header: Depth=1
	s_wait_alu 0xfffe
	v_add_nc_u32_e32 v4, s7, v0
	s_mov_b32 s16, exec_lo
	s_delay_alu instid0(VALU_DEP_1)
	v_cmpx_gt_i32_e64 s3, v4
	s_cbranch_execz .LBB412_5
; %bb.7:                                ;   in Loop: Header=BB412_6 Depth=1
	global_store_b16 v[1:2], v3, off
	s_branch .LBB412_5
.LBB412_8:
	s_cbranch_execz .LBB412_11
	s_branch .LBB412_16
.LBB412_9:
	s_branch .LBB412_17
.LBB412_10:
.LBB412_11:
	s_and_not1_b32 vcc_lo, exec_lo, s6
	s_wait_alu 0xfffe
	s_cbranch_vccnz .LBB412_16
; %bb.12:
	v_mad_co_i64_i32 v[1:2], null, s22, v0, 0
	s_lshl_b64 s[6:7], s[20:21], 1
	s_lshl_b64 s[16:17], s[14:15], 1
	s_wait_alu 0xfffe
	s_add_nc_u64 s[6:7], s[18:19], s[6:7]
	s_ashr_i32 s5, s22, 31
	s_wait_alu 0xfffe
	s_add_nc_u64 s[6:7], s[6:7], s[16:17]
	s_mov_b32 s4, s22
	v_lshlrev_b64_e32 v[1:2], 1, v[1:2]
	s_wait_alu 0xfffe
	s_lshl_b64 s[4:5], s[4:5], 9
	s_delay_alu instid0(VALU_DEP_1) | instskip(SKIP_1) | instid1(VALU_DEP_2)
	v_add_co_u32 v1, vcc_lo, s6, v1
	s_wait_alu 0xfffd
	v_add_co_ci_u32_e64 v2, null, s7, v2, vcc_lo
	s_mov_b32 s6, 0
	s_branch .LBB412_14
.LBB412_13:                             ;   in Loop: Header=BB412_14 Depth=1
	s_wait_alu 0xfffe
	s_or_b32 exec_lo, exec_lo, s7
	v_add_co_u32 v1, vcc_lo, v1, s4
	s_wait_alu 0xfffd
	v_add_co_ci_u32_e64 v2, null, s5, v2, vcc_lo
	s_addk_co_i32 s6, 0x100
	s_wait_alu 0xfffe
	s_cmp_ge_i32 s6, s3
	s_cbranch_scc1 .LBB412_16
.LBB412_14:                             ; =>This Inner Loop Header: Depth=1
	s_wait_alu 0xfffe
	v_add_nc_u32_e32 v3, s6, v0
	s_mov_b32 s7, exec_lo
	s_delay_alu instid0(VALU_DEP_1)
	v_cmpx_gt_i32_e64 s3, v3
	s_cbranch_execz .LBB412_13
; %bb.15:                               ;   in Loop: Header=BB412_14 Depth=1
	global_load_u16 v3, v[1:2], off
	s_wait_loadcnt 0x0
	v_fma_mixlo_f16 v3, s23, v3, 0 op_sel_hi:[0,1,0]
	global_store_b16 v[1:2], v3, off
	s_branch .LBB412_13
.LBB412_16:
	s_cbranch_execnz .LBB412_34
.LBB412_17:
	s_clause 0x1
	s_load_b128 s[4:7], s[0:1], 0x30
	s_load_b64 s[16:17], s[0:1], 0x40
	s_mov_b32 s27, exec_lo
	v_cmpx_gt_i32_e64 s2, v0
	s_cbranch_execz .LBB412_19
; %bb.18:
	s_load_b32 s28, s[0:1], 0x48
	s_mul_u64 s[12:13], s[12:13], s[24:25]
	s_wait_kmcnt 0x0
	s_lshl_b64 s[16:17], s[16:17], 1
	s_lshl_b64 s[12:13], s[12:13], 1
	s_delay_alu instid0(SALU_CYCLE_1) | instskip(SKIP_3) | instid1(VALU_DEP_1)
	s_add_nc_u64 s[6:7], s[6:7], s[12:13]
	s_wait_alu 0xfffe
	s_add_nc_u64 s[6:7], s[6:7], s[16:17]
	v_mad_co_i64_i32 v[1:2], null, s28, v0, 0
	v_lshlrev_b64_e32 v[1:2], 1, v[1:2]
	s_wait_alu 0xfffe
	s_delay_alu instid0(VALU_DEP_1) | instskip(SKIP_1) | instid1(VALU_DEP_2)
	v_add_co_u32 v1, vcc_lo, s6, v1
	s_wait_alu 0xfffd
	v_add_co_ci_u32_e64 v2, null, s7, v2, vcc_lo
	global_load_u16 v1, v[1:2], off
	v_lshlrev_b32_e32 v2, 2, v0
	s_wait_loadcnt 0x0
	v_cvt_f32_f16_e32 v1, v1
	s_delay_alu instid0(VALU_DEP_1)
	v_mul_f32_e32 v1, s26, v1
	ds_store_b32 v2, v1
.LBB412_19:
	s_or_b32 exec_lo, exec_lo, s27
	s_cmp_lt_i32 s3, 1
	s_wait_storecnt_dscnt 0x0
	s_barrier_signal -1
	s_barrier_wait -1
	global_inv scope:SCOPE_SE
	s_cbranch_scc1 .LBB412_34
; %bb.20:
	s_wait_kmcnt 0x0
	s_load_b32 s16, s[0:1], 0x28
	s_lshl_b64 s[0:1], s[14:15], 1
	s_lshl_b64 s[12:13], s[20:21], 1
	s_ashr_i32 s6, s22, 31
	s_add_nc_u64 s[0:1], s[18:19], s[0:1]
	s_mul_u64 s[4:5], s[4:5], s[24:25]
	s_add_nc_u64 s[0:1], s[0:1], s[12:13]
	s_wait_kmcnt 0x0
	s_ashr_i32 s17, s16, 31
	s_cmp_neq_f32 s23, 0
	v_mad_co_i64_i32 v[1:2], null, s16, v0, 0
	s_cselect_b32 s7, -1, 0
	s_cmp_gt_i32 s2, 0
	s_cselect_b32 s12, -1, 0
	s_and_b32 s13, s2, 7
	s_cmp_gt_u32 s2, 7
	v_lshlrev_b64_e32 v[1:2], 1, v[1:2]
	s_cselect_b32 s14, -1, 0
	s_and_b32 s2, s2, 0x7ffffff8
	s_cmp_lg_u32 s13, 0
	s_cselect_b32 s15, -1, 0
	s_lshl_b64 s[10:11], s[10:11], 1
	s_wait_alu 0xfffe
	s_lshl_b64 s[4:5], s[4:5], 1
	s_add_nc_u64 s[8:9], s[8:9], s[10:11]
	s_wait_alu 0xfffe
	s_add_nc_u64 s[4:5], s[8:9], s[4:5]
	s_mov_b32 s8, s22
	s_wait_alu 0xfffe
	v_add_co_u32 v7, vcc_lo, s4, v1
	s_wait_alu 0xfffd
	v_add_co_ci_u32_e64 v8, null, s5, v2, vcc_lo
	s_mov_b32 s9, 0
	v_add_co_u32 v1, vcc_lo, v7, 14
	s_wait_alu 0xfffd
	v_add_co_ci_u32_e64 v2, null, 0, v8, vcc_lo
	s_lshl_b64 s[4:5], s[16:17], 9
	s_branch .LBB412_23
.LBB412_21:                             ;   in Loop: Header=BB412_23 Depth=1
	v_add_co_u32 v3, vcc_lo, s0, v3
	s_delay_alu instid0(VALU_DEP_2)
	v_cvt_f16_f32_e32 v5, v9
	s_wait_alu 0xfffd
	v_add_co_ci_u32_e64 v4, null, s1, v4, vcc_lo
	global_store_b16 v[3:4], v5, off
.LBB412_22:                             ;   in Loop: Header=BB412_23 Depth=1
	s_wait_alu 0xfffe
	s_or_b32 exec_lo, exec_lo, s10
	v_add_co_u32 v1, vcc_lo, v1, s4
	s_wait_alu 0xfffd
	v_add_co_ci_u32_e64 v2, null, s5, v2, vcc_lo
	v_add_co_u32 v7, vcc_lo, v7, s4
	s_wait_alu 0xfffd
	v_add_co_ci_u32_e64 v8, null, s5, v8, vcc_lo
	s_addk_co_i32 s9, 0x100
	s_wait_alu 0xfffe
	s_cmp_ge_i32 s9, s3
	s_cbranch_scc1 .LBB412_34
.LBB412_23:                             ; =>This Loop Header: Depth=1
                                        ;     Child Loop BB412_29 Depth 2
                                        ;     Child Loop BB412_33 Depth 2
	v_add_nc_u32_e32 v3, s9, v0
	s_mov_b32 s10, exec_lo
	s_delay_alu instid0(VALU_DEP_1)
	v_cmpx_gt_i32_e64 s3, v3
	s_cbranch_execz .LBB412_22
; %bb.24:                               ;   in Loop: Header=BB412_23 Depth=1
	v_mad_co_u64_u32 v[4:5], null, v3, s8, 0
	s_and_not1_b32 vcc_lo, exec_lo, s7
	v_mad_co_u64_u32 v[5:6], null, v3, s6, v[5:6]
	s_delay_alu instid0(VALU_DEP_1)
	v_lshlrev_b64_e32 v[3:4], 1, v[4:5]
	s_wait_alu 0xfffe
	s_cbranch_vccnz .LBB412_26
; %bb.25:                               ;   in Loop: Header=BB412_23 Depth=1
	s_delay_alu instid0(VALU_DEP_1) | instskip(SKIP_1) | instid1(VALU_DEP_2)
	v_add_co_u32 v5, vcc_lo, s0, v3
	s_wait_alu 0xfffd
	v_add_co_ci_u32_e64 v6, null, s1, v4, vcc_lo
	global_load_u16 v5, v[5:6], off
	s_wait_loadcnt 0x0
	v_cvt_f32_f16_e32 v5, v5
	s_delay_alu instid0(VALU_DEP_1)
	v_mul_f32_e32 v9, s23, v5
	s_and_not1_b32 vcc_lo, exec_lo, s12
	s_wait_alu 0xfffe
	s_cbranch_vccz .LBB412_27
	s_branch .LBB412_21
.LBB412_26:                             ;   in Loop: Header=BB412_23 Depth=1
	v_mov_b32_e32 v9, 0
	s_and_not1_b32 vcc_lo, exec_lo, s12
	s_wait_alu 0xfffe
	s_cbranch_vccnz .LBB412_21
.LBB412_27:                             ;   in Loop: Header=BB412_23 Depth=1
	s_and_not1_b32 vcc_lo, exec_lo, s14
	s_mov_b32 s11, 0
	s_wait_alu 0xfffe
	s_cbranch_vccnz .LBB412_31
; %bb.28:                               ;   in Loop: Header=BB412_23 Depth=1
	v_dual_mov_b32 v6, v2 :: v_dual_mov_b32 v5, v1
	s_mov_b32 s16, 0
.LBB412_29:                             ;   Parent Loop BB412_23 Depth=1
                                        ; =>  This Inner Loop Header: Depth=2
	global_load_b128 v[10:13], v[5:6], off offset:-14
	v_mov_b32_e32 v18, s11
	v_add_co_u32 v5, vcc_lo, v5, 16
	s_wait_alu 0xfffd
	v_add_co_ci_u32_e64 v6, null, 0, v6, vcc_lo
	ds_load_b128 v[14:17], v18
	ds_load_b128 v[18:21], v18 offset:16
	s_wait_alu 0xfffe
	s_add_co_i32 s16, s16, 8
	s_add_co_i32 s11, s11, 32
	s_wait_alu 0xfffe
	s_cmp_eq_u32 s2, s16
	s_wait_loadcnt_dscnt 0x1
	v_fma_mix_f32 v9, v14, v10, v9 op_sel_hi:[0,1,0]
	s_delay_alu instid0(VALU_DEP_1) | instskip(NEXT) | instid1(VALU_DEP_1)
	v_fma_mix_f32 v9, v15, v10, v9 op_sel:[0,1,0] op_sel_hi:[0,1,0]
	v_fma_mix_f32 v9, v16, v11, v9 op_sel_hi:[0,1,0]
	s_delay_alu instid0(VALU_DEP_1) | instskip(SKIP_1) | instid1(VALU_DEP_1)
	v_fma_mix_f32 v9, v17, v11, v9 op_sel:[0,1,0] op_sel_hi:[0,1,0]
	s_wait_dscnt 0x0
	v_fma_mix_f32 v9, v18, v12, v9 op_sel_hi:[0,1,0]
	s_delay_alu instid0(VALU_DEP_1) | instskip(NEXT) | instid1(VALU_DEP_1)
	v_fma_mix_f32 v9, v19, v12, v9 op_sel:[0,1,0] op_sel_hi:[0,1,0]
	v_fma_mix_f32 v9, v20, v13, v9 op_sel_hi:[0,1,0]
	s_delay_alu instid0(VALU_DEP_1)
	v_fma_mix_f32 v9, v21, v13, v9 op_sel:[0,1,0] op_sel_hi:[0,1,0]
	s_cbranch_scc0 .LBB412_29
; %bb.30:                               ;   in Loop: Header=BB412_23 Depth=1
	s_mov_b32 s11, s2
.LBB412_31:                             ;   in Loop: Header=BB412_23 Depth=1
	s_and_not1_b32 vcc_lo, exec_lo, s15
	s_wait_alu 0xfffe
	s_cbranch_vccnz .LBB412_21
; %bb.32:                               ;   in Loop: Header=BB412_23 Depth=1
	s_lshl_b32 s16, s11, 1
	s_lshl_b32 s11, s11, 2
	s_wait_alu 0xfffe
	v_add_co_u32 v5, vcc_lo, v7, s16
	s_wait_alu 0xfffd
	v_add_co_ci_u32_e64 v6, null, 0, v8, vcc_lo
	s_mov_b32 s16, s13
.LBB412_33:                             ;   Parent Loop BB412_23 Depth=1
                                        ; =>  This Inner Loop Header: Depth=2
	global_load_u16 v10, v[5:6], off
	v_mov_b32_e32 v11, s11
	v_add_co_u32 v5, vcc_lo, v5, 2
	s_wait_alu 0xfffd
	v_add_co_ci_u32_e64 v6, null, 0, v6, vcc_lo
	ds_load_b32 v11, v11
	s_wait_alu 0xfffe
	s_add_co_i32 s16, s16, -1
	s_add_co_i32 s11, s11, 4
	s_wait_alu 0xfffe
	s_cmp_lg_u32 s16, 0
	s_wait_loadcnt_dscnt 0x0
	v_fma_mix_f32 v9, v11, v10, v9 op_sel_hi:[0,1,0]
	s_cbranch_scc1 .LBB412_33
	s_branch .LBB412_21
.LBB412_34:
	s_endpgm
	.section	.rodata,"a",@progbits
	.p2align	6, 0x0
	.amdhsa_kernel _ZL22rocblas_gemvtsm_kernelILb1ELi256EDF16_PKfDF16_EviiT2_lPKT1_lilS5_lilS2_lPT3_lil
		.amdhsa_group_segment_fixed_size 256
		.amdhsa_private_segment_fixed_size 0
		.amdhsa_kernarg_size 136
		.amdhsa_user_sgpr_count 2
		.amdhsa_user_sgpr_dispatch_ptr 0
		.amdhsa_user_sgpr_queue_ptr 0
		.amdhsa_user_sgpr_kernarg_segment_ptr 1
		.amdhsa_user_sgpr_dispatch_id 0
		.amdhsa_user_sgpr_private_segment_size 0
		.amdhsa_wavefront_size32 1
		.amdhsa_uses_dynamic_stack 0
		.amdhsa_enable_private_segment 0
		.amdhsa_system_sgpr_workgroup_id_x 1
		.amdhsa_system_sgpr_workgroup_id_y 0
		.amdhsa_system_sgpr_workgroup_id_z 0
		.amdhsa_system_sgpr_workgroup_info 0
		.amdhsa_system_vgpr_workitem_id 0
		.amdhsa_next_free_vgpr 22
		.amdhsa_next_free_sgpr 30
		.amdhsa_reserve_vcc 1
		.amdhsa_float_round_mode_32 0
		.amdhsa_float_round_mode_16_64 0
		.amdhsa_float_denorm_mode_32 3
		.amdhsa_float_denorm_mode_16_64 3
		.amdhsa_fp16_overflow 0
		.amdhsa_workgroup_processor_mode 1
		.amdhsa_memory_ordered 1
		.amdhsa_forward_progress 1
		.amdhsa_inst_pref_size 13
		.amdhsa_round_robin_scheduling 0
		.amdhsa_exception_fp_ieee_invalid_op 0
		.amdhsa_exception_fp_denorm_src 0
		.amdhsa_exception_fp_ieee_div_zero 0
		.amdhsa_exception_fp_ieee_overflow 0
		.amdhsa_exception_fp_ieee_underflow 0
		.amdhsa_exception_fp_ieee_inexact 0
		.amdhsa_exception_int_div_zero 0
	.end_amdhsa_kernel
	.section	.text._ZL22rocblas_gemvtsm_kernelILb1ELi256EDF16_PKfDF16_EviiT2_lPKT1_lilS5_lilS2_lPT3_lil,"axG",@progbits,_ZL22rocblas_gemvtsm_kernelILb1ELi256EDF16_PKfDF16_EviiT2_lPKT1_lilS5_lilS2_lPT3_lil,comdat
.Lfunc_end412:
	.size	_ZL22rocblas_gemvtsm_kernelILb1ELi256EDF16_PKfDF16_EviiT2_lPKT1_lilS5_lilS2_lPT3_lil, .Lfunc_end412-_ZL22rocblas_gemvtsm_kernelILb1ELi256EDF16_PKfDF16_EviiT2_lPKT1_lilS5_lilS2_lPT3_lil
                                        ; -- End function
	.set _ZL22rocblas_gemvtsm_kernelILb1ELi256EDF16_PKfDF16_EviiT2_lPKT1_lilS5_lilS2_lPT3_lil.num_vgpr, 22
	.set _ZL22rocblas_gemvtsm_kernelILb1ELi256EDF16_PKfDF16_EviiT2_lPKT1_lilS5_lilS2_lPT3_lil.num_agpr, 0
	.set _ZL22rocblas_gemvtsm_kernelILb1ELi256EDF16_PKfDF16_EviiT2_lPKT1_lilS5_lilS2_lPT3_lil.numbered_sgpr, 30
	.set _ZL22rocblas_gemvtsm_kernelILb1ELi256EDF16_PKfDF16_EviiT2_lPKT1_lilS5_lilS2_lPT3_lil.num_named_barrier, 0
	.set _ZL22rocblas_gemvtsm_kernelILb1ELi256EDF16_PKfDF16_EviiT2_lPKT1_lilS5_lilS2_lPT3_lil.private_seg_size, 0
	.set _ZL22rocblas_gemvtsm_kernelILb1ELi256EDF16_PKfDF16_EviiT2_lPKT1_lilS5_lilS2_lPT3_lil.uses_vcc, 1
	.set _ZL22rocblas_gemvtsm_kernelILb1ELi256EDF16_PKfDF16_EviiT2_lPKT1_lilS5_lilS2_lPT3_lil.uses_flat_scratch, 0
	.set _ZL22rocblas_gemvtsm_kernelILb1ELi256EDF16_PKfDF16_EviiT2_lPKT1_lilS5_lilS2_lPT3_lil.has_dyn_sized_stack, 0
	.set _ZL22rocblas_gemvtsm_kernelILb1ELi256EDF16_PKfDF16_EviiT2_lPKT1_lilS5_lilS2_lPT3_lil.has_recursion, 0
	.set _ZL22rocblas_gemvtsm_kernelILb1ELi256EDF16_PKfDF16_EviiT2_lPKT1_lilS5_lilS2_lPT3_lil.has_indirect_call, 0
	.section	.AMDGPU.csdata,"",@progbits
; Kernel info:
; codeLenInByte = 1540
; TotalNumSgprs: 32
; NumVgprs: 22
; ScratchSize: 0
; MemoryBound: 0
; FloatMode: 240
; IeeeMode: 1
; LDSByteSize: 256 bytes/workgroup (compile time only)
; SGPRBlocks: 0
; VGPRBlocks: 2
; NumSGPRsForWavesPerEU: 32
; NumVGPRsForWavesPerEU: 22
; Occupancy: 16
; WaveLimiterHint : 1
; COMPUTE_PGM_RSRC2:SCRATCH_EN: 0
; COMPUTE_PGM_RSRC2:USER_SGPR: 2
; COMPUTE_PGM_RSRC2:TRAP_HANDLER: 0
; COMPUTE_PGM_RSRC2:TGID_X_EN: 1
; COMPUTE_PGM_RSRC2:TGID_Y_EN: 0
; COMPUTE_PGM_RSRC2:TGID_Z_EN: 0
; COMPUTE_PGM_RSRC2:TIDIG_COMP_CNT: 0
	.section	.text._ZL22rocblas_gemvtsm_kernelILb1ELi256EDF16_fDF16_EviiT2_lPKT1_lilS3_lilS0_lPT3_lil,"axG",@progbits,_ZL22rocblas_gemvtsm_kernelILb1ELi256EDF16_fDF16_EviiT2_lPKT1_lilS3_lilS0_lPT3_lil,comdat
	.globl	_ZL22rocblas_gemvtsm_kernelILb1ELi256EDF16_fDF16_EviiT2_lPKT1_lilS3_lilS0_lPT3_lil ; -- Begin function _ZL22rocblas_gemvtsm_kernelILb1ELi256EDF16_fDF16_EviiT2_lPKT1_lilS3_lilS0_lPT3_lil
	.p2align	8
	.type	_ZL22rocblas_gemvtsm_kernelILb1ELi256EDF16_fDF16_EviiT2_lPKT1_lilS3_lilS0_lPT3_lil,@function
_ZL22rocblas_gemvtsm_kernelILb1ELi256EDF16_fDF16_EviiT2_lPKT1_lilS3_lilS0_lPT3_lil: ; @_ZL22rocblas_gemvtsm_kernelILb1ELi256EDF16_fDF16_EviiT2_lPKT1_lilS3_lilS0_lPT3_lil
; %bb.0:
	s_clause 0x1
	s_load_b96 s[12:14], s[0:1], 0x0
	s_load_b32 s15, s[0:1], 0x58
	s_mov_b32 s19, 0
	s_wait_kmcnt 0x0
	s_cmp_eq_f32 s14, 0
	s_cselect_b32 s2, -1, 0
	s_cmp_eq_f32 s15, 1.0
	s_cselect_b32 s3, -1, 0
	s_delay_alu instid0(SALU_CYCLE_1) | instskip(NEXT) | instid1(SALU_CYCLE_1)
	s_and_b32 s2, s2, s3
	s_and_b32 vcc_lo, exec_lo, s2
	s_cbranch_vccnz .LBB413_34
; %bb.1:
	s_clause 0x2
	s_load_b64 s[2:3], s[0:1], 0x80
	s_load_b128 s[4:7], s[0:1], 0x68
	s_load_b32 s16, s[0:1], 0x78
	s_mov_b32 s18, ttmp9
	s_cmp_neq_f32 s14, 0
	s_wait_kmcnt 0x0
	s_mul_u64 s[20:21], s[2:3], s[18:19]
	s_cbranch_scc1 .LBB413_9
; %bb.2:
	s_cmp_gt_i32 s13, 0
	s_cselect_b32 s8, -1, 0
	s_cmp_neq_f32 s15, 0
	v_cndmask_b32_e64 v1, 0, 1, s8
	s_delay_alu instid0(VALU_DEP_1)
	v_cmp_ne_u32_e32 vcc_lo, 1, v1
	s_cbranch_scc1 .LBB413_10
; %bb.3:
	s_and_b32 vcc_lo, exec_lo, vcc_lo
	s_cbranch_vccnz .LBB413_8
; %bb.4:
	v_mad_co_i64_i32 v[1:2], null, s16, v0, 0
	s_lshl_b64 s[2:3], s[6:7], 1
	s_lshl_b64 s[10:11], s[20:21], 1
	s_add_nc_u64 s[2:3], s[4:5], s[2:3]
	v_mov_b32_e32 v3, 0
	s_add_nc_u64 s[2:3], s[2:3], s[10:11]
	s_ashr_i32 s17, s16, 31
	v_lshlrev_b64_e32 v[1:2], 1, v[1:2]
	s_mov_b32 s9, 0
	s_delay_alu instid0(VALU_DEP_1) | instskip(NEXT) | instid1(VALU_DEP_1)
	v_add_co_u32 v1, vcc_lo, s2, v1
	v_add_co_ci_u32_e64 v2, null, s3, v2, vcc_lo
	s_wait_alu 0xfffe
	s_lshl_b64 s[2:3], s[16:17], 9
	s_branch .LBB413_6
.LBB413_5:                              ;   in Loop: Header=BB413_6 Depth=1
	s_or_b32 exec_lo, exec_lo, s10
	s_wait_alu 0xfffe
	v_add_co_u32 v1, vcc_lo, v1, s2
	s_wait_alu 0xfffd
	v_add_co_ci_u32_e64 v2, null, s3, v2, vcc_lo
	s_addk_co_i32 s9, 0x100
	s_wait_alu 0xfffe
	s_cmp_ge_i32 s9, s13
	s_cbranch_scc1 .LBB413_8
.LBB413_6:                              ; =>This Inner Loop Header: Depth=1
	v_add_nc_u32_e32 v4, s9, v0
	s_mov_b32 s10, exec_lo
	s_delay_alu instid0(VALU_DEP_1)
	v_cmpx_gt_i32_e64 s13, v4
	s_cbranch_execz .LBB413_5
; %bb.7:                                ;   in Loop: Header=BB413_6 Depth=1
	global_store_b16 v[1:2], v3, off
	s_branch .LBB413_5
.LBB413_8:
	s_cbranch_execz .LBB413_11
	s_branch .LBB413_16
.LBB413_9:
	s_branch .LBB413_17
.LBB413_10:
.LBB413_11:
	s_and_not1_b32 vcc_lo, exec_lo, s8
	s_wait_alu 0xfffe
	s_cbranch_vccnz .LBB413_16
; %bb.12:
	v_mad_co_i64_i32 v[1:2], null, s16, v0, 0
	s_lshl_b64 s[2:3], s[6:7], 1
	s_lshl_b64 s[8:9], s[20:21], 1
	s_wait_alu 0xfffe
	s_add_nc_u64 s[2:3], s[4:5], s[2:3]
	s_ashr_i32 s17, s16, 31
	s_wait_alu 0xfffe
	s_add_nc_u64 s[2:3], s[2:3], s[8:9]
	s_mov_b32 s8, 0
	v_lshlrev_b64_e32 v[1:2], 1, v[1:2]
	s_wait_alu 0xfffe
	s_delay_alu instid0(VALU_DEP_1) | instskip(SKIP_1) | instid1(VALU_DEP_2)
	v_add_co_u32 v1, vcc_lo, s2, v1
	s_wait_alu 0xfffd
	v_add_co_ci_u32_e64 v2, null, s3, v2, vcc_lo
	s_lshl_b64 s[2:3], s[16:17], 9
	s_branch .LBB413_14
.LBB413_13:                             ;   in Loop: Header=BB413_14 Depth=1
	s_wait_alu 0xfffe
	s_or_b32 exec_lo, exec_lo, s9
	v_add_co_u32 v1, vcc_lo, v1, s2
	s_wait_alu 0xfffd
	v_add_co_ci_u32_e64 v2, null, s3, v2, vcc_lo
	s_addk_co_i32 s8, 0x100
	s_wait_alu 0xfffe
	s_cmp_ge_i32 s8, s13
	s_cbranch_scc1 .LBB413_16
.LBB413_14:                             ; =>This Inner Loop Header: Depth=1
	v_add_nc_u32_e32 v3, s8, v0
	s_mov_b32 s9, exec_lo
	s_delay_alu instid0(VALU_DEP_1)
	v_cmpx_gt_i32_e64 s13, v3
	s_cbranch_execz .LBB413_13
; %bb.15:                               ;   in Loop: Header=BB413_14 Depth=1
	global_load_u16 v3, v[1:2], off
	s_wait_loadcnt 0x0
	v_fma_mixlo_f16 v3, s15, v3, 0 op_sel_hi:[0,1,0]
	global_store_b16 v[1:2], v3, off
	s_branch .LBB413_13
.LBB413_16:
	s_cbranch_execnz .LBB413_34
.LBB413_17:
	s_clause 0x1
	s_load_b128 s[8:11], s[0:1], 0x30
	s_load_b64 s[2:3], s[0:1], 0x40
	s_mov_b32 s17, exec_lo
	v_cmpx_gt_i32_e64 s12, v0
	s_cbranch_execz .LBB413_19
; %bb.18:
	s_clause 0x1
	s_load_b32 s24, s[0:1], 0x48
	s_load_b64 s[22:23], s[0:1], 0x50
	s_wait_kmcnt 0x0
	s_lshl_b64 s[2:3], s[2:3], 1
	v_mad_co_i64_i32 v[1:2], null, s24, v0, 0
	s_mul_u64 s[22:23], s[22:23], s[18:19]
	s_delay_alu instid0(SALU_CYCLE_1) | instskip(NEXT) | instid1(SALU_CYCLE_1)
	s_lshl_b64 s[22:23], s[22:23], 1
	s_add_nc_u64 s[10:11], s[10:11], s[22:23]
	s_wait_alu 0xfffe
	s_add_nc_u64 s[2:3], s[10:11], s[2:3]
	v_lshlrev_b64_e32 v[1:2], 1, v[1:2]
	s_wait_alu 0xfffe
	s_delay_alu instid0(VALU_DEP_1) | instskip(SKIP_1) | instid1(VALU_DEP_2)
	v_add_co_u32 v1, vcc_lo, s2, v1
	s_wait_alu 0xfffd
	v_add_co_ci_u32_e64 v2, null, s3, v2, vcc_lo
	global_load_u16 v1, v[1:2], off
	v_lshlrev_b32_e32 v2, 2, v0
	s_wait_loadcnt 0x0
	v_cvt_f32_f16_e32 v1, v1
	s_delay_alu instid0(VALU_DEP_1)
	v_mul_f32_e32 v1, s14, v1
	ds_store_b32 v2, v1
.LBB413_19:
	s_wait_alu 0xfffe
	s_or_b32 exec_lo, exec_lo, s17
	s_cmp_lt_i32 s13, 1
	s_wait_storecnt_dscnt 0x0
	s_barrier_signal -1
	s_barrier_wait -1
	global_inv scope:SCOPE_SE
	s_cbranch_scc1 .LBB413_34
; %bb.20:
	s_load_b32 s22, s[0:1], 0x28
	s_wait_kmcnt 0x0
	s_load_b128 s[0:3], s[0:1], 0x18
	s_lshl_b64 s[10:11], s[20:21], 1
	s_lshl_b64 s[20:21], s[6:7], 1
	s_ashr_i32 s6, s16, 31
	s_add_nc_u64 s[24:25], s[4:5], s[10:11]
	s_mul_u64 s[18:19], s[8:9], s[18:19]
	s_mov_b32 s11, 0
	s_ashr_i32 s23, s22, 31
	s_cmp_neq_f32 s15, 0
	v_mad_co_i64_i32 v[1:2], null, s22, v0, 0
	s_cselect_b32 s4, -1, 0
	s_cmp_gt_i32 s12, 0
	s_cselect_b32 s5, -1, 0
	s_and_b32 s7, s12, 7
	s_cmp_gt_u32 s12, 7
	v_lshlrev_b64_e32 v[1:2], 1, v[1:2]
	s_cselect_b32 s8, -1, 0
	s_and_b32 s9, s12, 0x7ffffff8
	s_cmp_lg_u32 s7, 0
	s_cselect_b32 s10, -1, 0
	s_wait_kmcnt 0x0
	s_lshl_b64 s[2:3], s[2:3], 1
	s_lshl_b64 s[18:19], s[18:19], 1
	s_wait_alu 0xfffe
	s_add_nc_u64 s[0:1], s[0:1], s[2:3]
	s_lshl_b64 s[2:3], s[22:23], 9
	s_add_nc_u64 s[0:1], s[0:1], s[18:19]
	s_delay_alu instid0(SALU_CYCLE_1)
	v_add_co_u32 v7, vcc_lo, s0, v1
	s_wait_alu 0xfffd
	v_add_co_ci_u32_e64 v8, null, s1, v2, vcc_lo
	s_add_nc_u64 s[0:1], s[24:25], s[20:21]
	v_add_co_u32 v1, vcc_lo, v7, 14
	s_wait_alu 0xfffd
	v_add_co_ci_u32_e64 v2, null, 0, v8, vcc_lo
	s_branch .LBB413_23
.LBB413_21:                             ;   in Loop: Header=BB413_23 Depth=1
	v_add_co_u32 v3, vcc_lo, s0, v3
	s_delay_alu instid0(VALU_DEP_2)
	v_cvt_f16_f32_e32 v5, v9
	s_wait_alu 0xfffd
	v_add_co_ci_u32_e64 v4, null, s1, v4, vcc_lo
	global_store_b16 v[3:4], v5, off
.LBB413_22:                             ;   in Loop: Header=BB413_23 Depth=1
	s_wait_alu 0xfffe
	s_or_b32 exec_lo, exec_lo, s12
	v_add_co_u32 v1, vcc_lo, v1, s2
	s_wait_alu 0xfffd
	v_add_co_ci_u32_e64 v2, null, s3, v2, vcc_lo
	v_add_co_u32 v7, vcc_lo, v7, s2
	s_wait_alu 0xfffd
	v_add_co_ci_u32_e64 v8, null, s3, v8, vcc_lo
	s_addk_co_i32 s11, 0x100
	s_wait_alu 0xfffe
	s_cmp_ge_i32 s11, s13
	s_cbranch_scc1 .LBB413_34
.LBB413_23:                             ; =>This Loop Header: Depth=1
                                        ;     Child Loop BB413_29 Depth 2
                                        ;     Child Loop BB413_33 Depth 2
	v_add_nc_u32_e32 v3, s11, v0
	s_mov_b32 s12, exec_lo
	s_delay_alu instid0(VALU_DEP_1)
	v_cmpx_gt_i32_e64 s13, v3
	s_cbranch_execz .LBB413_22
; %bb.24:                               ;   in Loop: Header=BB413_23 Depth=1
	v_mad_co_u64_u32 v[4:5], null, v3, s16, 0
	s_and_not1_b32 vcc_lo, exec_lo, s4
	v_mad_co_u64_u32 v[5:6], null, v3, s6, v[5:6]
	s_delay_alu instid0(VALU_DEP_1)
	v_lshlrev_b64_e32 v[3:4], 1, v[4:5]
	s_wait_alu 0xfffe
	s_cbranch_vccnz .LBB413_26
; %bb.25:                               ;   in Loop: Header=BB413_23 Depth=1
	s_delay_alu instid0(VALU_DEP_1) | instskip(SKIP_1) | instid1(VALU_DEP_2)
	v_add_co_u32 v5, vcc_lo, s0, v3
	s_wait_alu 0xfffd
	v_add_co_ci_u32_e64 v6, null, s1, v4, vcc_lo
	global_load_u16 v5, v[5:6], off
	s_wait_loadcnt 0x0
	v_cvt_f32_f16_e32 v5, v5
	s_delay_alu instid0(VALU_DEP_1)
	v_mul_f32_e32 v9, s15, v5
	s_and_not1_b32 vcc_lo, exec_lo, s5
	s_wait_alu 0xfffe
	s_cbranch_vccz .LBB413_27
	s_branch .LBB413_21
.LBB413_26:                             ;   in Loop: Header=BB413_23 Depth=1
	v_mov_b32_e32 v9, 0
	s_and_not1_b32 vcc_lo, exec_lo, s5
	s_wait_alu 0xfffe
	s_cbranch_vccnz .LBB413_21
.LBB413_27:                             ;   in Loop: Header=BB413_23 Depth=1
	s_and_not1_b32 vcc_lo, exec_lo, s8
	s_mov_b32 s14, 0
	s_wait_alu 0xfffe
	s_cbranch_vccnz .LBB413_31
; %bb.28:                               ;   in Loop: Header=BB413_23 Depth=1
	v_dual_mov_b32 v6, v2 :: v_dual_mov_b32 v5, v1
	s_mov_b32 s17, 0
.LBB413_29:                             ;   Parent Loop BB413_23 Depth=1
                                        ; =>  This Inner Loop Header: Depth=2
	global_load_b128 v[10:13], v[5:6], off offset:-14
	v_mov_b32_e32 v18, s14
	v_add_co_u32 v5, vcc_lo, v5, 16
	s_wait_alu 0xfffd
	v_add_co_ci_u32_e64 v6, null, 0, v6, vcc_lo
	ds_load_b128 v[14:17], v18
	ds_load_b128 v[18:21], v18 offset:16
	s_wait_alu 0xfffe
	s_add_co_i32 s17, s17, 8
	s_add_co_i32 s14, s14, 32
	s_wait_alu 0xfffe
	s_cmp_eq_u32 s9, s17
	s_wait_loadcnt_dscnt 0x1
	v_fma_mix_f32 v9, v14, v10, v9 op_sel_hi:[0,1,0]
	s_delay_alu instid0(VALU_DEP_1) | instskip(NEXT) | instid1(VALU_DEP_1)
	v_fma_mix_f32 v9, v15, v10, v9 op_sel:[0,1,0] op_sel_hi:[0,1,0]
	v_fma_mix_f32 v9, v16, v11, v9 op_sel_hi:[0,1,0]
	s_delay_alu instid0(VALU_DEP_1) | instskip(SKIP_1) | instid1(VALU_DEP_1)
	v_fma_mix_f32 v9, v17, v11, v9 op_sel:[0,1,0] op_sel_hi:[0,1,0]
	s_wait_dscnt 0x0
	v_fma_mix_f32 v9, v18, v12, v9 op_sel_hi:[0,1,0]
	s_delay_alu instid0(VALU_DEP_1) | instskip(NEXT) | instid1(VALU_DEP_1)
	v_fma_mix_f32 v9, v19, v12, v9 op_sel:[0,1,0] op_sel_hi:[0,1,0]
	v_fma_mix_f32 v9, v20, v13, v9 op_sel_hi:[0,1,0]
	s_delay_alu instid0(VALU_DEP_1)
	v_fma_mix_f32 v9, v21, v13, v9 op_sel:[0,1,0] op_sel_hi:[0,1,0]
	s_cbranch_scc0 .LBB413_29
; %bb.30:                               ;   in Loop: Header=BB413_23 Depth=1
	s_mov_b32 s14, s9
.LBB413_31:                             ;   in Loop: Header=BB413_23 Depth=1
	s_and_not1_b32 vcc_lo, exec_lo, s10
	s_wait_alu 0xfffe
	s_cbranch_vccnz .LBB413_21
; %bb.32:                               ;   in Loop: Header=BB413_23 Depth=1
	s_lshl_b32 s17, s14, 1
	s_lshl_b32 s14, s14, 2
	s_wait_alu 0xfffe
	v_add_co_u32 v5, vcc_lo, v7, s17
	s_wait_alu 0xfffd
	v_add_co_ci_u32_e64 v6, null, 0, v8, vcc_lo
	s_mov_b32 s17, s7
.LBB413_33:                             ;   Parent Loop BB413_23 Depth=1
                                        ; =>  This Inner Loop Header: Depth=2
	global_load_u16 v10, v[5:6], off
	v_mov_b32_e32 v11, s14
	v_add_co_u32 v5, vcc_lo, v5, 2
	s_wait_alu 0xfffd
	v_add_co_ci_u32_e64 v6, null, 0, v6, vcc_lo
	ds_load_b32 v11, v11
	s_wait_alu 0xfffe
	s_add_co_i32 s17, s17, -1
	s_add_co_i32 s14, s14, 4
	s_wait_alu 0xfffe
	s_cmp_lg_u32 s17, 0
	s_wait_loadcnt_dscnt 0x0
	v_fma_mix_f32 v9, v11, v10, v9 op_sel_hi:[0,1,0]
	s_cbranch_scc1 .LBB413_33
	s_branch .LBB413_21
.LBB413_34:
	s_endpgm
	.section	.rodata,"a",@progbits
	.p2align	6, 0x0
	.amdhsa_kernel _ZL22rocblas_gemvtsm_kernelILb1ELi256EDF16_fDF16_EviiT2_lPKT1_lilS3_lilS0_lPT3_lil
		.amdhsa_group_segment_fixed_size 256
		.amdhsa_private_segment_fixed_size 0
		.amdhsa_kernarg_size 136
		.amdhsa_user_sgpr_count 2
		.amdhsa_user_sgpr_dispatch_ptr 0
		.amdhsa_user_sgpr_queue_ptr 0
		.amdhsa_user_sgpr_kernarg_segment_ptr 1
		.amdhsa_user_sgpr_dispatch_id 0
		.amdhsa_user_sgpr_private_segment_size 0
		.amdhsa_wavefront_size32 1
		.amdhsa_uses_dynamic_stack 0
		.amdhsa_enable_private_segment 0
		.amdhsa_system_sgpr_workgroup_id_x 1
		.amdhsa_system_sgpr_workgroup_id_y 0
		.amdhsa_system_sgpr_workgroup_id_z 0
		.amdhsa_system_sgpr_workgroup_info 0
		.amdhsa_system_vgpr_workitem_id 0
		.amdhsa_next_free_vgpr 22
		.amdhsa_next_free_sgpr 26
		.amdhsa_reserve_vcc 1
		.amdhsa_float_round_mode_32 0
		.amdhsa_float_round_mode_16_64 0
		.amdhsa_float_denorm_mode_32 3
		.amdhsa_float_denorm_mode_16_64 3
		.amdhsa_fp16_overflow 0
		.amdhsa_workgroup_processor_mode 1
		.amdhsa_memory_ordered 1
		.amdhsa_forward_progress 1
		.amdhsa_inst_pref_size 12
		.amdhsa_round_robin_scheduling 0
		.amdhsa_exception_fp_ieee_invalid_op 0
		.amdhsa_exception_fp_denorm_src 0
		.amdhsa_exception_fp_ieee_div_zero 0
		.amdhsa_exception_fp_ieee_overflow 0
		.amdhsa_exception_fp_ieee_underflow 0
		.amdhsa_exception_fp_ieee_inexact 0
		.amdhsa_exception_int_div_zero 0
	.end_amdhsa_kernel
	.section	.text._ZL22rocblas_gemvtsm_kernelILb1ELi256EDF16_fDF16_EviiT2_lPKT1_lilS3_lilS0_lPT3_lil,"axG",@progbits,_ZL22rocblas_gemvtsm_kernelILb1ELi256EDF16_fDF16_EviiT2_lPKT1_lilS3_lilS0_lPT3_lil,comdat
.Lfunc_end413:
	.size	_ZL22rocblas_gemvtsm_kernelILb1ELi256EDF16_fDF16_EviiT2_lPKT1_lilS3_lilS0_lPT3_lil, .Lfunc_end413-_ZL22rocblas_gemvtsm_kernelILb1ELi256EDF16_fDF16_EviiT2_lPKT1_lilS3_lilS0_lPT3_lil
                                        ; -- End function
	.set _ZL22rocblas_gemvtsm_kernelILb1ELi256EDF16_fDF16_EviiT2_lPKT1_lilS3_lilS0_lPT3_lil.num_vgpr, 22
	.set _ZL22rocblas_gemvtsm_kernelILb1ELi256EDF16_fDF16_EviiT2_lPKT1_lilS3_lilS0_lPT3_lil.num_agpr, 0
	.set _ZL22rocblas_gemvtsm_kernelILb1ELi256EDF16_fDF16_EviiT2_lPKT1_lilS3_lilS0_lPT3_lil.numbered_sgpr, 26
	.set _ZL22rocblas_gemvtsm_kernelILb1ELi256EDF16_fDF16_EviiT2_lPKT1_lilS3_lilS0_lPT3_lil.num_named_barrier, 0
	.set _ZL22rocblas_gemvtsm_kernelILb1ELi256EDF16_fDF16_EviiT2_lPKT1_lilS3_lilS0_lPT3_lil.private_seg_size, 0
	.set _ZL22rocblas_gemvtsm_kernelILb1ELi256EDF16_fDF16_EviiT2_lPKT1_lilS3_lilS0_lPT3_lil.uses_vcc, 1
	.set _ZL22rocblas_gemvtsm_kernelILb1ELi256EDF16_fDF16_EviiT2_lPKT1_lilS3_lilS0_lPT3_lil.uses_flat_scratch, 0
	.set _ZL22rocblas_gemvtsm_kernelILb1ELi256EDF16_fDF16_EviiT2_lPKT1_lilS3_lilS0_lPT3_lil.has_dyn_sized_stack, 0
	.set _ZL22rocblas_gemvtsm_kernelILb1ELi256EDF16_fDF16_EviiT2_lPKT1_lilS3_lilS0_lPT3_lil.has_recursion, 0
	.set _ZL22rocblas_gemvtsm_kernelILb1ELi256EDF16_fDF16_EviiT2_lPKT1_lilS3_lilS0_lPT3_lil.has_indirect_call, 0
	.section	.AMDGPU.csdata,"",@progbits
; Kernel info:
; codeLenInByte = 1492
; TotalNumSgprs: 28
; NumVgprs: 22
; ScratchSize: 0
; MemoryBound: 0
; FloatMode: 240
; IeeeMode: 1
; LDSByteSize: 256 bytes/workgroup (compile time only)
; SGPRBlocks: 0
; VGPRBlocks: 2
; NumSGPRsForWavesPerEU: 28
; NumVGPRsForWavesPerEU: 22
; Occupancy: 16
; WaveLimiterHint : 1
; COMPUTE_PGM_RSRC2:SCRATCH_EN: 0
; COMPUTE_PGM_RSRC2:USER_SGPR: 2
; COMPUTE_PGM_RSRC2:TRAP_HANDLER: 0
; COMPUTE_PGM_RSRC2:TGID_X_EN: 1
; COMPUTE_PGM_RSRC2:TGID_Y_EN: 0
; COMPUTE_PGM_RSRC2:TGID_Z_EN: 0
; COMPUTE_PGM_RSRC2:TIDIG_COMP_CNT: 0
	.section	.text._ZL23rocblas_gemvt_sn_kernelILb1ELi256ELi4EiDF16_PKffEviiT4_lPKT3_lilS5_lilPT5_i,"axG",@progbits,_ZL23rocblas_gemvt_sn_kernelILb1ELi256ELi4EiDF16_PKffEviiT4_lPKT3_lilS5_lilPT5_i,comdat
	.globl	_ZL23rocblas_gemvt_sn_kernelILb1ELi256ELi4EiDF16_PKffEviiT4_lPKT3_lilS5_lilPT5_i ; -- Begin function _ZL23rocblas_gemvt_sn_kernelILb1ELi256ELi4EiDF16_PKffEviiT4_lPKT3_lilS5_lilPT5_i
	.p2align	8
	.type	_ZL23rocblas_gemvt_sn_kernelILb1ELi256ELi4EiDF16_PKffEviiT4_lPKT3_lilS5_lilPT5_i,@function
_ZL23rocblas_gemvt_sn_kernelILb1ELi256ELi4EiDF16_PKffEviiT4_lPKT3_lilS5_lilPT5_i: ; @_ZL23rocblas_gemvt_sn_kernelILb1ELi256ELi4EiDF16_PKffEviiT4_lPKT3_lilS5_lilPT5_i
; %bb.0:
	s_load_b32 s11, s[0:1], 0x60
	s_lshr_b32 s28, ttmp7, 16
	s_wait_kmcnt 0x0
	s_cmp_ge_u32 s28, s11
	s_cbranch_scc1 .LBB414_83
; %bb.1:
	s_clause 0x6
	s_load_b96 s[8:10], s[0:1], 0x40
	s_load_b256 s[12:19], s[0:1], 0x8
	s_load_b64 s[34:35], s[0:1], 0x0
	s_load_b128 s[20:23], s[0:1], 0x30
	s_load_b32 s36, s[0:1], 0x68
	s_load_b32 s38, s[0:1], 0x28
	s_load_b128 s[24:27], s[0:1], 0x50
	v_cmp_eq_u32_e64 s0, 0, v0
	v_mbcnt_lo_u32_b32 v28, -1, 0
	s_mov_b32 s41, 0
	s_mov_b32 s30, ttmp9
	s_mov_b32 s37, s41
	s_mov_b32 s31, s41
	v_lshl_or_b32 v29, v28, 2, 64
	s_mov_b32 s39, s41
	s_mov_b32 s49, s41
	s_wait_kmcnt 0x0
	s_lshl_b64 s[2:3], s[8:9], 1
	s_lshl_b64 s[4:5], s[18:19], 1
	s_ashr_i32 s7, s35, 31
	s_cmp_gt_i32 s35, 0
	s_add_nc_u64 s[18:19], s[22:23], s[2:3]
	s_add_nc_u64 s[2:3], s[16:17], s[4:5]
	s_cselect_b32 s1, -1, 0
	s_lshl_b32 s4, ttmp9, 10
	s_lshr_b32 s5, s7, 30
	v_lshl_or_b32 v1, v0, 2, s4
	s_ashr_i32 s4, s34, 31
	s_and_b32 s33, s0, s1
	s_wait_alu 0xfffe
	s_lshr_b32 s4, s4, 30
	s_add_co_i32 s1, s35, s5
	v_ashrrev_i32_e32 v2, 31, v1
	s_wait_alu 0xfffe
	s_add_co_i32 s4, s34, s4
	s_and_b32 s70, s1, -4
	s_wait_alu 0xfffe
	s_and_b32 s1, s4, -4
	v_mul_lo_u32 v5, s10, v1
	v_lshlrev_b64_e32 v[2:3], 1, v[1:2]
	s_sub_co_i32 s71, s34, s1
	v_add_nc_u32_e32 v4, 4, v1
	v_add_nc_u32_e32 v1, s71, v1
	v_cmp_gt_u32_e64 s5, 8, v0
	s_cmp_gt_i32 s70, 0
	v_add_co_u32 v24, vcc_lo, s2, v2
	s_delay_alu instid0(VALU_DEP_1)
	v_add_co_ci_u32_e64 v25, null, s3, v3, vcc_lo
	v_cmp_ge_i32_e64 s1, s34, v4
	v_and_b32_e32 v2, 31, v0
	v_cmp_gt_u32_e64 s3, 32, v0
	v_lshrrev_b32_e32 v4, 3, v0
	v_mov_b32_e32 v0, 0
	v_cmp_ge_i32_e64 s2, s34, v1
	v_add_nc_u32_e32 v1, s10, v5
	v_cmp_eq_u32_e64 s4, 0, v2
	v_lshlrev_b32_e32 v26, 2, v2
	v_and_b32_e32 v27, 28, v4
	v_ashrrev_i32_e32 v6, 31, v5
	v_add_nc_u32_e32 v3, s10, v1
	v_ashrrev_i32_e32 v2, 31, v1
	s_cselect_b32 s72, -1, 0
	s_cmp_gt_i32 s71, 0
	s_mov_b32 s6, s35
	v_add_nc_u32_e32 v12, s10, v3
	v_ashrrev_i32_e32 v4, 31, v3
	s_cselect_b32 s34, -1, 0
	s_lshl_b32 s40, s38, 1
	v_lshlrev_b64_e32 v[6:7], 1, v[5:6]
	v_ashrrev_i32_e32 v13, 31, v12
	v_lshlrev_b64_e32 v[8:9], 1, v[1:2]
	v_lshlrev_b64_e32 v[10:11], 1, v[3:4]
	s_mul_u64 s[16:17], s[6:7], s[36:37]
	s_lshl_b64 s[22:23], s[30:31], 2
	v_lshlrev_b64_e32 v[12:13], 1, v[12:13]
	s_mov_b64 s[50:51], s[40:41]
	s_mul_i32 s40, s38, 3
	s_add_nc_u64 s[42:43], s[26:27], s[22:23]
	s_lshl_b64 s[44:45], s[16:17], 2
	s_lshl_b64 s[46:47], s[36:37], 2
	s_lshl_b32 s48, s38, 2
	s_mov_b64 s[52:53], s[40:41]
	s_lshl_b64 s[54:55], s[20:21], 1
	s_branch .LBB414_3
.LBB414_2:                              ;   in Loop: Header=BB414_3 Depth=1
	s_add_co_i32 s28, s28, 0x10000
	s_delay_alu instid0(SALU_CYCLE_1)
	s_cmp_lt_u32 s28, s11
	s_cbranch_scc0 .LBB414_83
.LBB414_3:                              ; =>This Loop Header: Depth=1
                                        ;     Child Loop BB414_6 Depth 2
                                        ;     Child Loop BB414_12 Depth 2
                                        ;       Child Loop BB414_43 Depth 3
                                        ;       Child Loop BB414_46 Depth 3
                                        ;     Child Loop BB414_62 Depth 2
                                        ;       Child Loop BB414_75 Depth 3
                                        ;       Child Loop BB414_78 Depth 3
	s_mov_b32 s29, s41
	s_delay_alu instid0(SALU_CYCLE_1)
	s_mul_u64 s[6:7], s[14:15], s[28:29]
	s_wait_alu 0xfffe
	s_lshl_b64 s[6:7], s[6:7], 2
	s_wait_alu 0xfffe
	s_add_nc_u64 s[6:7], s[12:13], s[6:7]
	global_load_b32 v30, v0, s[6:7]
	s_mov_b32 s6, -1
	s_wait_loadcnt 0x0
	v_cmp_neq_f32_e32 vcc_lo, 0, v30
	s_cbranch_vccnz .LBB414_8
; %bb.4:                                ;   in Loop: Header=BB414_3 Depth=1
	s_and_saveexec_b32 s8, s33
	s_cbranch_execz .LBB414_7
; %bb.5:                                ;   in Loop: Header=BB414_3 Depth=1
	s_mul_u64 s[6:7], s[44:45], s[28:29]
	s_mov_b32 s9, s35
	s_wait_alu 0xfffe
	s_add_nc_u64 s[6:7], s[42:43], s[6:7]
.LBB414_6:                              ;   Parent Loop BB414_3 Depth=1
                                        ; =>  This Inner Loop Header: Depth=2
	s_add_co_i32 s9, s9, -1
	global_store_b32 v0, v0, s[6:7]
	s_wait_alu 0xfffe
	s_cmp_eq_u32 s9, 0
	s_add_nc_u64 s[6:7], s[6:7], s[46:47]
	s_cbranch_scc0 .LBB414_6
.LBB414_7:                              ;   in Loop: Header=BB414_3 Depth=1
	s_wait_alu 0xfffe
	s_or_b32 exec_lo, exec_lo, s8
	s_mov_b32 s6, 0
.LBB414_8:                              ;   in Loop: Header=BB414_3 Depth=1
	s_wait_alu 0xfffe
	s_and_not1_b32 vcc_lo, exec_lo, s6
	s_wait_alu 0xfffe
	s_cbranch_vccnz .LBB414_2
; %bb.9:                                ;   in Loop: Header=BB414_3 Depth=1
	s_mul_u64 s[6:7], s[24:25], s[28:29]
	s_mul_u64 s[8:9], s[20:21], s[28:29]
	s_wait_alu 0xfffe
	s_lshl_b64 s[6:7], s[6:7], 1
	s_mul_u64 s[60:61], s[16:17], s[28:29]
	s_wait_alu 0xfffe
	s_add_nc_u64 s[56:57], s[18:19], s[6:7]
	s_lshl_b64 s[6:7], s[8:9], 1
	v_cmp_gt_u32_e64 s9, 24, v28
	s_wait_alu 0xfffe
	v_add_co_u32 v31, vcc_lo, v24, s6
	s_wait_alu 0xfffd
	v_add_co_ci_u32_e64 v32, null, s7, v25, vcc_lo
	v_cmp_gt_u32_e64 s8, 28, v28
	v_cmp_gt_u32_e64 s7, 30, v28
	v_cmp_ne_u32_e64 s6, 31, v28
	s_lshl_b64 s[60:61], s[60:61], 2
	s_mul_u64 s[58:59], s[54:55], s[28:29]
	s_and_not1_b32 vcc_lo, exec_lo, s72
	s_wait_alu 0xfffe
	s_add_nc_u64 s[60:61], s[26:27], s[60:61]
	s_cbranch_vccnz .LBB414_58
; %bb.10:                               ;   in Loop: Header=BB414_3 Depth=1
	v_cndmask_b32_e64 v2, 0, 4, s8
	v_cndmask_b32_e64 v3, 0, 2, s7
	v_add_co_u32 v14, vcc_lo, s56, v6
	s_wait_alu 0xfffd
	v_add_co_ci_u32_e64 v15, null, s57, v7, vcc_lo
	v_add_co_u32 v16, vcc_lo, s56, v8
	v_cndmask_b32_e64 v1, 0, 8, s9
	v_add_co_ci_u32_e64 v4, null, 0, v28, s6
	v_add_lshl_u32 v34, v2, v28, 2
	v_add_lshl_u32 v35, v3, v28, 2
	s_wait_alu 0xfffd
	v_add_co_ci_u32_e64 v17, null, s57, v9, vcc_lo
	v_add_co_u32 v18, vcc_lo, s56, v10
	v_dual_mov_b32 v2, v0 :: v_dual_mov_b32 v3, v0
	s_wait_alu 0xfffd
	v_add_co_ci_u32_e64 v19, null, s57, v11, vcc_lo
	v_add_co_u32 v20, vcc_lo, s56, v12
	v_add_lshl_u32 v33, v1, v28, 2
	v_dual_mov_b32 v1, v0 :: v_dual_lshlrev_b32 v36, 2, v4
	s_wait_alu 0xfffd
	v_add_co_ci_u32_e64 v21, null, s57, v13, vcc_lo
	v_add_co_u32 v37, vcc_lo, v24, s58
	v_mov_b32_e32 v4, v3
	s_wait_alu 0xfffd
	v_add_co_ci_u32_e64 v38, null, s59, v25, vcc_lo
	v_mov_b32_e32 v3, v2
	v_mov_b32_e32 v2, v1
	;; [unrolled: 1-line block ×3, first 2 shown]
	s_mov_b32 s8, 0
	s_mov_b64 s[62:63], s[52:53]
	s_mov_b64 s[64:65], s[50:51]
	;; [unrolled: 1-line block ×3, first 2 shown]
	s_mov_b32 s29, 0
	s_branch .LBB414_12
.LBB414_11:                             ;   in Loop: Header=BB414_12 Depth=2
	s_wait_alu 0xfffe
	s_or_b32 exec_lo, exec_lo, s6
	s_add_co_i32 s29, s29, 4
	s_add_co_i32 s8, s8, s48
	s_add_nc_u64 s[66:67], s[66:67], s[48:49]
	s_add_nc_u64 s[64:65], s[64:65], s[48:49]
	s_cmp_ge_i32 s29, s70
	s_add_nc_u64 s[62:63], s[62:63], s[48:49]
	s_cbranch_scc1 .LBB414_59
.LBB414_12:                             ;   Parent Loop BB414_3 Depth=1
                                        ; =>  This Loop Header: Depth=2
                                        ;       Child Loop BB414_43 Depth 3
                                        ;       Child Loop BB414_46 Depth 3
                                        ; implicit-def: $vgpr39
                                        ; implicit-def: $vgpr40
                                        ; implicit-def: $vgpr41
                                        ; implicit-def: $vgpr42
	s_and_saveexec_b32 s6, s1
	s_wait_alu 0xfffe
	s_xor_b32 s6, exec_lo, s6
	s_cbranch_execnz .LBB414_39
; %bb.13:                               ;   in Loop: Header=BB414_12 Depth=2
	s_wait_alu 0xfffe
	s_and_not1_saveexec_b32 s31, s6
	s_cbranch_execnz .LBB414_40
.LBB414_14:                             ;   in Loop: Header=BB414_12 Depth=2
	s_or_b32 exec_lo, exec_lo, s31
	s_and_saveexec_b32 s6, s3
.LBB414_15:                             ;   in Loop: Header=BB414_12 Depth=2
	ds_store_b32 v26, v0
.LBB414_16:                             ;   in Loop: Header=BB414_12 Depth=2
	s_wait_alu 0xfffe
	s_or_b32 exec_lo, exec_lo, s6
	s_wait_dscnt 0x0
	ds_bpermute_b32 v22, v29, v42
	s_wait_storecnt_dscnt 0x0
	s_barrier_signal -1
	s_barrier_wait -1
	global_inv scope:SCOPE_SE
	v_add_f32_e32 v22, v42, v22
	ds_bpermute_b32 v23, v33, v22
	s_wait_dscnt 0x0
	v_add_f32_e32 v22, v22, v23
	ds_bpermute_b32 v23, v34, v22
	s_wait_dscnt 0x0
	;; [unrolled: 3-line block ×3, first 2 shown]
	v_add_f32_e32 v22, v22, v23
	ds_bpermute_b32 v23, v36, v22
	s_and_saveexec_b32 s6, s4
	s_cbranch_execz .LBB414_18
; %bb.17:                               ;   in Loop: Header=BB414_12 Depth=2
	s_wait_dscnt 0x0
	v_add_f32_e32 v22, v22, v23
	ds_store_b32 v27, v22
.LBB414_18:                             ;   in Loop: Header=BB414_12 Depth=2
	s_wait_alu 0xfffe
	s_or_b32 exec_lo, exec_lo, s6
	v_mov_b32_e32 v22, 0
	s_wait_loadcnt_dscnt 0x0
	s_barrier_signal -1
	s_barrier_wait -1
	global_inv scope:SCOPE_SE
	s_and_saveexec_b32 s6, s5
	s_cbranch_execnz .LBB414_47
; %bb.19:                               ;   in Loop: Header=BB414_12 Depth=2
	s_wait_alu 0xfffe
	s_or_b32 exec_lo, exec_lo, s6
	s_and_saveexec_b32 s6, s3
	s_cbranch_execnz .LBB414_48
.LBB414_20:                             ;   in Loop: Header=BB414_12 Depth=2
	s_wait_alu 0xfffe
	s_or_b32 exec_lo, exec_lo, s6
	s_and_saveexec_b32 s6, s3
.LBB414_21:                             ;   in Loop: Header=BB414_12 Depth=2
	ds_store_b32 v26, v0
.LBB414_22:                             ;   in Loop: Header=BB414_12 Depth=2
	s_wait_alu 0xfffe
	s_or_b32 exec_lo, exec_lo, s6
	ds_bpermute_b32 v23, v29, v41
	s_wait_loadcnt_dscnt 0x0
	s_barrier_signal -1
	s_barrier_wait -1
	global_inv scope:SCOPE_SE
	v_add_f32_e32 v23, v41, v23
	ds_bpermute_b32 v41, v33, v23
	s_wait_dscnt 0x0
	v_add_f32_e32 v23, v23, v41
	ds_bpermute_b32 v41, v34, v23
	s_wait_dscnt 0x0
	;; [unrolled: 3-line block ×3, first 2 shown]
	v_add_f32_e32 v23, v23, v41
	ds_bpermute_b32 v41, v36, v23
	s_and_saveexec_b32 s6, s4
	s_cbranch_execz .LBB414_24
; %bb.23:                               ;   in Loop: Header=BB414_12 Depth=2
	s_wait_dscnt 0x0
	v_add_f32_e32 v23, v23, v41
	ds_store_b32 v27, v23
.LBB414_24:                             ;   in Loop: Header=BB414_12 Depth=2
	s_wait_alu 0xfffe
	s_or_b32 exec_lo, exec_lo, s6
	v_mov_b32_e32 v23, 0
	s_wait_loadcnt_dscnt 0x0
	s_barrier_signal -1
	s_barrier_wait -1
	global_inv scope:SCOPE_SE
	s_and_saveexec_b32 s6, s5
	s_cbranch_execnz .LBB414_49
; %bb.25:                               ;   in Loop: Header=BB414_12 Depth=2
	s_wait_alu 0xfffe
	s_or_b32 exec_lo, exec_lo, s6
	s_and_saveexec_b32 s6, s3
	s_cbranch_execnz .LBB414_50
.LBB414_26:                             ;   in Loop: Header=BB414_12 Depth=2
	s_wait_alu 0xfffe
	s_or_b32 exec_lo, exec_lo, s6
	s_and_saveexec_b32 s6, s3
.LBB414_27:                             ;   in Loop: Header=BB414_12 Depth=2
	ds_store_b32 v26, v0
.LBB414_28:                             ;   in Loop: Header=BB414_12 Depth=2
	s_wait_alu 0xfffe
	s_or_b32 exec_lo, exec_lo, s6
	ds_bpermute_b32 v41, v29, v40
	s_wait_loadcnt_dscnt 0x0
	s_barrier_signal -1
	s_barrier_wait -1
	global_inv scope:SCOPE_SE
	v_add_f32_e32 v40, v40, v41
	ds_bpermute_b32 v41, v33, v40
	s_wait_dscnt 0x0
	v_add_f32_e32 v40, v40, v41
	ds_bpermute_b32 v41, v34, v40
	s_wait_dscnt 0x0
	;; [unrolled: 3-line block ×3, first 2 shown]
	v_add_f32_e32 v40, v40, v41
	ds_bpermute_b32 v41, v36, v40
	s_and_saveexec_b32 s6, s4
	s_cbranch_execz .LBB414_30
; %bb.29:                               ;   in Loop: Header=BB414_12 Depth=2
	s_wait_dscnt 0x0
	v_add_f32_e32 v40, v40, v41
	ds_store_b32 v27, v40
.LBB414_30:                             ;   in Loop: Header=BB414_12 Depth=2
	s_wait_alu 0xfffe
	s_or_b32 exec_lo, exec_lo, s6
	v_mov_b32_e32 v40, 0
	s_wait_loadcnt_dscnt 0x0
	s_barrier_signal -1
	s_barrier_wait -1
	global_inv scope:SCOPE_SE
	s_and_saveexec_b32 s6, s5
	s_cbranch_execnz .LBB414_51
; %bb.31:                               ;   in Loop: Header=BB414_12 Depth=2
	s_wait_alu 0xfffe
	s_or_b32 exec_lo, exec_lo, s6
	s_and_saveexec_b32 s6, s3
	s_cbranch_execnz .LBB414_52
.LBB414_32:                             ;   in Loop: Header=BB414_12 Depth=2
	s_wait_alu 0xfffe
	s_or_b32 exec_lo, exec_lo, s6
	s_and_saveexec_b32 s6, s3
.LBB414_33:                             ;   in Loop: Header=BB414_12 Depth=2
	ds_store_b32 v26, v0
.LBB414_34:                             ;   in Loop: Header=BB414_12 Depth=2
	s_wait_alu 0xfffe
	s_or_b32 exec_lo, exec_lo, s6
	ds_bpermute_b32 v41, v29, v39
	s_wait_loadcnt_dscnt 0x0
	s_barrier_signal -1
	s_barrier_wait -1
	global_inv scope:SCOPE_SE
	v_add_f32_e32 v39, v39, v41
	ds_bpermute_b32 v41, v33, v39
	s_wait_dscnt 0x0
	v_add_f32_e32 v39, v39, v41
	ds_bpermute_b32 v41, v34, v39
	s_wait_dscnt 0x0
	;; [unrolled: 3-line block ×3, first 2 shown]
	v_add_f32_e32 v39, v39, v41
	ds_bpermute_b32 v41, v36, v39
	s_and_saveexec_b32 s6, s4
	s_cbranch_execz .LBB414_36
; %bb.35:                               ;   in Loop: Header=BB414_12 Depth=2
	s_wait_dscnt 0x0
	v_add_f32_e32 v39, v39, v41
	ds_store_b32 v27, v39
.LBB414_36:                             ;   in Loop: Header=BB414_12 Depth=2
	s_wait_alu 0xfffe
	s_or_b32 exec_lo, exec_lo, s6
	v_mov_b32_e32 v39, 0
	s_wait_loadcnt_dscnt 0x0
	s_barrier_signal -1
	s_barrier_wait -1
	global_inv scope:SCOPE_SE
	s_and_saveexec_b32 s6, s5
	s_cbranch_execnz .LBB414_53
; %bb.37:                               ;   in Loop: Header=BB414_12 Depth=2
	s_wait_alu 0xfffe
	s_or_b32 exec_lo, exec_lo, s6
	s_and_saveexec_b32 s6, s3
	s_cbranch_execnz .LBB414_54
.LBB414_38:                             ;   in Loop: Header=BB414_12 Depth=2
	s_wait_alu 0xfffe
	s_or_b32 exec_lo, exec_lo, s6
	s_and_saveexec_b32 s6, s0
	s_cbranch_execz .LBB414_11
	s_branch .LBB414_55
.LBB414_39:                             ;   in Loop: Header=BB414_12 Depth=2
	s_mul_i32 s68, s29, s38
	s_wait_alu 0xfffe
	s_ashr_i32 s69, s68, 31
	s_add_co_i32 s74, s68, s38
	s_wait_alu 0xfffe
	s_lshl_b64 s[68:69], s[68:69], 1
	s_ashr_i32 s75, s74, 31
	s_wait_alu 0xfffe
	v_add_co_u32 v1, vcc_lo, v31, s68
	s_wait_alu 0xfffd
	v_add_co_ci_u32_e64 v2, null, s69, v32, vcc_lo
	s_lshl_b64 s[68:69], s[74:75], 1
	s_add_co_i32 s74, s74, s38
	s_wait_alu 0xfffe
	v_add_co_u32 v3, vcc_lo, v31, s68
	s_ashr_i32 s75, s74, 31
	s_add_co_i32 s68, s74, s38
	s_wait_alu 0xfffd
	v_add_co_ci_u32_e64 v4, null, s69, v32, vcc_lo
	s_wait_alu 0xfffe
	s_lshl_b64 s[74:75], s[74:75], 1
	s_ashr_i32 s69, s68, 31
	s_wait_dscnt 0x0
	s_wait_alu 0xfffe
	v_add_co_u32 v22, vcc_lo, v31, s74
	s_lshl_b64 s[68:69], s[68:69], 1
	s_wait_alu 0xfffd
	v_add_co_ci_u32_e64 v23, null, s75, v32, vcc_lo
	s_wait_alu 0xfffe
	v_add_co_u32 v39, vcc_lo, v31, s68
	s_wait_alu 0xfffd
	v_add_co_ci_u32_e64 v40, null, s69, v32, vcc_lo
	global_load_u16 v47, v[14:15], off
	s_clause 0x3
	global_load_b64 v[41:42], v[1:2], off
	global_load_b64 v[43:44], v[3:4], off
	;; [unrolled: 1-line block ×4, first 2 shown]
	s_clause 0x2
	global_load_u16 v3, v[16:17], off
	global_load_u16 v4, v[18:19], off
	;; [unrolled: 1-line block ×3, first 2 shown]
	s_wait_loadcnt 0x7
	v_cvt_f32_f16_e32 v1, v47
	s_wait_loadcnt 0x6
	v_fma_mix_f32 v40, v47, v41, 0 op_sel_hi:[1,1,0]
	s_wait_loadcnt 0x5
	v_fma_mix_f32 v48, v47, v43, 0 op_sel_hi:[1,1,0]
	;; [unrolled: 2-line block ×4, first 2 shown]
	s_wait_loadcnt 0x2
	v_cvt_f32_f16_e32 v2, v3
	v_fma_mix_f32 v40, v3, v41, v40 op_sel:[0,1,0] op_sel_hi:[1,1,0]
	v_fma_mix_f32 v41, v3, v43, v48 op_sel:[0,1,0] op_sel_hi:[1,1,0]
	;; [unrolled: 1-line block ×4, first 2 shown]
	s_wait_loadcnt 0x1
	v_cvt_f32_f16_e32 v3, v4
	v_fma_mix_f32 v40, v4, v42, v40 op_sel_hi:[1,1,0]
	v_fma_mix_f32 v41, v4, v44, v41 op_sel_hi:[1,1,0]
	;; [unrolled: 1-line block ×4, first 2 shown]
	s_wait_loadcnt 0x0
	v_cvt_f32_f16_e32 v4, v39
	v_fma_mix_f32 v42, v39, v42, v40 op_sel:[0,1,0] op_sel_hi:[1,1,0]
	v_fma_mix_f32 v41, v39, v44, v41 op_sel:[0,1,0] op_sel_hi:[1,1,0]
	;; [unrolled: 1-line block ×4, first 2 shown]
	s_and_not1_saveexec_b32 s31, s6
	s_cbranch_execz .LBB414_14
.LBB414_40:                             ;   in Loop: Header=BB414_12 Depth=2
	s_wait_dscnt 0x0
	v_dual_mov_b32 v39, 0 :: v_dual_mov_b32 v40, 0
	v_dual_mov_b32 v41, 0 :: v_dual_mov_b32 v42, 0
	s_and_saveexec_b32 s40, s2
	s_cbranch_execz .LBB414_57
; %bb.41:                               ;   in Loop: Header=BB414_12 Depth=2
	s_and_not1_b32 vcc_lo, exec_lo, s34
	s_wait_alu 0xfffe
	s_cbranch_vccnz .LBB414_44
; %bb.42:                               ;   in Loop: Header=BB414_12 Depth=2
	v_mov_b32_e32 v22, v5
	s_mov_b64 s[68:69], 0
.LBB414_43:                             ;   Parent Loop BB414_3 Depth=1
                                        ;     Parent Loop BB414_12 Depth=2
                                        ; =>    This Inner Loop Header: Depth=3
	s_delay_alu instid0(VALU_DEP_1) | instskip(SKIP_2) | instid1(VALU_DEP_1)
	v_ashrrev_i32_e32 v23, 31, v22
	s_wait_alu 0xfffe
	s_cmp_eq_u32 s68, 3
	v_lshlrev_b64_e32 v[39:40], 1, v[22:23]
	s_delay_alu instid0(VALU_DEP_1) | instskip(SKIP_1) | instid1(VALU_DEP_2)
	v_add_co_u32 v39, vcc_lo, s56, v39
	s_wait_alu 0xfffd
	v_add_co_ci_u32_e64 v40, null, s57, v40, vcc_lo
	s_cselect_b32 vcc_lo, -1, 0
	s_cmp_eq_u32 s68, 2
	s_cselect_b32 s6, -1, 0
	global_load_u16 v23, v[39:40], off
	s_cmp_eq_u32 s68, 1
	s_cselect_b32 s7, -1, 0
	s_cmp_eq_u32 s68, 0
	s_add_nc_u64 s[68:69], s[68:69], 1
	s_wait_loadcnt 0x0
	v_cvt_f32_f16_e32 v23, v23
	s_wait_alu 0xfffe
	s_delay_alu instid0(VALU_DEP_1)
	v_cndmask_b32_e32 v4, v4, v23, vcc_lo
	s_cselect_b32 vcc_lo, -1, 0
	s_wait_alu 0xfffe
	v_dual_cndmask_b32 v1, v1, v23 :: v_dual_add_nc_u32 v22, s10, v22
	v_cndmask_b32_e64 v3, v3, v23, s6
	v_cndmask_b32_e64 v2, v2, v23, s7
	s_cmp_eq_u32 s71, s68
	s_cbranch_scc0 .LBB414_43
.LBB414_44:                             ;   in Loop: Header=BB414_12 Depth=2
	s_and_not1_b32 vcc_lo, exec_lo, s34
	s_wait_alu 0xfffe
	s_cbranch_vccnz .LBB414_56
; %bb.45:                               ;   in Loop: Header=BB414_12 Depth=2
	s_ashr_i32 s9, s8, 31
	v_dual_mov_b32 v42, 0 :: v_dual_mov_b32 v41, 0
	s_wait_alu 0xfffe
	s_lshl_b64 s[6:7], s[8:9], 1
	v_dual_mov_b32 v40, 0 :: v_dual_mov_b32 v39, 0
	s_wait_alu 0xfffe
	v_add_co_u32 v22, vcc_lo, v37, s6
	s_wait_alu 0xfffd
	v_add_co_ci_u32_e64 v23, null, s7, v38, vcc_lo
	s_mov_b64 s[68:69], 0
.LBB414_46:                             ;   Parent Loop BB414_3 Depth=1
                                        ;     Parent Loop BB414_12 Depth=2
                                        ; =>    This Inner Loop Header: Depth=3
	s_wait_alu 0xfffe
	s_cmp_eq_u32 s68, 1
	s_cselect_b32 vcc_lo, -1, 0
	s_cmp_eq_u32 s68, 2
	s_wait_alu 0xfffe
	v_cndmask_b32_e32 v43, v1, v2, vcc_lo
	s_cselect_b32 vcc_lo, -1, 0
	s_cmp_eq_u32 s68, 3
	s_wait_alu 0xfffe
	s_delay_alu instid0(VALU_DEP_1)
	v_cndmask_b32_e32 v49, v43, v3, vcc_lo
	s_cselect_b32 vcc_lo, -1, 0
	s_add_co_i32 s6, s66, s68
	s_add_co_i32 s74, s64, s68
	s_wait_alu 0xfffe
	s_ashr_i32 s7, s6, 31
	s_add_co_i32 s76, s62, s68
	s_ashr_i32 s75, s74, 31
	s_wait_alu 0xfffe
	s_lshl_b64 s[6:7], s[6:7], 1
	s_ashr_i32 s77, s76, 31
	s_lshl_b64 s[74:75], s[74:75], 1
	s_wait_alu 0xfffe
	v_add_co_u32 v43, s6, v31, s6
	s_lshl_b64 s[76:77], s[76:77], 1
	v_add_co_ci_u32_e64 v44, null, s7, v32, s6
	v_add_co_u32 v45, s6, v31, s74
	s_wait_alu 0xf1ff
	v_add_co_ci_u32_e64 v46, null, s75, v32, s6
	s_wait_alu 0xfffe
	v_add_co_u32 v47, s6, v31, s76
	s_wait_alu 0xf1ff
	v_add_co_ci_u32_e64 v48, null, s77, v32, s6
	global_load_u16 v50, v[22:23], off
	s_clause 0x2
	global_load_u16 v43, v[43:44], off
	global_load_u16 v44, v[45:46], off
	;; [unrolled: 1-line block ×3, first 2 shown]
	v_cndmask_b32_e32 v46, v49, v4, vcc_lo
	v_add_co_u32 v22, s6, v22, 2
	s_wait_alu 0xf1ff
	v_add_co_ci_u32_e64 v23, null, 0, v23, s6
	s_add_nc_u64 s[68:69], s[68:69], 1
	s_wait_alu 0xfffe
	s_cmp_lg_u32 s71, s68
	s_wait_loadcnt 0x3
	v_fma_mix_f32 v42, v46, v50, v42 op_sel_hi:[0,1,0]
	s_wait_loadcnt 0x2
	v_fma_mix_f32 v41, v46, v43, v41 op_sel_hi:[0,1,0]
	;; [unrolled: 2-line block ×4, first 2 shown]
	s_cbranch_scc1 .LBB414_46
	s_branch .LBB414_57
.LBB414_47:                             ;   in Loop: Header=BB414_12 Depth=2
	ds_load_b32 v22, v26
	s_wait_alu 0xfffe
	s_or_b32 exec_lo, exec_lo, s6
	s_and_saveexec_b32 s6, s3
	s_cbranch_execz .LBB414_20
.LBB414_48:                             ;   in Loop: Header=BB414_12 Depth=2
	s_wait_dscnt 0x0
	ds_bpermute_b32 v23, v34, v22
	s_wait_dscnt 0x0
	v_add_f32_e32 v22, v22, v23
	ds_bpermute_b32 v23, v35, v22
	s_wait_dscnt 0x0
	v_add_f32_e32 v22, v22, v23
	ds_bpermute_b32 v23, v36, v22
	s_wait_dscnt 0x0
	v_add_f32_e32 v22, v22, v23
	s_wait_alu 0xfffe
	s_or_b32 exec_lo, exec_lo, s6
	s_and_saveexec_b32 s6, s3
	s_cbranch_execnz .LBB414_21
	s_branch .LBB414_22
.LBB414_49:                             ;   in Loop: Header=BB414_12 Depth=2
	ds_load_b32 v23, v26
	s_wait_alu 0xfffe
	s_or_b32 exec_lo, exec_lo, s6
	s_and_saveexec_b32 s6, s3
	s_cbranch_execz .LBB414_26
.LBB414_50:                             ;   in Loop: Header=BB414_12 Depth=2
	s_wait_dscnt 0x0
	ds_bpermute_b32 v41, v34, v23
	s_wait_dscnt 0x0
	v_add_f32_e32 v23, v23, v41
	ds_bpermute_b32 v41, v35, v23
	s_wait_dscnt 0x0
	v_add_f32_e32 v23, v23, v41
	;; [unrolled: 3-line block ×3, first 2 shown]
	s_wait_alu 0xfffe
	s_or_b32 exec_lo, exec_lo, s6
	s_and_saveexec_b32 s6, s3
	s_cbranch_execnz .LBB414_27
	s_branch .LBB414_28
.LBB414_51:                             ;   in Loop: Header=BB414_12 Depth=2
	ds_load_b32 v40, v26
	s_wait_alu 0xfffe
	s_or_b32 exec_lo, exec_lo, s6
	s_and_saveexec_b32 s6, s3
	s_cbranch_execz .LBB414_32
.LBB414_52:                             ;   in Loop: Header=BB414_12 Depth=2
	s_wait_dscnt 0x0
	ds_bpermute_b32 v41, v34, v40
	s_wait_dscnt 0x0
	v_add_f32_e32 v40, v40, v41
	ds_bpermute_b32 v41, v35, v40
	s_wait_dscnt 0x0
	v_add_f32_e32 v40, v40, v41
	;; [unrolled: 3-line block ×3, first 2 shown]
	s_wait_alu 0xfffe
	s_or_b32 exec_lo, exec_lo, s6
	s_and_saveexec_b32 s6, s3
	s_cbranch_execnz .LBB414_33
	s_branch .LBB414_34
.LBB414_53:                             ;   in Loop: Header=BB414_12 Depth=2
	ds_load_b32 v39, v26
	s_wait_alu 0xfffe
	s_or_b32 exec_lo, exec_lo, s6
	s_and_saveexec_b32 s6, s3
	s_cbranch_execz .LBB414_38
.LBB414_54:                             ;   in Loop: Header=BB414_12 Depth=2
	s_wait_dscnt 0x0
	ds_bpermute_b32 v41, v34, v39
	s_wait_dscnt 0x0
	v_add_f32_e32 v39, v39, v41
	ds_bpermute_b32 v41, v35, v39
	s_wait_dscnt 0x0
	v_add_f32_e32 v39, v39, v41
	;; [unrolled: 3-line block ×3, first 2 shown]
	s_wait_alu 0xfffe
	s_or_b32 exec_lo, exec_lo, s6
	s_and_saveexec_b32 s6, s0
	s_cbranch_execz .LBB414_11
.LBB414_55:                             ;   in Loop: Header=BB414_12 Depth=2
	s_mul_i32 s7, s29, s36
	v_mul_f32_e32 v22, v30, v22
	s_wait_alu 0xfffe
	s_add_co_i32 s40, s7, s30
	v_mul_f32_e32 v23, v30, v23
	s_wait_alu 0xfffe
	s_lshl_b64 s[68:69], s[40:41], 2
	s_add_co_i32 s40, s40, s36
	s_wait_alu 0xfffe
	s_add_nc_u64 s[68:69], s[60:61], s[68:69]
	s_lshl_b64 s[74:75], s[40:41], 2
	s_add_co_i32 s40, s40, s36
	s_wait_alu 0xfffe
	s_add_nc_u64 s[74:75], s[60:61], s[74:75]
	s_clause 0x1
	global_store_b32 v0, v22, s[68:69]
	global_store_b32 v0, v23, s[74:75]
	v_mul_f32_e32 v22, v30, v40
	s_lshl_b64 s[68:69], s[40:41], 2
	s_add_co_i32 s40, s40, s36
	s_wait_dscnt 0x0
	v_mul_f32_e32 v23, v30, v39
	s_wait_alu 0xfffe
	s_lshl_b64 s[74:75], s[40:41], 2
	s_add_nc_u64 s[68:69], s[60:61], s[68:69]
	s_wait_alu 0xfffe
	s_add_nc_u64 s[74:75], s[60:61], s[74:75]
	s_clause 0x1
	global_store_b32 v0, v22, s[68:69]
	global_store_b32 v0, v23, s[74:75]
	s_branch .LBB414_11
.LBB414_56:                             ;   in Loop: Header=BB414_12 Depth=2
	v_dual_mov_b32 v39, 0 :: v_dual_mov_b32 v40, 0
	v_dual_mov_b32 v41, 0 :: v_dual_mov_b32 v42, 0
.LBB414_57:                             ;   in Loop: Header=BB414_12 Depth=2
	s_wait_alu 0xfffe
	s_or_b32 exec_lo, exec_lo, s40
	s_delay_alu instid0(SALU_CYCLE_1)
	s_or_b32 exec_lo, exec_lo, s31
	s_and_saveexec_b32 s6, s3
	s_cbranch_execnz .LBB414_15
	s_branch .LBB414_16
.LBB414_58:                             ;   in Loop: Header=BB414_3 Depth=1
	v_mov_b32_e32 v3, v0
	v_dual_mov_b32 v1, v0 :: v_dual_mov_b32 v2, v0
	s_mov_b32 s29, 0
	s_delay_alu instid0(VALU_DEP_2) | instskip(NEXT) | instid1(VALU_DEP_2)
	v_mov_b32_e32 v4, v3
	v_mov_b32_e32 v3, v2
	s_delay_alu instid0(VALU_DEP_3)
	v_mov_b32_e32 v2, v1
	v_mov_b32_e32 v1, v0
.LBB414_59:                             ;   in Loop: Header=BB414_3 Depth=1
	s_cmp_ge_i32 s29, s35
	s_cbranch_scc1 .LBB414_2
; %bb.60:                               ;   in Loop: Header=BB414_3 Depth=1
	v_cmp_gt_u32_e32 vcc_lo, 24, v28
	s_wait_alu 0xfffe
	s_add_nc_u64 s[8:9], s[60:61], s[22:23]
	s_mov_b32 s40, s29
	s_wait_alu 0xfffd
	v_cndmask_b32_e64 v14, 0, 8, vcc_lo
	v_cmp_gt_u32_e32 vcc_lo, 28, v28
	s_delay_alu instid0(VALU_DEP_2) | instskip(SKIP_3) | instid1(VALU_DEP_2)
	v_add_lshl_u32 v33, v14, v28, 2
	s_wait_alu 0xfffd
	v_cndmask_b32_e64 v15, 0, 4, vcc_lo
	v_cmp_gt_u32_e32 vcc_lo, 30, v28
	v_add_lshl_u32 v34, v15, v28, 2
	s_wait_alu 0xfffd
	v_cndmask_b32_e64 v16, 0, 2, vcc_lo
	v_cmp_ne_u32_e32 vcc_lo, 31, v28
	s_delay_alu instid0(VALU_DEP_2)
	v_add_lshl_u32 v35, v16, v28, 2
	s_wait_alu 0xfffd
	v_add_co_ci_u32_e64 v17, null, 0, v28, vcc_lo
	v_add_co_u32 v14, vcc_lo, s56, v6
	s_wait_alu 0xfffd
	v_add_co_ci_u32_e64 v15, null, s57, v7, vcc_lo
	v_add_co_u32 v16, vcc_lo, s56, v8
	v_lshlrev_b32_e32 v36, 2, v17
	s_wait_alu 0xfffd
	v_add_co_ci_u32_e64 v17, null, s57, v9, vcc_lo
	v_add_co_u32 v18, vcc_lo, s56, v10
	s_wait_alu 0xfffd
	v_add_co_ci_u32_e64 v19, null, s57, v11, vcc_lo
	v_add_co_u32 v20, vcc_lo, s56, v12
	s_wait_alu 0xfffd
	v_add_co_ci_u32_e64 v21, null, s57, v13, vcc_lo
	v_add_co_u32 v37, vcc_lo, v24, s58
	s_wait_alu 0xfffd
	v_add_co_ci_u32_e64 v38, null, s59, v25, vcc_lo
	s_mul_i32 s58, s38, s29
	s_branch .LBB414_62
.LBB414_61:                             ;   in Loop: Header=BB414_62 Depth=2
	s_wait_alu 0xfffe
	s_or_b32 exec_lo, exec_lo, s6
	s_add_co_i32 s40, s40, 1
	s_add_co_i32 s58, s58, s38
	s_wait_alu 0xfffe
	s_cmp_ge_i32 s40, s35
	s_cbranch_scc1 .LBB414_2
.LBB414_62:                             ;   Parent Loop BB414_3 Depth=1
                                        ; =>  This Loop Header: Depth=2
                                        ;       Child Loop BB414_75 Depth 3
                                        ;       Child Loop BB414_78 Depth 3
	s_wait_dscnt 0x0
	v_mov_b32_e32 v39, s41
	s_and_saveexec_b32 s6, s1
	s_wait_alu 0xfffe
	s_xor_b32 s6, exec_lo, s6
	s_cbranch_execnz .LBB414_71
; %bb.63:                               ;   in Loop: Header=BB414_62 Depth=2
	s_wait_alu 0xfffe
	s_and_not1_saveexec_b32 s29, s6
	s_cbranch_execnz .LBB414_72
.LBB414_64:                             ;   in Loop: Header=BB414_62 Depth=2
	s_or_b32 exec_lo, exec_lo, s29
	s_and_saveexec_b32 s6, s3
.LBB414_65:                             ;   in Loop: Header=BB414_62 Depth=2
	ds_store_b32 v26, v0
.LBB414_66:                             ;   in Loop: Header=BB414_62 Depth=2
	s_wait_alu 0xfffe
	s_or_b32 exec_lo, exec_lo, s6
	ds_bpermute_b32 v22, v29, v39
	s_wait_storecnt 0x0
	s_wait_loadcnt_dscnt 0x0
	s_barrier_signal -1
	s_barrier_wait -1
	global_inv scope:SCOPE_SE
	v_add_f32_e32 v22, v39, v22
	ds_bpermute_b32 v23, v33, v22
	s_wait_dscnt 0x0
	v_add_f32_e32 v22, v22, v23
	ds_bpermute_b32 v23, v34, v22
	s_wait_dscnt 0x0
	;; [unrolled: 3-line block ×3, first 2 shown]
	v_add_f32_e32 v22, v22, v23
	ds_bpermute_b32 v23, v36, v22
	s_and_saveexec_b32 s6, s4
	s_cbranch_execz .LBB414_68
; %bb.67:                               ;   in Loop: Header=BB414_62 Depth=2
	s_wait_dscnt 0x0
	v_add_f32_e32 v22, v22, v23
	ds_store_b32 v27, v22
.LBB414_68:                             ;   in Loop: Header=BB414_62 Depth=2
	s_wait_alu 0xfffe
	s_or_b32 exec_lo, exec_lo, s6
	v_mov_b32_e32 v22, 0
	s_wait_loadcnt_dscnt 0x0
	s_barrier_signal -1
	s_barrier_wait -1
	global_inv scope:SCOPE_SE
	s_and_saveexec_b32 s6, s5
	s_cbranch_execnz .LBB414_80
; %bb.69:                               ;   in Loop: Header=BB414_62 Depth=2
	s_wait_alu 0xfffe
	s_or_b32 exec_lo, exec_lo, s6
	s_and_saveexec_b32 s6, s3
	s_cbranch_execnz .LBB414_81
.LBB414_70:                             ;   in Loop: Header=BB414_62 Depth=2
	s_wait_alu 0xfffe
	s_or_b32 exec_lo, exec_lo, s6
	s_and_saveexec_b32 s6, s0
	s_cbranch_execz .LBB414_61
	s_branch .LBB414_82
.LBB414_71:                             ;   in Loop: Header=BB414_62 Depth=2
	s_mul_i32 s60, s40, s38
	s_wait_alu 0xfffe
	s_ashr_i32 s61, s60, 31
	s_wait_alu 0xfffe
	s_lshl_b64 s[60:61], s[60:61], 1
	s_wait_alu 0xfffe
	v_add_co_u32 v1, vcc_lo, v31, s60
	s_wait_alu 0xfffd
	v_add_co_ci_u32_e64 v2, null, s61, v32, vcc_lo
	global_load_b64 v[22:23], v[1:2], off
	s_clause 0x3
	global_load_u16 v1, v[14:15], off
	global_load_u16 v2, v[16:17], off
	;; [unrolled: 1-line block ×4, first 2 shown]
	s_wait_loadcnt 0x3
	v_fma_mix_f32 v4, v1, v22, 0 op_sel_hi:[1,1,0]
	v_cvt_f32_f16_e32 v1, v1
	s_wait_loadcnt 0x2
	s_delay_alu instid0(VALU_DEP_2) | instskip(SKIP_2) | instid1(VALU_DEP_2)
	v_fma_mix_f32 v4, v2, v22, v4 op_sel:[0,1,0] op_sel_hi:[1,1,0]
	v_cvt_f32_f16_e32 v2, v2
	s_wait_loadcnt 0x1
	v_fma_mix_f32 v22, v3, v23, v4 op_sel_hi:[1,1,0]
	v_cvt_f32_f16_e32 v3, v3
	s_wait_loadcnt 0x0
	v_cvt_f32_f16_e32 v4, v39
	s_delay_alu instid0(VALU_DEP_3)
	v_fma_mix_f32 v39, v39, v23, v22 op_sel:[0,1,0] op_sel_hi:[1,1,0]
	s_and_not1_saveexec_b32 s29, s6
	s_cbranch_execz .LBB414_64
.LBB414_72:                             ;   in Loop: Header=BB414_62 Depth=2
	s_and_saveexec_b32 s31, s2
	s_cbranch_execz .LBB414_79
; %bb.73:                               ;   in Loop: Header=BB414_62 Depth=2
	s_and_not1_b32 vcc_lo, exec_lo, s34
	s_wait_alu 0xfffe
	s_cbranch_vccnz .LBB414_76
; %bb.74:                               ;   in Loop: Header=BB414_62 Depth=2
	v_mov_b32_e32 v22, v5
	s_mov_b64 s[60:61], 0
.LBB414_75:                             ;   Parent Loop BB414_3 Depth=1
                                        ;     Parent Loop BB414_62 Depth=2
                                        ; =>    This Inner Loop Header: Depth=3
	s_delay_alu instid0(VALU_DEP_1) | instskip(SKIP_2) | instid1(VALU_DEP_1)
	v_ashrrev_i32_e32 v23, 31, v22
	s_wait_alu 0xfffe
	s_cmp_eq_u32 s60, 3
	v_lshlrev_b64_e32 v[40:41], 1, v[22:23]
	s_delay_alu instid0(VALU_DEP_1) | instskip(SKIP_1) | instid1(VALU_DEP_2)
	v_add_co_u32 v40, vcc_lo, s56, v40
	s_wait_alu 0xfffd
	v_add_co_ci_u32_e64 v41, null, s57, v41, vcc_lo
	s_cselect_b32 vcc_lo, -1, 0
	s_cmp_eq_u32 s60, 2
	s_cselect_b32 s6, -1, 0
	global_load_u16 v23, v[40:41], off
	s_cmp_eq_u32 s60, 1
	s_cselect_b32 s7, -1, 0
	s_cmp_eq_u32 s60, 0
	s_add_nc_u64 s[60:61], s[60:61], 1
	s_wait_loadcnt 0x0
	v_cvt_f32_f16_e32 v23, v23
	s_wait_alu 0xfffe
	s_delay_alu instid0(VALU_DEP_1)
	v_cndmask_b32_e32 v4, v4, v23, vcc_lo
	s_cselect_b32 vcc_lo, -1, 0
	s_wait_alu 0xfffe
	v_dual_cndmask_b32 v1, v1, v23 :: v_dual_add_nc_u32 v22, s10, v22
	v_cndmask_b32_e64 v3, v3, v23, s6
	v_cndmask_b32_e64 v2, v2, v23, s7
	s_cmp_eq_u32 s71, s60
	s_cbranch_scc0 .LBB414_75
.LBB414_76:                             ;   in Loop: Header=BB414_62 Depth=2
	s_and_not1_b32 vcc_lo, exec_lo, s34
	s_wait_alu 0xfffe
	s_cbranch_vccnz .LBB414_79
; %bb.77:                               ;   in Loop: Header=BB414_62 Depth=2
	s_ashr_i32 s59, s58, 31
	s_wait_alu 0xfffe
	s_lshl_b64 s[6:7], s[58:59], 1
	s_wait_alu 0xfffe
	v_add_co_u32 v22, vcc_lo, v37, s6
	s_wait_alu 0xfffd
	v_add_co_ci_u32_e64 v23, null, s7, v38, vcc_lo
	s_mov_b64 s[6:7], 0
.LBB414_78:                             ;   Parent Loop BB414_3 Depth=1
                                        ;     Parent Loop BB414_62 Depth=2
                                        ; =>    This Inner Loop Header: Depth=3
	global_load_u16 v40, v[22:23], off
	s_wait_alu 0xfffe
	s_cmp_eq_u32 s6, 1
	s_cselect_b32 vcc_lo, -1, 0
	s_cmp_eq_u32 s6, 2
	s_wait_alu 0xfffe
	v_cndmask_b32_e32 v41, v1, v2, vcc_lo
	s_cselect_b32 vcc_lo, -1, 0
	s_cmp_eq_u32 s6, 3
	s_add_nc_u64 s[6:7], s[6:7], 1
	s_wait_alu 0xfffe
	v_cndmask_b32_e32 v41, v41, v3, vcc_lo
	s_cselect_b32 vcc_lo, -1, 0
	s_cmp_lg_u32 s71, s6
	s_wait_alu 0xfffe
	s_delay_alu instid0(VALU_DEP_1)
	v_cndmask_b32_e32 v41, v41, v4, vcc_lo
	v_add_co_u32 v22, vcc_lo, v22, 2
	s_wait_alu 0xfffd
	v_add_co_ci_u32_e64 v23, null, 0, v23, vcc_lo
	s_wait_loadcnt 0x0
	v_fma_mix_f32 v39, v41, v40, v39 op_sel_hi:[0,1,0]
	s_cbranch_scc1 .LBB414_78
.LBB414_79:                             ;   in Loop: Header=BB414_62 Depth=2
	s_or_b32 exec_lo, exec_lo, s31
	s_delay_alu instid0(SALU_CYCLE_1)
	s_or_b32 exec_lo, exec_lo, s29
	s_and_saveexec_b32 s6, s3
	s_cbranch_execnz .LBB414_65
	s_branch .LBB414_66
.LBB414_80:                             ;   in Loop: Header=BB414_62 Depth=2
	ds_load_b32 v22, v26
	s_wait_alu 0xfffe
	s_or_b32 exec_lo, exec_lo, s6
	s_and_saveexec_b32 s6, s3
	s_cbranch_execz .LBB414_70
.LBB414_81:                             ;   in Loop: Header=BB414_62 Depth=2
	s_wait_dscnt 0x0
	ds_bpermute_b32 v23, v34, v22
	s_wait_dscnt 0x0
	v_add_f32_e32 v22, v22, v23
	ds_bpermute_b32 v23, v35, v22
	s_wait_dscnt 0x0
	v_add_f32_e32 v22, v22, v23
	;; [unrolled: 3-line block ×3, first 2 shown]
	s_wait_alu 0xfffe
	s_or_b32 exec_lo, exec_lo, s6
	s_and_saveexec_b32 s6, s0
	s_cbranch_execz .LBB414_61
.LBB414_82:                             ;   in Loop: Header=BB414_62 Depth=2
	s_mul_u64 s[60:61], s[40:41], s[36:37]
	s_wait_dscnt 0x0
	v_mul_f32_e32 v22, v30, v22
	s_wait_alu 0xfffe
	s_lshl_b64 s[60:61], s[60:61], 2
	s_wait_alu 0xfffe
	s_add_nc_u64 s[60:61], s[8:9], s[60:61]
	global_store_b32 v0, v22, s[60:61]
	s_branch .LBB414_61
.LBB414_83:
	s_endpgm
	.section	.rodata,"a",@progbits
	.p2align	6, 0x0
	.amdhsa_kernel _ZL23rocblas_gemvt_sn_kernelILb1ELi256ELi4EiDF16_PKffEviiT4_lPKT3_lilS5_lilPT5_i
		.amdhsa_group_segment_fixed_size 128
		.amdhsa_private_segment_fixed_size 0
		.amdhsa_kernarg_size 360
		.amdhsa_user_sgpr_count 2
		.amdhsa_user_sgpr_dispatch_ptr 0
		.amdhsa_user_sgpr_queue_ptr 0
		.amdhsa_user_sgpr_kernarg_segment_ptr 1
		.amdhsa_user_sgpr_dispatch_id 0
		.amdhsa_user_sgpr_private_segment_size 0
		.amdhsa_wavefront_size32 1
		.amdhsa_uses_dynamic_stack 0
		.amdhsa_enable_private_segment 0
		.amdhsa_system_sgpr_workgroup_id_x 1
		.amdhsa_system_sgpr_workgroup_id_y 0
		.amdhsa_system_sgpr_workgroup_id_z 1
		.amdhsa_system_sgpr_workgroup_info 0
		.amdhsa_system_vgpr_workitem_id 0
		.amdhsa_next_free_vgpr 51
		.amdhsa_next_free_sgpr 78
		.amdhsa_reserve_vcc 1
		.amdhsa_float_round_mode_32 0
		.amdhsa_float_round_mode_16_64 0
		.amdhsa_float_denorm_mode_32 3
		.amdhsa_float_denorm_mode_16_64 3
		.amdhsa_fp16_overflow 0
		.amdhsa_workgroup_processor_mode 1
		.amdhsa_memory_ordered 1
		.amdhsa_forward_progress 1
		.amdhsa_inst_pref_size 37
		.amdhsa_round_robin_scheduling 0
		.amdhsa_exception_fp_ieee_invalid_op 0
		.amdhsa_exception_fp_denorm_src 0
		.amdhsa_exception_fp_ieee_div_zero 0
		.amdhsa_exception_fp_ieee_overflow 0
		.amdhsa_exception_fp_ieee_underflow 0
		.amdhsa_exception_fp_ieee_inexact 0
		.amdhsa_exception_int_div_zero 0
	.end_amdhsa_kernel
	.section	.text._ZL23rocblas_gemvt_sn_kernelILb1ELi256ELi4EiDF16_PKffEviiT4_lPKT3_lilS5_lilPT5_i,"axG",@progbits,_ZL23rocblas_gemvt_sn_kernelILb1ELi256ELi4EiDF16_PKffEviiT4_lPKT3_lilS5_lilPT5_i,comdat
.Lfunc_end414:
	.size	_ZL23rocblas_gemvt_sn_kernelILb1ELi256ELi4EiDF16_PKffEviiT4_lPKT3_lilS5_lilPT5_i, .Lfunc_end414-_ZL23rocblas_gemvt_sn_kernelILb1ELi256ELi4EiDF16_PKffEviiT4_lPKT3_lilS5_lilPT5_i
                                        ; -- End function
	.set _ZL23rocblas_gemvt_sn_kernelILb1ELi256ELi4EiDF16_PKffEviiT4_lPKT3_lilS5_lilPT5_i.num_vgpr, 51
	.set _ZL23rocblas_gemvt_sn_kernelILb1ELi256ELi4EiDF16_PKffEviiT4_lPKT3_lilS5_lilPT5_i.num_agpr, 0
	.set _ZL23rocblas_gemvt_sn_kernelILb1ELi256ELi4EiDF16_PKffEviiT4_lPKT3_lilS5_lilPT5_i.numbered_sgpr, 78
	.set _ZL23rocblas_gemvt_sn_kernelILb1ELi256ELi4EiDF16_PKffEviiT4_lPKT3_lilS5_lilPT5_i.num_named_barrier, 0
	.set _ZL23rocblas_gemvt_sn_kernelILb1ELi256ELi4EiDF16_PKffEviiT4_lPKT3_lilS5_lilPT5_i.private_seg_size, 0
	.set _ZL23rocblas_gemvt_sn_kernelILb1ELi256ELi4EiDF16_PKffEviiT4_lPKT3_lilS5_lilPT5_i.uses_vcc, 1
	.set _ZL23rocblas_gemvt_sn_kernelILb1ELi256ELi4EiDF16_PKffEviiT4_lPKT3_lilS5_lilPT5_i.uses_flat_scratch, 0
	.set _ZL23rocblas_gemvt_sn_kernelILb1ELi256ELi4EiDF16_PKffEviiT4_lPKT3_lilS5_lilPT5_i.has_dyn_sized_stack, 0
	.set _ZL23rocblas_gemvt_sn_kernelILb1ELi256ELi4EiDF16_PKffEviiT4_lPKT3_lilS5_lilPT5_i.has_recursion, 0
	.set _ZL23rocblas_gemvt_sn_kernelILb1ELi256ELi4EiDF16_PKffEviiT4_lPKT3_lilS5_lilPT5_i.has_indirect_call, 0
	.section	.AMDGPU.csdata,"",@progbits
; Kernel info:
; codeLenInByte = 4656
; TotalNumSgprs: 80
; NumVgprs: 51
; ScratchSize: 0
; MemoryBound: 0
; FloatMode: 240
; IeeeMode: 1
; LDSByteSize: 128 bytes/workgroup (compile time only)
; SGPRBlocks: 0
; VGPRBlocks: 6
; NumSGPRsForWavesPerEU: 80
; NumVGPRsForWavesPerEU: 51
; Occupancy: 16
; WaveLimiterHint : 0
; COMPUTE_PGM_RSRC2:SCRATCH_EN: 0
; COMPUTE_PGM_RSRC2:USER_SGPR: 2
; COMPUTE_PGM_RSRC2:TRAP_HANDLER: 0
; COMPUTE_PGM_RSRC2:TGID_X_EN: 1
; COMPUTE_PGM_RSRC2:TGID_Y_EN: 0
; COMPUTE_PGM_RSRC2:TGID_Z_EN: 1
; COMPUTE_PGM_RSRC2:TIDIG_COMP_CNT: 0
	.section	.text._ZL23rocblas_gemvt_sn_kernelILb1ELi256ELi4ElDF16_PKffEviiT4_lPKT3_lilS5_lilPT5_i,"axG",@progbits,_ZL23rocblas_gemvt_sn_kernelILb1ELi256ELi4ElDF16_PKffEviiT4_lPKT3_lilS5_lilPT5_i,comdat
	.globl	_ZL23rocblas_gemvt_sn_kernelILb1ELi256ELi4ElDF16_PKffEviiT4_lPKT3_lilS5_lilPT5_i ; -- Begin function _ZL23rocblas_gemvt_sn_kernelILb1ELi256ELi4ElDF16_PKffEviiT4_lPKT3_lilS5_lilPT5_i
	.p2align	8
	.type	_ZL23rocblas_gemvt_sn_kernelILb1ELi256ELi4ElDF16_PKffEviiT4_lPKT3_lilS5_lilPT5_i,@function
_ZL23rocblas_gemvt_sn_kernelILb1ELi256ELi4ElDF16_PKffEviiT4_lPKT3_lilS5_lilPT5_i: ; @_ZL23rocblas_gemvt_sn_kernelILb1ELi256ELi4ElDF16_PKffEviiT4_lPKT3_lilS5_lilPT5_i
; %bb.0:
	s_load_b32 s33, s[0:1], 0x60
	s_lshr_b32 s10, ttmp7, 16
	s_wait_kmcnt 0x0
	s_cmp_ge_u32 s10, s33
	s_cbranch_scc1 .LBB415_83
; %bb.1:
	s_clause 0x6
	s_load_b32 s30, s[0:1], 0x28
	s_load_b96 s[4:6], s[0:1], 0x40
	s_load_b256 s[12:19], s[0:1], 0x8
	s_load_b64 s[34:35], s[0:1], 0x0
	s_load_b128 s[20:23], s[0:1], 0x30
	s_load_b32 s36, s[0:1], 0x68
	s_load_b128 s[24:27], s[0:1], 0x50
	v_cmp_eq_u32_e64 s0, 0, v0
	v_mbcnt_lo_u32_b32 v33, -1, 0
	s_mov_b32 s29, 0
	s_mov_b32 s28, ttmp9
	s_mov_b32 s37, s29
	s_delay_alu instid0(VALU_DEP_1)
	v_lshl_or_b32 v34, v33, 2, 64
	s_wait_kmcnt 0x0
	s_ashr_i32 s31, s30, 31
	s_ashr_i32 s9, s6, 31
	s_lshl_b64 s[2:3], s[4:5], 1
	s_lshl_b64 s[4:5], s[18:19], 1
	s_ashr_i32 s39, s35, 31
	s_cmp_gt_i32 s35, 0
	s_add_nc_u64 s[18:19], s[22:23], s[2:3]
	s_cselect_b32 s1, -1, 0
	s_lshl_b32 s7, ttmp9, 10
	s_add_nc_u64 s[2:3], s[16:17], s[4:5]
	v_lshl_or_b32 v1, v0, 2, s7
	s_lshr_b32 s4, s39, 30
	s_ashr_i32 s5, s34, 31
	s_and_b32 s64, s0, s1
	s_add_co_i32 s1, s35, s4
	v_ashrrev_i32_e32 v2, 31, v1
	s_lshr_b32 s4, s5, 30
	s_and_b32 s65, s1, -4
	s_add_co_i32 s1, s34, s4
	v_add_nc_u32_e32 v4, 4, v1
	v_lshlrev_b64_e32 v[2:3], 1, v[1:2]
	s_and_b32 s1, s1, -4
	v_cmp_gt_u32_e64 s5, 8, v0
	s_sub_co_i32 s66, s34, s1
	v_cmp_ge_i32_e64 s1, s34, v4
	v_or_b32_e32 v4, 2, v1
	v_add_co_u32 v29, vcc_lo, s2, v2
	v_add_nc_u32_e32 v2, s66, v1
	v_add_co_ci_u32_e64 v30, null, s3, v3, vcc_lo
	v_and_b32_e32 v3, 31, v0
	v_cmp_gt_u32_e64 s3, 32, v0
	s_delay_alu instid0(VALU_DEP_4)
	v_cmp_ge_i32_e64 s2, s34, v2
	v_lshrrev_b32_e32 v2, 3, v0
	v_or_b32_e32 v0, 1, v1
	v_cmp_eq_u32_e64 s4, 0, v3
	v_lshlrev_b32_e32 v31, 2, v3
	v_mad_co_i64_i32 v[11:12], null, s6, v4, 0
	v_and_b32_e32 v32, 28, v2
	v_mad_co_i64_i32 v[2:3], null, s6, v1, 0
	v_mad_co_i64_i32 v[9:10], null, s6, v0, 0
	v_or_b32_e32 v0, 3, v1
	s_cmp_gt_i32 s65, 0
	s_mov_b32 s38, s35
	s_cselect_b32 s67, -1, 0
	s_delay_alu instid0(VALU_DEP_3)
	v_lshlrev_b64_e32 v[5:6], 1, v[2:3]
	v_mad_co_i64_i32 v[1:2], null, s6, v0, 0
	s_cmp_gt_i32 s66, 0
	v_lshlrev_b64_e32 v[9:10], 1, v[9:10]
	v_lshlrev_b64_e32 v[11:12], 1, v[11:12]
	v_add_co_u32 v7, vcc_lo, s18, v5
	s_wait_alu 0xfffd
	v_add_co_ci_u32_e64 v8, null, s19, v6, vcc_lo
	v_lshlrev_b64_e32 v[13:14], 1, v[1:2]
	v_mov_b32_e32 v0, 0
	s_mov_b32 s8, s6
	s_mul_u64 s[16:17], s[38:39], s[36:37]
	s_cselect_b32 s34, -1, 0
	s_lshl_b64 s[22:23], s[28:29], 2
	s_lshl_b64 s[40:41], s[16:17], 2
	s_add_nc_u64 s[38:39], s[26:27], s[22:23]
	s_lshl_b64 s[42:43], s[36:37], 2
	s_lshl_b64 s[44:45], s[24:25], 1
	;; [unrolled: 1-line block ×4, first 2 shown]
	s_mul_u64 s[50:51], s[30:31], 6
	s_lshl_b64 s[52:53], s[30:31], 3
	s_lshl_b64 s[54:55], s[30:31], 1
	;; [unrolled: 1-line block ×3, first 2 shown]
	s_branch .LBB415_3
.LBB415_2:                              ;   in Loop: Header=BB415_3 Depth=1
	s_add_co_i32 s10, s10, 0x10000
	s_wait_alu 0xfffe
	s_cmp_lt_u32 s10, s33
	s_cbranch_scc0 .LBB415_83
.LBB415_3:                              ; =>This Loop Header: Depth=1
                                        ;     Child Loop BB415_6 Depth 2
                                        ;     Child Loop BB415_12 Depth 2
                                        ;       Child Loop BB415_43 Depth 3
                                        ;       Child Loop BB415_46 Depth 3
                                        ;     Child Loop BB415_62 Depth 2
                                        ;       Child Loop BB415_75 Depth 3
                                        ;       Child Loop BB415_78 Depth 3
	s_mov_b32 s11, s29
	s_wait_alu 0xfffe
	s_mul_u64 s[6:7], s[14:15], s[10:11]
	s_wait_alu 0xfffe
	s_lshl_b64 s[6:7], s[6:7], 2
	s_wait_alu 0xfffe
	s_add_nc_u64 s[6:7], s[12:13], s[6:7]
	global_load_b32 v35, v0, s[6:7]
	s_mov_b32 s6, -1
	s_wait_loadcnt 0x0
	v_cmp_neq_f32_e32 vcc_lo, 0, v35
	s_cbranch_vccnz .LBB415_8
; %bb.4:                                ;   in Loop: Header=BB415_3 Depth=1
	s_and_saveexec_b32 s8, s64
	s_cbranch_execz .LBB415_7
; %bb.5:                                ;   in Loop: Header=BB415_3 Depth=1
	s_mul_u64 s[6:7], s[40:41], s[10:11]
	s_mov_b32 s9, s35
	s_wait_alu 0xfffe
	s_add_nc_u64 s[6:7], s[38:39], s[6:7]
.LBB415_6:                              ;   Parent Loop BB415_3 Depth=1
                                        ; =>  This Inner Loop Header: Depth=2
	s_add_co_i32 s9, s9, -1
	global_store_b32 v0, v0, s[6:7]
	s_wait_alu 0xfffe
	s_cmp_eq_u32 s9, 0
	s_add_nc_u64 s[6:7], s[6:7], s[42:43]
	s_cbranch_scc0 .LBB415_6
.LBB415_7:                              ;   in Loop: Header=BB415_3 Depth=1
	s_wait_alu 0xfffe
	s_or_b32 exec_lo, exec_lo, s8
	s_mov_b32 s6, 0
.LBB415_8:                              ;   in Loop: Header=BB415_3 Depth=1
	s_wait_alu 0xfffe
	s_and_not1_b32 vcc_lo, exec_lo, s6
	s_wait_alu 0xfffe
	s_cbranch_vccnz .LBB415_2
; %bb.9:                                ;   in Loop: Header=BB415_3 Depth=1
	v_mad_co_u64_u32 v[15:16], null, s44, s10, v[7:8]
	s_mul_u64 s[68:69], s[20:21], s[10:11]
	s_mul_u64 s[58:59], s[24:25], s[10:11]
	s_wait_alu 0xfffe
	s_lshl_b64 s[68:69], s[68:69], 1
	s_mul_u64 s[62:63], s[16:17], s[10:11]
	s_wait_alu 0xfffe
	v_add_co_u32 v36, vcc_lo, v29, s68
	v_mov_b32_e32 v1, v16
	s_lshl_b64 s[58:59], s[58:59], 1
	s_lshl_b64 s[70:71], s[62:63], 2
	v_cmp_gt_u32_e64 s7, 24, v33
	v_cmp_gt_u32_e64 s8, 28, v33
	v_mad_co_u64_u32 v[1:2], null, s45, s10, v[1:2]
	v_cmp_gt_u32_e64 s6, 30, v33
	s_wait_alu 0xfffd
	v_add_co_ci_u32_e64 v37, null, s69, v30, vcc_lo
	v_cmp_ne_u32_e64 s9, 31, v33
	s_add_nc_u64 s[62:63], s[18:19], s[58:59]
	s_add_nc_u64 s[58:59], s[26:27], s[70:71]
	v_mov_b32_e32 v16, v1
	s_mul_u64 s[60:61], s[48:49], s[10:11]
	s_and_not1_b32 vcc_lo, exec_lo, s67
	s_add_nc_u64 s[58:59], s[58:59], s[22:23]
	s_wait_alu 0xfffe
	s_cbranch_vccnz .LBB415_58
; %bb.10:                               ;   in Loop: Header=BB415_3 Depth=1
	v_cndmask_b32_e64 v3, 0, 2, s6
	v_add_co_u32 v17, vcc_lo, v29, s60
	s_wait_alu 0xfffd
	v_add_co_ci_u32_e64 v18, null, s61, v30, vcc_lo
	v_add_co_u32 v19, vcc_lo, s62, v5
	v_cndmask_b32_e64 v1, 0, 8, s7
	v_cndmask_b32_e64 v2, 0, 4, s8
	v_add_co_ci_u32_e64 v4, null, 0, v33, s9
	v_add_lshl_u32 v40, v3, v33, 2
	s_wait_alu 0xfffd
	v_add_co_ci_u32_e64 v20, null, s63, v6, vcc_lo
	v_add_co_u32 v21, vcc_lo, s62, v9
	v_mov_b32_e32 v3, v0
	s_wait_alu 0xfffd
	v_add_co_ci_u32_e64 v22, null, s63, v10, vcc_lo
	v_add_co_u32 v23, vcc_lo, s62, v11
	v_add_lshl_u32 v38, v1, v33, 2
	v_add_lshl_u32 v39, v2, v33, 2
	v_dual_mov_b32 v2, v0 :: v_dual_lshlrev_b32 v41, 2, v4
	s_wait_alu 0xfffd
	v_add_co_ci_u32_e64 v24, null, s63, v12, vcc_lo
	v_mov_b32_e32 v1, v0
	v_add_co_u32 v25, vcc_lo, s62, v13
	v_mov_b32_e32 v4, v3
	s_wait_alu 0xfffd
	v_add_co_ci_u32_e64 v26, null, s63, v14, vcc_lo
	v_mov_b32_e32 v3, v2
	v_mov_b32_e32 v2, v1
	;; [unrolled: 1-line block ×3, first 2 shown]
	s_mov_b32 s28, 0
	s_branch .LBB415_12
.LBB415_11:                             ;   in Loop: Header=BB415_12 Depth=2
	s_wait_alu 0xfffe
	s_or_b32 exec_lo, exec_lo, s6
	v_add_co_u32 v17, vcc_lo, v17, s52
	s_wait_alu 0xfffd
	v_add_co_ci_u32_e64 v18, null, s53, v18, vcc_lo
	s_add_co_i32 s28, s28, 4
	s_wait_alu 0xfffe
	s_cmp_ge_i32 s28, s65
	s_cbranch_scc1 .LBB415_59
.LBB415_12:                             ;   Parent Loop BB415_3 Depth=1
                                        ; =>  This Loop Header: Depth=2
                                        ;       Child Loop BB415_43 Depth 3
                                        ;       Child Loop BB415_46 Depth 3
                                        ; implicit-def: $vgpr42
                                        ; implicit-def: $vgpr43
                                        ; implicit-def: $vgpr44
                                        ; implicit-def: $vgpr45
	s_and_saveexec_b32 s6, s1
	s_wait_alu 0xfffe
	s_xor_b32 s6, exec_lo, s6
	s_cbranch_execnz .LBB415_39
; %bb.13:                               ;   in Loop: Header=BB415_12 Depth=2
	s_wait_alu 0xfffe
	s_and_not1_saveexec_b32 s11, s6
	s_cbranch_execnz .LBB415_40
.LBB415_14:                             ;   in Loop: Header=BB415_12 Depth=2
	s_wait_alu 0xfffe
	s_or_b32 exec_lo, exec_lo, s11
	s_and_saveexec_b32 s6, s3
.LBB415_15:                             ;   in Loop: Header=BB415_12 Depth=2
	ds_store_b32 v31, v0
.LBB415_16:                             ;   in Loop: Header=BB415_12 Depth=2
	s_wait_alu 0xfffe
	s_or_b32 exec_lo, exec_lo, s6
	s_wait_dscnt 0x0
	ds_bpermute_b32 v27, v34, v45
	s_wait_storecnt_dscnt 0x0
	s_barrier_signal -1
	s_barrier_wait -1
	global_inv scope:SCOPE_SE
	v_add_f32_e32 v27, v45, v27
	ds_bpermute_b32 v28, v38, v27
	s_wait_dscnt 0x0
	v_add_f32_e32 v27, v27, v28
	ds_bpermute_b32 v28, v39, v27
	s_wait_dscnt 0x0
	;; [unrolled: 3-line block ×3, first 2 shown]
	v_add_f32_e32 v27, v27, v28
	ds_bpermute_b32 v28, v41, v27
	s_and_saveexec_b32 s6, s4
	s_cbranch_execz .LBB415_18
; %bb.17:                               ;   in Loop: Header=BB415_12 Depth=2
	s_wait_dscnt 0x0
	v_add_f32_e32 v27, v27, v28
	ds_store_b32 v32, v27
.LBB415_18:                             ;   in Loop: Header=BB415_12 Depth=2
	s_wait_alu 0xfffe
	s_or_b32 exec_lo, exec_lo, s6
	v_mov_b32_e32 v27, 0
	s_wait_loadcnt_dscnt 0x0
	s_barrier_signal -1
	s_barrier_wait -1
	global_inv scope:SCOPE_SE
	s_and_saveexec_b32 s6, s5
	s_cbranch_execnz .LBB415_47
; %bb.19:                               ;   in Loop: Header=BB415_12 Depth=2
	s_wait_alu 0xfffe
	s_or_b32 exec_lo, exec_lo, s6
	s_and_saveexec_b32 s6, s3
	s_cbranch_execnz .LBB415_48
.LBB415_20:                             ;   in Loop: Header=BB415_12 Depth=2
	s_wait_alu 0xfffe
	s_or_b32 exec_lo, exec_lo, s6
	s_and_saveexec_b32 s6, s3
.LBB415_21:                             ;   in Loop: Header=BB415_12 Depth=2
	ds_store_b32 v31, v0
.LBB415_22:                             ;   in Loop: Header=BB415_12 Depth=2
	s_wait_alu 0xfffe
	s_or_b32 exec_lo, exec_lo, s6
	ds_bpermute_b32 v28, v34, v44
	s_wait_loadcnt_dscnt 0x0
	s_barrier_signal -1
	s_barrier_wait -1
	global_inv scope:SCOPE_SE
	v_add_f32_e32 v28, v44, v28
	ds_bpermute_b32 v44, v38, v28
	s_wait_dscnt 0x0
	v_add_f32_e32 v28, v28, v44
	ds_bpermute_b32 v44, v39, v28
	s_wait_dscnt 0x0
	;; [unrolled: 3-line block ×3, first 2 shown]
	v_add_f32_e32 v28, v28, v44
	ds_bpermute_b32 v44, v41, v28
	s_and_saveexec_b32 s6, s4
	s_cbranch_execz .LBB415_24
; %bb.23:                               ;   in Loop: Header=BB415_12 Depth=2
	s_wait_dscnt 0x0
	v_add_f32_e32 v28, v28, v44
	ds_store_b32 v32, v28
.LBB415_24:                             ;   in Loop: Header=BB415_12 Depth=2
	s_wait_alu 0xfffe
	s_or_b32 exec_lo, exec_lo, s6
	v_mov_b32_e32 v28, 0
	s_wait_loadcnt_dscnt 0x0
	s_barrier_signal -1
	s_barrier_wait -1
	global_inv scope:SCOPE_SE
	s_and_saveexec_b32 s6, s5
	s_cbranch_execnz .LBB415_49
; %bb.25:                               ;   in Loop: Header=BB415_12 Depth=2
	s_wait_alu 0xfffe
	s_or_b32 exec_lo, exec_lo, s6
	s_and_saveexec_b32 s6, s3
	s_cbranch_execnz .LBB415_50
.LBB415_26:                             ;   in Loop: Header=BB415_12 Depth=2
	s_wait_alu 0xfffe
	s_or_b32 exec_lo, exec_lo, s6
	s_and_saveexec_b32 s6, s3
.LBB415_27:                             ;   in Loop: Header=BB415_12 Depth=2
	ds_store_b32 v31, v0
.LBB415_28:                             ;   in Loop: Header=BB415_12 Depth=2
	s_wait_alu 0xfffe
	s_or_b32 exec_lo, exec_lo, s6
	ds_bpermute_b32 v44, v34, v43
	s_wait_loadcnt_dscnt 0x0
	s_barrier_signal -1
	s_barrier_wait -1
	global_inv scope:SCOPE_SE
	v_add_f32_e32 v43, v43, v44
	ds_bpermute_b32 v44, v38, v43
	s_wait_dscnt 0x0
	v_add_f32_e32 v43, v43, v44
	ds_bpermute_b32 v44, v39, v43
	s_wait_dscnt 0x0
	;; [unrolled: 3-line block ×3, first 2 shown]
	v_add_f32_e32 v43, v43, v44
	ds_bpermute_b32 v44, v41, v43
	s_and_saveexec_b32 s6, s4
	s_cbranch_execz .LBB415_30
; %bb.29:                               ;   in Loop: Header=BB415_12 Depth=2
	s_wait_dscnt 0x0
	v_add_f32_e32 v43, v43, v44
	ds_store_b32 v32, v43
.LBB415_30:                             ;   in Loop: Header=BB415_12 Depth=2
	s_wait_alu 0xfffe
	s_or_b32 exec_lo, exec_lo, s6
	v_mov_b32_e32 v43, 0
	s_wait_loadcnt_dscnt 0x0
	s_barrier_signal -1
	s_barrier_wait -1
	global_inv scope:SCOPE_SE
	s_and_saveexec_b32 s6, s5
	s_cbranch_execnz .LBB415_51
; %bb.31:                               ;   in Loop: Header=BB415_12 Depth=2
	s_wait_alu 0xfffe
	s_or_b32 exec_lo, exec_lo, s6
	s_and_saveexec_b32 s6, s3
	s_cbranch_execnz .LBB415_52
.LBB415_32:                             ;   in Loop: Header=BB415_12 Depth=2
	s_wait_alu 0xfffe
	s_or_b32 exec_lo, exec_lo, s6
	s_and_saveexec_b32 s6, s3
.LBB415_33:                             ;   in Loop: Header=BB415_12 Depth=2
	ds_store_b32 v31, v0
.LBB415_34:                             ;   in Loop: Header=BB415_12 Depth=2
	s_wait_alu 0xfffe
	s_or_b32 exec_lo, exec_lo, s6
	ds_bpermute_b32 v44, v34, v42
	s_wait_loadcnt_dscnt 0x0
	s_barrier_signal -1
	s_barrier_wait -1
	global_inv scope:SCOPE_SE
	v_add_f32_e32 v42, v42, v44
	ds_bpermute_b32 v44, v38, v42
	s_wait_dscnt 0x0
	v_add_f32_e32 v42, v42, v44
	ds_bpermute_b32 v44, v39, v42
	s_wait_dscnt 0x0
	v_add_f32_e32 v42, v42, v44
	ds_bpermute_b32 v44, v40, v42
	s_wait_dscnt 0x0
	v_add_f32_e32 v42, v42, v44
	ds_bpermute_b32 v44, v41, v42
	s_and_saveexec_b32 s6, s4
	s_cbranch_execz .LBB415_36
; %bb.35:                               ;   in Loop: Header=BB415_12 Depth=2
	s_wait_dscnt 0x0
	v_add_f32_e32 v42, v42, v44
	ds_store_b32 v32, v42
.LBB415_36:                             ;   in Loop: Header=BB415_12 Depth=2
	s_wait_alu 0xfffe
	s_or_b32 exec_lo, exec_lo, s6
	v_mov_b32_e32 v42, 0
	s_wait_loadcnt_dscnt 0x0
	s_barrier_signal -1
	s_barrier_wait -1
	global_inv scope:SCOPE_SE
	s_and_saveexec_b32 s6, s5
	s_cbranch_execnz .LBB415_53
; %bb.37:                               ;   in Loop: Header=BB415_12 Depth=2
	s_wait_alu 0xfffe
	s_or_b32 exec_lo, exec_lo, s6
	s_and_saveexec_b32 s6, s3
	s_cbranch_execnz .LBB415_54
.LBB415_38:                             ;   in Loop: Header=BB415_12 Depth=2
	s_wait_alu 0xfffe
	s_or_b32 exec_lo, exec_lo, s6
	s_and_saveexec_b32 s6, s0
	s_cbranch_execz .LBB415_11
	s_branch .LBB415_55
.LBB415_39:                             ;   in Loop: Header=BB415_12 Depth=2
	s_mul_u64 s[8:9], s[28:29], s[30:31]
	s_or_b32 s68, s28, 1
	s_mov_b32 s69, s29
	s_wait_alu 0xfffe
	s_lshl_b64 s[8:9], s[8:9], 1
	s_mul_u64 s[68:69], s[68:69], s[30:31]
	s_wait_alu 0xfffe
	v_add_co_u32 v1, vcc_lo, v36, s8
	s_wait_alu 0xfffd
	v_add_co_ci_u32_e64 v2, null, s9, v37, vcc_lo
	s_lshl_b64 s[8:9], s[68:69], 1
	s_or_b32 s68, s28, 2
	s_mov_b32 s69, s29
	s_wait_alu 0xfffe
	v_add_co_u32 v3, vcc_lo, v36, s8
	s_wait_alu 0xfffd
	v_add_co_ci_u32_e64 v4, null, s9, v37, vcc_lo
	s_mul_u64 s[8:9], s[68:69], s[30:31]
	s_or_b32 s68, s28, 3
	s_wait_alu 0xfffe
	s_lshl_b64 s[8:9], s[8:9], 1
	s_mul_u64 s[68:69], s[68:69], s[30:31]
	s_wait_dscnt 0x0
	s_wait_alu 0xfffe
	v_add_co_u32 v27, vcc_lo, v36, s8
	s_wait_alu 0xfffd
	v_add_co_ci_u32_e64 v28, null, s9, v37, vcc_lo
	s_lshl_b64 s[8:9], s[68:69], 1
	s_wait_alu 0xfffe
	v_add_co_u32 v42, vcc_lo, v36, s8
	s_wait_alu 0xfffd
	v_add_co_ci_u32_e64 v43, null, s9, v37, vcc_lo
	global_load_u16 v50, v[19:20], off
	s_clause 0x3
	global_load_b64 v[44:45], v[1:2], off
	global_load_b64 v[46:47], v[3:4], off
	;; [unrolled: 1-line block ×4, first 2 shown]
	s_clause 0x2
	global_load_u16 v3, v[21:22], off
	global_load_u16 v4, v[23:24], off
	;; [unrolled: 1-line block ×3, first 2 shown]
	s_wait_loadcnt 0x7
	v_cvt_f32_f16_e32 v1, v50
	s_wait_loadcnt 0x6
	v_fma_mix_f32 v43, v50, v44, 0 op_sel_hi:[1,1,0]
	s_wait_loadcnt 0x5
	v_fma_mix_f32 v51, v50, v46, 0 op_sel_hi:[1,1,0]
	s_wait_loadcnt 0x4
	v_fma_mix_f32 v52, v50, v27, 0 op_sel_hi:[1,1,0]
	s_wait_loadcnt 0x3
	v_fma_mix_f32 v50, v48, v50, 0 op_sel_hi:[1,1,0]
	s_wait_loadcnt 0x2
	v_cvt_f32_f16_e32 v2, v3
	v_fma_mix_f32 v43, v3, v44, v43 op_sel:[0,1,0] op_sel_hi:[1,1,0]
	v_fma_mix_f32 v44, v3, v46, v51 op_sel:[0,1,0] op_sel_hi:[1,1,0]
	;; [unrolled: 1-line block ×4, first 2 shown]
	s_wait_loadcnt 0x1
	v_cvt_f32_f16_e32 v3, v4
	v_fma_mix_f32 v43, v4, v45, v43 op_sel_hi:[1,1,0]
	v_fma_mix_f32 v44, v4, v47, v44 op_sel_hi:[1,1,0]
	;; [unrolled: 1-line block ×4, first 2 shown]
	s_wait_loadcnt 0x0
	v_cvt_f32_f16_e32 v4, v42
	v_fma_mix_f32 v45, v42, v45, v43 op_sel:[0,1,0] op_sel_hi:[1,1,0]
	v_fma_mix_f32 v44, v42, v47, v44 op_sel:[0,1,0] op_sel_hi:[1,1,0]
	;; [unrolled: 1-line block ×4, first 2 shown]
	s_and_not1_saveexec_b32 s11, s6
	s_cbranch_execz .LBB415_14
.LBB415_40:                             ;   in Loop: Header=BB415_12 Depth=2
	s_wait_dscnt 0x0
	v_dual_mov_b32 v42, 0 :: v_dual_mov_b32 v43, 0
	v_dual_mov_b32 v44, 0 :: v_dual_mov_b32 v45, 0
	s_and_saveexec_b32 s68, s2
	s_cbranch_execz .LBB415_57
; %bb.41:                               ;   in Loop: Header=BB415_12 Depth=2
	s_and_not1_b32 vcc_lo, exec_lo, s34
	s_wait_alu 0xfffe
	s_cbranch_vccnz .LBB415_44
; %bb.42:                               ;   in Loop: Header=BB415_12 Depth=2
	v_dual_mov_b32 v28, v16 :: v_dual_mov_b32 v27, v15
	s_mov_b64 s[8:9], 0
.LBB415_43:                             ;   Parent Loop BB415_3 Depth=1
                                        ;     Parent Loop BB415_12 Depth=2
                                        ; =>    This Inner Loop Header: Depth=3
	global_load_u16 v42, v[27:28], off
	s_wait_alu 0xfffe
	s_cmp_eq_u32 s8, 3
	v_add_co_u32 v27, vcc_lo, v27, s46
	s_wait_alu 0xfffd
	v_add_co_ci_u32_e64 v28, null, s47, v28, vcc_lo
	s_cselect_b32 vcc_lo, -1, 0
	s_cmp_eq_u32 s8, 2
	s_cselect_b32 s6, -1, 0
	s_cmp_eq_u32 s8, 1
	s_cselect_b32 s7, -1, 0
	s_cmp_eq_u32 s8, 0
	s_add_nc_u64 s[8:9], s[8:9], 1
	s_wait_loadcnt 0x0
	v_cvt_f32_f16_e32 v42, v42
	s_wait_alu 0xfffe
	s_delay_alu instid0(VALU_DEP_1)
	v_cndmask_b32_e32 v4, v4, v42, vcc_lo
	s_cselect_b32 vcc_lo, -1, 0
	v_cndmask_b32_e64 v3, v3, v42, s6
	v_cndmask_b32_e64 v2, v2, v42, s7
	s_wait_alu 0xfffe
	v_cndmask_b32_e32 v1, v1, v42, vcc_lo
	s_cmp_eq_u32 s66, s8
	s_cbranch_scc0 .LBB415_43
.LBB415_44:                             ;   in Loop: Header=BB415_12 Depth=2
	s_and_not1_b32 vcc_lo, exec_lo, s34
	s_wait_alu 0xfffe
	s_cbranch_vccnz .LBB415_56
; %bb.45:                               ;   in Loop: Header=BB415_12 Depth=2
	v_dual_mov_b32 v45, 0 :: v_dual_mov_b32 v28, v18
	v_dual_mov_b32 v27, v17 :: v_dual_mov_b32 v44, 0
	;; [unrolled: 1-line block ×3, first 2 shown]
	s_mov_b64 s[8:9], 0
.LBB415_46:                             ;   Parent Loop BB415_3 Depth=1
                                        ;     Parent Loop BB415_12 Depth=2
                                        ; =>    This Inner Loop Header: Depth=3
	s_delay_alu instid0(VALU_DEP_2)
	v_add_co_u32 v46, vcc_lo, v27, s54
	s_wait_alu 0xfffd
	v_add_co_ci_u32_e64 v47, null, s55, v28, vcc_lo
	v_add_co_u32 v48, vcc_lo, v27, s56
	s_wait_alu 0xfffd
	v_add_co_ci_u32_e64 v49, null, s57, v28, vcc_lo
	v_add_co_u32 v50, vcc_lo, v27, s50
	s_wait_alu 0xfffd
	v_add_co_ci_u32_e64 v51, null, s51, v28, vcc_lo
	s_clause 0x3
	global_load_u16 v52, v[27:28], off
	global_load_u16 v46, v[46:47], off
	;; [unrolled: 1-line block ×4, first 2 shown]
	s_wait_alu 0xfffe
	s_cmp_eq_u32 s8, 1
	v_add_co_u32 v27, s6, v27, 2
	s_cselect_b32 vcc_lo, -1, 0
	s_cmp_eq_u32 s8, 2
	s_wait_alu 0xfffe
	v_cndmask_b32_e32 v49, v1, v2, vcc_lo
	s_cselect_b32 vcc_lo, -1, 0
	s_cmp_eq_u32 s8, 3
	v_add_co_ci_u32_e64 v28, null, 0, v28, s6
	s_wait_alu 0xfffe
	v_cndmask_b32_e32 v49, v49, v3, vcc_lo
	s_cselect_b32 vcc_lo, -1, 0
	s_add_nc_u64 s[8:9], s[8:9], 1
	s_wait_alu 0xfffe
	s_cmp_lg_u32 s66, s8
	v_cndmask_b32_e32 v49, v49, v4, vcc_lo
	s_wait_loadcnt 0x3
	s_delay_alu instid0(VALU_DEP_1)
	v_fma_mix_f32 v45, v49, v52, v45 op_sel_hi:[0,1,0]
	s_wait_loadcnt 0x2
	v_fma_mix_f32 v44, v49, v46, v44 op_sel_hi:[0,1,0]
	s_wait_loadcnt 0x1
	;; [unrolled: 2-line block ×3, first 2 shown]
	v_fma_mix_f32 v42, v49, v48, v42 op_sel_hi:[0,1,0]
	s_cbranch_scc1 .LBB415_46
	s_branch .LBB415_57
.LBB415_47:                             ;   in Loop: Header=BB415_12 Depth=2
	ds_load_b32 v27, v31
	s_wait_alu 0xfffe
	s_or_b32 exec_lo, exec_lo, s6
	s_and_saveexec_b32 s6, s3
	s_cbranch_execz .LBB415_20
.LBB415_48:                             ;   in Loop: Header=BB415_12 Depth=2
	s_wait_dscnt 0x0
	ds_bpermute_b32 v28, v39, v27
	s_wait_dscnt 0x0
	v_add_f32_e32 v27, v27, v28
	ds_bpermute_b32 v28, v40, v27
	s_wait_dscnt 0x0
	v_add_f32_e32 v27, v27, v28
	;; [unrolled: 3-line block ×3, first 2 shown]
	s_wait_alu 0xfffe
	s_or_b32 exec_lo, exec_lo, s6
	s_and_saveexec_b32 s6, s3
	s_cbranch_execnz .LBB415_21
	s_branch .LBB415_22
.LBB415_49:                             ;   in Loop: Header=BB415_12 Depth=2
	ds_load_b32 v28, v31
	s_wait_alu 0xfffe
	s_or_b32 exec_lo, exec_lo, s6
	s_and_saveexec_b32 s6, s3
	s_cbranch_execz .LBB415_26
.LBB415_50:                             ;   in Loop: Header=BB415_12 Depth=2
	s_wait_dscnt 0x0
	ds_bpermute_b32 v44, v39, v28
	s_wait_dscnt 0x0
	v_add_f32_e32 v28, v28, v44
	ds_bpermute_b32 v44, v40, v28
	s_wait_dscnt 0x0
	v_add_f32_e32 v28, v28, v44
	;; [unrolled: 3-line block ×3, first 2 shown]
	s_wait_alu 0xfffe
	s_or_b32 exec_lo, exec_lo, s6
	s_and_saveexec_b32 s6, s3
	s_cbranch_execnz .LBB415_27
	s_branch .LBB415_28
.LBB415_51:                             ;   in Loop: Header=BB415_12 Depth=2
	ds_load_b32 v43, v31
	s_wait_alu 0xfffe
	s_or_b32 exec_lo, exec_lo, s6
	s_and_saveexec_b32 s6, s3
	s_cbranch_execz .LBB415_32
.LBB415_52:                             ;   in Loop: Header=BB415_12 Depth=2
	s_wait_dscnt 0x0
	ds_bpermute_b32 v44, v39, v43
	s_wait_dscnt 0x0
	v_add_f32_e32 v43, v43, v44
	ds_bpermute_b32 v44, v40, v43
	s_wait_dscnt 0x0
	v_add_f32_e32 v43, v43, v44
	;; [unrolled: 3-line block ×3, first 2 shown]
	s_wait_alu 0xfffe
	s_or_b32 exec_lo, exec_lo, s6
	s_and_saveexec_b32 s6, s3
	s_cbranch_execnz .LBB415_33
	s_branch .LBB415_34
.LBB415_53:                             ;   in Loop: Header=BB415_12 Depth=2
	ds_load_b32 v42, v31
	s_wait_alu 0xfffe
	s_or_b32 exec_lo, exec_lo, s6
	s_and_saveexec_b32 s6, s3
	s_cbranch_execz .LBB415_38
.LBB415_54:                             ;   in Loop: Header=BB415_12 Depth=2
	s_wait_dscnt 0x0
	ds_bpermute_b32 v44, v39, v42
	s_wait_dscnt 0x0
	v_add_f32_e32 v42, v42, v44
	ds_bpermute_b32 v44, v40, v42
	s_wait_dscnt 0x0
	v_add_f32_e32 v42, v42, v44
	;; [unrolled: 3-line block ×3, first 2 shown]
	s_wait_alu 0xfffe
	s_or_b32 exec_lo, exec_lo, s6
	s_and_saveexec_b32 s6, s0
	s_cbranch_execz .LBB415_11
.LBB415_55:                             ;   in Loop: Header=BB415_12 Depth=2
	s_mul_u64 s[8:9], s[28:29], s[36:37]
	v_mul_f32_e32 v27, v35, v27
	s_or_b32 s68, s28, 1
	s_mov_b32 s69, s29
	s_wait_alu 0xfffe
	s_lshl_b64 s[8:9], s[8:9], 2
	s_mul_u64 s[68:69], s[68:69], s[36:37]
	s_wait_alu 0xfffe
	s_add_nc_u64 s[8:9], s[58:59], s[8:9]
	v_mul_f32_e32 v28, v35, v28
	s_or_b32 s70, s28, 2
	s_mov_b32 s71, s29
	global_store_b32 v0, v27, s[8:9]
	s_lshl_b64 s[8:9], s[68:69], 2
	s_mul_u64 s[68:69], s[70:71], s[36:37]
	s_or_b32 s70, s28, 3
	s_wait_alu 0xfffe
	s_add_nc_u64 s[8:9], s[58:59], s[8:9]
	s_mul_u64 s[70:71], s[70:71], s[36:37]
	v_mul_f32_e32 v27, v35, v43
	global_store_b32 v0, v28, s[8:9]
	s_lshl_b64 s[8:9], s[68:69], 2
	s_wait_dscnt 0x0
	v_mul_f32_e32 v28, v35, v42
	s_lshl_b64 s[68:69], s[70:71], 2
	s_wait_alu 0xfffe
	s_add_nc_u64 s[8:9], s[58:59], s[8:9]
	s_add_nc_u64 s[68:69], s[58:59], s[68:69]
	s_clause 0x1
	global_store_b32 v0, v27, s[8:9]
	global_store_b32 v0, v28, s[68:69]
	s_branch .LBB415_11
.LBB415_56:                             ;   in Loop: Header=BB415_12 Depth=2
	v_dual_mov_b32 v42, 0 :: v_dual_mov_b32 v43, 0
	v_dual_mov_b32 v44, 0 :: v_dual_mov_b32 v45, 0
.LBB415_57:                             ;   in Loop: Header=BB415_12 Depth=2
	s_wait_alu 0xfffe
	s_or_b32 exec_lo, exec_lo, s68
	s_delay_alu instid0(SALU_CYCLE_1)
	s_or_b32 exec_lo, exec_lo, s11
	s_and_saveexec_b32 s6, s3
	s_cbranch_execnz .LBB415_15
	s_branch .LBB415_16
.LBB415_58:                             ;   in Loop: Header=BB415_3 Depth=1
	v_mov_b32_e32 v3, v0
	v_dual_mov_b32 v1, v0 :: v_dual_mov_b32 v2, v0
	s_mov_b32 s28, 0
	s_delay_alu instid0(VALU_DEP_2) | instskip(NEXT) | instid1(VALU_DEP_2)
	v_mov_b32_e32 v4, v3
	v_mov_b32_e32 v3, v2
	s_delay_alu instid0(VALU_DEP_3)
	v_mov_b32_e32 v2, v1
	v_mov_b32_e32 v1, v0
.LBB415_59:                             ;   in Loop: Header=BB415_3 Depth=1
	s_wait_alu 0xfffe
	s_cmp_ge_i32 s28, s35
	s_cbranch_scc1 .LBB415_2
; %bb.60:                               ;   in Loop: Header=BB415_3 Depth=1
	v_cmp_gt_u32_e32 vcc_lo, 24, v33
	s_mul_u64 s[6:7], s[54:55], s[28:29]
	s_wait_alu 0xfffe
	s_add_nc_u64 s[6:7], s[6:7], s[60:61]
	s_wait_alu 0xfffd
	v_cndmask_b32_e64 v17, 0, 8, vcc_lo
	v_cmp_gt_u32_e32 vcc_lo, 28, v33
	s_delay_alu instid0(VALU_DEP_2) | instskip(SKIP_3) | instid1(VALU_DEP_2)
	v_add_lshl_u32 v38, v17, v33, 2
	s_wait_alu 0xfffd
	v_cndmask_b32_e64 v18, 0, 4, vcc_lo
	v_cmp_gt_u32_e32 vcc_lo, 30, v33
	v_add_lshl_u32 v39, v18, v33, 2
	s_wait_alu 0xfffd
	v_cndmask_b32_e64 v19, 0, 2, vcc_lo
	v_cmp_ne_u32_e32 vcc_lo, 31, v33
	s_delay_alu instid0(VALU_DEP_2)
	v_add_lshl_u32 v40, v19, v33, 2
	s_wait_alu 0xfffd
	v_add_co_ci_u32_e64 v20, null, 0, v33, vcc_lo
	v_add_co_u32 v17, vcc_lo, s62, v5
	s_wait_alu 0xfffd
	v_add_co_ci_u32_e64 v18, null, s63, v6, vcc_lo
	v_add_co_u32 v19, vcc_lo, s62, v9
	v_lshlrev_b32_e32 v41, 2, v20
	s_wait_alu 0xfffd
	v_add_co_ci_u32_e64 v20, null, s63, v10, vcc_lo
	v_add_co_u32 v21, vcc_lo, s62, v11
	s_wait_alu 0xfffd
	v_add_co_ci_u32_e64 v22, null, s63, v12, vcc_lo
	v_add_co_u32 v23, vcc_lo, s62, v13
	s_wait_alu 0xfffd
	v_add_co_ci_u32_e64 v24, null, s63, v14, vcc_lo
	s_wait_alu 0xfffe
	v_add_co_u32 v25, vcc_lo, v29, s6
	s_wait_alu 0xfffd
	v_add_co_ci_u32_e64 v26, null, s7, v30, vcc_lo
	s_branch .LBB415_62
.LBB415_61:                             ;   in Loop: Header=BB415_62 Depth=2
	s_wait_alu 0xfffe
	s_or_b32 exec_lo, exec_lo, s6
	v_add_co_u32 v25, vcc_lo, v25, s54
	s_wait_alu 0xfffd
	v_add_co_ci_u32_e64 v26, null, s55, v26, vcc_lo
	s_add_co_i32 s28, s28, 1
	s_wait_alu 0xfffe
	s_cmp_ge_i32 s28, s35
	s_cbranch_scc1 .LBB415_2
.LBB415_62:                             ;   Parent Loop BB415_3 Depth=1
                                        ; =>  This Loop Header: Depth=2
                                        ;       Child Loop BB415_75 Depth 3
                                        ;       Child Loop BB415_78 Depth 3
	s_wait_dscnt 0x0
	v_mov_b32_e32 v42, s29
	s_and_saveexec_b32 s6, s1
	s_wait_alu 0xfffe
	s_xor_b32 s6, exec_lo, s6
	s_cbranch_execnz .LBB415_71
; %bb.63:                               ;   in Loop: Header=BB415_62 Depth=2
	s_wait_alu 0xfffe
	s_and_not1_saveexec_b32 s11, s6
	s_cbranch_execnz .LBB415_72
.LBB415_64:                             ;   in Loop: Header=BB415_62 Depth=2
	s_wait_alu 0xfffe
	s_or_b32 exec_lo, exec_lo, s11
	s_and_saveexec_b32 s6, s3
.LBB415_65:                             ;   in Loop: Header=BB415_62 Depth=2
	ds_store_b32 v31, v0
.LBB415_66:                             ;   in Loop: Header=BB415_62 Depth=2
	s_wait_alu 0xfffe
	s_or_b32 exec_lo, exec_lo, s6
	ds_bpermute_b32 v27, v34, v42
	s_wait_storecnt 0x0
	s_wait_loadcnt_dscnt 0x0
	s_barrier_signal -1
	s_barrier_wait -1
	global_inv scope:SCOPE_SE
	v_add_f32_e32 v27, v42, v27
	ds_bpermute_b32 v28, v38, v27
	s_wait_dscnt 0x0
	v_add_f32_e32 v27, v27, v28
	ds_bpermute_b32 v28, v39, v27
	s_wait_dscnt 0x0
	;; [unrolled: 3-line block ×3, first 2 shown]
	v_add_f32_e32 v27, v27, v28
	ds_bpermute_b32 v28, v41, v27
	s_and_saveexec_b32 s6, s4
	s_cbranch_execz .LBB415_68
; %bb.67:                               ;   in Loop: Header=BB415_62 Depth=2
	s_wait_dscnt 0x0
	v_add_f32_e32 v27, v27, v28
	ds_store_b32 v32, v27
.LBB415_68:                             ;   in Loop: Header=BB415_62 Depth=2
	s_wait_alu 0xfffe
	s_or_b32 exec_lo, exec_lo, s6
	v_mov_b32_e32 v27, 0
	s_wait_loadcnt_dscnt 0x0
	s_barrier_signal -1
	s_barrier_wait -1
	global_inv scope:SCOPE_SE
	s_and_saveexec_b32 s6, s5
	s_cbranch_execnz .LBB415_80
; %bb.69:                               ;   in Loop: Header=BB415_62 Depth=2
	s_wait_alu 0xfffe
	s_or_b32 exec_lo, exec_lo, s6
	s_and_saveexec_b32 s6, s3
	s_cbranch_execnz .LBB415_81
.LBB415_70:                             ;   in Loop: Header=BB415_62 Depth=2
	s_wait_alu 0xfffe
	s_or_b32 exec_lo, exec_lo, s6
	s_and_saveexec_b32 s6, s0
	s_cbranch_execz .LBB415_61
	s_branch .LBB415_82
.LBB415_71:                             ;   in Loop: Header=BB415_62 Depth=2
	s_mul_u64 s[8:9], s[28:29], s[30:31]
	s_wait_alu 0xfffe
	s_lshl_b64 s[8:9], s[8:9], 1
	s_wait_alu 0xfffe
	v_add_co_u32 v1, vcc_lo, v36, s8
	s_wait_alu 0xfffd
	v_add_co_ci_u32_e64 v2, null, s9, v37, vcc_lo
	global_load_b64 v[27:28], v[1:2], off
	s_clause 0x3
	global_load_u16 v1, v[17:18], off
	global_load_u16 v2, v[19:20], off
	;; [unrolled: 1-line block ×4, first 2 shown]
	s_wait_loadcnt 0x3
	v_fma_mix_f32 v4, v1, v27, 0 op_sel_hi:[1,1,0]
	v_cvt_f32_f16_e32 v1, v1
	s_wait_loadcnt 0x2
	s_delay_alu instid0(VALU_DEP_2) | instskip(SKIP_2) | instid1(VALU_DEP_2)
	v_fma_mix_f32 v4, v2, v27, v4 op_sel:[0,1,0] op_sel_hi:[1,1,0]
	v_cvt_f32_f16_e32 v2, v2
	s_wait_loadcnt 0x1
	v_fma_mix_f32 v27, v3, v28, v4 op_sel_hi:[1,1,0]
	v_cvt_f32_f16_e32 v3, v3
	s_wait_loadcnt 0x0
	v_cvt_f32_f16_e32 v4, v42
	s_delay_alu instid0(VALU_DEP_3)
	v_fma_mix_f32 v42, v42, v28, v27 op_sel:[0,1,0] op_sel_hi:[1,1,0]
	s_and_not1_saveexec_b32 s11, s6
	s_cbranch_execz .LBB415_64
.LBB415_72:                             ;   in Loop: Header=BB415_62 Depth=2
	s_and_saveexec_b32 s60, s2
	s_cbranch_execz .LBB415_79
; %bb.73:                               ;   in Loop: Header=BB415_62 Depth=2
	s_and_not1_b32 vcc_lo, exec_lo, s34
	s_wait_alu 0xfffe
	s_cbranch_vccnz .LBB415_76
; %bb.74:                               ;   in Loop: Header=BB415_62 Depth=2
	v_dual_mov_b32 v28, v16 :: v_dual_mov_b32 v27, v15
	s_mov_b64 s[8:9], 0
.LBB415_75:                             ;   Parent Loop BB415_3 Depth=1
                                        ;     Parent Loop BB415_62 Depth=2
                                        ; =>    This Inner Loop Header: Depth=3
	global_load_u16 v43, v[27:28], off
	s_wait_alu 0xfffe
	s_cmp_eq_u32 s8, 3
	v_add_co_u32 v27, vcc_lo, v27, s46
	s_wait_alu 0xfffd
	v_add_co_ci_u32_e64 v28, null, s47, v28, vcc_lo
	s_cselect_b32 vcc_lo, -1, 0
	s_cmp_eq_u32 s8, 2
	s_cselect_b32 s6, -1, 0
	s_cmp_eq_u32 s8, 1
	s_cselect_b32 s7, -1, 0
	s_cmp_eq_u32 s8, 0
	s_add_nc_u64 s[8:9], s[8:9], 1
	s_wait_loadcnt 0x0
	v_cvt_f32_f16_e32 v43, v43
	s_wait_alu 0xfffe
	s_delay_alu instid0(VALU_DEP_1)
	v_cndmask_b32_e32 v4, v4, v43, vcc_lo
	s_cselect_b32 vcc_lo, -1, 0
	v_cndmask_b32_e64 v3, v3, v43, s6
	v_cndmask_b32_e64 v2, v2, v43, s7
	s_wait_alu 0xfffe
	v_cndmask_b32_e32 v1, v1, v43, vcc_lo
	s_cmp_eq_u32 s66, s8
	s_cbranch_scc0 .LBB415_75
.LBB415_76:                             ;   in Loop: Header=BB415_62 Depth=2
	s_and_not1_b32 vcc_lo, exec_lo, s34
	s_wait_alu 0xfffe
	s_cbranch_vccnz .LBB415_79
; %bb.77:                               ;   in Loop: Header=BB415_62 Depth=2
	v_dual_mov_b32 v28, v26 :: v_dual_mov_b32 v27, v25
	s_mov_b64 s[6:7], 0
.LBB415_78:                             ;   Parent Loop BB415_3 Depth=1
                                        ;     Parent Loop BB415_62 Depth=2
                                        ; =>    This Inner Loop Header: Depth=3
	global_load_u16 v43, v[27:28], off
	s_wait_alu 0xfffe
	s_cmp_eq_u32 s6, 1
	s_cselect_b32 vcc_lo, -1, 0
	s_cmp_eq_u32 s6, 2
	s_wait_alu 0xfffe
	v_cndmask_b32_e32 v44, v1, v2, vcc_lo
	s_cselect_b32 vcc_lo, -1, 0
	s_cmp_eq_u32 s6, 3
	s_add_nc_u64 s[6:7], s[6:7], 1
	s_wait_alu 0xfffe
	v_cndmask_b32_e32 v44, v44, v3, vcc_lo
	s_cselect_b32 vcc_lo, -1, 0
	s_cmp_lg_u32 s66, s6
	s_wait_alu 0xfffe
	s_delay_alu instid0(VALU_DEP_1)
	v_cndmask_b32_e32 v44, v44, v4, vcc_lo
	v_add_co_u32 v27, vcc_lo, v27, 2
	s_wait_alu 0xfffd
	v_add_co_ci_u32_e64 v28, null, 0, v28, vcc_lo
	s_wait_loadcnt 0x0
	v_fma_mix_f32 v42, v44, v43, v42 op_sel_hi:[0,1,0]
	s_cbranch_scc1 .LBB415_78
.LBB415_79:                             ;   in Loop: Header=BB415_62 Depth=2
	s_wait_alu 0xfffe
	s_or_b32 exec_lo, exec_lo, s60
	s_delay_alu instid0(SALU_CYCLE_1)
	s_or_b32 exec_lo, exec_lo, s11
	s_and_saveexec_b32 s6, s3
	s_cbranch_execnz .LBB415_65
	s_branch .LBB415_66
.LBB415_80:                             ;   in Loop: Header=BB415_62 Depth=2
	ds_load_b32 v27, v31
	s_wait_alu 0xfffe
	s_or_b32 exec_lo, exec_lo, s6
	s_and_saveexec_b32 s6, s3
	s_cbranch_execz .LBB415_70
.LBB415_81:                             ;   in Loop: Header=BB415_62 Depth=2
	s_wait_dscnt 0x0
	ds_bpermute_b32 v28, v39, v27
	s_wait_dscnt 0x0
	v_add_f32_e32 v27, v27, v28
	ds_bpermute_b32 v28, v40, v27
	s_wait_dscnt 0x0
	v_add_f32_e32 v27, v27, v28
	ds_bpermute_b32 v28, v41, v27
	s_wait_dscnt 0x0
	v_add_f32_e32 v27, v27, v28
	s_wait_alu 0xfffe
	s_or_b32 exec_lo, exec_lo, s6
	s_and_saveexec_b32 s6, s0
	s_cbranch_execz .LBB415_61
.LBB415_82:                             ;   in Loop: Header=BB415_62 Depth=2
	s_mul_u64 s[8:9], s[28:29], s[36:37]
	s_wait_dscnt 0x0
	v_mul_f32_e32 v27, v35, v27
	s_wait_alu 0xfffe
	s_lshl_b64 s[8:9], s[8:9], 2
	s_wait_alu 0xfffe
	s_add_nc_u64 s[8:9], s[58:59], s[8:9]
	global_store_b32 v0, v27, s[8:9]
	s_branch .LBB415_61
.LBB415_83:
	s_endpgm
	.section	.rodata,"a",@progbits
	.p2align	6, 0x0
	.amdhsa_kernel _ZL23rocblas_gemvt_sn_kernelILb1ELi256ELi4ElDF16_PKffEviiT4_lPKT3_lilS5_lilPT5_i
		.amdhsa_group_segment_fixed_size 128
		.amdhsa_private_segment_fixed_size 0
		.amdhsa_kernarg_size 360
		.amdhsa_user_sgpr_count 2
		.amdhsa_user_sgpr_dispatch_ptr 0
		.amdhsa_user_sgpr_queue_ptr 0
		.amdhsa_user_sgpr_kernarg_segment_ptr 1
		.amdhsa_user_sgpr_dispatch_id 0
		.amdhsa_user_sgpr_private_segment_size 0
		.amdhsa_wavefront_size32 1
		.amdhsa_uses_dynamic_stack 0
		.amdhsa_enable_private_segment 0
		.amdhsa_system_sgpr_workgroup_id_x 1
		.amdhsa_system_sgpr_workgroup_id_y 0
		.amdhsa_system_sgpr_workgroup_id_z 1
		.amdhsa_system_sgpr_workgroup_info 0
		.amdhsa_system_vgpr_workitem_id 0
		.amdhsa_next_free_vgpr 53
		.amdhsa_next_free_sgpr 72
		.amdhsa_reserve_vcc 1
		.amdhsa_float_round_mode_32 0
		.amdhsa_float_round_mode_16_64 0
		.amdhsa_float_denorm_mode_32 3
		.amdhsa_float_denorm_mode_16_64 3
		.amdhsa_fp16_overflow 0
		.amdhsa_workgroup_processor_mode 1
		.amdhsa_memory_ordered 1
		.amdhsa_forward_progress 1
		.amdhsa_inst_pref_size 36
		.amdhsa_round_robin_scheduling 0
		.amdhsa_exception_fp_ieee_invalid_op 0
		.amdhsa_exception_fp_denorm_src 0
		.amdhsa_exception_fp_ieee_div_zero 0
		.amdhsa_exception_fp_ieee_overflow 0
		.amdhsa_exception_fp_ieee_underflow 0
		.amdhsa_exception_fp_ieee_inexact 0
		.amdhsa_exception_int_div_zero 0
	.end_amdhsa_kernel
	.section	.text._ZL23rocblas_gemvt_sn_kernelILb1ELi256ELi4ElDF16_PKffEviiT4_lPKT3_lilS5_lilPT5_i,"axG",@progbits,_ZL23rocblas_gemvt_sn_kernelILb1ELi256ELi4ElDF16_PKffEviiT4_lPKT3_lilS5_lilPT5_i,comdat
.Lfunc_end415:
	.size	_ZL23rocblas_gemvt_sn_kernelILb1ELi256ELi4ElDF16_PKffEviiT4_lPKT3_lilS5_lilPT5_i, .Lfunc_end415-_ZL23rocblas_gemvt_sn_kernelILb1ELi256ELi4ElDF16_PKffEviiT4_lPKT3_lilS5_lilPT5_i
                                        ; -- End function
	.set _ZL23rocblas_gemvt_sn_kernelILb1ELi256ELi4ElDF16_PKffEviiT4_lPKT3_lilS5_lilPT5_i.num_vgpr, 53
	.set _ZL23rocblas_gemvt_sn_kernelILb1ELi256ELi4ElDF16_PKffEviiT4_lPKT3_lilS5_lilPT5_i.num_agpr, 0
	.set _ZL23rocblas_gemvt_sn_kernelILb1ELi256ELi4ElDF16_PKffEviiT4_lPKT3_lilS5_lilPT5_i.numbered_sgpr, 72
	.set _ZL23rocblas_gemvt_sn_kernelILb1ELi256ELi4ElDF16_PKffEviiT4_lPKT3_lilS5_lilPT5_i.num_named_barrier, 0
	.set _ZL23rocblas_gemvt_sn_kernelILb1ELi256ELi4ElDF16_PKffEviiT4_lPKT3_lilS5_lilPT5_i.private_seg_size, 0
	.set _ZL23rocblas_gemvt_sn_kernelILb1ELi256ELi4ElDF16_PKffEviiT4_lPKT3_lilS5_lilPT5_i.uses_vcc, 1
	.set _ZL23rocblas_gemvt_sn_kernelILb1ELi256ELi4ElDF16_PKffEviiT4_lPKT3_lilS5_lilPT5_i.uses_flat_scratch, 0
	.set _ZL23rocblas_gemvt_sn_kernelILb1ELi256ELi4ElDF16_PKffEviiT4_lPKT3_lilS5_lilPT5_i.has_dyn_sized_stack, 0
	.set _ZL23rocblas_gemvt_sn_kernelILb1ELi256ELi4ElDF16_PKffEviiT4_lPKT3_lilS5_lilPT5_i.has_recursion, 0
	.set _ZL23rocblas_gemvt_sn_kernelILb1ELi256ELi4ElDF16_PKffEviiT4_lPKT3_lilS5_lilPT5_i.has_indirect_call, 0
	.section	.AMDGPU.csdata,"",@progbits
; Kernel info:
; codeLenInByte = 4592
; TotalNumSgprs: 74
; NumVgprs: 53
; ScratchSize: 0
; MemoryBound: 0
; FloatMode: 240
; IeeeMode: 1
; LDSByteSize: 128 bytes/workgroup (compile time only)
; SGPRBlocks: 0
; VGPRBlocks: 6
; NumSGPRsForWavesPerEU: 74
; NumVGPRsForWavesPerEU: 53
; Occupancy: 16
; WaveLimiterHint : 0
; COMPUTE_PGM_RSRC2:SCRATCH_EN: 0
; COMPUTE_PGM_RSRC2:USER_SGPR: 2
; COMPUTE_PGM_RSRC2:TRAP_HANDLER: 0
; COMPUTE_PGM_RSRC2:TGID_X_EN: 1
; COMPUTE_PGM_RSRC2:TGID_Y_EN: 0
; COMPUTE_PGM_RSRC2:TGID_Z_EN: 1
; COMPUTE_PGM_RSRC2:TIDIG_COMP_CNT: 0
	.section	.text._ZL23rocblas_gemvt_sn_kernelILb1ELi256ELi4EiDF16_ffEviiT4_lPKT3_lilS3_lilPT5_i,"axG",@progbits,_ZL23rocblas_gemvt_sn_kernelILb1ELi256ELi4EiDF16_ffEviiT4_lPKT3_lilS3_lilPT5_i,comdat
	.globl	_ZL23rocblas_gemvt_sn_kernelILb1ELi256ELi4EiDF16_ffEviiT4_lPKT3_lilS3_lilPT5_i ; -- Begin function _ZL23rocblas_gemvt_sn_kernelILb1ELi256ELi4EiDF16_ffEviiT4_lPKT3_lilS3_lilPT5_i
	.p2align	8
	.type	_ZL23rocblas_gemvt_sn_kernelILb1ELi256ELi4EiDF16_ffEviiT4_lPKT3_lilS3_lilPT5_i,@function
_ZL23rocblas_gemvt_sn_kernelILb1ELi256ELi4EiDF16_ffEviiT4_lPKT3_lilS3_lilPT5_i: ; @_ZL23rocblas_gemvt_sn_kernelILb1ELi256ELi4EiDF16_ffEviiT4_lPKT3_lilS3_lilPT5_i
; %bb.0:
	s_load_b32 s11, s[0:1], 0x60
	s_lshr_b32 s24, ttmp7, 16
	s_wait_kmcnt 0x0
	s_cmp_ge_u32 s24, s11
	s_cbranch_scc1 .LBB416_83
; %bb.1:
	s_clause 0x6
	s_load_b96 s[8:10], s[0:1], 0x40
	s_load_b128 s[4:7], s[0:1], 0x18
	s_load_b96 s[20:22], s[0:1], 0x0
	s_load_b128 s[12:15], s[0:1], 0x30
	s_load_b32 s28, s[0:1], 0x68
	s_load_b32 s30, s[0:1], 0x28
	s_load_b128 s[16:19], s[0:1], 0x50
	v_cmp_eq_u32_e64 s0, 0, v0
	v_mbcnt_lo_u32_b32 v28, -1, 0
	s_mov_b32 s35, 0
	s_mov_b32 s26, ttmp9
	s_mov_b32 s29, s35
	s_mov_b32 s27, s35
	v_lshl_or_b32 v29, v28, 2, 64
	s_mov_b32 s31, s35
	s_mov_b32 s47, s35
	s_wait_kmcnt 0x0
	s_lshl_b64 s[2:3], s[8:9], 1
	s_lshl_b64 s[6:7], s[6:7], 1
	s_ashr_i32 s9, s21, 31
	s_cmp_eq_f32 s22, 0
	s_add_nc_u64 s[14:15], s[14:15], s[2:3]
	s_add_nc_u64 s[2:3], s[4:5], s[6:7]
	s_mov_b32 s8, s21
	s_cselect_b32 s23, -1, 0
	s_cmp_gt_i32 s21, 0
	s_mul_u64 s[36:37], s[8:9], s[28:29]
	s_cselect_b32 s1, -1, 0
	s_lshl_b32 s4, ttmp9, 10
	s_lshr_b32 s5, s9, 30
	v_lshl_or_b32 v1, v0, 2, s4
	s_ashr_i32 s6, s20, 31
	s_and_b32 s33, s0, s1
	s_add_co_i32 s1, s21, s5
	s_lshr_b32 s4, s6, 30
	v_ashrrev_i32_e32 v2, 31, v1
	s_and_b32 s68, s1, -4
	s_wait_alu 0xfffe
	s_add_co_i32 s1, s20, s4
	v_mul_lo_u32 v5, s10, v1
	s_and_b32 s1, s1, -4
	v_lshlrev_b64_e32 v[2:3], 1, v[1:2]
	s_sub_co_i32 s69, s20, s1
	v_add_nc_u32_e32 v4, 4, v1
	v_add_nc_u32_e32 v1, s69, v1
	v_cmp_gt_u32_e64 s5, 8, v0
	s_cmp_gt_i32 s68, 0
	v_add_co_u32 v24, vcc_lo, s2, v2
	v_cmp_ge_i32_e64 s1, s20, v4
	v_add_co_ci_u32_e64 v25, null, s3, v3, vcc_lo
	v_and_b32_e32 v2, 31, v0
	v_cmp_gt_u32_e64 s3, 32, v0
	v_lshrrev_b32_e32 v4, 3, v0
	v_mov_b32_e32 v0, 0
	v_cmp_ge_i32_e64 s2, s20, v1
	v_add_nc_u32_e32 v1, s10, v5
	v_cmp_eq_u32_e64 s4, 0, v2
	v_lshlrev_b32_e32 v26, 2, v2
	v_and_b32_e32 v27, 28, v4
	v_ashrrev_i32_e32 v6, 31, v5
	v_add_nc_u32_e32 v3, s10, v1
	v_ashrrev_i32_e32 v2, 31, v1
	s_cselect_b32 s70, -1, 0
	s_cmp_gt_i32 s69, 0
	v_lshlrev_b64_e32 v[6:7], 1, v[5:6]
	v_add_nc_u32_e32 v12, s10, v3
	v_ashrrev_i32_e32 v4, 31, v3
	s_cselect_b32 s20, -1, 0
	s_lshl_b32 s34, s30, 1
	v_lshlrev_b64_e32 v[8:9], 1, v[1:2]
	v_ashrrev_i32_e32 v13, 31, v12
	v_lshlrev_b64_e32 v[10:11], 1, v[3:4]
	s_lshl_b64 s[38:39], s[26:27], 2
	s_mov_b64 s[48:49], s[34:35]
	s_mul_i32 s34, s30, 3
	v_lshlrev_b64_e32 v[12:13], 1, v[12:13]
	s_add_nc_u64 s[40:41], s[18:19], s[38:39]
	s_lshl_b64 s[42:43], s[36:37], 2
	s_lshl_b64 s[44:45], s[28:29], 2
	s_lshl_b32 s46, s30, 2
	s_mov_b64 s[50:51], s[34:35]
	s_lshl_b64 s[52:53], s[12:13], 1
	s_branch .LBB416_3
.LBB416_2:                              ;   in Loop: Header=BB416_3 Depth=1
	s_add_co_i32 s24, s24, 0x10000
	s_delay_alu instid0(SALU_CYCLE_1)
	s_cmp_lt_u32 s24, s11
	s_cbranch_scc0 .LBB416_83
.LBB416_3:                              ; =>This Loop Header: Depth=1
                                        ;     Child Loop BB416_6 Depth 2
                                        ;     Child Loop BB416_12 Depth 2
                                        ;       Child Loop BB416_43 Depth 3
                                        ;       Child Loop BB416_46 Depth 3
                                        ;     Child Loop BB416_62 Depth 2
                                        ;       Child Loop BB416_75 Depth 3
                                        ;       Child Loop BB416_78 Depth 3
	s_mov_b32 s25, s35
	s_and_not1_b32 vcc_lo, exec_lo, s23
	s_mov_b32 s6, -1
	s_wait_alu 0xfffe
	s_cbranch_vccnz .LBB416_8
; %bb.4:                                ;   in Loop: Header=BB416_3 Depth=1
	s_and_saveexec_b32 s8, s33
	s_cbranch_execz .LBB416_7
; %bb.5:                                ;   in Loop: Header=BB416_3 Depth=1
	s_mul_u64 s[6:7], s[42:43], s[24:25]
	s_mov_b32 s9, s21
	s_wait_alu 0xfffe
	s_add_nc_u64 s[6:7], s[40:41], s[6:7]
.LBB416_6:                              ;   Parent Loop BB416_3 Depth=1
                                        ; =>  This Inner Loop Header: Depth=2
	s_add_co_i32 s9, s9, -1
	global_store_b32 v0, v0, s[6:7]
	s_wait_alu 0xfffe
	s_cmp_eq_u32 s9, 0
	s_add_nc_u64 s[6:7], s[6:7], s[44:45]
	s_cbranch_scc0 .LBB416_6
.LBB416_7:                              ;   in Loop: Header=BB416_3 Depth=1
	s_wait_alu 0xfffe
	s_or_b32 exec_lo, exec_lo, s8
	s_mov_b32 s6, 0
.LBB416_8:                              ;   in Loop: Header=BB416_3 Depth=1
	s_wait_alu 0xfffe
	s_and_not1_b32 vcc_lo, exec_lo, s6
	s_wait_alu 0xfffe
	s_cbranch_vccnz .LBB416_2
; %bb.9:                                ;   in Loop: Header=BB416_3 Depth=1
	s_mul_u64 s[6:7], s[16:17], s[24:25]
	s_mul_u64 s[8:9], s[12:13], s[24:25]
	s_wait_alu 0xfffe
	s_lshl_b64 s[6:7], s[6:7], 1
	s_mul_u64 s[58:59], s[36:37], s[24:25]
	s_wait_alu 0xfffe
	s_add_nc_u64 s[54:55], s[14:15], s[6:7]
	s_lshl_b64 s[6:7], s[8:9], 1
	v_cmp_gt_u32_e64 s9, 24, v28
	s_wait_alu 0xfffe
	v_add_co_u32 v30, vcc_lo, v24, s6
	s_wait_alu 0xfffd
	v_add_co_ci_u32_e64 v31, null, s7, v25, vcc_lo
	v_cmp_gt_u32_e64 s8, 28, v28
	v_cmp_gt_u32_e64 s7, 30, v28
	v_cmp_ne_u32_e64 s6, 31, v28
	s_lshl_b64 s[58:59], s[58:59], 2
	s_mul_u64 s[56:57], s[52:53], s[24:25]
	s_and_not1_b32 vcc_lo, exec_lo, s70
	s_wait_alu 0xfffe
	s_add_nc_u64 s[58:59], s[18:19], s[58:59]
	s_cbranch_vccnz .LBB416_58
; %bb.10:                               ;   in Loop: Header=BB416_3 Depth=1
	v_cndmask_b32_e64 v3, 0, 2, s7
	v_add_co_u32 v14, vcc_lo, s54, v6
	s_wait_alu 0xfffd
	v_add_co_ci_u32_e64 v15, null, s55, v7, vcc_lo
	v_add_co_u32 v16, vcc_lo, s54, v8
	v_cndmask_b32_e64 v1, 0, 8, s9
	v_cndmask_b32_e64 v2, 0, 4, s8
	v_add_co_ci_u32_e64 v4, null, 0, v28, s6
	v_add_lshl_u32 v34, v3, v28, 2
	s_wait_alu 0xfffd
	v_add_co_ci_u32_e64 v17, null, s55, v9, vcc_lo
	v_add_co_u32 v18, vcc_lo, s54, v10
	v_mov_b32_e32 v3, v0
	s_wait_alu 0xfffd
	v_add_co_ci_u32_e64 v19, null, s55, v11, vcc_lo
	v_add_co_u32 v20, vcc_lo, s54, v12
	v_add_lshl_u32 v32, v1, v28, 2
	v_add_lshl_u32 v33, v2, v28, 2
	v_dual_mov_b32 v2, v0 :: v_dual_lshlrev_b32 v35, 2, v4
	s_wait_alu 0xfffd
	v_add_co_ci_u32_e64 v21, null, s55, v13, vcc_lo
	v_mov_b32_e32 v1, v0
	v_add_co_u32 v36, vcc_lo, v24, s56
	v_mov_b32_e32 v4, v3
	s_wait_alu 0xfffd
	v_add_co_ci_u32_e64 v37, null, s57, v25, vcc_lo
	v_mov_b32_e32 v3, v2
	v_mov_b32_e32 v2, v1
	;; [unrolled: 1-line block ×3, first 2 shown]
	s_mov_b32 s8, 0
	s_mov_b64 s[60:61], s[50:51]
	s_mov_b64 s[62:63], s[48:49]
	;; [unrolled: 1-line block ×3, first 2 shown]
	s_mov_b32 s25, 0
	s_branch .LBB416_12
.LBB416_11:                             ;   in Loop: Header=BB416_12 Depth=2
	s_wait_alu 0xfffe
	s_or_b32 exec_lo, exec_lo, s6
	s_add_co_i32 s25, s25, 4
	s_add_co_i32 s8, s8, s46
	s_add_nc_u64 s[64:65], s[64:65], s[46:47]
	s_add_nc_u64 s[62:63], s[62:63], s[46:47]
	s_cmp_ge_i32 s25, s68
	s_add_nc_u64 s[60:61], s[60:61], s[46:47]
	s_cbranch_scc1 .LBB416_59
.LBB416_12:                             ;   Parent Loop BB416_3 Depth=1
                                        ; =>  This Loop Header: Depth=2
                                        ;       Child Loop BB416_43 Depth 3
                                        ;       Child Loop BB416_46 Depth 3
                                        ; implicit-def: $vgpr38
                                        ; implicit-def: $vgpr39
                                        ; implicit-def: $vgpr40
                                        ; implicit-def: $vgpr41
	s_and_saveexec_b32 s6, s1
	s_wait_alu 0xfffe
	s_xor_b32 s6, exec_lo, s6
	s_cbranch_execnz .LBB416_39
; %bb.13:                               ;   in Loop: Header=BB416_12 Depth=2
	s_wait_alu 0xfffe
	s_and_not1_saveexec_b32 s27, s6
	s_cbranch_execnz .LBB416_40
.LBB416_14:                             ;   in Loop: Header=BB416_12 Depth=2
	s_or_b32 exec_lo, exec_lo, s27
	s_and_saveexec_b32 s6, s3
.LBB416_15:                             ;   in Loop: Header=BB416_12 Depth=2
	ds_store_b32 v26, v0
.LBB416_16:                             ;   in Loop: Header=BB416_12 Depth=2
	s_wait_alu 0xfffe
	s_or_b32 exec_lo, exec_lo, s6
	s_wait_dscnt 0x0
	ds_bpermute_b32 v22, v29, v41
	s_wait_storecnt_dscnt 0x0
	s_barrier_signal -1
	s_barrier_wait -1
	global_inv scope:SCOPE_SE
	v_add_f32_e32 v22, v41, v22
	ds_bpermute_b32 v23, v32, v22
	s_wait_dscnt 0x0
	v_add_f32_e32 v22, v22, v23
	ds_bpermute_b32 v23, v33, v22
	s_wait_dscnt 0x0
	;; [unrolled: 3-line block ×3, first 2 shown]
	v_add_f32_e32 v22, v22, v23
	ds_bpermute_b32 v23, v35, v22
	s_and_saveexec_b32 s6, s4
	s_cbranch_execz .LBB416_18
; %bb.17:                               ;   in Loop: Header=BB416_12 Depth=2
	s_wait_dscnt 0x0
	v_add_f32_e32 v22, v22, v23
	ds_store_b32 v27, v22
.LBB416_18:                             ;   in Loop: Header=BB416_12 Depth=2
	s_wait_alu 0xfffe
	s_or_b32 exec_lo, exec_lo, s6
	v_mov_b32_e32 v22, 0
	s_wait_loadcnt_dscnt 0x0
	s_barrier_signal -1
	s_barrier_wait -1
	global_inv scope:SCOPE_SE
	s_and_saveexec_b32 s6, s5
	s_cbranch_execnz .LBB416_47
; %bb.19:                               ;   in Loop: Header=BB416_12 Depth=2
	s_wait_alu 0xfffe
	s_or_b32 exec_lo, exec_lo, s6
	s_and_saveexec_b32 s6, s3
	s_cbranch_execnz .LBB416_48
.LBB416_20:                             ;   in Loop: Header=BB416_12 Depth=2
	s_wait_alu 0xfffe
	s_or_b32 exec_lo, exec_lo, s6
	s_and_saveexec_b32 s6, s3
.LBB416_21:                             ;   in Loop: Header=BB416_12 Depth=2
	ds_store_b32 v26, v0
.LBB416_22:                             ;   in Loop: Header=BB416_12 Depth=2
	s_wait_alu 0xfffe
	s_or_b32 exec_lo, exec_lo, s6
	ds_bpermute_b32 v23, v29, v40
	s_wait_loadcnt_dscnt 0x0
	s_barrier_signal -1
	s_barrier_wait -1
	global_inv scope:SCOPE_SE
	v_add_f32_e32 v23, v40, v23
	ds_bpermute_b32 v40, v32, v23
	s_wait_dscnt 0x0
	v_add_f32_e32 v23, v23, v40
	ds_bpermute_b32 v40, v33, v23
	s_wait_dscnt 0x0
	;; [unrolled: 3-line block ×3, first 2 shown]
	v_add_f32_e32 v23, v23, v40
	ds_bpermute_b32 v40, v35, v23
	s_and_saveexec_b32 s6, s4
	s_cbranch_execz .LBB416_24
; %bb.23:                               ;   in Loop: Header=BB416_12 Depth=2
	s_wait_dscnt 0x0
	v_add_f32_e32 v23, v23, v40
	ds_store_b32 v27, v23
.LBB416_24:                             ;   in Loop: Header=BB416_12 Depth=2
	s_wait_alu 0xfffe
	s_or_b32 exec_lo, exec_lo, s6
	v_mov_b32_e32 v23, 0
	s_wait_loadcnt_dscnt 0x0
	s_barrier_signal -1
	s_barrier_wait -1
	global_inv scope:SCOPE_SE
	s_and_saveexec_b32 s6, s5
	s_cbranch_execnz .LBB416_49
; %bb.25:                               ;   in Loop: Header=BB416_12 Depth=2
	s_wait_alu 0xfffe
	s_or_b32 exec_lo, exec_lo, s6
	s_and_saveexec_b32 s6, s3
	s_cbranch_execnz .LBB416_50
.LBB416_26:                             ;   in Loop: Header=BB416_12 Depth=2
	s_wait_alu 0xfffe
	s_or_b32 exec_lo, exec_lo, s6
	s_and_saveexec_b32 s6, s3
.LBB416_27:                             ;   in Loop: Header=BB416_12 Depth=2
	ds_store_b32 v26, v0
.LBB416_28:                             ;   in Loop: Header=BB416_12 Depth=2
	s_wait_alu 0xfffe
	s_or_b32 exec_lo, exec_lo, s6
	ds_bpermute_b32 v40, v29, v39
	s_wait_loadcnt_dscnt 0x0
	s_barrier_signal -1
	s_barrier_wait -1
	global_inv scope:SCOPE_SE
	v_add_f32_e32 v39, v39, v40
	ds_bpermute_b32 v40, v32, v39
	s_wait_dscnt 0x0
	v_add_f32_e32 v39, v39, v40
	ds_bpermute_b32 v40, v33, v39
	s_wait_dscnt 0x0
	;; [unrolled: 3-line block ×3, first 2 shown]
	v_add_f32_e32 v39, v39, v40
	ds_bpermute_b32 v40, v35, v39
	s_and_saveexec_b32 s6, s4
	s_cbranch_execz .LBB416_30
; %bb.29:                               ;   in Loop: Header=BB416_12 Depth=2
	s_wait_dscnt 0x0
	v_add_f32_e32 v39, v39, v40
	ds_store_b32 v27, v39
.LBB416_30:                             ;   in Loop: Header=BB416_12 Depth=2
	s_wait_alu 0xfffe
	s_or_b32 exec_lo, exec_lo, s6
	v_mov_b32_e32 v39, 0
	s_wait_loadcnt_dscnt 0x0
	s_barrier_signal -1
	s_barrier_wait -1
	global_inv scope:SCOPE_SE
	s_and_saveexec_b32 s6, s5
	s_cbranch_execnz .LBB416_51
; %bb.31:                               ;   in Loop: Header=BB416_12 Depth=2
	s_wait_alu 0xfffe
	s_or_b32 exec_lo, exec_lo, s6
	s_and_saveexec_b32 s6, s3
	s_cbranch_execnz .LBB416_52
.LBB416_32:                             ;   in Loop: Header=BB416_12 Depth=2
	s_wait_alu 0xfffe
	s_or_b32 exec_lo, exec_lo, s6
	s_and_saveexec_b32 s6, s3
.LBB416_33:                             ;   in Loop: Header=BB416_12 Depth=2
	ds_store_b32 v26, v0
.LBB416_34:                             ;   in Loop: Header=BB416_12 Depth=2
	s_wait_alu 0xfffe
	s_or_b32 exec_lo, exec_lo, s6
	ds_bpermute_b32 v40, v29, v38
	s_wait_loadcnt_dscnt 0x0
	s_barrier_signal -1
	s_barrier_wait -1
	global_inv scope:SCOPE_SE
	v_add_f32_e32 v38, v38, v40
	ds_bpermute_b32 v40, v32, v38
	s_wait_dscnt 0x0
	v_add_f32_e32 v38, v38, v40
	ds_bpermute_b32 v40, v33, v38
	s_wait_dscnt 0x0
	;; [unrolled: 3-line block ×3, first 2 shown]
	v_add_f32_e32 v38, v38, v40
	ds_bpermute_b32 v40, v35, v38
	s_and_saveexec_b32 s6, s4
	s_cbranch_execz .LBB416_36
; %bb.35:                               ;   in Loop: Header=BB416_12 Depth=2
	s_wait_dscnt 0x0
	v_add_f32_e32 v38, v38, v40
	ds_store_b32 v27, v38
.LBB416_36:                             ;   in Loop: Header=BB416_12 Depth=2
	s_wait_alu 0xfffe
	s_or_b32 exec_lo, exec_lo, s6
	v_mov_b32_e32 v38, 0
	s_wait_loadcnt_dscnt 0x0
	s_barrier_signal -1
	s_barrier_wait -1
	global_inv scope:SCOPE_SE
	s_and_saveexec_b32 s6, s5
	s_cbranch_execnz .LBB416_53
; %bb.37:                               ;   in Loop: Header=BB416_12 Depth=2
	s_wait_alu 0xfffe
	s_or_b32 exec_lo, exec_lo, s6
	s_and_saveexec_b32 s6, s3
	s_cbranch_execnz .LBB416_54
.LBB416_38:                             ;   in Loop: Header=BB416_12 Depth=2
	s_wait_alu 0xfffe
	s_or_b32 exec_lo, exec_lo, s6
	s_and_saveexec_b32 s6, s0
	s_cbranch_execz .LBB416_11
	s_branch .LBB416_55
.LBB416_39:                             ;   in Loop: Header=BB416_12 Depth=2
	s_mul_i32 s66, s25, s30
	s_wait_alu 0xfffe
	s_ashr_i32 s67, s66, 31
	s_add_co_i32 s72, s66, s30
	s_wait_alu 0xfffe
	s_lshl_b64 s[66:67], s[66:67], 1
	s_ashr_i32 s73, s72, 31
	s_wait_alu 0xfffe
	v_add_co_u32 v1, vcc_lo, v30, s66
	s_wait_alu 0xfffd
	v_add_co_ci_u32_e64 v2, null, s67, v31, vcc_lo
	s_lshl_b64 s[66:67], s[72:73], 1
	s_add_co_i32 s72, s72, s30
	s_wait_alu 0xfffe
	v_add_co_u32 v3, vcc_lo, v30, s66
	s_ashr_i32 s73, s72, 31
	s_add_co_i32 s66, s72, s30
	s_wait_alu 0xfffd
	v_add_co_ci_u32_e64 v4, null, s67, v31, vcc_lo
	s_wait_alu 0xfffe
	s_lshl_b64 s[72:73], s[72:73], 1
	s_ashr_i32 s67, s66, 31
	s_wait_dscnt 0x0
	s_wait_alu 0xfffe
	v_add_co_u32 v22, vcc_lo, v30, s72
	s_lshl_b64 s[66:67], s[66:67], 1
	s_wait_alu 0xfffd
	v_add_co_ci_u32_e64 v23, null, s73, v31, vcc_lo
	s_wait_alu 0xfffe
	v_add_co_u32 v38, vcc_lo, v30, s66
	s_wait_alu 0xfffd
	v_add_co_ci_u32_e64 v39, null, s67, v31, vcc_lo
	global_load_u16 v46, v[14:15], off
	s_clause 0x3
	global_load_b64 v[40:41], v[1:2], off
	global_load_b64 v[42:43], v[3:4], off
	;; [unrolled: 1-line block ×4, first 2 shown]
	s_clause 0x2
	global_load_u16 v3, v[16:17], off
	global_load_u16 v4, v[18:19], off
	;; [unrolled: 1-line block ×3, first 2 shown]
	s_wait_loadcnt 0x7
	v_cvt_f32_f16_e32 v1, v46
	s_wait_loadcnt 0x6
	v_fma_mix_f32 v39, v46, v40, 0 op_sel_hi:[1,1,0]
	s_wait_loadcnt 0x5
	v_fma_mix_f32 v47, v46, v42, 0 op_sel_hi:[1,1,0]
	;; [unrolled: 2-line block ×4, first 2 shown]
	s_wait_loadcnt 0x2
	v_cvt_f32_f16_e32 v2, v3
	v_fma_mix_f32 v39, v3, v40, v39 op_sel:[0,1,0] op_sel_hi:[1,1,0]
	v_fma_mix_f32 v40, v3, v42, v47 op_sel:[0,1,0] op_sel_hi:[1,1,0]
	;; [unrolled: 1-line block ×4, first 2 shown]
	s_wait_loadcnt 0x1
	v_cvt_f32_f16_e32 v3, v4
	v_fma_mix_f32 v39, v4, v41, v39 op_sel_hi:[1,1,0]
	v_fma_mix_f32 v40, v4, v43, v40 op_sel_hi:[1,1,0]
	v_fma_mix_f32 v22, v4, v23, v22 op_sel_hi:[1,1,0]
	v_fma_mix_f32 v42, v4, v45, v42 op_sel_hi:[1,1,0]
	s_wait_loadcnt 0x0
	v_cvt_f32_f16_e32 v4, v38
	v_fma_mix_f32 v41, v38, v41, v39 op_sel:[0,1,0] op_sel_hi:[1,1,0]
	v_fma_mix_f32 v40, v38, v43, v40 op_sel:[0,1,0] op_sel_hi:[1,1,0]
	;; [unrolled: 1-line block ×4, first 2 shown]
	s_and_not1_saveexec_b32 s27, s6
	s_cbranch_execz .LBB416_14
.LBB416_40:                             ;   in Loop: Header=BB416_12 Depth=2
	s_wait_dscnt 0x0
	v_dual_mov_b32 v38, 0 :: v_dual_mov_b32 v39, 0
	v_dual_mov_b32 v40, 0 :: v_dual_mov_b32 v41, 0
	s_and_saveexec_b32 s34, s2
	s_cbranch_execz .LBB416_57
; %bb.41:                               ;   in Loop: Header=BB416_12 Depth=2
	s_and_not1_b32 vcc_lo, exec_lo, s20
	s_wait_alu 0xfffe
	s_cbranch_vccnz .LBB416_44
; %bb.42:                               ;   in Loop: Header=BB416_12 Depth=2
	v_mov_b32_e32 v22, v5
	s_mov_b64 s[66:67], 0
.LBB416_43:                             ;   Parent Loop BB416_3 Depth=1
                                        ;     Parent Loop BB416_12 Depth=2
                                        ; =>    This Inner Loop Header: Depth=3
	s_delay_alu instid0(VALU_DEP_1) | instskip(SKIP_2) | instid1(VALU_DEP_1)
	v_ashrrev_i32_e32 v23, 31, v22
	s_wait_alu 0xfffe
	s_cmp_eq_u32 s66, 3
	v_lshlrev_b64_e32 v[38:39], 1, v[22:23]
	s_delay_alu instid0(VALU_DEP_1) | instskip(SKIP_1) | instid1(VALU_DEP_2)
	v_add_co_u32 v38, vcc_lo, s54, v38
	s_wait_alu 0xfffd
	v_add_co_ci_u32_e64 v39, null, s55, v39, vcc_lo
	s_cselect_b32 vcc_lo, -1, 0
	s_cmp_eq_u32 s66, 2
	s_cselect_b32 s6, -1, 0
	global_load_u16 v23, v[38:39], off
	s_cmp_eq_u32 s66, 1
	s_cselect_b32 s7, -1, 0
	s_cmp_eq_u32 s66, 0
	s_add_nc_u64 s[66:67], s[66:67], 1
	s_wait_loadcnt 0x0
	v_cvt_f32_f16_e32 v23, v23
	s_wait_alu 0xfffe
	s_delay_alu instid0(VALU_DEP_1)
	v_cndmask_b32_e32 v4, v4, v23, vcc_lo
	s_cselect_b32 vcc_lo, -1, 0
	s_wait_alu 0xfffe
	v_dual_cndmask_b32 v1, v1, v23 :: v_dual_add_nc_u32 v22, s10, v22
	v_cndmask_b32_e64 v3, v3, v23, s6
	v_cndmask_b32_e64 v2, v2, v23, s7
	s_cmp_eq_u32 s69, s66
	s_cbranch_scc0 .LBB416_43
.LBB416_44:                             ;   in Loop: Header=BB416_12 Depth=2
	s_and_not1_b32 vcc_lo, exec_lo, s20
	s_wait_alu 0xfffe
	s_cbranch_vccnz .LBB416_56
; %bb.45:                               ;   in Loop: Header=BB416_12 Depth=2
	s_ashr_i32 s9, s8, 31
	v_dual_mov_b32 v41, 0 :: v_dual_mov_b32 v40, 0
	s_wait_alu 0xfffe
	s_lshl_b64 s[6:7], s[8:9], 1
	v_dual_mov_b32 v39, 0 :: v_dual_mov_b32 v38, 0
	s_wait_alu 0xfffe
	v_add_co_u32 v22, vcc_lo, v36, s6
	s_wait_alu 0xfffd
	v_add_co_ci_u32_e64 v23, null, s7, v37, vcc_lo
	s_mov_b64 s[66:67], 0
.LBB416_46:                             ;   Parent Loop BB416_3 Depth=1
                                        ;     Parent Loop BB416_12 Depth=2
                                        ; =>    This Inner Loop Header: Depth=3
	s_wait_alu 0xfffe
	s_cmp_eq_u32 s66, 1
	s_cselect_b32 vcc_lo, -1, 0
	s_cmp_eq_u32 s66, 2
	s_wait_alu 0xfffe
	v_cndmask_b32_e32 v42, v1, v2, vcc_lo
	s_cselect_b32 vcc_lo, -1, 0
	s_cmp_eq_u32 s66, 3
	s_wait_alu 0xfffe
	s_delay_alu instid0(VALU_DEP_1)
	v_cndmask_b32_e32 v48, v42, v3, vcc_lo
	s_cselect_b32 vcc_lo, -1, 0
	s_add_co_i32 s6, s64, s66
	s_add_co_i32 s72, s62, s66
	s_wait_alu 0xfffe
	s_ashr_i32 s7, s6, 31
	s_add_co_i32 s74, s60, s66
	s_ashr_i32 s73, s72, 31
	s_wait_alu 0xfffe
	s_lshl_b64 s[6:7], s[6:7], 1
	s_ashr_i32 s75, s74, 31
	s_lshl_b64 s[72:73], s[72:73], 1
	s_wait_alu 0xfffe
	v_add_co_u32 v42, s6, v30, s6
	s_lshl_b64 s[74:75], s[74:75], 1
	v_add_co_ci_u32_e64 v43, null, s7, v31, s6
	v_add_co_u32 v44, s6, v30, s72
	s_wait_alu 0xf1ff
	v_add_co_ci_u32_e64 v45, null, s73, v31, s6
	s_wait_alu 0xfffe
	v_add_co_u32 v46, s6, v30, s74
	s_wait_alu 0xf1ff
	v_add_co_ci_u32_e64 v47, null, s75, v31, s6
	global_load_u16 v49, v[22:23], off
	s_clause 0x2
	global_load_u16 v42, v[42:43], off
	global_load_u16 v43, v[44:45], off
	;; [unrolled: 1-line block ×3, first 2 shown]
	v_cndmask_b32_e32 v45, v48, v4, vcc_lo
	v_add_co_u32 v22, s6, v22, 2
	s_wait_alu 0xf1ff
	v_add_co_ci_u32_e64 v23, null, 0, v23, s6
	s_add_nc_u64 s[66:67], s[66:67], 1
	s_wait_alu 0xfffe
	s_cmp_lg_u32 s69, s66
	s_wait_loadcnt 0x3
	v_fma_mix_f32 v41, v45, v49, v41 op_sel_hi:[0,1,0]
	s_wait_loadcnt 0x2
	v_fma_mix_f32 v40, v45, v42, v40 op_sel_hi:[0,1,0]
	;; [unrolled: 2-line block ×4, first 2 shown]
	s_cbranch_scc1 .LBB416_46
	s_branch .LBB416_57
.LBB416_47:                             ;   in Loop: Header=BB416_12 Depth=2
	ds_load_b32 v22, v26
	s_wait_alu 0xfffe
	s_or_b32 exec_lo, exec_lo, s6
	s_and_saveexec_b32 s6, s3
	s_cbranch_execz .LBB416_20
.LBB416_48:                             ;   in Loop: Header=BB416_12 Depth=2
	s_wait_dscnt 0x0
	ds_bpermute_b32 v23, v33, v22
	s_wait_dscnt 0x0
	v_add_f32_e32 v22, v22, v23
	ds_bpermute_b32 v23, v34, v22
	s_wait_dscnt 0x0
	v_add_f32_e32 v22, v22, v23
	ds_bpermute_b32 v23, v35, v22
	s_wait_dscnt 0x0
	v_add_f32_e32 v22, v22, v23
	s_wait_alu 0xfffe
	s_or_b32 exec_lo, exec_lo, s6
	s_and_saveexec_b32 s6, s3
	s_cbranch_execnz .LBB416_21
	s_branch .LBB416_22
.LBB416_49:                             ;   in Loop: Header=BB416_12 Depth=2
	ds_load_b32 v23, v26
	s_wait_alu 0xfffe
	s_or_b32 exec_lo, exec_lo, s6
	s_and_saveexec_b32 s6, s3
	s_cbranch_execz .LBB416_26
.LBB416_50:                             ;   in Loop: Header=BB416_12 Depth=2
	s_wait_dscnt 0x0
	ds_bpermute_b32 v40, v33, v23
	s_wait_dscnt 0x0
	v_add_f32_e32 v23, v23, v40
	ds_bpermute_b32 v40, v34, v23
	s_wait_dscnt 0x0
	v_add_f32_e32 v23, v23, v40
	;; [unrolled: 3-line block ×3, first 2 shown]
	s_wait_alu 0xfffe
	s_or_b32 exec_lo, exec_lo, s6
	s_and_saveexec_b32 s6, s3
	s_cbranch_execnz .LBB416_27
	s_branch .LBB416_28
.LBB416_51:                             ;   in Loop: Header=BB416_12 Depth=2
	ds_load_b32 v39, v26
	s_wait_alu 0xfffe
	s_or_b32 exec_lo, exec_lo, s6
	s_and_saveexec_b32 s6, s3
	s_cbranch_execz .LBB416_32
.LBB416_52:                             ;   in Loop: Header=BB416_12 Depth=2
	s_wait_dscnt 0x0
	ds_bpermute_b32 v40, v33, v39
	s_wait_dscnt 0x0
	v_add_f32_e32 v39, v39, v40
	ds_bpermute_b32 v40, v34, v39
	s_wait_dscnt 0x0
	v_add_f32_e32 v39, v39, v40
	;; [unrolled: 3-line block ×3, first 2 shown]
	s_wait_alu 0xfffe
	s_or_b32 exec_lo, exec_lo, s6
	s_and_saveexec_b32 s6, s3
	s_cbranch_execnz .LBB416_33
	s_branch .LBB416_34
.LBB416_53:                             ;   in Loop: Header=BB416_12 Depth=2
	ds_load_b32 v38, v26
	s_wait_alu 0xfffe
	s_or_b32 exec_lo, exec_lo, s6
	s_and_saveexec_b32 s6, s3
	s_cbranch_execz .LBB416_38
.LBB416_54:                             ;   in Loop: Header=BB416_12 Depth=2
	s_wait_dscnt 0x0
	ds_bpermute_b32 v40, v33, v38
	s_wait_dscnt 0x0
	v_add_f32_e32 v38, v38, v40
	ds_bpermute_b32 v40, v34, v38
	s_wait_dscnt 0x0
	v_add_f32_e32 v38, v38, v40
	;; [unrolled: 3-line block ×3, first 2 shown]
	s_wait_alu 0xfffe
	s_or_b32 exec_lo, exec_lo, s6
	s_and_saveexec_b32 s6, s0
	s_cbranch_execz .LBB416_11
.LBB416_55:                             ;   in Loop: Header=BB416_12 Depth=2
	s_mul_i32 s7, s25, s28
	v_dual_mul_f32 v22, s22, v22 :: v_dual_mul_f32 v23, s22, v23
	s_wait_alu 0xfffe
	s_add_co_i32 s34, s7, s26
	s_wait_alu 0xfffe
	s_lshl_b64 s[66:67], s[34:35], 2
	s_add_co_i32 s34, s34, s28
	s_wait_alu 0xfffe
	s_add_nc_u64 s[66:67], s[58:59], s[66:67]
	s_lshl_b64 s[72:73], s[34:35], 2
	s_add_co_i32 s34, s34, s28
	s_wait_alu 0xfffe
	s_add_nc_u64 s[72:73], s[58:59], s[72:73]
	s_clause 0x1
	global_store_b32 v0, v22, s[66:67]
	global_store_b32 v0, v23, s[72:73]
	s_wait_dscnt 0x0
	v_dual_mul_f32 v22, s22, v39 :: v_dual_mul_f32 v23, s22, v38
	s_lshl_b64 s[66:67], s[34:35], 2
	s_add_co_i32 s34, s34, s28
	s_wait_alu 0xfffe
	s_add_nc_u64 s[66:67], s[58:59], s[66:67]
	s_lshl_b64 s[72:73], s[34:35], 2
	s_wait_alu 0xfffe
	s_add_nc_u64 s[72:73], s[58:59], s[72:73]
	s_clause 0x1
	global_store_b32 v0, v22, s[66:67]
	global_store_b32 v0, v23, s[72:73]
	s_branch .LBB416_11
.LBB416_56:                             ;   in Loop: Header=BB416_12 Depth=2
	v_dual_mov_b32 v38, 0 :: v_dual_mov_b32 v39, 0
	v_dual_mov_b32 v40, 0 :: v_dual_mov_b32 v41, 0
.LBB416_57:                             ;   in Loop: Header=BB416_12 Depth=2
	s_wait_alu 0xfffe
	s_or_b32 exec_lo, exec_lo, s34
	s_delay_alu instid0(SALU_CYCLE_1)
	s_or_b32 exec_lo, exec_lo, s27
	s_and_saveexec_b32 s6, s3
	s_cbranch_execnz .LBB416_15
	s_branch .LBB416_16
.LBB416_58:                             ;   in Loop: Header=BB416_3 Depth=1
	v_mov_b32_e32 v3, v0
	v_dual_mov_b32 v1, v0 :: v_dual_mov_b32 v2, v0
	s_mov_b32 s25, 0
	s_delay_alu instid0(VALU_DEP_2) | instskip(NEXT) | instid1(VALU_DEP_2)
	v_mov_b32_e32 v4, v3
	v_mov_b32_e32 v3, v2
	s_delay_alu instid0(VALU_DEP_3)
	v_mov_b32_e32 v2, v1
	v_mov_b32_e32 v1, v0
.LBB416_59:                             ;   in Loop: Header=BB416_3 Depth=1
	s_cmp_ge_i32 s25, s21
	s_cbranch_scc1 .LBB416_2
; %bb.60:                               ;   in Loop: Header=BB416_3 Depth=1
	v_cmp_gt_u32_e32 vcc_lo, 24, v28
	s_wait_alu 0xfffe
	s_add_nc_u64 s[8:9], s[58:59], s[38:39]
	s_mov_b32 s34, s25
	s_wait_alu 0xfffd
	v_cndmask_b32_e64 v14, 0, 8, vcc_lo
	v_cmp_gt_u32_e32 vcc_lo, 28, v28
	s_delay_alu instid0(VALU_DEP_2) | instskip(SKIP_3) | instid1(VALU_DEP_2)
	v_add_lshl_u32 v32, v14, v28, 2
	s_wait_alu 0xfffd
	v_cndmask_b32_e64 v15, 0, 4, vcc_lo
	v_cmp_gt_u32_e32 vcc_lo, 30, v28
	v_add_lshl_u32 v33, v15, v28, 2
	s_wait_alu 0xfffd
	v_cndmask_b32_e64 v16, 0, 2, vcc_lo
	v_cmp_ne_u32_e32 vcc_lo, 31, v28
	s_delay_alu instid0(VALU_DEP_2)
	v_add_lshl_u32 v34, v16, v28, 2
	s_wait_alu 0xfffd
	v_add_co_ci_u32_e64 v17, null, 0, v28, vcc_lo
	v_add_co_u32 v14, vcc_lo, s54, v6
	s_wait_alu 0xfffd
	v_add_co_ci_u32_e64 v15, null, s55, v7, vcc_lo
	v_add_co_u32 v16, vcc_lo, s54, v8
	v_lshlrev_b32_e32 v35, 2, v17
	s_wait_alu 0xfffd
	v_add_co_ci_u32_e64 v17, null, s55, v9, vcc_lo
	v_add_co_u32 v18, vcc_lo, s54, v10
	s_wait_alu 0xfffd
	v_add_co_ci_u32_e64 v19, null, s55, v11, vcc_lo
	v_add_co_u32 v20, vcc_lo, s54, v12
	s_wait_alu 0xfffd
	v_add_co_ci_u32_e64 v21, null, s55, v13, vcc_lo
	v_add_co_u32 v36, vcc_lo, v24, s56
	s_wait_alu 0xfffd
	v_add_co_ci_u32_e64 v37, null, s57, v25, vcc_lo
	s_mul_i32 s56, s30, s25
	s_branch .LBB416_62
.LBB416_61:                             ;   in Loop: Header=BB416_62 Depth=2
	s_wait_alu 0xfffe
	s_or_b32 exec_lo, exec_lo, s6
	s_add_co_i32 s34, s34, 1
	s_add_co_i32 s56, s56, s30
	s_wait_alu 0xfffe
	s_cmp_ge_i32 s34, s21
	s_cbranch_scc1 .LBB416_2
.LBB416_62:                             ;   Parent Loop BB416_3 Depth=1
                                        ; =>  This Loop Header: Depth=2
                                        ;       Child Loop BB416_75 Depth 3
                                        ;       Child Loop BB416_78 Depth 3
	s_wait_dscnt 0x0
	v_mov_b32_e32 v38, s35
	s_and_saveexec_b32 s6, s1
	s_wait_alu 0xfffe
	s_xor_b32 s6, exec_lo, s6
	s_cbranch_execnz .LBB416_71
; %bb.63:                               ;   in Loop: Header=BB416_62 Depth=2
	s_wait_alu 0xfffe
	s_and_not1_saveexec_b32 s25, s6
	s_cbranch_execnz .LBB416_72
.LBB416_64:                             ;   in Loop: Header=BB416_62 Depth=2
	s_or_b32 exec_lo, exec_lo, s25
	s_and_saveexec_b32 s6, s3
.LBB416_65:                             ;   in Loop: Header=BB416_62 Depth=2
	ds_store_b32 v26, v0
.LBB416_66:                             ;   in Loop: Header=BB416_62 Depth=2
	s_wait_alu 0xfffe
	s_or_b32 exec_lo, exec_lo, s6
	ds_bpermute_b32 v22, v29, v38
	s_wait_storecnt 0x0
	s_wait_loadcnt_dscnt 0x0
	s_barrier_signal -1
	s_barrier_wait -1
	global_inv scope:SCOPE_SE
	v_add_f32_e32 v22, v38, v22
	ds_bpermute_b32 v23, v32, v22
	s_wait_dscnt 0x0
	v_add_f32_e32 v22, v22, v23
	ds_bpermute_b32 v23, v33, v22
	s_wait_dscnt 0x0
	;; [unrolled: 3-line block ×3, first 2 shown]
	v_add_f32_e32 v22, v22, v23
	ds_bpermute_b32 v23, v35, v22
	s_and_saveexec_b32 s6, s4
	s_cbranch_execz .LBB416_68
; %bb.67:                               ;   in Loop: Header=BB416_62 Depth=2
	s_wait_dscnt 0x0
	v_add_f32_e32 v22, v22, v23
	ds_store_b32 v27, v22
.LBB416_68:                             ;   in Loop: Header=BB416_62 Depth=2
	s_wait_alu 0xfffe
	s_or_b32 exec_lo, exec_lo, s6
	v_mov_b32_e32 v22, 0
	s_wait_loadcnt_dscnt 0x0
	s_barrier_signal -1
	s_barrier_wait -1
	global_inv scope:SCOPE_SE
	s_and_saveexec_b32 s6, s5
	s_cbranch_execnz .LBB416_80
; %bb.69:                               ;   in Loop: Header=BB416_62 Depth=2
	s_wait_alu 0xfffe
	s_or_b32 exec_lo, exec_lo, s6
	s_and_saveexec_b32 s6, s3
	s_cbranch_execnz .LBB416_81
.LBB416_70:                             ;   in Loop: Header=BB416_62 Depth=2
	s_wait_alu 0xfffe
	s_or_b32 exec_lo, exec_lo, s6
	s_and_saveexec_b32 s6, s0
	s_cbranch_execz .LBB416_61
	s_branch .LBB416_82
.LBB416_71:                             ;   in Loop: Header=BB416_62 Depth=2
	s_mul_i32 s58, s34, s30
	s_wait_alu 0xfffe
	s_ashr_i32 s59, s58, 31
	s_wait_alu 0xfffe
	s_lshl_b64 s[58:59], s[58:59], 1
	s_wait_alu 0xfffe
	v_add_co_u32 v1, vcc_lo, v30, s58
	s_wait_alu 0xfffd
	v_add_co_ci_u32_e64 v2, null, s59, v31, vcc_lo
	global_load_b64 v[22:23], v[1:2], off
	s_clause 0x3
	global_load_u16 v1, v[14:15], off
	global_load_u16 v2, v[16:17], off
	;; [unrolled: 1-line block ×4, first 2 shown]
	s_wait_loadcnt 0x3
	v_fma_mix_f32 v4, v1, v22, 0 op_sel_hi:[1,1,0]
	v_cvt_f32_f16_e32 v1, v1
	s_wait_loadcnt 0x2
	s_delay_alu instid0(VALU_DEP_2) | instskip(SKIP_2) | instid1(VALU_DEP_2)
	v_fma_mix_f32 v4, v2, v22, v4 op_sel:[0,1,0] op_sel_hi:[1,1,0]
	v_cvt_f32_f16_e32 v2, v2
	s_wait_loadcnt 0x1
	v_fma_mix_f32 v22, v3, v23, v4 op_sel_hi:[1,1,0]
	v_cvt_f32_f16_e32 v3, v3
	s_wait_loadcnt 0x0
	v_cvt_f32_f16_e32 v4, v38
	s_delay_alu instid0(VALU_DEP_3)
	v_fma_mix_f32 v38, v38, v23, v22 op_sel:[0,1,0] op_sel_hi:[1,1,0]
	s_and_not1_saveexec_b32 s25, s6
	s_cbranch_execz .LBB416_64
.LBB416_72:                             ;   in Loop: Header=BB416_62 Depth=2
	s_and_saveexec_b32 s27, s2
	s_cbranch_execz .LBB416_79
; %bb.73:                               ;   in Loop: Header=BB416_62 Depth=2
	s_and_not1_b32 vcc_lo, exec_lo, s20
	s_wait_alu 0xfffe
	s_cbranch_vccnz .LBB416_76
; %bb.74:                               ;   in Loop: Header=BB416_62 Depth=2
	v_mov_b32_e32 v22, v5
	s_mov_b64 s[58:59], 0
.LBB416_75:                             ;   Parent Loop BB416_3 Depth=1
                                        ;     Parent Loop BB416_62 Depth=2
                                        ; =>    This Inner Loop Header: Depth=3
	s_delay_alu instid0(VALU_DEP_1) | instskip(SKIP_2) | instid1(VALU_DEP_1)
	v_ashrrev_i32_e32 v23, 31, v22
	s_wait_alu 0xfffe
	s_cmp_eq_u32 s58, 3
	v_lshlrev_b64_e32 v[39:40], 1, v[22:23]
	s_delay_alu instid0(VALU_DEP_1) | instskip(SKIP_1) | instid1(VALU_DEP_2)
	v_add_co_u32 v39, vcc_lo, s54, v39
	s_wait_alu 0xfffd
	v_add_co_ci_u32_e64 v40, null, s55, v40, vcc_lo
	s_cselect_b32 vcc_lo, -1, 0
	s_cmp_eq_u32 s58, 2
	s_cselect_b32 s6, -1, 0
	global_load_u16 v23, v[39:40], off
	s_cmp_eq_u32 s58, 1
	s_cselect_b32 s7, -1, 0
	s_cmp_eq_u32 s58, 0
	s_add_nc_u64 s[58:59], s[58:59], 1
	s_wait_loadcnt 0x0
	v_cvt_f32_f16_e32 v23, v23
	s_wait_alu 0xfffe
	s_delay_alu instid0(VALU_DEP_1)
	v_cndmask_b32_e32 v4, v4, v23, vcc_lo
	s_cselect_b32 vcc_lo, -1, 0
	s_wait_alu 0xfffe
	v_dual_cndmask_b32 v1, v1, v23 :: v_dual_add_nc_u32 v22, s10, v22
	v_cndmask_b32_e64 v3, v3, v23, s6
	v_cndmask_b32_e64 v2, v2, v23, s7
	s_cmp_eq_u32 s69, s58
	s_cbranch_scc0 .LBB416_75
.LBB416_76:                             ;   in Loop: Header=BB416_62 Depth=2
	s_and_not1_b32 vcc_lo, exec_lo, s20
	s_wait_alu 0xfffe
	s_cbranch_vccnz .LBB416_79
; %bb.77:                               ;   in Loop: Header=BB416_62 Depth=2
	s_ashr_i32 s57, s56, 31
	s_wait_alu 0xfffe
	s_lshl_b64 s[6:7], s[56:57], 1
	s_wait_alu 0xfffe
	v_add_co_u32 v22, vcc_lo, v36, s6
	s_wait_alu 0xfffd
	v_add_co_ci_u32_e64 v23, null, s7, v37, vcc_lo
	s_mov_b64 s[6:7], 0
.LBB416_78:                             ;   Parent Loop BB416_3 Depth=1
                                        ;     Parent Loop BB416_62 Depth=2
                                        ; =>    This Inner Loop Header: Depth=3
	global_load_u16 v39, v[22:23], off
	s_wait_alu 0xfffe
	s_cmp_eq_u32 s6, 1
	s_cselect_b32 vcc_lo, -1, 0
	s_cmp_eq_u32 s6, 2
	s_wait_alu 0xfffe
	v_cndmask_b32_e32 v40, v1, v2, vcc_lo
	s_cselect_b32 vcc_lo, -1, 0
	s_cmp_eq_u32 s6, 3
	s_add_nc_u64 s[6:7], s[6:7], 1
	s_wait_alu 0xfffe
	v_cndmask_b32_e32 v40, v40, v3, vcc_lo
	s_cselect_b32 vcc_lo, -1, 0
	s_cmp_lg_u32 s69, s6
	s_wait_alu 0xfffe
	s_delay_alu instid0(VALU_DEP_1)
	v_cndmask_b32_e32 v40, v40, v4, vcc_lo
	v_add_co_u32 v22, vcc_lo, v22, 2
	s_wait_alu 0xfffd
	v_add_co_ci_u32_e64 v23, null, 0, v23, vcc_lo
	s_wait_loadcnt 0x0
	v_fma_mix_f32 v38, v40, v39, v38 op_sel_hi:[0,1,0]
	s_cbranch_scc1 .LBB416_78
.LBB416_79:                             ;   in Loop: Header=BB416_62 Depth=2
	s_or_b32 exec_lo, exec_lo, s27
	s_delay_alu instid0(SALU_CYCLE_1)
	s_or_b32 exec_lo, exec_lo, s25
	s_and_saveexec_b32 s6, s3
	s_cbranch_execnz .LBB416_65
	s_branch .LBB416_66
.LBB416_80:                             ;   in Loop: Header=BB416_62 Depth=2
	ds_load_b32 v22, v26
	s_wait_alu 0xfffe
	s_or_b32 exec_lo, exec_lo, s6
	s_and_saveexec_b32 s6, s3
	s_cbranch_execz .LBB416_70
.LBB416_81:                             ;   in Loop: Header=BB416_62 Depth=2
	s_wait_dscnt 0x0
	ds_bpermute_b32 v23, v33, v22
	s_wait_dscnt 0x0
	v_add_f32_e32 v22, v22, v23
	ds_bpermute_b32 v23, v34, v22
	s_wait_dscnt 0x0
	v_add_f32_e32 v22, v22, v23
	;; [unrolled: 3-line block ×3, first 2 shown]
	s_wait_alu 0xfffe
	s_or_b32 exec_lo, exec_lo, s6
	s_and_saveexec_b32 s6, s0
	s_cbranch_execz .LBB416_61
.LBB416_82:                             ;   in Loop: Header=BB416_62 Depth=2
	s_mul_u64 s[58:59], s[34:35], s[28:29]
	s_wait_dscnt 0x0
	v_mul_f32_e32 v22, s22, v22
	s_wait_alu 0xfffe
	s_lshl_b64 s[58:59], s[58:59], 2
	s_wait_alu 0xfffe
	s_add_nc_u64 s[58:59], s[8:9], s[58:59]
	global_store_b32 v0, v22, s[58:59]
	s_branch .LBB416_61
.LBB416_83:
	s_endpgm
	.section	.rodata,"a",@progbits
	.p2align	6, 0x0
	.amdhsa_kernel _ZL23rocblas_gemvt_sn_kernelILb1ELi256ELi4EiDF16_ffEviiT4_lPKT3_lilS3_lilPT5_i
		.amdhsa_group_segment_fixed_size 128
		.amdhsa_private_segment_fixed_size 0
		.amdhsa_kernarg_size 360
		.amdhsa_user_sgpr_count 2
		.amdhsa_user_sgpr_dispatch_ptr 0
		.amdhsa_user_sgpr_queue_ptr 0
		.amdhsa_user_sgpr_kernarg_segment_ptr 1
		.amdhsa_user_sgpr_dispatch_id 0
		.amdhsa_user_sgpr_private_segment_size 0
		.amdhsa_wavefront_size32 1
		.amdhsa_uses_dynamic_stack 0
		.amdhsa_enable_private_segment 0
		.amdhsa_system_sgpr_workgroup_id_x 1
		.amdhsa_system_sgpr_workgroup_id_y 0
		.amdhsa_system_sgpr_workgroup_id_z 1
		.amdhsa_system_sgpr_workgroup_info 0
		.amdhsa_system_vgpr_workitem_id 0
		.amdhsa_next_free_vgpr 50
		.amdhsa_next_free_sgpr 76
		.amdhsa_reserve_vcc 1
		.amdhsa_float_round_mode_32 0
		.amdhsa_float_round_mode_16_64 0
		.amdhsa_float_denorm_mode_32 3
		.amdhsa_float_denorm_mode_16_64 3
		.amdhsa_fp16_overflow 0
		.amdhsa_workgroup_processor_mode 1
		.amdhsa_memory_ordered 1
		.amdhsa_forward_progress 1
		.amdhsa_inst_pref_size 37
		.amdhsa_round_robin_scheduling 0
		.amdhsa_exception_fp_ieee_invalid_op 0
		.amdhsa_exception_fp_denorm_src 0
		.amdhsa_exception_fp_ieee_div_zero 0
		.amdhsa_exception_fp_ieee_overflow 0
		.amdhsa_exception_fp_ieee_underflow 0
		.amdhsa_exception_fp_ieee_inexact 0
		.amdhsa_exception_int_div_zero 0
	.end_amdhsa_kernel
	.section	.text._ZL23rocblas_gemvt_sn_kernelILb1ELi256ELi4EiDF16_ffEviiT4_lPKT3_lilS3_lilPT5_i,"axG",@progbits,_ZL23rocblas_gemvt_sn_kernelILb1ELi256ELi4EiDF16_ffEviiT4_lPKT3_lilS3_lilPT5_i,comdat
.Lfunc_end416:
	.size	_ZL23rocblas_gemvt_sn_kernelILb1ELi256ELi4EiDF16_ffEviiT4_lPKT3_lilS3_lilPT5_i, .Lfunc_end416-_ZL23rocblas_gemvt_sn_kernelILb1ELi256ELi4EiDF16_ffEviiT4_lPKT3_lilS3_lilPT5_i
                                        ; -- End function
	.set _ZL23rocblas_gemvt_sn_kernelILb1ELi256ELi4EiDF16_ffEviiT4_lPKT3_lilS3_lilPT5_i.num_vgpr, 50
	.set _ZL23rocblas_gemvt_sn_kernelILb1ELi256ELi4EiDF16_ffEviiT4_lPKT3_lilS3_lilPT5_i.num_agpr, 0
	.set _ZL23rocblas_gemvt_sn_kernelILb1ELi256ELi4EiDF16_ffEviiT4_lPKT3_lilS3_lilPT5_i.numbered_sgpr, 76
	.set _ZL23rocblas_gemvt_sn_kernelILb1ELi256ELi4EiDF16_ffEviiT4_lPKT3_lilS3_lilPT5_i.num_named_barrier, 0
	.set _ZL23rocblas_gemvt_sn_kernelILb1ELi256ELi4EiDF16_ffEviiT4_lPKT3_lilS3_lilPT5_i.private_seg_size, 0
	.set _ZL23rocblas_gemvt_sn_kernelILb1ELi256ELi4EiDF16_ffEviiT4_lPKT3_lilS3_lilPT5_i.uses_vcc, 1
	.set _ZL23rocblas_gemvt_sn_kernelILb1ELi256ELi4EiDF16_ffEviiT4_lPKT3_lilS3_lilPT5_i.uses_flat_scratch, 0
	.set _ZL23rocblas_gemvt_sn_kernelILb1ELi256ELi4EiDF16_ffEviiT4_lPKT3_lilS3_lilPT5_i.has_dyn_sized_stack, 0
	.set _ZL23rocblas_gemvt_sn_kernelILb1ELi256ELi4EiDF16_ffEviiT4_lPKT3_lilS3_lilPT5_i.has_recursion, 0
	.set _ZL23rocblas_gemvt_sn_kernelILb1ELi256ELi4EiDF16_ffEviiT4_lPKT3_lilS3_lilPT5_i.has_indirect_call, 0
	.section	.AMDGPU.csdata,"",@progbits
; Kernel info:
; codeLenInByte = 4616
; TotalNumSgprs: 78
; NumVgprs: 50
; ScratchSize: 0
; MemoryBound: 0
; FloatMode: 240
; IeeeMode: 1
; LDSByteSize: 128 bytes/workgroup (compile time only)
; SGPRBlocks: 0
; VGPRBlocks: 6
; NumSGPRsForWavesPerEU: 78
; NumVGPRsForWavesPerEU: 50
; Occupancy: 16
; WaveLimiterHint : 0
; COMPUTE_PGM_RSRC2:SCRATCH_EN: 0
; COMPUTE_PGM_RSRC2:USER_SGPR: 2
; COMPUTE_PGM_RSRC2:TRAP_HANDLER: 0
; COMPUTE_PGM_RSRC2:TGID_X_EN: 1
; COMPUTE_PGM_RSRC2:TGID_Y_EN: 0
; COMPUTE_PGM_RSRC2:TGID_Z_EN: 1
; COMPUTE_PGM_RSRC2:TIDIG_COMP_CNT: 0
	.section	.text._ZL23rocblas_gemvt_sn_kernelILb1ELi256ELi4ElDF16_ffEviiT4_lPKT3_lilS3_lilPT5_i,"axG",@progbits,_ZL23rocblas_gemvt_sn_kernelILb1ELi256ELi4ElDF16_ffEviiT4_lPKT3_lilS3_lilPT5_i,comdat
	.globl	_ZL23rocblas_gemvt_sn_kernelILb1ELi256ELi4ElDF16_ffEviiT4_lPKT3_lilS3_lilPT5_i ; -- Begin function _ZL23rocblas_gemvt_sn_kernelILb1ELi256ELi4ElDF16_ffEviiT4_lPKT3_lilS3_lilPT5_i
	.p2align	8
	.type	_ZL23rocblas_gemvt_sn_kernelILb1ELi256ELi4ElDF16_ffEviiT4_lPKT3_lilS3_lilPT5_i,@function
_ZL23rocblas_gemvt_sn_kernelILb1ELi256ELi4ElDF16_ffEviiT4_lPKT3_lilS3_lilPT5_i: ; @_ZL23rocblas_gemvt_sn_kernelILb1ELi256ELi4ElDF16_ffEviiT4_lPKT3_lilS3_lilPT5_i
; %bb.0:
	s_load_b32 s23, s[0:1], 0x60
	s_lshr_b32 s10, ttmp7, 16
	s_wait_kmcnt 0x0
	s_cmp_ge_u32 s10, s23
	s_cbranch_scc1 .LBB417_83
; %bb.1:
	s_clause 0x6
	s_load_b32 s26, s[0:1], 0x28
	s_load_b96 s[4:6], s[0:1], 0x40
	s_load_b128 s[36:39], s[0:1], 0x18
	s_load_b96 s[20:22], s[0:1], 0x0
	s_load_b128 s[12:15], s[0:1], 0x30
	s_load_b32 s28, s[0:1], 0x68
	s_load_b128 s[16:19], s[0:1], 0x50
	v_cmp_eq_u32_e64 s0, 0, v0
	v_mbcnt_lo_u32_b32 v33, -1, 0
	s_mov_b32 s25, 0
	s_mov_b32 s24, ttmp9
	s_mov_b32 s29, s25
	s_delay_alu instid0(VALU_DEP_1)
	v_lshl_or_b32 v34, v33, 2, 64
	s_wait_kmcnt 0x0
	s_ashr_i32 s27, s26, 31
	s_ashr_i32 s9, s6, 31
	s_lshl_b64 s[2:3], s[4:5], 1
	s_lshl_b64 s[4:5], s[38:39], 1
	s_ashr_i32 s35, s21, 31
	s_cmp_eq_f32 s22, 0
	s_add_nc_u64 s[14:15], s[14:15], s[2:3]
	s_add_nc_u64 s[2:3], s[36:37], s[4:5]
	s_mov_b32 s34, s21
	s_cselect_b32 s33, -1, 0
	s_cmp_gt_i32 s21, 0
	s_mov_b32 s8, s6
	s_cselect_b32 s1, -1, 0
	s_lshl_b32 s4, ttmp9, 10
	s_lshr_b32 s5, s35, 30
	v_lshl_or_b32 v1, v0, 2, s4
	s_ashr_i32 s4, s20, 31
	s_and_b32 s62, s0, s1
	s_wait_alu 0xfffe
	s_lshr_b32 s4, s4, 30
	s_add_co_i32 s1, s21, s5
	v_ashrrev_i32_e32 v2, 31, v1
	s_wait_alu 0xfffe
	s_add_co_i32 s4, s20, s4
	v_add_nc_u32_e32 v4, 4, v1
	v_cmp_gt_u32_e64 s5, 8, v0
	s_and_b32 s63, s1, -4
	v_lshlrev_b64_e32 v[2:3], 1, v[1:2]
	s_wait_alu 0xfffe
	s_and_b32 s1, s4, -4
	s_mul_u64 s[30:31], s[34:35], s[28:29]
	s_sub_co_i32 s64, s20, s1
	v_cmp_ge_i32_e64 s1, s20, v4
	v_add_nc_u32_e32 v5, s64, v1
	v_add_co_u32 v29, vcc_lo, s2, v2
	s_delay_alu instid0(VALU_DEP_1)
	v_add_co_ci_u32_e64 v30, null, s3, v3, vcc_lo
	v_and_b32_e32 v2, 31, v0
	v_lshrrev_b32_e32 v3, 3, v0
	v_cmp_gt_u32_e64 s3, 32, v0
	v_or_b32_e32 v0, 1, v1
	v_or_b32_e32 v4, 2, v1
	v_cmp_eq_u32_e64 s4, 0, v2
	v_lshlrev_b32_e32 v31, 2, v2
	v_and_b32_e32 v32, 28, v3
	v_mad_co_i64_i32 v[2:3], null, s6, v1, 0
	v_mad_co_i64_i32 v[9:10], null, s6, v0, 0
	v_or_b32_e32 v0, 3, v1
	v_cmp_ge_i32_e64 s2, s20, v5
	v_mad_co_i64_i32 v[11:12], null, s6, v4, 0
	v_lshlrev_b64_e32 v[5:6], 1, v[2:3]
	s_delay_alu instid0(VALU_DEP_4)
	v_mad_co_i64_i32 v[1:2], null, s6, v0, 0
	s_cmp_gt_i32 s63, 0
	v_lshlrev_b64_e32 v[9:10], 1, v[9:10]
	s_cselect_b32 s65, -1, 0
	v_add_co_u32 v7, vcc_lo, s14, v5
	s_cmp_gt_i32 s64, 0
	v_lshlrev_b64_e32 v[11:12], 1, v[11:12]
	v_lshlrev_b64_e32 v[13:14], 1, v[1:2]
	s_wait_alu 0xfffd
	v_add_co_ci_u32_e64 v8, null, s15, v6, vcc_lo
	v_mov_b32_e32 v0, 0
	s_cselect_b32 s20, -1, 0
	s_lshl_b64 s[34:35], s[24:25], 2
	s_lshl_b64 s[38:39], s[30:31], 2
	s_add_nc_u64 s[36:37], s[18:19], s[34:35]
	s_lshl_b64 s[40:41], s[28:29], 2
	s_lshl_b64 s[42:43], s[16:17], 1
	s_lshl_b64 s[44:45], s[8:9], 1
	s_lshl_b64 s[46:47], s[12:13], 1
	s_mul_u64 s[48:49], s[26:27], 6
	s_lshl_b64 s[50:51], s[26:27], 3
	s_lshl_b64 s[52:53], s[26:27], 1
	;; [unrolled: 1-line block ×3, first 2 shown]
	s_branch .LBB417_3
.LBB417_2:                              ;   in Loop: Header=BB417_3 Depth=1
	s_add_co_i32 s10, s10, 0x10000
	s_wait_alu 0xfffe
	s_cmp_lt_u32 s10, s23
	s_cbranch_scc0 .LBB417_83
.LBB417_3:                              ; =>This Loop Header: Depth=1
                                        ;     Child Loop BB417_6 Depth 2
                                        ;     Child Loop BB417_12 Depth 2
                                        ;       Child Loop BB417_43 Depth 3
                                        ;       Child Loop BB417_46 Depth 3
                                        ;     Child Loop BB417_62 Depth 2
                                        ;       Child Loop BB417_75 Depth 3
                                        ;       Child Loop BB417_78 Depth 3
	s_mov_b32 s11, s25
	s_and_not1_b32 vcc_lo, exec_lo, s33
	s_mov_b32 s6, -1
	s_wait_alu 0xfffe
	s_cbranch_vccnz .LBB417_8
; %bb.4:                                ;   in Loop: Header=BB417_3 Depth=1
	s_and_saveexec_b32 s8, s62
	s_cbranch_execz .LBB417_7
; %bb.5:                                ;   in Loop: Header=BB417_3 Depth=1
	s_mul_u64 s[6:7], s[38:39], s[10:11]
	s_mov_b32 s9, s21
	s_wait_alu 0xfffe
	s_add_nc_u64 s[6:7], s[36:37], s[6:7]
.LBB417_6:                              ;   Parent Loop BB417_3 Depth=1
                                        ; =>  This Inner Loop Header: Depth=2
	s_add_co_i32 s9, s9, -1
	global_store_b32 v0, v0, s[6:7]
	s_wait_alu 0xfffe
	s_cmp_eq_u32 s9, 0
	s_add_nc_u64 s[6:7], s[6:7], s[40:41]
	s_cbranch_scc0 .LBB417_6
.LBB417_7:                              ;   in Loop: Header=BB417_3 Depth=1
	s_wait_alu 0xfffe
	s_or_b32 exec_lo, exec_lo, s8
	s_mov_b32 s6, 0
.LBB417_8:                              ;   in Loop: Header=BB417_3 Depth=1
	s_wait_alu 0xfffe
	s_and_not1_b32 vcc_lo, exec_lo, s6
	s_wait_alu 0xfffe
	s_cbranch_vccnz .LBB417_2
; %bb.9:                                ;   in Loop: Header=BB417_3 Depth=1
	v_mad_co_u64_u32 v[15:16], null, s42, s10, v[7:8]
	s_mul_u64 s[66:67], s[12:13], s[10:11]
	s_mul_u64 s[56:57], s[16:17], s[10:11]
	s_wait_alu 0xfffe
	s_lshl_b64 s[66:67], s[66:67], 1
	s_mul_u64 s[60:61], s[30:31], s[10:11]
	s_wait_alu 0xfffe
	v_add_co_u32 v35, vcc_lo, v29, s66
	v_mov_b32_e32 v1, v16
	s_lshl_b64 s[56:57], s[56:57], 1
	s_lshl_b64 s[68:69], s[60:61], 2
	v_cmp_gt_u32_e64 s7, 24, v33
	v_cmp_gt_u32_e64 s8, 28, v33
	v_mad_co_u64_u32 v[1:2], null, s43, s10, v[1:2]
	v_cmp_gt_u32_e64 s6, 30, v33
	s_wait_alu 0xfffd
	v_add_co_ci_u32_e64 v36, null, s67, v30, vcc_lo
	v_cmp_ne_u32_e64 s9, 31, v33
	s_add_nc_u64 s[60:61], s[14:15], s[56:57]
	s_add_nc_u64 s[56:57], s[18:19], s[68:69]
	v_mov_b32_e32 v16, v1
	s_mul_u64 s[58:59], s[46:47], s[10:11]
	s_and_not1_b32 vcc_lo, exec_lo, s65
	s_add_nc_u64 s[56:57], s[56:57], s[34:35]
	s_wait_alu 0xfffe
	s_cbranch_vccnz .LBB417_58
; %bb.10:                               ;   in Loop: Header=BB417_3 Depth=1
	v_cndmask_b32_e64 v2, 0, 4, s8
	v_cndmask_b32_e64 v3, 0, 2, s6
	v_add_co_u32 v17, vcc_lo, v29, s58
	s_wait_alu 0xfffd
	v_add_co_ci_u32_e64 v18, null, s59, v30, vcc_lo
	v_add_co_u32 v19, vcc_lo, s60, v5
	v_cndmask_b32_e64 v1, 0, 8, s7
	v_add_co_ci_u32_e64 v4, null, 0, v33, s9
	v_add_lshl_u32 v38, v2, v33, 2
	v_add_lshl_u32 v39, v3, v33, 2
	s_wait_alu 0xfffd
	v_add_co_ci_u32_e64 v20, null, s61, v6, vcc_lo
	v_add_co_u32 v21, vcc_lo, s60, v9
	v_dual_mov_b32 v2, v0 :: v_dual_mov_b32 v3, v0
	s_wait_alu 0xfffd
	v_add_co_ci_u32_e64 v22, null, s61, v10, vcc_lo
	v_add_co_u32 v23, vcc_lo, s60, v11
	v_add_lshl_u32 v37, v1, v33, 2
	v_dual_mov_b32 v1, v0 :: v_dual_lshlrev_b32 v40, 2, v4
	s_wait_alu 0xfffd
	v_add_co_ci_u32_e64 v24, null, s61, v12, vcc_lo
	v_add_co_u32 v25, vcc_lo, s60, v13
	v_mov_b32_e32 v4, v3
	s_wait_alu 0xfffd
	v_add_co_ci_u32_e64 v26, null, s61, v14, vcc_lo
	v_mov_b32_e32 v3, v2
	v_mov_b32_e32 v2, v1
	;; [unrolled: 1-line block ×3, first 2 shown]
	s_mov_b32 s24, 0
	s_branch .LBB417_12
.LBB417_11:                             ;   in Loop: Header=BB417_12 Depth=2
	s_wait_alu 0xfffe
	s_or_b32 exec_lo, exec_lo, s6
	v_add_co_u32 v17, vcc_lo, v17, s50
	s_wait_alu 0xfffd
	v_add_co_ci_u32_e64 v18, null, s51, v18, vcc_lo
	s_add_co_i32 s24, s24, 4
	s_wait_alu 0xfffe
	s_cmp_ge_i32 s24, s63
	s_cbranch_scc1 .LBB417_59
.LBB417_12:                             ;   Parent Loop BB417_3 Depth=1
                                        ; =>  This Loop Header: Depth=2
                                        ;       Child Loop BB417_43 Depth 3
                                        ;       Child Loop BB417_46 Depth 3
                                        ; implicit-def: $vgpr41
                                        ; implicit-def: $vgpr42
                                        ; implicit-def: $vgpr43
                                        ; implicit-def: $vgpr44
	s_and_saveexec_b32 s6, s1
	s_wait_alu 0xfffe
	s_xor_b32 s6, exec_lo, s6
	s_cbranch_execnz .LBB417_39
; %bb.13:                               ;   in Loop: Header=BB417_12 Depth=2
	s_wait_alu 0xfffe
	s_and_not1_saveexec_b32 s11, s6
	s_cbranch_execnz .LBB417_40
.LBB417_14:                             ;   in Loop: Header=BB417_12 Depth=2
	s_wait_alu 0xfffe
	s_or_b32 exec_lo, exec_lo, s11
	s_and_saveexec_b32 s6, s3
.LBB417_15:                             ;   in Loop: Header=BB417_12 Depth=2
	ds_store_b32 v31, v0
.LBB417_16:                             ;   in Loop: Header=BB417_12 Depth=2
	s_wait_alu 0xfffe
	s_or_b32 exec_lo, exec_lo, s6
	s_wait_dscnt 0x0
	ds_bpermute_b32 v27, v34, v44
	s_wait_storecnt_dscnt 0x0
	s_barrier_signal -1
	s_barrier_wait -1
	global_inv scope:SCOPE_SE
	v_add_f32_e32 v27, v44, v27
	ds_bpermute_b32 v28, v37, v27
	s_wait_dscnt 0x0
	v_add_f32_e32 v27, v27, v28
	ds_bpermute_b32 v28, v38, v27
	s_wait_dscnt 0x0
	;; [unrolled: 3-line block ×3, first 2 shown]
	v_add_f32_e32 v27, v27, v28
	ds_bpermute_b32 v28, v40, v27
	s_and_saveexec_b32 s6, s4
	s_cbranch_execz .LBB417_18
; %bb.17:                               ;   in Loop: Header=BB417_12 Depth=2
	s_wait_dscnt 0x0
	v_add_f32_e32 v27, v27, v28
	ds_store_b32 v32, v27
.LBB417_18:                             ;   in Loop: Header=BB417_12 Depth=2
	s_wait_alu 0xfffe
	s_or_b32 exec_lo, exec_lo, s6
	v_mov_b32_e32 v27, 0
	s_wait_loadcnt_dscnt 0x0
	s_barrier_signal -1
	s_barrier_wait -1
	global_inv scope:SCOPE_SE
	s_and_saveexec_b32 s6, s5
	s_cbranch_execnz .LBB417_47
; %bb.19:                               ;   in Loop: Header=BB417_12 Depth=2
	s_wait_alu 0xfffe
	s_or_b32 exec_lo, exec_lo, s6
	s_and_saveexec_b32 s6, s3
	s_cbranch_execnz .LBB417_48
.LBB417_20:                             ;   in Loop: Header=BB417_12 Depth=2
	s_wait_alu 0xfffe
	s_or_b32 exec_lo, exec_lo, s6
	s_and_saveexec_b32 s6, s3
.LBB417_21:                             ;   in Loop: Header=BB417_12 Depth=2
	ds_store_b32 v31, v0
.LBB417_22:                             ;   in Loop: Header=BB417_12 Depth=2
	s_wait_alu 0xfffe
	s_or_b32 exec_lo, exec_lo, s6
	ds_bpermute_b32 v28, v34, v43
	s_wait_loadcnt_dscnt 0x0
	s_barrier_signal -1
	s_barrier_wait -1
	global_inv scope:SCOPE_SE
	v_add_f32_e32 v28, v43, v28
	ds_bpermute_b32 v43, v37, v28
	s_wait_dscnt 0x0
	v_add_f32_e32 v28, v28, v43
	ds_bpermute_b32 v43, v38, v28
	s_wait_dscnt 0x0
	;; [unrolled: 3-line block ×3, first 2 shown]
	v_add_f32_e32 v28, v28, v43
	ds_bpermute_b32 v43, v40, v28
	s_and_saveexec_b32 s6, s4
	s_cbranch_execz .LBB417_24
; %bb.23:                               ;   in Loop: Header=BB417_12 Depth=2
	s_wait_dscnt 0x0
	v_add_f32_e32 v28, v28, v43
	ds_store_b32 v32, v28
.LBB417_24:                             ;   in Loop: Header=BB417_12 Depth=2
	s_wait_alu 0xfffe
	s_or_b32 exec_lo, exec_lo, s6
	v_mov_b32_e32 v28, 0
	s_wait_loadcnt_dscnt 0x0
	s_barrier_signal -1
	s_barrier_wait -1
	global_inv scope:SCOPE_SE
	s_and_saveexec_b32 s6, s5
	s_cbranch_execnz .LBB417_49
; %bb.25:                               ;   in Loop: Header=BB417_12 Depth=2
	s_wait_alu 0xfffe
	s_or_b32 exec_lo, exec_lo, s6
	s_and_saveexec_b32 s6, s3
	s_cbranch_execnz .LBB417_50
.LBB417_26:                             ;   in Loop: Header=BB417_12 Depth=2
	s_wait_alu 0xfffe
	s_or_b32 exec_lo, exec_lo, s6
	s_and_saveexec_b32 s6, s3
.LBB417_27:                             ;   in Loop: Header=BB417_12 Depth=2
	ds_store_b32 v31, v0
.LBB417_28:                             ;   in Loop: Header=BB417_12 Depth=2
	s_wait_alu 0xfffe
	s_or_b32 exec_lo, exec_lo, s6
	ds_bpermute_b32 v43, v34, v42
	s_wait_loadcnt_dscnt 0x0
	s_barrier_signal -1
	s_barrier_wait -1
	global_inv scope:SCOPE_SE
	v_add_f32_e32 v42, v42, v43
	ds_bpermute_b32 v43, v37, v42
	s_wait_dscnt 0x0
	v_add_f32_e32 v42, v42, v43
	ds_bpermute_b32 v43, v38, v42
	s_wait_dscnt 0x0
	;; [unrolled: 3-line block ×3, first 2 shown]
	v_add_f32_e32 v42, v42, v43
	ds_bpermute_b32 v43, v40, v42
	s_and_saveexec_b32 s6, s4
	s_cbranch_execz .LBB417_30
; %bb.29:                               ;   in Loop: Header=BB417_12 Depth=2
	s_wait_dscnt 0x0
	v_add_f32_e32 v42, v42, v43
	ds_store_b32 v32, v42
.LBB417_30:                             ;   in Loop: Header=BB417_12 Depth=2
	s_wait_alu 0xfffe
	s_or_b32 exec_lo, exec_lo, s6
	v_mov_b32_e32 v42, 0
	s_wait_loadcnt_dscnt 0x0
	s_barrier_signal -1
	s_barrier_wait -1
	global_inv scope:SCOPE_SE
	s_and_saveexec_b32 s6, s5
	s_cbranch_execnz .LBB417_51
; %bb.31:                               ;   in Loop: Header=BB417_12 Depth=2
	s_wait_alu 0xfffe
	s_or_b32 exec_lo, exec_lo, s6
	s_and_saveexec_b32 s6, s3
	s_cbranch_execnz .LBB417_52
.LBB417_32:                             ;   in Loop: Header=BB417_12 Depth=2
	s_wait_alu 0xfffe
	s_or_b32 exec_lo, exec_lo, s6
	s_and_saveexec_b32 s6, s3
.LBB417_33:                             ;   in Loop: Header=BB417_12 Depth=2
	ds_store_b32 v31, v0
.LBB417_34:                             ;   in Loop: Header=BB417_12 Depth=2
	s_wait_alu 0xfffe
	s_or_b32 exec_lo, exec_lo, s6
	ds_bpermute_b32 v43, v34, v41
	s_wait_loadcnt_dscnt 0x0
	s_barrier_signal -1
	s_barrier_wait -1
	global_inv scope:SCOPE_SE
	v_add_f32_e32 v41, v41, v43
	ds_bpermute_b32 v43, v37, v41
	s_wait_dscnt 0x0
	v_add_f32_e32 v41, v41, v43
	ds_bpermute_b32 v43, v38, v41
	s_wait_dscnt 0x0
	;; [unrolled: 3-line block ×3, first 2 shown]
	v_add_f32_e32 v41, v41, v43
	ds_bpermute_b32 v43, v40, v41
	s_and_saveexec_b32 s6, s4
	s_cbranch_execz .LBB417_36
; %bb.35:                               ;   in Loop: Header=BB417_12 Depth=2
	s_wait_dscnt 0x0
	v_add_f32_e32 v41, v41, v43
	ds_store_b32 v32, v41
.LBB417_36:                             ;   in Loop: Header=BB417_12 Depth=2
	s_wait_alu 0xfffe
	s_or_b32 exec_lo, exec_lo, s6
	v_mov_b32_e32 v41, 0
	s_wait_loadcnt_dscnt 0x0
	s_barrier_signal -1
	s_barrier_wait -1
	global_inv scope:SCOPE_SE
	s_and_saveexec_b32 s6, s5
	s_cbranch_execnz .LBB417_53
; %bb.37:                               ;   in Loop: Header=BB417_12 Depth=2
	s_wait_alu 0xfffe
	s_or_b32 exec_lo, exec_lo, s6
	s_and_saveexec_b32 s6, s3
	s_cbranch_execnz .LBB417_54
.LBB417_38:                             ;   in Loop: Header=BB417_12 Depth=2
	s_wait_alu 0xfffe
	s_or_b32 exec_lo, exec_lo, s6
	s_and_saveexec_b32 s6, s0
	s_cbranch_execz .LBB417_11
	s_branch .LBB417_55
.LBB417_39:                             ;   in Loop: Header=BB417_12 Depth=2
	s_mul_u64 s[8:9], s[24:25], s[26:27]
	s_or_b32 s66, s24, 1
	s_mov_b32 s67, s25
	s_wait_alu 0xfffe
	s_lshl_b64 s[8:9], s[8:9], 1
	s_mul_u64 s[66:67], s[66:67], s[26:27]
	s_wait_alu 0xfffe
	v_add_co_u32 v1, vcc_lo, v35, s8
	s_wait_alu 0xfffd
	v_add_co_ci_u32_e64 v2, null, s9, v36, vcc_lo
	s_lshl_b64 s[8:9], s[66:67], 1
	s_or_b32 s66, s24, 2
	s_mov_b32 s67, s25
	s_wait_alu 0xfffe
	v_add_co_u32 v3, vcc_lo, v35, s8
	s_wait_alu 0xfffd
	v_add_co_ci_u32_e64 v4, null, s9, v36, vcc_lo
	s_mul_u64 s[8:9], s[66:67], s[26:27]
	s_or_b32 s66, s24, 3
	s_wait_alu 0xfffe
	s_lshl_b64 s[8:9], s[8:9], 1
	s_mul_u64 s[66:67], s[66:67], s[26:27]
	s_wait_dscnt 0x0
	s_wait_alu 0xfffe
	v_add_co_u32 v27, vcc_lo, v35, s8
	s_wait_alu 0xfffd
	v_add_co_ci_u32_e64 v28, null, s9, v36, vcc_lo
	s_lshl_b64 s[8:9], s[66:67], 1
	s_wait_alu 0xfffe
	v_add_co_u32 v41, vcc_lo, v35, s8
	s_wait_alu 0xfffd
	v_add_co_ci_u32_e64 v42, null, s9, v36, vcc_lo
	global_load_u16 v49, v[19:20], off
	s_clause 0x3
	global_load_b64 v[43:44], v[1:2], off
	global_load_b64 v[45:46], v[3:4], off
	;; [unrolled: 1-line block ×4, first 2 shown]
	s_clause 0x2
	global_load_u16 v3, v[21:22], off
	global_load_u16 v4, v[23:24], off
	;; [unrolled: 1-line block ×3, first 2 shown]
	s_wait_loadcnt 0x7
	v_cvt_f32_f16_e32 v1, v49
	s_wait_loadcnt 0x6
	v_fma_mix_f32 v42, v49, v43, 0 op_sel_hi:[1,1,0]
	s_wait_loadcnt 0x5
	v_fma_mix_f32 v50, v49, v45, 0 op_sel_hi:[1,1,0]
	;; [unrolled: 2-line block ×4, first 2 shown]
	s_wait_loadcnt 0x2
	v_cvt_f32_f16_e32 v2, v3
	v_fma_mix_f32 v42, v3, v43, v42 op_sel:[0,1,0] op_sel_hi:[1,1,0]
	v_fma_mix_f32 v43, v3, v45, v50 op_sel:[0,1,0] op_sel_hi:[1,1,0]
	;; [unrolled: 1-line block ×4, first 2 shown]
	s_wait_loadcnt 0x1
	v_cvt_f32_f16_e32 v3, v4
	v_fma_mix_f32 v42, v4, v44, v42 op_sel_hi:[1,1,0]
	v_fma_mix_f32 v43, v4, v46, v43 op_sel_hi:[1,1,0]
	v_fma_mix_f32 v27, v4, v28, v27 op_sel_hi:[1,1,0]
	v_fma_mix_f32 v45, v48, v4, v45 op_sel_hi:[1,1,0]
	s_wait_loadcnt 0x0
	v_cvt_f32_f16_e32 v4, v41
	v_fma_mix_f32 v44, v41, v44, v42 op_sel:[0,1,0] op_sel_hi:[1,1,0]
	v_fma_mix_f32 v43, v41, v46, v43 op_sel:[0,1,0] op_sel_hi:[1,1,0]
	;; [unrolled: 1-line block ×4, first 2 shown]
	s_and_not1_saveexec_b32 s11, s6
	s_cbranch_execz .LBB417_14
.LBB417_40:                             ;   in Loop: Header=BB417_12 Depth=2
	s_wait_dscnt 0x0
	v_dual_mov_b32 v41, 0 :: v_dual_mov_b32 v42, 0
	v_dual_mov_b32 v43, 0 :: v_dual_mov_b32 v44, 0
	s_and_saveexec_b32 s66, s2
	s_cbranch_execz .LBB417_57
; %bb.41:                               ;   in Loop: Header=BB417_12 Depth=2
	s_and_not1_b32 vcc_lo, exec_lo, s20
	s_wait_alu 0xfffe
	s_cbranch_vccnz .LBB417_44
; %bb.42:                               ;   in Loop: Header=BB417_12 Depth=2
	v_dual_mov_b32 v28, v16 :: v_dual_mov_b32 v27, v15
	s_mov_b64 s[8:9], 0
.LBB417_43:                             ;   Parent Loop BB417_3 Depth=1
                                        ;     Parent Loop BB417_12 Depth=2
                                        ; =>    This Inner Loop Header: Depth=3
	global_load_u16 v41, v[27:28], off
	s_wait_alu 0xfffe
	s_cmp_eq_u32 s8, 3
	v_add_co_u32 v27, vcc_lo, v27, s44
	s_wait_alu 0xfffd
	v_add_co_ci_u32_e64 v28, null, s45, v28, vcc_lo
	s_cselect_b32 vcc_lo, -1, 0
	s_cmp_eq_u32 s8, 2
	s_cselect_b32 s6, -1, 0
	s_cmp_eq_u32 s8, 1
	s_cselect_b32 s7, -1, 0
	s_cmp_eq_u32 s8, 0
	s_add_nc_u64 s[8:9], s[8:9], 1
	s_wait_loadcnt 0x0
	v_cvt_f32_f16_e32 v41, v41
	s_wait_alu 0xfffe
	s_delay_alu instid0(VALU_DEP_1)
	v_cndmask_b32_e32 v4, v4, v41, vcc_lo
	s_cselect_b32 vcc_lo, -1, 0
	v_cndmask_b32_e64 v3, v3, v41, s6
	v_cndmask_b32_e64 v2, v2, v41, s7
	s_wait_alu 0xfffe
	v_cndmask_b32_e32 v1, v1, v41, vcc_lo
	s_cmp_eq_u32 s64, s8
	s_cbranch_scc0 .LBB417_43
.LBB417_44:                             ;   in Loop: Header=BB417_12 Depth=2
	s_and_not1_b32 vcc_lo, exec_lo, s20
	s_wait_alu 0xfffe
	s_cbranch_vccnz .LBB417_56
; %bb.45:                               ;   in Loop: Header=BB417_12 Depth=2
	v_dual_mov_b32 v28, v18 :: v_dual_mov_b32 v43, 0
	v_dual_mov_b32 v44, 0 :: v_dual_mov_b32 v27, v17
	;; [unrolled: 1-line block ×3, first 2 shown]
	s_mov_b64 s[8:9], 0
.LBB417_46:                             ;   Parent Loop BB417_3 Depth=1
                                        ;     Parent Loop BB417_12 Depth=2
                                        ; =>    This Inner Loop Header: Depth=3
	s_delay_alu instid0(VALU_DEP_2)
	v_add_co_u32 v45, vcc_lo, v27, s52
	s_wait_alu 0xfffd
	v_add_co_ci_u32_e64 v46, null, s53, v28, vcc_lo
	v_add_co_u32 v47, vcc_lo, v27, s54
	s_wait_alu 0xfffd
	v_add_co_ci_u32_e64 v48, null, s55, v28, vcc_lo
	;; [unrolled: 3-line block ×3, first 2 shown]
	s_clause 0x3
	global_load_u16 v51, v[27:28], off
	global_load_u16 v45, v[45:46], off
	;; [unrolled: 1-line block ×4, first 2 shown]
	s_wait_alu 0xfffe
	s_cmp_eq_u32 s8, 1
	v_add_co_u32 v27, s6, v27, 2
	s_cselect_b32 vcc_lo, -1, 0
	s_cmp_eq_u32 s8, 2
	s_wait_alu 0xfffe
	v_cndmask_b32_e32 v48, v1, v2, vcc_lo
	s_cselect_b32 vcc_lo, -1, 0
	s_cmp_eq_u32 s8, 3
	v_add_co_ci_u32_e64 v28, null, 0, v28, s6
	s_wait_alu 0xfffe
	v_cndmask_b32_e32 v48, v48, v3, vcc_lo
	s_cselect_b32 vcc_lo, -1, 0
	s_add_nc_u64 s[8:9], s[8:9], 1
	s_wait_alu 0xfffe
	s_cmp_lg_u32 s64, s8
	v_cndmask_b32_e32 v48, v48, v4, vcc_lo
	s_wait_loadcnt 0x3
	s_delay_alu instid0(VALU_DEP_1)
	v_fma_mix_f32 v44, v48, v51, v44 op_sel_hi:[0,1,0]
	s_wait_loadcnt 0x2
	v_fma_mix_f32 v43, v48, v45, v43 op_sel_hi:[0,1,0]
	s_wait_loadcnt 0x1
	v_fma_mix_f32 v42, v48, v46, v42 op_sel_hi:[0,1,0]
	s_wait_loadcnt 0x0
	v_fma_mix_f32 v41, v48, v47, v41 op_sel_hi:[0,1,0]
	s_cbranch_scc1 .LBB417_46
	s_branch .LBB417_57
.LBB417_47:                             ;   in Loop: Header=BB417_12 Depth=2
	ds_load_b32 v27, v31
	s_wait_alu 0xfffe
	s_or_b32 exec_lo, exec_lo, s6
	s_and_saveexec_b32 s6, s3
	s_cbranch_execz .LBB417_20
.LBB417_48:                             ;   in Loop: Header=BB417_12 Depth=2
	s_wait_dscnt 0x0
	ds_bpermute_b32 v28, v38, v27
	s_wait_dscnt 0x0
	v_add_f32_e32 v27, v27, v28
	ds_bpermute_b32 v28, v39, v27
	s_wait_dscnt 0x0
	v_add_f32_e32 v27, v27, v28
	;; [unrolled: 3-line block ×3, first 2 shown]
	s_wait_alu 0xfffe
	s_or_b32 exec_lo, exec_lo, s6
	s_and_saveexec_b32 s6, s3
	s_cbranch_execnz .LBB417_21
	s_branch .LBB417_22
.LBB417_49:                             ;   in Loop: Header=BB417_12 Depth=2
	ds_load_b32 v28, v31
	s_wait_alu 0xfffe
	s_or_b32 exec_lo, exec_lo, s6
	s_and_saveexec_b32 s6, s3
	s_cbranch_execz .LBB417_26
.LBB417_50:                             ;   in Loop: Header=BB417_12 Depth=2
	s_wait_dscnt 0x0
	ds_bpermute_b32 v43, v38, v28
	s_wait_dscnt 0x0
	v_add_f32_e32 v28, v28, v43
	ds_bpermute_b32 v43, v39, v28
	s_wait_dscnt 0x0
	v_add_f32_e32 v28, v28, v43
	;; [unrolled: 3-line block ×3, first 2 shown]
	s_wait_alu 0xfffe
	s_or_b32 exec_lo, exec_lo, s6
	s_and_saveexec_b32 s6, s3
	s_cbranch_execnz .LBB417_27
	s_branch .LBB417_28
.LBB417_51:                             ;   in Loop: Header=BB417_12 Depth=2
	ds_load_b32 v42, v31
	s_wait_alu 0xfffe
	s_or_b32 exec_lo, exec_lo, s6
	s_and_saveexec_b32 s6, s3
	s_cbranch_execz .LBB417_32
.LBB417_52:                             ;   in Loop: Header=BB417_12 Depth=2
	s_wait_dscnt 0x0
	ds_bpermute_b32 v43, v38, v42
	s_wait_dscnt 0x0
	v_add_f32_e32 v42, v42, v43
	ds_bpermute_b32 v43, v39, v42
	s_wait_dscnt 0x0
	v_add_f32_e32 v42, v42, v43
	;; [unrolled: 3-line block ×3, first 2 shown]
	s_wait_alu 0xfffe
	s_or_b32 exec_lo, exec_lo, s6
	s_and_saveexec_b32 s6, s3
	s_cbranch_execnz .LBB417_33
	s_branch .LBB417_34
.LBB417_53:                             ;   in Loop: Header=BB417_12 Depth=2
	ds_load_b32 v41, v31
	s_wait_alu 0xfffe
	s_or_b32 exec_lo, exec_lo, s6
	s_and_saveexec_b32 s6, s3
	s_cbranch_execz .LBB417_38
.LBB417_54:                             ;   in Loop: Header=BB417_12 Depth=2
	s_wait_dscnt 0x0
	ds_bpermute_b32 v43, v38, v41
	s_wait_dscnt 0x0
	v_add_f32_e32 v41, v41, v43
	ds_bpermute_b32 v43, v39, v41
	s_wait_dscnt 0x0
	v_add_f32_e32 v41, v41, v43
	;; [unrolled: 3-line block ×3, first 2 shown]
	s_wait_alu 0xfffe
	s_or_b32 exec_lo, exec_lo, s6
	s_and_saveexec_b32 s6, s0
	s_cbranch_execz .LBB417_11
.LBB417_55:                             ;   in Loop: Header=BB417_12 Depth=2
	s_mul_u64 s[8:9], s[24:25], s[28:29]
	v_dual_mul_f32 v27, s22, v27 :: v_dual_mul_f32 v28, s22, v28
	s_or_b32 s66, s24, 1
	s_mov_b32 s67, s25
	s_wait_alu 0xfffe
	s_lshl_b64 s[8:9], s[8:9], 2
	s_mul_u64 s[66:67], s[66:67], s[28:29]
	s_wait_alu 0xfffe
	s_add_nc_u64 s[8:9], s[56:57], s[8:9]
	s_or_b32 s68, s24, 2
	s_mov_b32 s69, s25
	global_store_b32 v0, v27, s[8:9]
	s_lshl_b64 s[8:9], s[66:67], 2
	s_mul_u64 s[66:67], s[68:69], s[28:29]
	s_or_b32 s68, s24, 3
	s_wait_alu 0xfffe
	s_add_nc_u64 s[8:9], s[56:57], s[8:9]
	s_mul_u64 s[68:69], s[68:69], s[28:29]
	v_mul_f32_e32 v27, s22, v42
	global_store_b32 v0, v28, s[8:9]
	s_lshl_b64 s[8:9], s[66:67], 2
	s_wait_dscnt 0x0
	v_mul_f32_e32 v28, s22, v41
	s_lshl_b64 s[66:67], s[68:69], 2
	s_wait_alu 0xfffe
	s_add_nc_u64 s[8:9], s[56:57], s[8:9]
	s_add_nc_u64 s[66:67], s[56:57], s[66:67]
	s_clause 0x1
	global_store_b32 v0, v27, s[8:9]
	global_store_b32 v0, v28, s[66:67]
	s_branch .LBB417_11
.LBB417_56:                             ;   in Loop: Header=BB417_12 Depth=2
	v_dual_mov_b32 v41, 0 :: v_dual_mov_b32 v42, 0
	v_dual_mov_b32 v43, 0 :: v_dual_mov_b32 v44, 0
.LBB417_57:                             ;   in Loop: Header=BB417_12 Depth=2
	s_wait_alu 0xfffe
	s_or_b32 exec_lo, exec_lo, s66
	s_delay_alu instid0(SALU_CYCLE_1)
	s_or_b32 exec_lo, exec_lo, s11
	s_and_saveexec_b32 s6, s3
	s_cbranch_execnz .LBB417_15
	s_branch .LBB417_16
.LBB417_58:                             ;   in Loop: Header=BB417_3 Depth=1
	v_mov_b32_e32 v3, v0
	v_dual_mov_b32 v1, v0 :: v_dual_mov_b32 v2, v0
	s_mov_b32 s24, 0
	s_delay_alu instid0(VALU_DEP_2) | instskip(NEXT) | instid1(VALU_DEP_2)
	v_mov_b32_e32 v4, v3
	v_mov_b32_e32 v3, v2
	s_delay_alu instid0(VALU_DEP_3)
	v_mov_b32_e32 v2, v1
	v_mov_b32_e32 v1, v0
.LBB417_59:                             ;   in Loop: Header=BB417_3 Depth=1
	s_wait_alu 0xfffe
	s_cmp_ge_i32 s24, s21
	s_cbranch_scc1 .LBB417_2
; %bb.60:                               ;   in Loop: Header=BB417_3 Depth=1
	v_cmp_gt_u32_e32 vcc_lo, 24, v33
	s_mul_u64 s[6:7], s[52:53], s[24:25]
	s_wait_alu 0xfffe
	s_add_nc_u64 s[6:7], s[6:7], s[58:59]
	s_wait_alu 0xfffd
	v_cndmask_b32_e64 v17, 0, 8, vcc_lo
	v_cmp_gt_u32_e32 vcc_lo, 28, v33
	s_delay_alu instid0(VALU_DEP_2) | instskip(SKIP_3) | instid1(VALU_DEP_2)
	v_add_lshl_u32 v37, v17, v33, 2
	s_wait_alu 0xfffd
	v_cndmask_b32_e64 v18, 0, 4, vcc_lo
	v_cmp_gt_u32_e32 vcc_lo, 30, v33
	v_add_lshl_u32 v38, v18, v33, 2
	s_wait_alu 0xfffd
	v_cndmask_b32_e64 v19, 0, 2, vcc_lo
	v_cmp_ne_u32_e32 vcc_lo, 31, v33
	s_delay_alu instid0(VALU_DEP_2)
	v_add_lshl_u32 v39, v19, v33, 2
	s_wait_alu 0xfffd
	v_add_co_ci_u32_e64 v20, null, 0, v33, vcc_lo
	v_add_co_u32 v17, vcc_lo, s60, v5
	s_wait_alu 0xfffd
	v_add_co_ci_u32_e64 v18, null, s61, v6, vcc_lo
	v_add_co_u32 v19, vcc_lo, s60, v9
	v_lshlrev_b32_e32 v40, 2, v20
	s_wait_alu 0xfffd
	v_add_co_ci_u32_e64 v20, null, s61, v10, vcc_lo
	v_add_co_u32 v21, vcc_lo, s60, v11
	s_wait_alu 0xfffd
	v_add_co_ci_u32_e64 v22, null, s61, v12, vcc_lo
	v_add_co_u32 v23, vcc_lo, s60, v13
	s_wait_alu 0xfffd
	v_add_co_ci_u32_e64 v24, null, s61, v14, vcc_lo
	s_wait_alu 0xfffe
	v_add_co_u32 v25, vcc_lo, v29, s6
	s_wait_alu 0xfffd
	v_add_co_ci_u32_e64 v26, null, s7, v30, vcc_lo
	s_branch .LBB417_62
.LBB417_61:                             ;   in Loop: Header=BB417_62 Depth=2
	s_wait_alu 0xfffe
	s_or_b32 exec_lo, exec_lo, s6
	v_add_co_u32 v25, vcc_lo, v25, s52
	s_wait_alu 0xfffd
	v_add_co_ci_u32_e64 v26, null, s53, v26, vcc_lo
	s_add_co_i32 s24, s24, 1
	s_wait_alu 0xfffe
	s_cmp_ge_i32 s24, s21
	s_cbranch_scc1 .LBB417_2
.LBB417_62:                             ;   Parent Loop BB417_3 Depth=1
                                        ; =>  This Loop Header: Depth=2
                                        ;       Child Loop BB417_75 Depth 3
                                        ;       Child Loop BB417_78 Depth 3
	s_wait_dscnt 0x0
	v_mov_b32_e32 v41, s25
	s_and_saveexec_b32 s6, s1
	s_wait_alu 0xfffe
	s_xor_b32 s6, exec_lo, s6
	s_cbranch_execnz .LBB417_71
; %bb.63:                               ;   in Loop: Header=BB417_62 Depth=2
	s_wait_alu 0xfffe
	s_and_not1_saveexec_b32 s11, s6
	s_cbranch_execnz .LBB417_72
.LBB417_64:                             ;   in Loop: Header=BB417_62 Depth=2
	s_wait_alu 0xfffe
	s_or_b32 exec_lo, exec_lo, s11
	s_and_saveexec_b32 s6, s3
.LBB417_65:                             ;   in Loop: Header=BB417_62 Depth=2
	ds_store_b32 v31, v0
.LBB417_66:                             ;   in Loop: Header=BB417_62 Depth=2
	s_wait_alu 0xfffe
	s_or_b32 exec_lo, exec_lo, s6
	ds_bpermute_b32 v27, v34, v41
	s_wait_storecnt 0x0
	s_wait_loadcnt_dscnt 0x0
	s_barrier_signal -1
	s_barrier_wait -1
	global_inv scope:SCOPE_SE
	v_add_f32_e32 v27, v41, v27
	ds_bpermute_b32 v28, v37, v27
	s_wait_dscnt 0x0
	v_add_f32_e32 v27, v27, v28
	ds_bpermute_b32 v28, v38, v27
	s_wait_dscnt 0x0
	;; [unrolled: 3-line block ×3, first 2 shown]
	v_add_f32_e32 v27, v27, v28
	ds_bpermute_b32 v28, v40, v27
	s_and_saveexec_b32 s6, s4
	s_cbranch_execz .LBB417_68
; %bb.67:                               ;   in Loop: Header=BB417_62 Depth=2
	s_wait_dscnt 0x0
	v_add_f32_e32 v27, v27, v28
	ds_store_b32 v32, v27
.LBB417_68:                             ;   in Loop: Header=BB417_62 Depth=2
	s_wait_alu 0xfffe
	s_or_b32 exec_lo, exec_lo, s6
	v_mov_b32_e32 v27, 0
	s_wait_loadcnt_dscnt 0x0
	s_barrier_signal -1
	s_barrier_wait -1
	global_inv scope:SCOPE_SE
	s_and_saveexec_b32 s6, s5
	s_cbranch_execnz .LBB417_80
; %bb.69:                               ;   in Loop: Header=BB417_62 Depth=2
	s_wait_alu 0xfffe
	s_or_b32 exec_lo, exec_lo, s6
	s_and_saveexec_b32 s6, s3
	s_cbranch_execnz .LBB417_81
.LBB417_70:                             ;   in Loop: Header=BB417_62 Depth=2
	s_wait_alu 0xfffe
	s_or_b32 exec_lo, exec_lo, s6
	s_and_saveexec_b32 s6, s0
	s_cbranch_execz .LBB417_61
	s_branch .LBB417_82
.LBB417_71:                             ;   in Loop: Header=BB417_62 Depth=2
	s_mul_u64 s[8:9], s[24:25], s[26:27]
	s_wait_alu 0xfffe
	s_lshl_b64 s[8:9], s[8:9], 1
	s_wait_alu 0xfffe
	v_add_co_u32 v1, vcc_lo, v35, s8
	s_wait_alu 0xfffd
	v_add_co_ci_u32_e64 v2, null, s9, v36, vcc_lo
	global_load_b64 v[27:28], v[1:2], off
	s_clause 0x3
	global_load_u16 v1, v[17:18], off
	global_load_u16 v2, v[19:20], off
	;; [unrolled: 1-line block ×4, first 2 shown]
	s_wait_loadcnt 0x3
	v_fma_mix_f32 v4, v1, v27, 0 op_sel_hi:[1,1,0]
	v_cvt_f32_f16_e32 v1, v1
	s_wait_loadcnt 0x2
	s_delay_alu instid0(VALU_DEP_2) | instskip(SKIP_2) | instid1(VALU_DEP_2)
	v_fma_mix_f32 v4, v2, v27, v4 op_sel:[0,1,0] op_sel_hi:[1,1,0]
	v_cvt_f32_f16_e32 v2, v2
	s_wait_loadcnt 0x1
	v_fma_mix_f32 v27, v3, v28, v4 op_sel_hi:[1,1,0]
	v_cvt_f32_f16_e32 v3, v3
	s_wait_loadcnt 0x0
	v_cvt_f32_f16_e32 v4, v41
	s_delay_alu instid0(VALU_DEP_3)
	v_fma_mix_f32 v41, v41, v28, v27 op_sel:[0,1,0] op_sel_hi:[1,1,0]
	s_and_not1_saveexec_b32 s11, s6
	s_cbranch_execz .LBB417_64
.LBB417_72:                             ;   in Loop: Header=BB417_62 Depth=2
	s_and_saveexec_b32 s58, s2
	s_cbranch_execz .LBB417_79
; %bb.73:                               ;   in Loop: Header=BB417_62 Depth=2
	s_and_not1_b32 vcc_lo, exec_lo, s20
	s_wait_alu 0xfffe
	s_cbranch_vccnz .LBB417_76
; %bb.74:                               ;   in Loop: Header=BB417_62 Depth=2
	v_dual_mov_b32 v28, v16 :: v_dual_mov_b32 v27, v15
	s_mov_b64 s[8:9], 0
.LBB417_75:                             ;   Parent Loop BB417_3 Depth=1
                                        ;     Parent Loop BB417_62 Depth=2
                                        ; =>    This Inner Loop Header: Depth=3
	global_load_u16 v42, v[27:28], off
	s_wait_alu 0xfffe
	s_cmp_eq_u32 s8, 3
	v_add_co_u32 v27, vcc_lo, v27, s44
	s_wait_alu 0xfffd
	v_add_co_ci_u32_e64 v28, null, s45, v28, vcc_lo
	s_cselect_b32 vcc_lo, -1, 0
	s_cmp_eq_u32 s8, 2
	s_cselect_b32 s6, -1, 0
	s_cmp_eq_u32 s8, 1
	s_cselect_b32 s7, -1, 0
	s_cmp_eq_u32 s8, 0
	s_add_nc_u64 s[8:9], s[8:9], 1
	s_wait_loadcnt 0x0
	v_cvt_f32_f16_e32 v42, v42
	s_wait_alu 0xfffe
	s_delay_alu instid0(VALU_DEP_1)
	v_cndmask_b32_e32 v4, v4, v42, vcc_lo
	s_cselect_b32 vcc_lo, -1, 0
	v_cndmask_b32_e64 v3, v3, v42, s6
	v_cndmask_b32_e64 v2, v2, v42, s7
	s_wait_alu 0xfffe
	v_cndmask_b32_e32 v1, v1, v42, vcc_lo
	s_cmp_eq_u32 s64, s8
	s_cbranch_scc0 .LBB417_75
.LBB417_76:                             ;   in Loop: Header=BB417_62 Depth=2
	s_and_not1_b32 vcc_lo, exec_lo, s20
	s_wait_alu 0xfffe
	s_cbranch_vccnz .LBB417_79
; %bb.77:                               ;   in Loop: Header=BB417_62 Depth=2
	v_dual_mov_b32 v28, v26 :: v_dual_mov_b32 v27, v25
	s_mov_b64 s[6:7], 0
.LBB417_78:                             ;   Parent Loop BB417_3 Depth=1
                                        ;     Parent Loop BB417_62 Depth=2
                                        ; =>    This Inner Loop Header: Depth=3
	global_load_u16 v42, v[27:28], off
	s_wait_alu 0xfffe
	s_cmp_eq_u32 s6, 1
	s_cselect_b32 vcc_lo, -1, 0
	s_cmp_eq_u32 s6, 2
	s_wait_alu 0xfffe
	v_cndmask_b32_e32 v43, v1, v2, vcc_lo
	s_cselect_b32 vcc_lo, -1, 0
	s_cmp_eq_u32 s6, 3
	s_add_nc_u64 s[6:7], s[6:7], 1
	s_wait_alu 0xfffe
	v_cndmask_b32_e32 v43, v43, v3, vcc_lo
	s_cselect_b32 vcc_lo, -1, 0
	s_cmp_lg_u32 s64, s6
	s_wait_alu 0xfffe
	s_delay_alu instid0(VALU_DEP_1)
	v_cndmask_b32_e32 v43, v43, v4, vcc_lo
	v_add_co_u32 v27, vcc_lo, v27, 2
	s_wait_alu 0xfffd
	v_add_co_ci_u32_e64 v28, null, 0, v28, vcc_lo
	s_wait_loadcnt 0x0
	v_fma_mix_f32 v41, v43, v42, v41 op_sel_hi:[0,1,0]
	s_cbranch_scc1 .LBB417_78
.LBB417_79:                             ;   in Loop: Header=BB417_62 Depth=2
	s_wait_alu 0xfffe
	s_or_b32 exec_lo, exec_lo, s58
	s_delay_alu instid0(SALU_CYCLE_1)
	s_or_b32 exec_lo, exec_lo, s11
	s_and_saveexec_b32 s6, s3
	s_cbranch_execnz .LBB417_65
	s_branch .LBB417_66
.LBB417_80:                             ;   in Loop: Header=BB417_62 Depth=2
	ds_load_b32 v27, v31
	s_wait_alu 0xfffe
	s_or_b32 exec_lo, exec_lo, s6
	s_and_saveexec_b32 s6, s3
	s_cbranch_execz .LBB417_70
.LBB417_81:                             ;   in Loop: Header=BB417_62 Depth=2
	s_wait_dscnt 0x0
	ds_bpermute_b32 v28, v38, v27
	s_wait_dscnt 0x0
	v_add_f32_e32 v27, v27, v28
	ds_bpermute_b32 v28, v39, v27
	s_wait_dscnt 0x0
	v_add_f32_e32 v27, v27, v28
	ds_bpermute_b32 v28, v40, v27
	s_wait_dscnt 0x0
	v_add_f32_e32 v27, v27, v28
	s_wait_alu 0xfffe
	s_or_b32 exec_lo, exec_lo, s6
	s_and_saveexec_b32 s6, s0
	s_cbranch_execz .LBB417_61
.LBB417_82:                             ;   in Loop: Header=BB417_62 Depth=2
	s_mul_u64 s[8:9], s[24:25], s[28:29]
	s_wait_dscnt 0x0
	v_mul_f32_e32 v27, s22, v27
	s_wait_alu 0xfffe
	s_lshl_b64 s[8:9], s[8:9], 2
	s_wait_alu 0xfffe
	s_add_nc_u64 s[8:9], s[56:57], s[8:9]
	global_store_b32 v0, v27, s[8:9]
	s_branch .LBB417_61
.LBB417_83:
	s_endpgm
	.section	.rodata,"a",@progbits
	.p2align	6, 0x0
	.amdhsa_kernel _ZL23rocblas_gemvt_sn_kernelILb1ELi256ELi4ElDF16_ffEviiT4_lPKT3_lilS3_lilPT5_i
		.amdhsa_group_segment_fixed_size 128
		.amdhsa_private_segment_fixed_size 0
		.amdhsa_kernarg_size 360
		.amdhsa_user_sgpr_count 2
		.amdhsa_user_sgpr_dispatch_ptr 0
		.amdhsa_user_sgpr_queue_ptr 0
		.amdhsa_user_sgpr_kernarg_segment_ptr 1
		.amdhsa_user_sgpr_dispatch_id 0
		.amdhsa_user_sgpr_private_segment_size 0
		.amdhsa_wavefront_size32 1
		.amdhsa_uses_dynamic_stack 0
		.amdhsa_enable_private_segment 0
		.amdhsa_system_sgpr_workgroup_id_x 1
		.amdhsa_system_sgpr_workgroup_id_y 0
		.amdhsa_system_sgpr_workgroup_id_z 1
		.amdhsa_system_sgpr_workgroup_info 0
		.amdhsa_system_vgpr_workitem_id 0
		.amdhsa_next_free_vgpr 52
		.amdhsa_next_free_sgpr 70
		.amdhsa_reserve_vcc 1
		.amdhsa_float_round_mode_32 0
		.amdhsa_float_round_mode_16_64 0
		.amdhsa_float_denorm_mode_32 3
		.amdhsa_float_denorm_mode_16_64 3
		.amdhsa_fp16_overflow 0
		.amdhsa_workgroup_processor_mode 1
		.amdhsa_memory_ordered 1
		.amdhsa_forward_progress 1
		.amdhsa_inst_pref_size 36
		.amdhsa_round_robin_scheduling 0
		.amdhsa_exception_fp_ieee_invalid_op 0
		.amdhsa_exception_fp_denorm_src 0
		.amdhsa_exception_fp_ieee_div_zero 0
		.amdhsa_exception_fp_ieee_overflow 0
		.amdhsa_exception_fp_ieee_underflow 0
		.amdhsa_exception_fp_ieee_inexact 0
		.amdhsa_exception_int_div_zero 0
	.end_amdhsa_kernel
	.section	.text._ZL23rocblas_gemvt_sn_kernelILb1ELi256ELi4ElDF16_ffEviiT4_lPKT3_lilS3_lilPT5_i,"axG",@progbits,_ZL23rocblas_gemvt_sn_kernelILb1ELi256ELi4ElDF16_ffEviiT4_lPKT3_lilS3_lilPT5_i,comdat
.Lfunc_end417:
	.size	_ZL23rocblas_gemvt_sn_kernelILb1ELi256ELi4ElDF16_ffEviiT4_lPKT3_lilS3_lilPT5_i, .Lfunc_end417-_ZL23rocblas_gemvt_sn_kernelILb1ELi256ELi4ElDF16_ffEviiT4_lPKT3_lilS3_lilPT5_i
                                        ; -- End function
	.set _ZL23rocblas_gemvt_sn_kernelILb1ELi256ELi4ElDF16_ffEviiT4_lPKT3_lilS3_lilPT5_i.num_vgpr, 52
	.set _ZL23rocblas_gemvt_sn_kernelILb1ELi256ELi4ElDF16_ffEviiT4_lPKT3_lilS3_lilPT5_i.num_agpr, 0
	.set _ZL23rocblas_gemvt_sn_kernelILb1ELi256ELi4ElDF16_ffEviiT4_lPKT3_lilS3_lilPT5_i.numbered_sgpr, 70
	.set _ZL23rocblas_gemvt_sn_kernelILb1ELi256ELi4ElDF16_ffEviiT4_lPKT3_lilS3_lilPT5_i.num_named_barrier, 0
	.set _ZL23rocblas_gemvt_sn_kernelILb1ELi256ELi4ElDF16_ffEviiT4_lPKT3_lilS3_lilPT5_i.private_seg_size, 0
	.set _ZL23rocblas_gemvt_sn_kernelILb1ELi256ELi4ElDF16_ffEviiT4_lPKT3_lilS3_lilPT5_i.uses_vcc, 1
	.set _ZL23rocblas_gemvt_sn_kernelILb1ELi256ELi4ElDF16_ffEviiT4_lPKT3_lilS3_lilPT5_i.uses_flat_scratch, 0
	.set _ZL23rocblas_gemvt_sn_kernelILb1ELi256ELi4ElDF16_ffEviiT4_lPKT3_lilS3_lilPT5_i.has_dyn_sized_stack, 0
	.set _ZL23rocblas_gemvt_sn_kernelILb1ELi256ELi4ElDF16_ffEviiT4_lPKT3_lilS3_lilPT5_i.has_recursion, 0
	.set _ZL23rocblas_gemvt_sn_kernelILb1ELi256ELi4ElDF16_ffEviiT4_lPKT3_lilS3_lilPT5_i.has_indirect_call, 0
	.section	.AMDGPU.csdata,"",@progbits
; Kernel info:
; codeLenInByte = 4576
; TotalNumSgprs: 72
; NumVgprs: 52
; ScratchSize: 0
; MemoryBound: 0
; FloatMode: 240
; IeeeMode: 1
; LDSByteSize: 128 bytes/workgroup (compile time only)
; SGPRBlocks: 0
; VGPRBlocks: 6
; NumSGPRsForWavesPerEU: 72
; NumVGPRsForWavesPerEU: 52
; Occupancy: 16
; WaveLimiterHint : 0
; COMPUTE_PGM_RSRC2:SCRATCH_EN: 0
; COMPUTE_PGM_RSRC2:USER_SGPR: 2
; COMPUTE_PGM_RSRC2:TRAP_HANDLER: 0
; COMPUTE_PGM_RSRC2:TGID_X_EN: 1
; COMPUTE_PGM_RSRC2:TGID_Y_EN: 0
; COMPUTE_PGM_RSRC2:TGID_Z_EN: 1
; COMPUTE_PGM_RSRC2:TIDIG_COMP_CNT: 0
	.section	.text._ZL20rocblas_gemvt_kernelILb1ELi256EDF16_PKfDF16_EviiT2_lPKT1_lilS5_lilS2_lPT3_lili,"axG",@progbits,_ZL20rocblas_gemvt_kernelILb1ELi256EDF16_PKfDF16_EviiT2_lPKT1_lilS5_lilS2_lPT3_lili,comdat
	.globl	_ZL20rocblas_gemvt_kernelILb1ELi256EDF16_PKfDF16_EviiT2_lPKT1_lilS5_lilS2_lPT3_lili ; -- Begin function _ZL20rocblas_gemvt_kernelILb1ELi256EDF16_PKfDF16_EviiT2_lPKT1_lilS5_lilS2_lPT3_lili
	.p2align	8
	.type	_ZL20rocblas_gemvt_kernelILb1ELi256EDF16_PKfDF16_EviiT2_lPKT1_lilS5_lilS2_lPT3_lili,@function
_ZL20rocblas_gemvt_kernelILb1ELi256EDF16_PKfDF16_EviiT2_lPKT1_lilS5_lilS2_lPT3_lili: ; @_ZL20rocblas_gemvt_kernelILb1ELi256EDF16_PKfDF16_EviiT2_lPKT1_lilS5_lilS2_lPT3_lili
; %bb.0:
	s_load_b32 s33, s[0:1], 0x88
	s_lshr_b32 s10, ttmp7, 16
	s_wait_kmcnt 0x0
	s_cmp_ge_u32 s10, s33
	s_cbranch_scc1 .LBB418_41
; %bb.1:
	s_clause 0x7
	s_load_b32 s8, s[0:1], 0x28
	s_load_b96 s[4:6], s[0:1], 0x40
	s_load_b96 s[36:38], s[0:1], 0x70
	s_load_b256 s[12:19], s[0:1], 0x8
	s_load_b32 s7, s[0:1], 0x0
	s_load_b128 s[28:31], s[0:1], 0x30
	s_load_b256 s[20:27], s[0:1], 0x50
	s_load_b64 s[34:35], s[0:1], 0x80
	s_mov_b32 s2, ttmp9
	s_ashr_i32 s3, ttmp9, 31
	v_lshlrev_b32_e32 v13, 2, v0
	s_mov_b32 s11, 0
	v_mov_b32_e32 v10, 0
	s_wait_kmcnt 0x0
	s_ashr_i32 s9, s8, 31
	s_lshl_b64 s[0:1], s[4:5], 1
	s_lshl_b64 s[4:5], s[36:37], 1
	;; [unrolled: 1-line block ×3, first 2 shown]
	v_cmp_gt_i32_e32 vcc_lo, s7, v0
	s_ashr_i32 s39, s38, 31
	s_add_nc_u64 s[26:27], s[26:27], s[4:5]
	s_add_nc_u64 s[4:5], s[16:17], s[42:43]
	s_mul_u64 s[44:45], s[38:39], s[2:3]
	v_cndmask_b32_e32 v1, 0, v0, vcc_lo
	s_mul_u64 s[2:3], s[8:9], s[2:3]
	s_add_nc_u64 s[18:19], s[30:31], s[0:1]
	s_ashr_i32 s1, s7, 31
	s_lshl_b64 s[38:39], s[2:3], 1
	v_lshlrev_b32_e32 v3, 1, v1
	s_lshr_b32 s1, s1, 24
	s_add_nc_u64 s[42:43], s[38:39], s[42:43]
	s_add_co_i32 s1, s7, s1
	s_ashr_i32 s41, s6, 31
	v_add_co_u32 v1, s4, s4, v3
	s_wait_alu 0xf1ff
	v_add_co_ci_u32_e64 v2, null, s5, 0, s4
	s_and_b32 s30, s1, 0xffffff00
	v_add_co_u32 v11, vcc_lo, v1, s38
	s_wait_alu 0xfffd
	v_add_co_ci_u32_e64 v12, null, s39, v2, vcc_lo
	v_mad_co_i64_i32 v[1:2], null, s6, v0, 0
	v_or_b32_e32 v4, s30, v0
	s_mov_b32 s40, s6
	v_cmp_eq_u32_e64 s0, 0, v0
	s_cmp_gt_i32 s7, 0xff
	v_cmp_gt_u32_e64 s2, 0x80, v0
	v_cmp_gt_i32_e64 s1, s7, v4
	v_lshlrev_b64_e32 v[1:2], 1, v[1:2]
	v_mad_co_i64_i32 v[4:5], null, s6, v4, 0
	v_cmp_gt_u32_e64 s3, 64, v0
	v_cmp_gt_u32_e64 s4, 32, v0
	v_cmp_gt_u32_e64 s5, 16, v0
	v_cmp_gt_u32_e64 s6, 8, v0
	v_cmp_gt_u32_e64 s7, 4, v0
	v_cmp_gt_u32_e64 s8, 2, v0
	v_add_co_u32 v0, vcc_lo, s18, v1
	s_add_nc_u64 s[16:17], s[16:17], s[42:43]
	s_wait_alu 0xfffd
	v_add_co_ci_u32_e64 v1, null, s19, v2, vcc_lo
	v_add_co_u32 v2, s9, s16, v3
	v_lshlrev_b64_e32 v[4:5], 1, v[4:5]
	v_add_co_ci_u32_e64 v3, null, s17, 0, s9
	s_cselect_b32 s46, -1, 0
	s_ashr_i32 s31, s30, 31
	s_lshl_b64 s[36:37], s[20:21], 1
	s_lshl_b64 s[38:39], s[40:41], 9
	;; [unrolled: 1-line block ×4, first 2 shown]
	s_wait_alu 0xfffe
	s_lshl_b64 s[42:43], s[30:31], 1
	s_branch .LBB418_4
.LBB418_2:                              ;   in Loop: Header=BB418_4 Depth=1
	s_wait_alu 0xfffe
	s_or_b32 exec_lo, exec_lo, s9
.LBB418_3:                              ;   in Loop: Header=BB418_4 Depth=1
	s_add_co_i32 s10, s10, 0x10000
	s_wait_alu 0xfffe
	s_cmp_lt_u32 s10, s33
	s_cbranch_scc0 .LBB418_41
.LBB418_4:                              ; =>This Loop Header: Depth=1
                                        ;     Child Loop BB418_15 Depth 2
	s_mul_u64 s[44:45], s[14:15], s[10:11]
	s_mul_u64 s[48:49], s[24:25], s[10:11]
	s_lshl_b64 s[44:45], s[44:45], 2
	s_wait_alu 0xfffe
	s_lshl_b64 s[48:49], s[48:49], 2
	s_add_nc_u64 s[44:45], s[12:13], s[44:45]
	s_wait_alu 0xfffe
	s_add_nc_u64 s[48:49], s[22:23], s[48:49]
	s_clause 0x1
	global_load_b32 v14, v10, s[44:45]
	global_load_b32 v6, v10, s[48:49]
	s_wait_loadcnt 0x1
	v_cmp_eq_f32_e32 vcc_lo, 0, v14
	s_wait_loadcnt 0x0
	v_cmp_eq_f32_e64 s9, 1.0, v6
	s_and_b32 s31, vcc_lo, s9
	v_readfirstlane_b32 s9, v6
	s_wait_alu 0xfffe
	s_and_b32 vcc_lo, exec_lo, s31
	s_wait_alu 0xfffe
	s_cbranch_vccnz .LBB418_3
; %bb.5:                                ;   in Loop: Header=BB418_4 Depth=1
	v_cmp_neq_f32_e32 vcc_lo, 0, v14
	s_mul_u64 s[44:45], s[34:35], s[10:11]
	s_delay_alu instid0(SALU_CYCLE_1) | instskip(NEXT) | instid1(SALU_CYCLE_1)
	s_lshl_b64 s[44:45], s[44:45], 1
	s_add_nc_u64 s[44:45], s[26:27], s[44:45]
	s_cbranch_vccnz .LBB418_9
; %bb.6:                                ;   in Loop: Header=BB418_4 Depth=1
	s_mov_b32 s47, 0
	s_mov_b32 s31, 0
                                        ; implicit-def: $vgpr6
	s_and_saveexec_b32 s48, s0
	s_cbranch_execz .LBB418_10
; %bb.7:                                ;   in Loop: Header=BB418_4 Depth=1
	s_cmp_eq_f32 s9, 0
	s_cbranch_scc1 .LBB418_11
; %bb.8:                                ;   in Loop: Header=BB418_4 Depth=1
	s_add_nc_u64 s[50:51], s[44:45], s[40:41]
	global_load_u16 v6, v10, s[50:51]
	s_wait_loadcnt 0x0
	v_fma_mixlo_f16 v6, s9, v6, 0 op_sel_hi:[0,1,0]
	s_branch .LBB418_12
.LBB418_9:                              ;   in Loop: Header=BB418_4 Depth=1
	s_mov_b32 s31, 0
                                        ; implicit-def: $vgpr6
	s_cbranch_execnz .LBB418_13
	s_branch .LBB418_39
.LBB418_10:                             ;   in Loop: Header=BB418_4 Depth=1
	s_wait_alu 0xfffe
	s_or_b32 exec_lo, exec_lo, s48
	s_delay_alu instid0(SALU_CYCLE_1)
	s_and_b32 vcc_lo, exec_lo, s47
	s_wait_alu 0xfffe
	s_cbranch_vccnz .LBB418_13
	s_branch .LBB418_39
.LBB418_11:                             ;   in Loop: Header=BB418_4 Depth=1
	v_mov_b32_e32 v6, 0
.LBB418_12:                             ;   in Loop: Header=BB418_4 Depth=1
	s_mov_b32 s31, exec_lo
	s_wait_alu 0xfffe
	s_or_b32 exec_lo, exec_lo, s48
	s_delay_alu instid0(SALU_CYCLE_1)
	s_and_b32 vcc_lo, exec_lo, s47
	s_wait_alu 0xfffe
	s_cbranch_vccz .LBB418_39
.LBB418_13:                             ;   in Loop: Header=BB418_4 Depth=1
	v_mov_b32_e32 v15, 0
	s_and_not1_b32 vcc_lo, exec_lo, s46
	s_wait_alu 0xfffe
	s_cbranch_vccnz .LBB418_16
; %bb.14:                               ;   in Loop: Header=BB418_4 Depth=1
	v_mad_co_u64_u32 v[6:7], null, s36, s10, v[0:1]
	v_mad_co_u64_u32 v[8:9], null, s16, s10, v[2:3]
	s_mov_b32 s47, 0
	v_mad_co_u64_u32 v[15:16], null, s37, s10, v[7:8]
	v_mad_co_u64_u32 v[16:17], null, s17, s10, v[9:10]
	s_delay_alu instid0(VALU_DEP_2) | instskip(SKIP_1) | instid1(VALU_DEP_3)
	v_mov_b32_e32 v7, v15
	v_mov_b32_e32 v15, 0
	;; [unrolled: 1-line block ×3, first 2 shown]
.LBB418_15:                             ;   Parent Loop BB418_4 Depth=1
                                        ; =>  This Inner Loop Header: Depth=2
	global_load_u16 v16, v[8:9], off
	global_load_u16 v17, v[6:7], off
	v_add_co_u32 v6, vcc_lo, v6, s38
	s_wait_alu 0xfffd
	v_add_co_ci_u32_e64 v7, null, s39, v7, vcc_lo
	v_add_co_u32 v8, vcc_lo, 0x200, v8
	s_wait_alu 0xfffd
	v_add_co_ci_u32_e64 v9, null, 0, v9, vcc_lo
	s_addk_co_i32 s47, 0x100
	s_delay_alu instid0(SALU_CYCLE_1) | instskip(SKIP_2) | instid1(VALU_DEP_1)
	s_cmp_ge_i32 s47, s30
	s_wait_loadcnt 0x0
	v_mul_f16_e32 v16, v16, v17
	v_cvt_f32_f16_e32 v16, v16
	s_delay_alu instid0(VALU_DEP_1)
	v_add_f32_e32 v15, v15, v16
	s_cbranch_scc0 .LBB418_15
.LBB418_16:                             ;   in Loop: Header=BB418_4 Depth=1
	s_and_saveexec_b32 s47, s1
	s_cbranch_execz .LBB418_18
; %bb.17:                               ;   in Loop: Header=BB418_4 Depth=1
	s_mul_u64 s[48:49], s[28:29], s[10:11]
	s_mul_u64 s[50:51], s[20:21], s[10:11]
	s_wait_alu 0xfffe
	s_lshl_b64 s[48:49], s[48:49], 1
	s_lshl_b64 s[50:51], s[50:51], 1
	s_wait_alu 0xfffe
	v_add_co_u32 v6, vcc_lo, v11, s48
	s_wait_alu 0xfffd
	v_add_co_ci_u32_e64 v7, null, s49, v12, vcc_lo
	s_add_nc_u64 s[48:49], s[18:19], s[50:51]
	v_add_co_u32 v6, vcc_lo, v6, s42
	s_wait_alu 0xfffd
	v_add_co_ci_u32_e64 v7, null, s43, v7, vcc_lo
	s_wait_alu 0xfffe
	v_add_co_u32 v8, vcc_lo, s48, v4
	s_wait_alu 0xfffd
	v_add_co_ci_u32_e64 v9, null, s49, v5, vcc_lo
	global_load_u16 v6, v[6:7], off
	global_load_u16 v7, v[8:9], off
	s_wait_loadcnt 0x0
	v_mul_f16_e32 v6, v6, v7
	s_delay_alu instid0(VALU_DEP_1) | instskip(NEXT) | instid1(VALU_DEP_1)
	v_cvt_f32_f16_e32 v6, v6
	v_add_f32_e32 v15, v15, v6
.LBB418_18:                             ;   in Loop: Header=BB418_4 Depth=1
	s_or_b32 exec_lo, exec_lo, s47
	ds_store_b32 v13, v15
	s_wait_dscnt 0x0
	s_barrier_signal -1
	s_barrier_wait -1
	global_inv scope:SCOPE_SE
	s_and_saveexec_b32 s47, s2
	s_cbranch_execz .LBB418_20
; %bb.19:                               ;   in Loop: Header=BB418_4 Depth=1
	ds_load_2addr_stride64_b32 v[6:7], v13 offset1:2
	s_wait_dscnt 0x0
	v_add_f32_e32 v6, v7, v6
	ds_store_b32 v13, v6
.LBB418_20:                             ;   in Loop: Header=BB418_4 Depth=1
	s_or_b32 exec_lo, exec_lo, s47
	s_wait_loadcnt_dscnt 0x0
	s_barrier_signal -1
	s_barrier_wait -1
	global_inv scope:SCOPE_SE
	s_and_saveexec_b32 s47, s3
	s_cbranch_execz .LBB418_22
; %bb.21:                               ;   in Loop: Header=BB418_4 Depth=1
	ds_load_2addr_stride64_b32 v[6:7], v13 offset1:1
	s_wait_dscnt 0x0
	v_add_f32_e32 v6, v7, v6
	ds_store_b32 v13, v6
.LBB418_22:                             ;   in Loop: Header=BB418_4 Depth=1
	s_or_b32 exec_lo, exec_lo, s47
	s_wait_loadcnt_dscnt 0x0
	s_barrier_signal -1
	s_barrier_wait -1
	global_inv scope:SCOPE_SE
	s_and_saveexec_b32 s47, s4
	s_cbranch_execz .LBB418_24
; %bb.23:                               ;   in Loop: Header=BB418_4 Depth=1
	ds_load_2addr_b32 v[6:7], v13 offset1:32
	s_wait_dscnt 0x0
	v_add_f32_e32 v6, v7, v6
	ds_store_b32 v13, v6
.LBB418_24:                             ;   in Loop: Header=BB418_4 Depth=1
	s_or_b32 exec_lo, exec_lo, s47
	s_wait_loadcnt_dscnt 0x0
	s_barrier_signal -1
	s_barrier_wait -1
	global_inv scope:SCOPE_SE
	s_and_saveexec_b32 s47, s5
	s_cbranch_execz .LBB418_26
; %bb.25:                               ;   in Loop: Header=BB418_4 Depth=1
	ds_load_2addr_b32 v[6:7], v13 offset1:16
	s_wait_dscnt 0x0
	v_add_f32_e32 v6, v7, v6
	ds_store_b32 v13, v6
.LBB418_26:                             ;   in Loop: Header=BB418_4 Depth=1
	;; [unrolled: 13-line block ×5, first 2 shown]
	s_or_b32 exec_lo, exec_lo, s47
	s_wait_loadcnt_dscnt 0x0
	s_barrier_signal -1
	s_barrier_wait -1
	global_inv scope:SCOPE_SE
	s_and_saveexec_b32 s47, s0
	s_cbranch_execz .LBB418_34
; %bb.33:                               ;   in Loop: Header=BB418_4 Depth=1
	ds_load_b64 v[6:7], v10
	s_wait_dscnt 0x0
	v_add_f32_e32 v6, v7, v6
	ds_store_b32 v10, v6
.LBB418_34:                             ;   in Loop: Header=BB418_4 Depth=1
	s_or_b32 exec_lo, exec_lo, s47
	s_wait_loadcnt_dscnt 0x0
	s_barrier_signal -1
	s_barrier_wait -1
	global_inv scope:SCOPE_SE
                                        ; implicit-def: $vgpr6
	s_and_saveexec_b32 s47, s0
	s_cbranch_execz .LBB418_38
; %bb.35:                               ;   in Loop: Header=BB418_4 Depth=1
	ds_load_b32 v6, v10
	s_cmp_eq_f32 s9, 0
	s_wait_dscnt 0x0
	v_mul_f32_e32 v6, v14, v6
	s_cbranch_scc1 .LBB418_37
; %bb.36:                               ;   in Loop: Header=BB418_4 Depth=1
	s_add_nc_u64 s[48:49], s[44:45], s[40:41]
	global_load_u16 v7, v10, s[48:49]
	s_wait_loadcnt 0x0
	v_fma_mix_f32 v6, s9, v7, v6 op_sel_hi:[0,1,0]
.LBB418_37:                             ;   in Loop: Header=BB418_4 Depth=1
	s_delay_alu instid0(VALU_DEP_1)
	v_cvt_f16_f32_e32 v6, v6
	s_or_b32 s31, s31, exec_lo
.LBB418_38:                             ;   in Loop: Header=BB418_4 Depth=1
	s_or_b32 exec_lo, exec_lo, s47
.LBB418_39:                             ;   in Loop: Header=BB418_4 Depth=1
	s_wait_alu 0xfffe
	s_and_saveexec_b32 s9, s31
	s_cbranch_execz .LBB418_2
; %bb.40:                               ;   in Loop: Header=BB418_4 Depth=1
	s_add_nc_u64 s[44:45], s[44:45], s[40:41]
	global_store_b16 v10, v6, s[44:45]
	s_branch .LBB418_2
.LBB418_41:
	s_endpgm
	.section	.rodata,"a",@progbits
	.p2align	6, 0x0
	.amdhsa_kernel _ZL20rocblas_gemvt_kernelILb1ELi256EDF16_PKfDF16_EviiT2_lPKT1_lilS5_lilS2_lPT3_lili
		.amdhsa_group_segment_fixed_size 1024
		.amdhsa_private_segment_fixed_size 0
		.amdhsa_kernarg_size 140
		.amdhsa_user_sgpr_count 2
		.amdhsa_user_sgpr_dispatch_ptr 0
		.amdhsa_user_sgpr_queue_ptr 0
		.amdhsa_user_sgpr_kernarg_segment_ptr 1
		.amdhsa_user_sgpr_dispatch_id 0
		.amdhsa_user_sgpr_private_segment_size 0
		.amdhsa_wavefront_size32 1
		.amdhsa_uses_dynamic_stack 0
		.amdhsa_enable_private_segment 0
		.amdhsa_system_sgpr_workgroup_id_x 1
		.amdhsa_system_sgpr_workgroup_id_y 0
		.amdhsa_system_sgpr_workgroup_id_z 1
		.amdhsa_system_sgpr_workgroup_info 0
		.amdhsa_system_vgpr_workitem_id 0
		.amdhsa_next_free_vgpr 18
		.amdhsa_next_free_sgpr 52
		.amdhsa_reserve_vcc 1
		.amdhsa_float_round_mode_32 0
		.amdhsa_float_round_mode_16_64 0
		.amdhsa_float_denorm_mode_32 3
		.amdhsa_float_denorm_mode_16_64 3
		.amdhsa_fp16_overflow 0
		.amdhsa_workgroup_processor_mode 1
		.amdhsa_memory_ordered 1
		.amdhsa_forward_progress 1
		.amdhsa_inst_pref_size 13
		.amdhsa_round_robin_scheduling 0
		.amdhsa_exception_fp_ieee_invalid_op 0
		.amdhsa_exception_fp_denorm_src 0
		.amdhsa_exception_fp_ieee_div_zero 0
		.amdhsa_exception_fp_ieee_overflow 0
		.amdhsa_exception_fp_ieee_underflow 0
		.amdhsa_exception_fp_ieee_inexact 0
		.amdhsa_exception_int_div_zero 0
	.end_amdhsa_kernel
	.section	.text._ZL20rocblas_gemvt_kernelILb1ELi256EDF16_PKfDF16_EviiT2_lPKT1_lilS5_lilS2_lPT3_lili,"axG",@progbits,_ZL20rocblas_gemvt_kernelILb1ELi256EDF16_PKfDF16_EviiT2_lPKT1_lilS5_lilS2_lPT3_lili,comdat
.Lfunc_end418:
	.size	_ZL20rocblas_gemvt_kernelILb1ELi256EDF16_PKfDF16_EviiT2_lPKT1_lilS5_lilS2_lPT3_lili, .Lfunc_end418-_ZL20rocblas_gemvt_kernelILb1ELi256EDF16_PKfDF16_EviiT2_lPKT1_lilS5_lilS2_lPT3_lili
                                        ; -- End function
	.set _ZL20rocblas_gemvt_kernelILb1ELi256EDF16_PKfDF16_EviiT2_lPKT1_lilS5_lilS2_lPT3_lili.num_vgpr, 18
	.set _ZL20rocblas_gemvt_kernelILb1ELi256EDF16_PKfDF16_EviiT2_lPKT1_lilS5_lilS2_lPT3_lili.num_agpr, 0
	.set _ZL20rocblas_gemvt_kernelILb1ELi256EDF16_PKfDF16_EviiT2_lPKT1_lilS5_lilS2_lPT3_lili.numbered_sgpr, 52
	.set _ZL20rocblas_gemvt_kernelILb1ELi256EDF16_PKfDF16_EviiT2_lPKT1_lilS5_lilS2_lPT3_lili.num_named_barrier, 0
	.set _ZL20rocblas_gemvt_kernelILb1ELi256EDF16_PKfDF16_EviiT2_lPKT1_lilS5_lilS2_lPT3_lili.private_seg_size, 0
	.set _ZL20rocblas_gemvt_kernelILb1ELi256EDF16_PKfDF16_EviiT2_lPKT1_lilS5_lilS2_lPT3_lili.uses_vcc, 1
	.set _ZL20rocblas_gemvt_kernelILb1ELi256EDF16_PKfDF16_EviiT2_lPKT1_lilS5_lilS2_lPT3_lili.uses_flat_scratch, 0
	.set _ZL20rocblas_gemvt_kernelILb1ELi256EDF16_PKfDF16_EviiT2_lPKT1_lilS5_lilS2_lPT3_lili.has_dyn_sized_stack, 0
	.set _ZL20rocblas_gemvt_kernelILb1ELi256EDF16_PKfDF16_EviiT2_lPKT1_lilS5_lilS2_lPT3_lili.has_recursion, 0
	.set _ZL20rocblas_gemvt_kernelILb1ELi256EDF16_PKfDF16_EviiT2_lPKT1_lilS5_lilS2_lPT3_lili.has_indirect_call, 0
	.section	.AMDGPU.csdata,"",@progbits
; Kernel info:
; codeLenInByte = 1660
; TotalNumSgprs: 54
; NumVgprs: 18
; ScratchSize: 0
; MemoryBound: 0
; FloatMode: 240
; IeeeMode: 1
; LDSByteSize: 1024 bytes/workgroup (compile time only)
; SGPRBlocks: 0
; VGPRBlocks: 2
; NumSGPRsForWavesPerEU: 54
; NumVGPRsForWavesPerEU: 18
; Occupancy: 16
; WaveLimiterHint : 0
; COMPUTE_PGM_RSRC2:SCRATCH_EN: 0
; COMPUTE_PGM_RSRC2:USER_SGPR: 2
; COMPUTE_PGM_RSRC2:TRAP_HANDLER: 0
; COMPUTE_PGM_RSRC2:TGID_X_EN: 1
; COMPUTE_PGM_RSRC2:TGID_Y_EN: 0
; COMPUTE_PGM_RSRC2:TGID_Z_EN: 1
; COMPUTE_PGM_RSRC2:TIDIG_COMP_CNT: 0
	.section	.text._ZL20rocblas_gemvt_kernelILb1ELi256EDF16_fDF16_EviiT2_lPKT1_lilS3_lilS0_lPT3_lili,"axG",@progbits,_ZL20rocblas_gemvt_kernelILb1ELi256EDF16_fDF16_EviiT2_lPKT1_lilS3_lilS0_lPT3_lili,comdat
	.globl	_ZL20rocblas_gemvt_kernelILb1ELi256EDF16_fDF16_EviiT2_lPKT1_lilS3_lilS0_lPT3_lili ; -- Begin function _ZL20rocblas_gemvt_kernelILb1ELi256EDF16_fDF16_EviiT2_lPKT1_lilS3_lilS0_lPT3_lili
	.p2align	8
	.type	_ZL20rocblas_gemvt_kernelILb1ELi256EDF16_fDF16_EviiT2_lPKT1_lilS3_lilS0_lPT3_lili,@function
_ZL20rocblas_gemvt_kernelILb1ELi256EDF16_fDF16_EviiT2_lPKT1_lilS3_lilS0_lPT3_lili: ; @_ZL20rocblas_gemvt_kernelILb1ELi256EDF16_fDF16_EviiT2_lPKT1_lilS3_lilS0_lPT3_lili
; %bb.0:
	s_load_b32 s9, s[0:1], 0x88
	s_lshr_b32 s10, ttmp7, 16
	s_wait_kmcnt 0x0
	s_cmp_ge_u32 s10, s9
	s_cbranch_scc1 .LBB419_41
; %bb.1:
	s_clause 0x9
	s_load_b32 s26, s[0:1], 0x28
	s_load_b96 s[4:6], s[0:1], 0x40
	s_load_b32 s34, s[0:1], 0x78
	s_load_b128 s[28:31], s[0:1], 0x68
	s_load_b128 s[16:19], s[0:1], 0x18
	s_load_b32 s23, s[0:1], 0x8
	s_load_b96 s[20:22], s[0:1], 0x50
	s_load_b32 s7, s[0:1], 0x0
	s_load_b128 s[12:15], s[0:1], 0x30
	s_load_b64 s[24:25], s[0:1], 0x80
	s_mov_b32 s2, ttmp9
	v_cmp_eq_u32_e64 s0, 0, v0
	v_lshlrev_b32_e32 v13, 2, v0
	v_cmp_gt_u32_e64 s8, 2, v0
	s_mov_b32 s11, 0
	s_wait_kmcnt 0x0
	s_ashr_i32 s27, s26, 31
	s_ashr_i32 s37, s6, 31
	;; [unrolled: 1-line block ×3, first 2 shown]
	s_lshl_b64 s[4:5], s[4:5], 1
	s_lshl_b64 s[30:31], s[30:31], 1
	;; [unrolled: 1-line block ×3, first 2 shown]
	s_cmp_eq_f32 s23, 0
	v_cmp_gt_i32_e32 vcc_lo, s7, v0
	v_mov_b32_e32 v10, 0
	s_add_nc_u64 s[14:15], s[14:15], s[4:5]
	s_cselect_b32 s33, -1, 0
	s_cmp_neq_f32 s23, 0
	v_cndmask_b32_e32 v1, 0, v0, vcc_lo
	s_add_nc_u64 s[4:5], s[16:17], s[38:39]
	s_add_nc_u64 s[18:19], s[28:29], s[30:31]
	s_cselect_b32 s1, -1, 0
	s_cmp_neq_f32 s22, 1.0
	v_lshlrev_b32_e32 v3, 1, v1
	s_mov_b32 s36, s6
	s_cselect_b32 s3, -1, 0
	s_delay_alu instid0(SALU_CYCLE_1)
	s_or_b32 s40, s1, s3
	s_cmp_neq_f32 s22, 0
	v_add_co_u32 v1, s4, s4, v3
	s_wait_alu 0xf1ff
	v_add_co_ci_u32_e64 v2, null, s5, 0, s4
	s_cselect_b32 s41, -1, 0
	s_ashr_i32 s3, ttmp9, 31
	s_ashr_i32 s1, s7, 31
	s_mul_u64 s[28:29], s[26:27], s[2:3]
	s_lshr_b32 s1, s1, 24
	s_lshl_b64 s[30:31], s[28:29], 1
	s_add_co_i32 s1, s7, s1
	v_add_co_u32 v11, vcc_lo, v1, s30
	s_wait_alu 0xfffd
	v_add_co_ci_u32_e64 v12, null, s31, v2, vcc_lo
	v_mad_co_i64_i32 v[1:2], null, s6, v0, 0
	s_and_b32 s26, s1, 0xffffff00
	s_add_nc_u64 s[38:39], s[30:31], s[38:39]
	v_or_b32_e32 v4, s26, v0
	s_mul_u64 s[34:35], s[34:35], s[2:3]
	s_cmp_gt_i32 s7, 0xff
	v_cmp_gt_u32_e64 s2, 0x80, v0
	v_lshlrev_b64_e32 v[1:2], 1, v[1:2]
	v_cmp_gt_i32_e64 s1, s7, v4
	v_mad_co_i64_i32 v[4:5], null, s6, v4, 0
	v_cmp_gt_u32_e64 s3, 64, v0
	v_cmp_gt_u32_e64 s4, 32, v0
	;; [unrolled: 1-line block ×5, first 2 shown]
	v_add_co_u32 v0, vcc_lo, s14, v1
	s_add_nc_u64 s[16:17], s[16:17], s[38:39]
	s_wait_alu 0xfffd
	v_add_co_ci_u32_e64 v1, null, s15, v2, vcc_lo
	v_add_co_u32 v2, s16, s16, v3
	v_lshlrev_b64_e32 v[4:5], 1, v[4:5]
	s_wait_alu 0xf1ff
	v_add_co_ci_u32_e64 v3, null, s17, 0, s16
	s_cselect_b32 s42, -1, 0
	s_ashr_i32 s27, s26, 31
	s_lshl_b64 s[28:29], s[20:21], 1
	s_lshl_b64 s[30:31], s[36:37], 9
	;; [unrolled: 1-line block ×4, first 2 shown]
	s_wait_alu 0xfffe
	s_lshl_b64 s[36:37], s[26:27], 1
	s_branch .LBB419_4
.LBB419_2:                              ;   in Loop: Header=BB419_4 Depth=1
	s_or_b32 exec_lo, exec_lo, s43
.LBB419_3:                              ;   in Loop: Header=BB419_4 Depth=1
	s_add_co_i32 s10, s10, 0x10000
	s_wait_alu 0xfffe
	s_cmp_lt_u32 s10, s9
	s_cbranch_scc0 .LBB419_41
.LBB419_4:                              ; =>This Loop Header: Depth=1
                                        ;     Child Loop BB419_15 Depth 2
	s_and_not1_b32 vcc_lo, exec_lo, s40
	s_wait_alu 0xfffe
	s_cbranch_vccnz .LBB419_3
; %bb.5:                                ;   in Loop: Header=BB419_4 Depth=1
	s_mul_u64 s[38:39], s[24:25], s[10:11]
	s_and_not1_b32 vcc_lo, exec_lo, s33
	s_lshl_b64 s[38:39], s[38:39], 1
	s_delay_alu instid0(SALU_CYCLE_1)
	s_add_nc_u64 s[38:39], s[18:19], s[38:39]
	s_wait_alu 0xfffe
	s_cbranch_vccnz .LBB419_9
; %bb.6:                                ;   in Loop: Header=BB419_4 Depth=1
	s_mov_b32 s43, 0
	s_mov_b32 s27, 0
                                        ; implicit-def: $vgpr6
	s_and_saveexec_b32 s44, s0
	s_cbranch_execz .LBB419_10
; %bb.7:                                ;   in Loop: Header=BB419_4 Depth=1
	s_and_not1_b32 vcc_lo, exec_lo, s41
	s_wait_alu 0xfffe
	s_cbranch_vccnz .LBB419_11
; %bb.8:                                ;   in Loop: Header=BB419_4 Depth=1
	s_add_nc_u64 s[46:47], s[38:39], s[34:35]
	global_load_u16 v6, v10, s[46:47]
	s_wait_loadcnt 0x0
	v_fma_mixlo_f16 v6, s22, v6, 0 op_sel_hi:[0,1,0]
	s_branch .LBB419_12
.LBB419_9:                              ;   in Loop: Header=BB419_4 Depth=1
	s_mov_b32 s27, 0
                                        ; implicit-def: $vgpr6
	s_cbranch_execnz .LBB419_13
	s_branch .LBB419_39
.LBB419_10:                             ;   in Loop: Header=BB419_4 Depth=1
	s_wait_alu 0xfffe
	s_or_b32 exec_lo, exec_lo, s44
	s_delay_alu instid0(SALU_CYCLE_1)
	s_and_b32 vcc_lo, exec_lo, s43
	s_wait_alu 0xfffe
	s_cbranch_vccnz .LBB419_13
	s_branch .LBB419_39
.LBB419_11:                             ;   in Loop: Header=BB419_4 Depth=1
	v_mov_b32_e32 v6, 0
.LBB419_12:                             ;   in Loop: Header=BB419_4 Depth=1
	s_mov_b32 s27, exec_lo
	s_or_b32 exec_lo, exec_lo, s44
	s_delay_alu instid0(SALU_CYCLE_1)
	s_and_b32 vcc_lo, exec_lo, s43
	s_wait_alu 0xfffe
	s_cbranch_vccz .LBB419_39
.LBB419_13:                             ;   in Loop: Header=BB419_4 Depth=1
	v_mov_b32_e32 v14, 0
	s_and_not1_b32 vcc_lo, exec_lo, s42
	s_wait_alu 0xfffe
	s_cbranch_vccnz .LBB419_16
; %bb.14:                               ;   in Loop: Header=BB419_4 Depth=1
	v_mad_co_u64_u32 v[6:7], null, s28, s10, v[0:1]
	v_mad_co_u64_u32 v[8:9], null, s16, s10, v[2:3]
	s_mov_b32 s43, 0
	v_mad_co_u64_u32 v[14:15], null, s29, s10, v[7:8]
	v_mad_co_u64_u32 v[15:16], null, s17, s10, v[9:10]
	s_delay_alu instid0(VALU_DEP_2) | instskip(NEXT) | instid1(VALU_DEP_2)
	v_dual_mov_b32 v7, v14 :: v_dual_mov_b32 v14, 0
	v_mov_b32_e32 v9, v15
.LBB419_15:                             ;   Parent Loop BB419_4 Depth=1
                                        ; =>  This Inner Loop Header: Depth=2
	global_load_u16 v15, v[8:9], off
	global_load_u16 v16, v[6:7], off
	v_add_co_u32 v6, vcc_lo, v6, s30
	s_wait_alu 0xfffd
	v_add_co_ci_u32_e64 v7, null, s31, v7, vcc_lo
	v_add_co_u32 v8, vcc_lo, 0x200, v8
	s_wait_alu 0xfffd
	v_add_co_ci_u32_e64 v9, null, 0, v9, vcc_lo
	s_addk_co_i32 s43, 0x100
	s_delay_alu instid0(SALU_CYCLE_1) | instskip(SKIP_2) | instid1(VALU_DEP_1)
	s_cmp_ge_i32 s43, s26
	s_wait_loadcnt 0x0
	v_mul_f16_e32 v15, v15, v16
	v_cvt_f32_f16_e32 v15, v15
	s_delay_alu instid0(VALU_DEP_1)
	v_add_f32_e32 v14, v14, v15
	s_cbranch_scc0 .LBB419_15
.LBB419_16:                             ;   in Loop: Header=BB419_4 Depth=1
	s_and_saveexec_b32 s43, s1
	s_cbranch_execz .LBB419_18
; %bb.17:                               ;   in Loop: Header=BB419_4 Depth=1
	s_mul_u64 s[44:45], s[12:13], s[10:11]
	s_mul_u64 s[46:47], s[20:21], s[10:11]
	s_wait_alu 0xfffe
	s_lshl_b64 s[44:45], s[44:45], 1
	s_lshl_b64 s[46:47], s[46:47], 1
	s_wait_alu 0xfffe
	v_add_co_u32 v6, vcc_lo, v11, s44
	s_wait_alu 0xfffd
	v_add_co_ci_u32_e64 v7, null, s45, v12, vcc_lo
	s_add_nc_u64 s[44:45], s[14:15], s[46:47]
	v_add_co_u32 v6, vcc_lo, v6, s36
	s_wait_alu 0xfffd
	v_add_co_ci_u32_e64 v7, null, s37, v7, vcc_lo
	s_wait_alu 0xfffe
	v_add_co_u32 v8, vcc_lo, s44, v4
	s_wait_alu 0xfffd
	v_add_co_ci_u32_e64 v9, null, s45, v5, vcc_lo
	global_load_u16 v6, v[6:7], off
	global_load_u16 v7, v[8:9], off
	s_wait_loadcnt 0x0
	v_mul_f16_e32 v6, v6, v7
	s_delay_alu instid0(VALU_DEP_1) | instskip(NEXT) | instid1(VALU_DEP_1)
	v_cvt_f32_f16_e32 v6, v6
	v_add_f32_e32 v14, v14, v6
.LBB419_18:                             ;   in Loop: Header=BB419_4 Depth=1
	s_or_b32 exec_lo, exec_lo, s43
	ds_store_b32 v13, v14
	s_wait_dscnt 0x0
	s_barrier_signal -1
	s_barrier_wait -1
	global_inv scope:SCOPE_SE
	s_and_saveexec_b32 s43, s2
	s_cbranch_execz .LBB419_20
; %bb.19:                               ;   in Loop: Header=BB419_4 Depth=1
	ds_load_2addr_stride64_b32 v[6:7], v13 offset1:2
	s_wait_dscnt 0x0
	v_add_f32_e32 v6, v7, v6
	ds_store_b32 v13, v6
.LBB419_20:                             ;   in Loop: Header=BB419_4 Depth=1
	s_or_b32 exec_lo, exec_lo, s43
	s_wait_loadcnt_dscnt 0x0
	s_barrier_signal -1
	s_barrier_wait -1
	global_inv scope:SCOPE_SE
	s_and_saveexec_b32 s43, s3
	s_cbranch_execz .LBB419_22
; %bb.21:                               ;   in Loop: Header=BB419_4 Depth=1
	ds_load_2addr_stride64_b32 v[6:7], v13 offset1:1
	s_wait_dscnt 0x0
	v_add_f32_e32 v6, v7, v6
	ds_store_b32 v13, v6
.LBB419_22:                             ;   in Loop: Header=BB419_4 Depth=1
	s_or_b32 exec_lo, exec_lo, s43
	s_wait_loadcnt_dscnt 0x0
	s_barrier_signal -1
	s_barrier_wait -1
	global_inv scope:SCOPE_SE
	s_and_saveexec_b32 s43, s4
	s_cbranch_execz .LBB419_24
; %bb.23:                               ;   in Loop: Header=BB419_4 Depth=1
	ds_load_2addr_b32 v[6:7], v13 offset1:32
	s_wait_dscnt 0x0
	v_add_f32_e32 v6, v7, v6
	ds_store_b32 v13, v6
.LBB419_24:                             ;   in Loop: Header=BB419_4 Depth=1
	s_or_b32 exec_lo, exec_lo, s43
	s_wait_loadcnt_dscnt 0x0
	s_barrier_signal -1
	s_barrier_wait -1
	global_inv scope:SCOPE_SE
	s_and_saveexec_b32 s43, s5
	s_cbranch_execz .LBB419_26
; %bb.25:                               ;   in Loop: Header=BB419_4 Depth=1
	ds_load_2addr_b32 v[6:7], v13 offset1:16
	s_wait_dscnt 0x0
	v_add_f32_e32 v6, v7, v6
	ds_store_b32 v13, v6
.LBB419_26:                             ;   in Loop: Header=BB419_4 Depth=1
	;; [unrolled: 13-line block ×5, first 2 shown]
	s_or_b32 exec_lo, exec_lo, s43
	s_wait_loadcnt_dscnt 0x0
	s_barrier_signal -1
	s_barrier_wait -1
	global_inv scope:SCOPE_SE
	s_and_saveexec_b32 s43, s0
	s_cbranch_execz .LBB419_34
; %bb.33:                               ;   in Loop: Header=BB419_4 Depth=1
	ds_load_b64 v[6:7], v10
	s_wait_dscnt 0x0
	v_add_f32_e32 v6, v7, v6
	ds_store_b32 v10, v6
.LBB419_34:                             ;   in Loop: Header=BB419_4 Depth=1
	s_or_b32 exec_lo, exec_lo, s43
	s_wait_loadcnt_dscnt 0x0
	s_barrier_signal -1
	s_barrier_wait -1
	global_inv scope:SCOPE_SE
                                        ; implicit-def: $vgpr6
	s_and_saveexec_b32 s43, s0
	s_cbranch_execz .LBB419_38
; %bb.35:                               ;   in Loop: Header=BB419_4 Depth=1
	ds_load_b32 v6, v10
	s_and_not1_b32 vcc_lo, exec_lo, s41
	s_wait_dscnt 0x0
	v_mul_f32_e32 v6, s23, v6
	s_wait_alu 0xfffe
	s_cbranch_vccnz .LBB419_37
; %bb.36:                               ;   in Loop: Header=BB419_4 Depth=1
	s_add_nc_u64 s[44:45], s[38:39], s[34:35]
	global_load_u16 v7, v10, s[44:45]
	s_wait_loadcnt 0x0
	v_fma_mix_f32 v6, s22, v7, v6 op_sel_hi:[0,1,0]
.LBB419_37:                             ;   in Loop: Header=BB419_4 Depth=1
	s_delay_alu instid0(VALU_DEP_1)
	v_cvt_f16_f32_e32 v6, v6
	s_or_b32 s27, s27, exec_lo
.LBB419_38:                             ;   in Loop: Header=BB419_4 Depth=1
	s_or_b32 exec_lo, exec_lo, s43
.LBB419_39:                             ;   in Loop: Header=BB419_4 Depth=1
	s_wait_alu 0xfffe
	s_and_saveexec_b32 s43, s27
	s_cbranch_execz .LBB419_2
; %bb.40:                               ;   in Loop: Header=BB419_4 Depth=1
	s_add_nc_u64 s[38:39], s[38:39], s[34:35]
	global_store_b16 v10, v6, s[38:39]
	s_branch .LBB419_2
.LBB419_41:
	s_endpgm
	.section	.rodata,"a",@progbits
	.p2align	6, 0x0
	.amdhsa_kernel _ZL20rocblas_gemvt_kernelILb1ELi256EDF16_fDF16_EviiT2_lPKT1_lilS3_lilS0_lPT3_lili
		.amdhsa_group_segment_fixed_size 1024
		.amdhsa_private_segment_fixed_size 0
		.amdhsa_kernarg_size 140
		.amdhsa_user_sgpr_count 2
		.amdhsa_user_sgpr_dispatch_ptr 0
		.amdhsa_user_sgpr_queue_ptr 0
		.amdhsa_user_sgpr_kernarg_segment_ptr 1
		.amdhsa_user_sgpr_dispatch_id 0
		.amdhsa_user_sgpr_private_segment_size 0
		.amdhsa_wavefront_size32 1
		.amdhsa_uses_dynamic_stack 0
		.amdhsa_enable_private_segment 0
		.amdhsa_system_sgpr_workgroup_id_x 1
		.amdhsa_system_sgpr_workgroup_id_y 0
		.amdhsa_system_sgpr_workgroup_id_z 1
		.amdhsa_system_sgpr_workgroup_info 0
		.amdhsa_system_vgpr_workitem_id 0
		.amdhsa_next_free_vgpr 17
		.amdhsa_next_free_sgpr 48
		.amdhsa_reserve_vcc 1
		.amdhsa_float_round_mode_32 0
		.amdhsa_float_round_mode_16_64 0
		.amdhsa_float_denorm_mode_32 3
		.amdhsa_float_denorm_mode_16_64 3
		.amdhsa_fp16_overflow 0
		.amdhsa_workgroup_processor_mode 1
		.amdhsa_memory_ordered 1
		.amdhsa_forward_progress 1
		.amdhsa_inst_pref_size 13
		.amdhsa_round_robin_scheduling 0
		.amdhsa_exception_fp_ieee_invalid_op 0
		.amdhsa_exception_fp_denorm_src 0
		.amdhsa_exception_fp_ieee_div_zero 0
		.amdhsa_exception_fp_ieee_overflow 0
		.amdhsa_exception_fp_ieee_underflow 0
		.amdhsa_exception_fp_ieee_inexact 0
		.amdhsa_exception_int_div_zero 0
	.end_amdhsa_kernel
	.section	.text._ZL20rocblas_gemvt_kernelILb1ELi256EDF16_fDF16_EviiT2_lPKT1_lilS3_lilS0_lPT3_lili,"axG",@progbits,_ZL20rocblas_gemvt_kernelILb1ELi256EDF16_fDF16_EviiT2_lPKT1_lilS3_lilS0_lPT3_lili,comdat
.Lfunc_end419:
	.size	_ZL20rocblas_gemvt_kernelILb1ELi256EDF16_fDF16_EviiT2_lPKT1_lilS3_lilS0_lPT3_lili, .Lfunc_end419-_ZL20rocblas_gemvt_kernelILb1ELi256EDF16_fDF16_EviiT2_lPKT1_lilS3_lilS0_lPT3_lili
                                        ; -- End function
	.set _ZL20rocblas_gemvt_kernelILb1ELi256EDF16_fDF16_EviiT2_lPKT1_lilS3_lilS0_lPT3_lili.num_vgpr, 17
	.set _ZL20rocblas_gemvt_kernelILb1ELi256EDF16_fDF16_EviiT2_lPKT1_lilS3_lilS0_lPT3_lili.num_agpr, 0
	.set _ZL20rocblas_gemvt_kernelILb1ELi256EDF16_fDF16_EviiT2_lPKT1_lilS3_lilS0_lPT3_lili.numbered_sgpr, 48
	.set _ZL20rocblas_gemvt_kernelILb1ELi256EDF16_fDF16_EviiT2_lPKT1_lilS3_lilS0_lPT3_lili.num_named_barrier, 0
	.set _ZL20rocblas_gemvt_kernelILb1ELi256EDF16_fDF16_EviiT2_lPKT1_lilS3_lilS0_lPT3_lili.private_seg_size, 0
	.set _ZL20rocblas_gemvt_kernelILb1ELi256EDF16_fDF16_EviiT2_lPKT1_lilS3_lilS0_lPT3_lili.uses_vcc, 1
	.set _ZL20rocblas_gemvt_kernelILb1ELi256EDF16_fDF16_EviiT2_lPKT1_lilS3_lilS0_lPT3_lili.uses_flat_scratch, 0
	.set _ZL20rocblas_gemvt_kernelILb1ELi256EDF16_fDF16_EviiT2_lPKT1_lilS3_lilS0_lPT3_lili.has_dyn_sized_stack, 0
	.set _ZL20rocblas_gemvt_kernelILb1ELi256EDF16_fDF16_EviiT2_lPKT1_lilS3_lilS0_lPT3_lili.has_recursion, 0
	.set _ZL20rocblas_gemvt_kernelILb1ELi256EDF16_fDF16_EviiT2_lPKT1_lilS3_lilS0_lPT3_lili.has_indirect_call, 0
	.section	.AMDGPU.csdata,"",@progbits
; Kernel info:
; codeLenInByte = 1632
; TotalNumSgprs: 50
; NumVgprs: 17
; ScratchSize: 0
; MemoryBound: 0
; FloatMode: 240
; IeeeMode: 1
; LDSByteSize: 1024 bytes/workgroup (compile time only)
; SGPRBlocks: 0
; VGPRBlocks: 2
; NumSGPRsForWavesPerEU: 50
; NumVGPRsForWavesPerEU: 17
; Occupancy: 16
; WaveLimiterHint : 0
; COMPUTE_PGM_RSRC2:SCRATCH_EN: 0
; COMPUTE_PGM_RSRC2:USER_SGPR: 2
; COMPUTE_PGM_RSRC2:TRAP_HANDLER: 0
; COMPUTE_PGM_RSRC2:TGID_X_EN: 1
; COMPUTE_PGM_RSRC2:TGID_Y_EN: 0
; COMPUTE_PGM_RSRC2:TGID_Z_EN: 1
; COMPUTE_PGM_RSRC2:TIDIG_COMP_CNT: 0
	.section	.text._ZL32rocblas_gemvt_warp_reduce_kernelILb1ELi1024EiDF16_PKfDF16_EviiT3_lPKT2_lT1_lS5_lS6_lS2_lPT4_lS6_li,"axG",@progbits,_ZL32rocblas_gemvt_warp_reduce_kernelILb1ELi1024EiDF16_PKfDF16_EviiT3_lPKT2_lT1_lS5_lS6_lS2_lPT4_lS6_li,comdat
	.globl	_ZL32rocblas_gemvt_warp_reduce_kernelILb1ELi1024EiDF16_PKfDF16_EviiT3_lPKT2_lT1_lS5_lS6_lS2_lPT4_lS6_li ; -- Begin function _ZL32rocblas_gemvt_warp_reduce_kernelILb1ELi1024EiDF16_PKfDF16_EviiT3_lPKT2_lT1_lS5_lS6_lS2_lPT4_lS6_li
	.p2align	8
	.type	_ZL32rocblas_gemvt_warp_reduce_kernelILb1ELi1024EiDF16_PKfDF16_EviiT3_lPKT2_lT1_lS5_lS6_lS2_lPT4_lS6_li,@function
_ZL32rocblas_gemvt_warp_reduce_kernelILb1ELi1024EiDF16_PKfDF16_EviiT3_lPKT2_lT1_lS5_lS6_lS2_lPT4_lS6_li: ; @_ZL32rocblas_gemvt_warp_reduce_kernelILb1ELi1024EiDF16_PKfDF16_EviiT3_lPKT2_lT1_lS5_lS6_lS2_lPT4_lS6_li
; %bb.0:
	s_load_b32 s33, s[0:1], 0x88
	s_lshr_b32 s28, ttmp7, 16
	s_wait_kmcnt 0x0
	s_cmp_ge_u32 s28, s33
	s_cbranch_scc1 .LBB420_34
; %bb.1:
	s_clause 0x7
	s_load_b96 s[4:6], s[0:1], 0x40
	s_load_b96 s[36:38], s[0:1], 0x70
	s_load_b256 s[8:15], s[0:1], 0x8
	s_load_b32 s7, s[0:1], 0x0
	s_load_b32 s39, s[0:1], 0x28
	s_load_b128 s[24:27], s[0:1], 0x30
	s_load_b256 s[16:23], s[0:1], 0x50
	s_load_b64 s[30:31], s[0:1], 0x80
	v_mov_b32_e32 v9, 0
	v_mbcnt_lo_u32_b32 v15, -1, 0
	v_cmp_eq_u32_e64 s0, 0, v0
	s_mov_b32 s29, 0
	v_lshl_or_b32 v16, v15, 2, 64
	s_wait_kmcnt 0x0
	s_lshl_b64 s[2:3], s[4:5], 1
	s_lshl_b64 s[4:5], s[36:37], 1
	;; [unrolled: 1-line block ×3, first 2 shown]
	v_cmp_gt_i32_e32 vcc_lo, s7, v0
	s_ashr_i32 s1, s7, 31
	s_add_nc_u64 s[14:15], s[26:27], s[2:3]
	s_lshr_b32 s1, s1, 22
	s_add_nc_u64 s[2:3], s[12:13], s[34:35]
	s_add_co_i32 s1, s7, s1
	v_cndmask_b32_e32 v1, 0, v0, vcc_lo
	s_and_b32 s26, s1, 0xfffffc00
	s_mul_i32 s36, s38, ttmp9
	v_or_b32_e32 v2, s26, v0
	s_mul_i32 s38, s39, ttmp9
	v_lshlrev_b32_e32 v1, 1, v1
	s_ashr_i32 s39, s38, 31
	v_mul_lo_u32 v14, v0, s6
	v_mul_lo_u32 v3, s6, v2
	s_lshl_b64 s[38:39], s[38:39], 1
	v_add_co_u32 v4, s1, s2, v1
	s_delay_alu instid0(VALU_DEP_1)
	v_add_co_ci_u32_e64 v5, null, s3, 0, s1
	s_add_nc_u64 s[34:35], s[34:35], s[38:39]
	v_add_co_u32 v10, vcc_lo, v4, s38
	v_ashrrev_i32_e32 v4, 31, v3
	s_wait_alu 0xfffd
	v_add_co_ci_u32_e64 v11, null, s39, v5, vcc_lo
	v_cmp_gt_i32_e64 s2, s7, v2
	v_and_b32_e32 v2, 31, v0
	v_lshrrev_b32_e32 v5, 3, v0
	s_lshl_b32 s40, s6, 10
	s_add_nc_u64 s[6:7], s[12:13], s[34:35]
	s_add_nc_u64 s[22:23], s[22:23], s[4:5]
	s_wait_alu 0xfffe
	v_add_co_u32 v1, s5, s6, v1
	v_lshlrev_b64_e32 v[3:4], 1, v[3:4]
	v_cmp_gt_i32_e64 s1, s26, v0
	v_cmp_gt_u32_e64 s3, 32, v0
	v_lshlrev_b32_e32 v12, 2, v2
	v_cmp_eq_u32_e64 s4, 0, v2
	v_and_b32_e32 v13, 0x7c, v5
	v_add_co_ci_u32_e64 v2, null, s7, 0, s5
	s_ashr_i32 s37, s36, 31
	s_ashr_i32 s27, s26, 31
	s_lshl_b64 s[6:7], s[24:25], 1
	s_lshl_b64 s[12:13], s[36:37], 1
	s_wait_alu 0xfffe
	s_lshl_b64 s[34:35], s[26:27], 1
	s_branch .LBB420_4
.LBB420_2:                              ;   in Loop: Header=BB420_4 Depth=1
	s_wait_alu 0xfffe
	s_or_b32 exec_lo, exec_lo, s5
.LBB420_3:                              ;   in Loop: Header=BB420_4 Depth=1
	s_add_co_i32 s28, s28, 0x10000
	s_wait_alu 0xfffe
	s_cmp_lt_u32 s28, s33
	s_cbranch_scc0 .LBB420_34
.LBB420_4:                              ; =>This Loop Header: Depth=1
                                        ;     Child Loop BB420_23 Depth 2
	s_mul_u64 s[36:37], s[10:11], s[28:29]
	s_mul_u64 s[38:39], s[20:21], s[28:29]
	s_lshl_b64 s[36:37], s[36:37], 2
	s_wait_alu 0xfffe
	s_lshl_b64 s[38:39], s[38:39], 2
	s_add_nc_u64 s[36:37], s[8:9], s[36:37]
	s_wait_alu 0xfffe
	s_add_nc_u64 s[38:39], s[18:19], s[38:39]
	s_clause 0x1
	global_load_b32 v17, v9, s[36:37]
	global_load_b32 v5, v9, s[38:39]
	s_wait_loadcnt 0x1
	v_cmp_eq_f32_e32 vcc_lo, 0, v17
	s_wait_loadcnt 0x0
	v_cmp_eq_f32_e64 s5, 1.0, v5
	v_readfirstlane_b32 s27, v5
	s_and_b32 s5, vcc_lo, s5
	s_wait_alu 0xfffe
	s_and_b32 vcc_lo, exec_lo, s5
	s_wait_alu 0xfffe
	s_cbranch_vccnz .LBB420_3
; %bb.5:                                ;   in Loop: Header=BB420_4 Depth=1
	v_cmp_neq_f32_e32 vcc_lo, 0, v17
	s_mul_u64 s[36:37], s[30:31], s[28:29]
	s_delay_alu instid0(SALU_CYCLE_1) | instskip(NEXT) | instid1(SALU_CYCLE_1)
	s_lshl_b64 s[36:37], s[36:37], 1
	s_add_nc_u64 s[36:37], s[22:23], s[36:37]
	s_cbranch_vccnz .LBB420_9
; %bb.6:                                ;   in Loop: Header=BB420_4 Depth=1
	s_mov_b32 s5, 0
	s_mov_b32 s41, 0
                                        ; implicit-def: $vgpr5
	s_and_saveexec_b32 s38, s0
	s_cbranch_execz .LBB420_10
; %bb.7:                                ;   in Loop: Header=BB420_4 Depth=1
	s_cmp_eq_f32 s27, 0
	s_cbranch_scc1 .LBB420_11
; %bb.8:                                ;   in Loop: Header=BB420_4 Depth=1
	s_add_nc_u64 s[42:43], s[36:37], s[12:13]
	global_load_u16 v5, v9, s[42:43]
	s_wait_loadcnt 0x0
	v_fma_mixlo_f16 v5, s27, v5, 0 op_sel_hi:[0,1,0]
	s_branch .LBB420_12
.LBB420_9:                              ;   in Loop: Header=BB420_4 Depth=1
	s_mov_b32 s41, 0
                                        ; implicit-def: $vgpr5
	s_cbranch_execnz .LBB420_13
	s_branch .LBB420_32
.LBB420_10:                             ;   in Loop: Header=BB420_4 Depth=1
	s_wait_alu 0xfffe
	s_or_b32 exec_lo, exec_lo, s38
	s_delay_alu instid0(SALU_CYCLE_1)
	s_and_b32 vcc_lo, exec_lo, s5
	s_wait_alu 0xfffe
	s_cbranch_vccnz .LBB420_13
	s_branch .LBB420_32
.LBB420_11:                             ;   in Loop: Header=BB420_4 Depth=1
	v_mov_b32_e32 v5, 0
.LBB420_12:                             ;   in Loop: Header=BB420_4 Depth=1
	s_mov_b32 s41, exec_lo
	s_wait_alu 0xfffe
	s_or_b32 exec_lo, exec_lo, s38
	s_delay_alu instid0(SALU_CYCLE_1)
	s_and_b32 vcc_lo, exec_lo, s5
	s_wait_alu 0xfffe
	s_cbranch_vccz .LBB420_32
.LBB420_13:                             ;   in Loop: Header=BB420_4 Depth=1
	s_mul_u64 s[38:39], s[16:17], s[28:29]
	s_wait_dscnt 0x0
	v_mov_b32_e32 v18, 0
	s_wait_alu 0xfffe
	s_lshl_b64 s[38:39], s[38:39], 1
	s_wait_alu 0xfffe
	s_add_nc_u64 s[38:39], s[14:15], s[38:39]
	s_and_saveexec_b32 s42, s1
	s_cbranch_execnz .LBB420_22
; %bb.14:                               ;   in Loop: Header=BB420_4 Depth=1
	s_wait_alu 0xfffe
	s_or_b32 exec_lo, exec_lo, s42
	s_and_saveexec_b32 s5, s2
	s_cbranch_execnz .LBB420_25
.LBB420_15:                             ;   in Loop: Header=BB420_4 Depth=1
	s_wait_alu 0xfffe
	s_or_b32 exec_lo, exec_lo, s5
	s_and_saveexec_b32 s5, s3
.LBB420_16:                             ;   in Loop: Header=BB420_4 Depth=1
	ds_store_b32 v12, v9
.LBB420_17:                             ;   in Loop: Header=BB420_4 Depth=1
	s_wait_alu 0xfffe
	s_or_b32 exec_lo, exec_lo, s5
	ds_bpermute_b32 v6, v16, v18
	v_cmp_gt_u32_e32 vcc_lo, 24, v15
	s_wait_dscnt 0x0
	s_barrier_signal -1
	s_barrier_wait -1
	global_inv scope:SCOPE_SE
	s_wait_alu 0xfffd
	v_cndmask_b32_e64 v5, 0, 8, vcc_lo
	v_cmp_gt_u32_e32 vcc_lo, 28, v15
	s_delay_alu instid0(VALU_DEP_2)
	v_add_lshl_u32 v5, v5, v15, 2
	v_add_f32_e32 v7, v18, v6
	s_wait_alu 0xfffd
	v_cndmask_b32_e64 v6, 0, 4, vcc_lo
	v_cmp_gt_u32_e32 vcc_lo, 30, v15
	ds_bpermute_b32 v8, v5, v7
	v_add_lshl_u32 v6, v6, v15, 2
	s_wait_dscnt 0x0
	v_add_f32_e32 v8, v7, v8
	s_wait_alu 0xfffd
	v_cndmask_b32_e64 v7, 0, 2, vcc_lo
	v_cmp_ne_u32_e32 vcc_lo, 31, v15
	ds_bpermute_b32 v18, v6, v8
	v_add_lshl_u32 v7, v7, v15, 2
	s_wait_alu 0xfffd
	v_add_co_ci_u32_e64 v19, null, 0, v15, vcc_lo
	s_wait_dscnt 0x0
	v_add_f32_e32 v8, v8, v18
	ds_bpermute_b32 v18, v7, v8
	s_wait_dscnt 0x0
	v_add_f32_e32 v18, v8, v18
	v_lshlrev_b32_e32 v8, 2, v19
	ds_bpermute_b32 v19, v8, v18
	s_and_saveexec_b32 s5, s4
	s_cbranch_execz .LBB420_19
; %bb.18:                               ;   in Loop: Header=BB420_4 Depth=1
	s_wait_dscnt 0x0
	v_add_f32_e32 v18, v18, v19
	ds_store_b32 v13, v18
.LBB420_19:                             ;   in Loop: Header=BB420_4 Depth=1
	s_wait_alu 0xfffe
	s_or_b32 exec_lo, exec_lo, s5
	v_mov_b32_e32 v18, 0
	s_wait_loadcnt_dscnt 0x0
	s_barrier_signal -1
	s_barrier_wait -1
	global_inv scope:SCOPE_SE
	s_and_saveexec_b32 s5, s3
	s_cbranch_execnz .LBB420_26
; %bb.20:                               ;   in Loop: Header=BB420_4 Depth=1
	s_wait_alu 0xfffe
	s_or_b32 exec_lo, exec_lo, s5
	s_and_saveexec_b32 s5, s3
	s_cbranch_execnz .LBB420_27
.LBB420_21:                             ;   in Loop: Header=BB420_4 Depth=1
	s_wait_alu 0xfffe
	s_or_b32 exec_lo, exec_lo, s5
                                        ; implicit-def: $vgpr5
	s_and_saveexec_b32 s5, s0
	s_cbranch_execnz .LBB420_28
	s_branch .LBB420_31
.LBB420_22:                             ;   in Loop: Header=BB420_4 Depth=1
	v_mad_co_u64_u32 v[5:6], null, s6, s28, v[1:2]
	v_dual_mov_b32 v18, 0 :: v_dual_mov_b32 v19, v0
	s_mov_b32 s43, 0
	s_delay_alu instid0(VALU_DEP_2)
	v_mad_co_u64_u32 v[6:7], null, s7, s28, v[6:7]
	v_mov_b32_e32 v7, v14
.LBB420_23:                             ;   Parent Loop BB420_4 Depth=1
                                        ; =>  This Inner Loop Header: Depth=2
	s_delay_alu instid0(VALU_DEP_1) | instskip(NEXT) | instid1(VALU_DEP_1)
	v_ashrrev_i32_e32 v8, 31, v7
	v_lshlrev_b64_e32 v[20:21], 1, v[7:8]
	v_add_nc_u32_e32 v7, s40, v7
	s_wait_alu 0xfffe
	s_delay_alu instid0(VALU_DEP_2) | instskip(SKIP_1) | instid1(VALU_DEP_3)
	v_add_co_u32 v20, vcc_lo, s38, v20
	s_wait_alu 0xfffd
	v_add_co_ci_u32_e64 v21, null, s39, v21, vcc_lo
	global_load_u16 v8, v[5:6], off
	global_load_u16 v20, v[20:21], off
	v_add_co_u32 v5, vcc_lo, 0x800, v5
	s_wait_alu 0xfffd
	v_add_co_ci_u32_e64 v6, null, 0, v6, vcc_lo
	s_wait_loadcnt 0x0
	v_mul_f16_e32 v8, v8, v20
	s_delay_alu instid0(VALU_DEP_1) | instskip(NEXT) | instid1(VALU_DEP_1)
	v_cvt_f32_f16_e32 v8, v8
	v_dual_add_f32 v18, v18, v8 :: v_dual_add_nc_u32 v19, 0x400, v19
	s_delay_alu instid0(VALU_DEP_1)
	v_cmp_le_i32_e64 s5, s26, v19
	s_or_b32 s43, s5, s43
	s_wait_alu 0xfffe
	s_and_not1_b32 exec_lo, exec_lo, s43
	s_cbranch_execnz .LBB420_23
; %bb.24:                               ;   in Loop: Header=BB420_4 Depth=1
	s_or_b32 exec_lo, exec_lo, s43
	s_delay_alu instid0(SALU_CYCLE_1)
	s_or_b32 exec_lo, exec_lo, s42
	s_and_saveexec_b32 s5, s2
	s_cbranch_execz .LBB420_15
.LBB420_25:                             ;   in Loop: Header=BB420_4 Depth=1
	s_mul_u64 s[42:43], s[24:25], s[28:29]
	s_wait_alu 0xfffe
	s_lshl_b64 s[42:43], s[42:43], 1
	s_wait_alu 0xfffe
	v_add_co_u32 v5, vcc_lo, v10, s42
	s_wait_alu 0xfffd
	v_add_co_ci_u32_e64 v6, null, s43, v11, vcc_lo
	s_delay_alu instid0(VALU_DEP_2) | instskip(SKIP_1) | instid1(VALU_DEP_2)
	v_add_co_u32 v5, vcc_lo, v5, s34
	s_wait_alu 0xfffd
	v_add_co_ci_u32_e64 v6, null, s35, v6, vcc_lo
	v_add_co_u32 v7, vcc_lo, s38, v3
	s_wait_alu 0xfffd
	v_add_co_ci_u32_e64 v8, null, s39, v4, vcc_lo
	global_load_u16 v5, v[5:6], off
	global_load_u16 v6, v[7:8], off
	s_wait_loadcnt 0x0
	v_mul_f16_e32 v5, v5, v6
	s_delay_alu instid0(VALU_DEP_1) | instskip(NEXT) | instid1(VALU_DEP_1)
	v_cvt_f32_f16_e32 v5, v5
	v_add_f32_e32 v18, v18, v5
	s_or_b32 exec_lo, exec_lo, s5
	s_and_saveexec_b32 s5, s3
	s_cbranch_execnz .LBB420_16
	s_branch .LBB420_17
.LBB420_26:                             ;   in Loop: Header=BB420_4 Depth=1
	ds_load_b32 v18, v12
	s_wait_alu 0xfffe
	s_or_b32 exec_lo, exec_lo, s5
	s_and_saveexec_b32 s5, s3
	s_cbranch_execz .LBB420_21
.LBB420_27:                             ;   in Loop: Header=BB420_4 Depth=1
	s_wait_dscnt 0x0
	ds_bpermute_b32 v19, v16, v18
	s_wait_dscnt 0x0
	v_add_f32_e32 v18, v18, v19
	ds_bpermute_b32 v5, v5, v18
	s_wait_dscnt 0x0
	v_add_f32_e32 v5, v18, v5
	;; [unrolled: 3-line block ×5, first 2 shown]
	s_wait_alu 0xfffe
	s_or_b32 exec_lo, exec_lo, s5
                                        ; implicit-def: $vgpr5
	s_and_saveexec_b32 s5, s0
	s_cbranch_execz .LBB420_31
.LBB420_28:                             ;   in Loop: Header=BB420_4 Depth=1
	s_wait_dscnt 0x0
	v_mul_f32_e32 v5, v17, v18
	s_cmp_eq_f32 s27, 0
	s_cbranch_scc1 .LBB420_30
; %bb.29:                               ;   in Loop: Header=BB420_4 Depth=1
	s_add_nc_u64 s[38:39], s[36:37], s[12:13]
	global_load_u16 v6, v9, s[38:39]
	s_wait_loadcnt 0x0
	v_fma_mix_f32 v5, s27, v6, v5 op_sel_hi:[0,1,0]
.LBB420_30:                             ;   in Loop: Header=BB420_4 Depth=1
	s_delay_alu instid0(VALU_DEP_1)
	v_cvt_f16_f32_e32 v5, v5
	s_or_b32 s41, s41, exec_lo
.LBB420_31:                             ;   in Loop: Header=BB420_4 Depth=1
	s_wait_alu 0xfffe
	s_or_b32 exec_lo, exec_lo, s5
.LBB420_32:                             ;   in Loop: Header=BB420_4 Depth=1
	s_wait_alu 0xfffe
	s_and_saveexec_b32 s5, s41
	s_cbranch_execz .LBB420_2
; %bb.33:                               ;   in Loop: Header=BB420_4 Depth=1
	s_add_nc_u64 s[36:37], s[36:37], s[12:13]
	global_store_b16 v9, v5, s[36:37]
	s_branch .LBB420_2
.LBB420_34:
	s_endpgm
	.section	.rodata,"a",@progbits
	.p2align	6, 0x0
	.amdhsa_kernel _ZL32rocblas_gemvt_warp_reduce_kernelILb1ELi1024EiDF16_PKfDF16_EviiT3_lPKT2_lT1_lS5_lS6_lS2_lPT4_lS6_li
		.amdhsa_group_segment_fixed_size 128
		.amdhsa_private_segment_fixed_size 0
		.amdhsa_kernarg_size 140
		.amdhsa_user_sgpr_count 2
		.amdhsa_user_sgpr_dispatch_ptr 0
		.amdhsa_user_sgpr_queue_ptr 0
		.amdhsa_user_sgpr_kernarg_segment_ptr 1
		.amdhsa_user_sgpr_dispatch_id 0
		.amdhsa_user_sgpr_private_segment_size 0
		.amdhsa_wavefront_size32 1
		.amdhsa_uses_dynamic_stack 0
		.amdhsa_enable_private_segment 0
		.amdhsa_system_sgpr_workgroup_id_x 1
		.amdhsa_system_sgpr_workgroup_id_y 0
		.amdhsa_system_sgpr_workgroup_id_z 1
		.amdhsa_system_sgpr_workgroup_info 0
		.amdhsa_system_vgpr_workitem_id 0
		.amdhsa_next_free_vgpr 22
		.amdhsa_next_free_sgpr 44
		.amdhsa_reserve_vcc 1
		.amdhsa_float_round_mode_32 0
		.amdhsa_float_round_mode_16_64 0
		.amdhsa_float_denorm_mode_32 3
		.amdhsa_float_denorm_mode_16_64 3
		.amdhsa_fp16_overflow 0
		.amdhsa_workgroup_processor_mode 1
		.amdhsa_memory_ordered 1
		.amdhsa_forward_progress 1
		.amdhsa_inst_pref_size 13
		.amdhsa_round_robin_scheduling 0
		.amdhsa_exception_fp_ieee_invalid_op 0
		.amdhsa_exception_fp_denorm_src 0
		.amdhsa_exception_fp_ieee_div_zero 0
		.amdhsa_exception_fp_ieee_overflow 0
		.amdhsa_exception_fp_ieee_underflow 0
		.amdhsa_exception_fp_ieee_inexact 0
		.amdhsa_exception_int_div_zero 0
	.end_amdhsa_kernel
	.section	.text._ZL32rocblas_gemvt_warp_reduce_kernelILb1ELi1024EiDF16_PKfDF16_EviiT3_lPKT2_lT1_lS5_lS6_lS2_lPT4_lS6_li,"axG",@progbits,_ZL32rocblas_gemvt_warp_reduce_kernelILb1ELi1024EiDF16_PKfDF16_EviiT3_lPKT2_lT1_lS5_lS6_lS2_lPT4_lS6_li,comdat
.Lfunc_end420:
	.size	_ZL32rocblas_gemvt_warp_reduce_kernelILb1ELi1024EiDF16_PKfDF16_EviiT3_lPKT2_lT1_lS5_lS6_lS2_lPT4_lS6_li, .Lfunc_end420-_ZL32rocblas_gemvt_warp_reduce_kernelILb1ELi1024EiDF16_PKfDF16_EviiT3_lPKT2_lT1_lS5_lS6_lS2_lPT4_lS6_li
                                        ; -- End function
	.set _ZL32rocblas_gemvt_warp_reduce_kernelILb1ELi1024EiDF16_PKfDF16_EviiT3_lPKT2_lT1_lS5_lS6_lS2_lPT4_lS6_li.num_vgpr, 22
	.set _ZL32rocblas_gemvt_warp_reduce_kernelILb1ELi1024EiDF16_PKfDF16_EviiT3_lPKT2_lT1_lS5_lS6_lS2_lPT4_lS6_li.num_agpr, 0
	.set _ZL32rocblas_gemvt_warp_reduce_kernelILb1ELi1024EiDF16_PKfDF16_EviiT3_lPKT2_lT1_lS5_lS6_lS2_lPT4_lS6_li.numbered_sgpr, 44
	.set _ZL32rocblas_gemvt_warp_reduce_kernelILb1ELi1024EiDF16_PKfDF16_EviiT3_lPKT2_lT1_lS5_lS6_lS2_lPT4_lS6_li.num_named_barrier, 0
	.set _ZL32rocblas_gemvt_warp_reduce_kernelILb1ELi1024EiDF16_PKfDF16_EviiT3_lPKT2_lT1_lS5_lS6_lS2_lPT4_lS6_li.private_seg_size, 0
	.set _ZL32rocblas_gemvt_warp_reduce_kernelILb1ELi1024EiDF16_PKfDF16_EviiT3_lPKT2_lT1_lS5_lS6_lS2_lPT4_lS6_li.uses_vcc, 1
	.set _ZL32rocblas_gemvt_warp_reduce_kernelILb1ELi1024EiDF16_PKfDF16_EviiT3_lPKT2_lT1_lS5_lS6_lS2_lPT4_lS6_li.uses_flat_scratch, 0
	.set _ZL32rocblas_gemvt_warp_reduce_kernelILb1ELi1024EiDF16_PKfDF16_EviiT3_lPKT2_lT1_lS5_lS6_lS2_lPT4_lS6_li.has_dyn_sized_stack, 0
	.set _ZL32rocblas_gemvt_warp_reduce_kernelILb1ELi1024EiDF16_PKfDF16_EviiT3_lPKT2_lT1_lS5_lS6_lS2_lPT4_lS6_li.has_recursion, 0
	.set _ZL32rocblas_gemvt_warp_reduce_kernelILb1ELi1024EiDF16_PKfDF16_EviiT3_lPKT2_lT1_lS5_lS6_lS2_lPT4_lS6_li.has_indirect_call, 0
	.section	.AMDGPU.csdata,"",@progbits
; Kernel info:
; codeLenInByte = 1604
; TotalNumSgprs: 46
; NumVgprs: 22
; ScratchSize: 0
; MemoryBound: 0
; FloatMode: 240
; IeeeMode: 1
; LDSByteSize: 128 bytes/workgroup (compile time only)
; SGPRBlocks: 0
; VGPRBlocks: 2
; NumSGPRsForWavesPerEU: 46
; NumVGPRsForWavesPerEU: 22
; Occupancy: 16
; WaveLimiterHint : 0
; COMPUTE_PGM_RSRC2:SCRATCH_EN: 0
; COMPUTE_PGM_RSRC2:USER_SGPR: 2
; COMPUTE_PGM_RSRC2:TRAP_HANDLER: 0
; COMPUTE_PGM_RSRC2:TGID_X_EN: 1
; COMPUTE_PGM_RSRC2:TGID_Y_EN: 0
; COMPUTE_PGM_RSRC2:TGID_Z_EN: 1
; COMPUTE_PGM_RSRC2:TIDIG_COMP_CNT: 0
	.section	.text._ZL32rocblas_gemvt_warp_reduce_kernelILb1ELi1024ElDF16_PKfDF16_EviiT3_lPKT2_lT1_lS5_lS6_lS2_lPT4_lS6_li,"axG",@progbits,_ZL32rocblas_gemvt_warp_reduce_kernelILb1ELi1024ElDF16_PKfDF16_EviiT3_lPKT2_lT1_lS5_lS6_lS2_lPT4_lS6_li,comdat
	.globl	_ZL32rocblas_gemvt_warp_reduce_kernelILb1ELi1024ElDF16_PKfDF16_EviiT3_lPKT2_lT1_lS5_lS6_lS2_lPT4_lS6_li ; -- Begin function _ZL32rocblas_gemvt_warp_reduce_kernelILb1ELi1024ElDF16_PKfDF16_EviiT3_lPKT2_lT1_lS5_lS6_lS2_lPT4_lS6_li
	.p2align	8
	.type	_ZL32rocblas_gemvt_warp_reduce_kernelILb1ELi1024ElDF16_PKfDF16_EviiT3_lPKT2_lT1_lS5_lS6_lS2_lPT4_lS6_li,@function
_ZL32rocblas_gemvt_warp_reduce_kernelILb1ELi1024ElDF16_PKfDF16_EviiT3_lPKT2_lT1_lS5_lS6_lS2_lPT4_lS6_li: ; @_ZL32rocblas_gemvt_warp_reduce_kernelILb1ELi1024ElDF16_PKfDF16_EviiT3_lPKT2_lT1_lS5_lS6_lS2_lPT4_lS6_li
; %bb.0:
	s_load_b32 s33, s[0:1], 0x88
	s_lshr_b32 s6, ttmp7, 16
	s_wait_kmcnt 0x0
	s_cmp_ge_u32 s6, s33
	s_cbranch_scc1 .LBB421_34
; %bb.1:
	s_clause 0x2
	s_load_b512 s[8:23], s[0:1], 0x8
	s_load_b512 s[36:51], s[0:1], 0x48
	s_load_b32 s28, s[0:1], 0x0
	s_mov_b32 s2, ttmp9
	s_ashr_i32 s3, ttmp9, 31
	v_mbcnt_lo_u32_b32 v16, -1, 0
	v_cmp_eq_u32_e64 s0, 0, v0
	s_mov_b32 s7, 0
	v_lshl_or_b32 v17, v16, 2, 64
	s_wait_kmcnt 0x0
	s_lshl_b64 s[4:5], s[22:23], 1
	s_lshl_b64 s[24:25], s[14:15], 1
	v_cmp_gt_i32_e32 vcc_lo, s28, v0
	s_ashr_i32 s1, s28, 31
	v_mad_co_u64_u32 v[1:2], null, s36, v0, 0
	s_lshr_b32 s1, s1, 22
	v_cndmask_b32_e32 v3, 0, v0, vcc_lo
	s_add_nc_u64 s[14:15], s[20:21], s[4:5]
	s_add_nc_u64 s[4:5], s[12:13], s[24:25]
	s_add_co_i32 s1, s28, s1
	s_lshl_b64 s[22:23], s[46:47], 1
	v_lshlrev_b32_e32 v7, 1, v3
	s_and_b32 s20, s1, 0xfffffc00
	s_mul_u64 s[26:27], s[48:49], s[2:3]
	s_mul_u64 s[2:3], s[16:17], s[2:3]
	v_or_b32_e32 v4, s20, v0
	v_add_co_u32 v3, s1, s4, v7
	s_delay_alu instid0(VALU_DEP_1)
	v_add_co_ci_u32_e64 v5, null, s5, 0, s1
	s_add_nc_u64 s[16:17], s[44:45], s[22:23]
	s_lshl_b64 s[22:23], s[2:3], 1
	v_mul_lo_u32 v8, s37, v4
	v_add_co_u32 v12, vcc_lo, v3, s22
	v_mad_co_u64_u32 v[2:3], null, s37, v0, v[2:3]
	s_wait_alu 0xfffd
	v_add_co_ci_u32_e64 v13, null, s23, v5, vcc_lo
	v_mad_co_u64_u32 v[5:6], null, s36, v4, 0
	v_and_b32_e32 v3, 31, v0
	v_cmp_gt_i32_e64 s2, s28, v4
	v_lshrrev_b32_e32 v4, 3, v0
	s_ashr_i32 s21, s20, 31
	v_dual_mov_b32 v11, 0 :: v_dual_lshlrev_b32 v14, 2, v3
	s_wait_alu 0xfffe
	s_mul_i32 s3, s36, s21
	v_cmp_eq_u32_e64 s4, 0, v3
	v_and_b32_e32 v15, 0x7c, v4
	v_lshlrev_b64_e32 v[3:4], 1, v[1:2]
	v_add3_u32 v6, v6, s3, v8
	s_add_nc_u64 s[22:23], s[22:23], s[24:25]
	v_cmp_gt_i32_e64 s1, s20, v0
	s_wait_alu 0xfffe
	s_add_nc_u64 s[12:13], s[12:13], s[22:23]
	v_cmp_gt_u32_e64 s3, 32, v0
	v_add_co_u32 v1, s5, s12, v7
	v_add_co_u32 v3, vcc_lo, s14, v3
	v_lshlrev_b64_e32 v[5:6], 1, v[5:6]
	s_wait_alu 0xf1ff
	v_add_co_ci_u32_e64 v2, null, s13, 0, s5
	s_wait_alu 0xfffd
	v_add_co_ci_u32_e64 v4, null, s15, v4, vcc_lo
	s_lshl_b64 s[12:13], s[18:19], 1
	s_lshl_b64 s[22:23], s[38:39], 1
	;; [unrolled: 1-line block ×5, first 2 shown]
	s_branch .LBB421_4
.LBB421_2:                              ;   in Loop: Header=BB421_4 Depth=1
	s_wait_alu 0xfffe
	s_or_b32 exec_lo, exec_lo, s5
.LBB421_3:                              ;   in Loop: Header=BB421_4 Depth=1
	s_add_co_i32 s6, s6, 0x10000
	s_wait_alu 0xfffe
	s_cmp_lt_u32 s6, s33
	s_cbranch_scc0 .LBB421_34
.LBB421_4:                              ; =>This Loop Header: Depth=1
                                        ;     Child Loop BB421_23 Depth 2
	s_mul_u64 s[30:31], s[10:11], s[6:7]
	s_mul_u64 s[34:35], s[42:43], s[6:7]
	s_lshl_b64 s[30:31], s[30:31], 2
	s_lshl_b64 s[34:35], s[34:35], 2
	s_add_nc_u64 s[30:31], s[8:9], s[30:31]
	s_add_nc_u64 s[34:35], s[40:41], s[34:35]
	s_clause 0x1
	global_load_b32 v18, v11, s[30:31]
	global_load_b32 v7, v11, s[34:35]
	s_wait_loadcnt 0x1
	v_cmp_eq_f32_e32 vcc_lo, 0, v18
	s_wait_loadcnt 0x0
	v_cmp_eq_f32_e64 s5, 1.0, v7
	v_readfirstlane_b32 s21, v7
	s_and_b32 s5, vcc_lo, s5
	s_wait_alu 0xfffe
	s_and_b32 vcc_lo, exec_lo, s5
	s_wait_alu 0xfffe
	s_cbranch_vccnz .LBB421_3
; %bb.5:                                ;   in Loop: Header=BB421_4 Depth=1
	v_cmp_neq_f32_e32 vcc_lo, 0, v18
	s_mul_u64 s[30:31], s[50:51], s[6:7]
	s_delay_alu instid0(SALU_CYCLE_1) | instskip(NEXT) | instid1(SALU_CYCLE_1)
	s_lshl_b64 s[30:31], s[30:31], 1
	s_add_nc_u64 s[30:31], s[16:17], s[30:31]
	s_cbranch_vccnz .LBB421_9
; %bb.6:                                ;   in Loop: Header=BB421_4 Depth=1
	s_mov_b32 s5, 0
	s_mov_b32 s34, 0
                                        ; implicit-def: $vgpr7
	s_and_saveexec_b32 s35, s0
	s_cbranch_execz .LBB421_10
; %bb.7:                                ;   in Loop: Header=BB421_4 Depth=1
	s_cmp_eq_f32 s21, 0
	s_cbranch_scc1 .LBB421_11
; %bb.8:                                ;   in Loop: Header=BB421_4 Depth=1
	s_add_nc_u64 s[36:37], s[30:31], s[26:27]
	global_load_u16 v7, v11, s[36:37]
	s_wait_loadcnt 0x0
	v_fma_mixlo_f16 v7, s21, v7, 0 op_sel_hi:[0,1,0]
	s_branch .LBB421_12
.LBB421_9:                              ;   in Loop: Header=BB421_4 Depth=1
	s_mov_b32 s34, 0
                                        ; implicit-def: $vgpr7
	s_cbranch_execnz .LBB421_13
	s_branch .LBB421_32
.LBB421_10:                             ;   in Loop: Header=BB421_4 Depth=1
	s_or_b32 exec_lo, exec_lo, s35
	s_wait_alu 0xfffe
	s_and_b32 vcc_lo, exec_lo, s5
	s_wait_alu 0xfffe
	s_cbranch_vccnz .LBB421_13
	s_branch .LBB421_32
.LBB421_11:                             ;   in Loop: Header=BB421_4 Depth=1
	v_mov_b32_e32 v7, 0
.LBB421_12:                             ;   in Loop: Header=BB421_4 Depth=1
	s_mov_b32 s34, exec_lo
	s_or_b32 exec_lo, exec_lo, s35
	s_wait_alu 0xfffe
	s_and_b32 vcc_lo, exec_lo, s5
	s_wait_alu 0xfffe
	s_cbranch_vccz .LBB421_32
.LBB421_13:                             ;   in Loop: Header=BB421_4 Depth=1
	s_wait_dscnt 0x0
	v_mov_b32_e32 v19, 0
	s_and_saveexec_b32 s35, s1
	s_cbranch_execnz .LBB421_22
; %bb.14:                               ;   in Loop: Header=BB421_4 Depth=1
	s_or_b32 exec_lo, exec_lo, s35
	s_and_saveexec_b32 s5, s2
	s_cbranch_execnz .LBB421_25
.LBB421_15:                             ;   in Loop: Header=BB421_4 Depth=1
	s_wait_alu 0xfffe
	s_or_b32 exec_lo, exec_lo, s5
	s_and_saveexec_b32 s5, s3
.LBB421_16:                             ;   in Loop: Header=BB421_4 Depth=1
	ds_store_b32 v14, v11
.LBB421_17:                             ;   in Loop: Header=BB421_4 Depth=1
	s_wait_alu 0xfffe
	s_or_b32 exec_lo, exec_lo, s5
	ds_bpermute_b32 v8, v17, v19
	v_cmp_gt_u32_e32 vcc_lo, 24, v16
	s_wait_dscnt 0x0
	s_barrier_signal -1
	s_barrier_wait -1
	global_inv scope:SCOPE_SE
	s_wait_alu 0xfffd
	v_cndmask_b32_e64 v7, 0, 8, vcc_lo
	v_cmp_gt_u32_e32 vcc_lo, 28, v16
	s_delay_alu instid0(VALU_DEP_2)
	v_add_lshl_u32 v7, v7, v16, 2
	v_add_f32_e32 v9, v19, v8
	s_wait_alu 0xfffd
	v_cndmask_b32_e64 v8, 0, 4, vcc_lo
	v_cmp_gt_u32_e32 vcc_lo, 30, v16
	ds_bpermute_b32 v10, v7, v9
	v_add_lshl_u32 v8, v8, v16, 2
	s_wait_dscnt 0x0
	v_add_f32_e32 v10, v9, v10
	s_wait_alu 0xfffd
	v_cndmask_b32_e64 v9, 0, 2, vcc_lo
	v_cmp_ne_u32_e32 vcc_lo, 31, v16
	ds_bpermute_b32 v19, v8, v10
	v_add_lshl_u32 v9, v9, v16, 2
	s_wait_alu 0xfffd
	v_add_co_ci_u32_e64 v20, null, 0, v16, vcc_lo
	s_wait_dscnt 0x0
	v_add_f32_e32 v10, v10, v19
	ds_bpermute_b32 v19, v9, v10
	s_wait_dscnt 0x0
	v_dual_add_f32 v19, v10, v19 :: v_dual_lshlrev_b32 v10, 2, v20
	ds_bpermute_b32 v20, v10, v19
	s_and_saveexec_b32 s5, s4
	s_cbranch_execz .LBB421_19
; %bb.18:                               ;   in Loop: Header=BB421_4 Depth=1
	s_wait_dscnt 0x0
	v_add_f32_e32 v19, v19, v20
	ds_store_b32 v15, v19
.LBB421_19:                             ;   in Loop: Header=BB421_4 Depth=1
	s_wait_alu 0xfffe
	s_or_b32 exec_lo, exec_lo, s5
	v_mov_b32_e32 v19, 0
	s_wait_loadcnt_dscnt 0x0
	s_barrier_signal -1
	s_barrier_wait -1
	global_inv scope:SCOPE_SE
	s_and_saveexec_b32 s5, s3
	s_cbranch_execnz .LBB421_26
; %bb.20:                               ;   in Loop: Header=BB421_4 Depth=1
	s_wait_alu 0xfffe
	s_or_b32 exec_lo, exec_lo, s5
	s_and_saveexec_b32 s5, s3
	s_cbranch_execnz .LBB421_27
.LBB421_21:                             ;   in Loop: Header=BB421_4 Depth=1
	s_wait_alu 0xfffe
	s_or_b32 exec_lo, exec_lo, s5
                                        ; implicit-def: $vgpr7
	s_and_saveexec_b32 s5, s0
	s_cbranch_execnz .LBB421_28
	s_branch .LBB421_31
.LBB421_22:                             ;   in Loop: Header=BB421_4 Depth=1
	v_mad_co_u64_u32 v[7:8], null, s12, s6, v[1:2]
	v_mad_co_u64_u32 v[9:10], null, s22, s6, v[3:4]
	s_mov_b32 s36, 0
	v_mad_co_u64_u32 v[20:21], null, s13, s6, v[8:9]
	v_mad_co_u64_u32 v[21:22], null, s23, s6, v[10:11]
	s_delay_alu instid0(VALU_DEP_2) | instskip(SKIP_1) | instid1(VALU_DEP_3)
	v_dual_mov_b32 v19, 0 :: v_dual_mov_b32 v8, v20
	v_mov_b32_e32 v20, v0
	v_mov_b32_e32 v10, v21
.LBB421_23:                             ;   Parent Loop BB421_4 Depth=1
                                        ; =>  This Inner Loop Header: Depth=2
	global_load_u16 v21, v[7:8], off
	global_load_u16 v22, v[9:10], off
	v_add_co_u32 v7, vcc_lo, 0x800, v7
	s_wait_alu 0xfffd
	v_add_co_ci_u32_e64 v8, null, 0, v8, vcc_lo
	v_add_co_u32 v9, vcc_lo, v9, s24
	s_wait_alu 0xfffd
	v_add_co_ci_u32_e64 v10, null, s25, v10, vcc_lo
	s_wait_loadcnt 0x0
	v_mul_f16_e32 v21, v21, v22
	s_delay_alu instid0(VALU_DEP_1) | instskip(NEXT) | instid1(VALU_DEP_1)
	v_cvt_f32_f16_e32 v21, v21
	v_dual_add_f32 v19, v19, v21 :: v_dual_add_nc_u32 v20, 0x400, v20
	s_delay_alu instid0(VALU_DEP_1)
	v_cmp_le_i32_e64 s5, s20, v20
	s_wait_alu 0xfffe
	s_or_b32 s36, s5, s36
	s_wait_alu 0xfffe
	s_and_not1_b32 exec_lo, exec_lo, s36
	s_cbranch_execnz .LBB421_23
; %bb.24:                               ;   in Loop: Header=BB421_4 Depth=1
	s_or_b32 exec_lo, exec_lo, s36
	s_delay_alu instid0(SALU_CYCLE_1)
	s_or_b32 exec_lo, exec_lo, s35
	s_and_saveexec_b32 s5, s2
	s_cbranch_execz .LBB421_15
.LBB421_25:                             ;   in Loop: Header=BB421_4 Depth=1
	s_mul_u64 s[36:37], s[18:19], s[6:7]
	s_mul_u64 s[44:45], s[38:39], s[6:7]
	s_wait_alu 0xfffe
	s_lshl_b64 s[36:37], s[36:37], 1
	s_lshl_b64 s[44:45], s[44:45], 1
	s_wait_alu 0xfffe
	v_add_co_u32 v7, vcc_lo, v12, s36
	s_wait_alu 0xfffd
	v_add_co_ci_u32_e64 v8, null, s37, v13, vcc_lo
	s_add_nc_u64 s[36:37], s[14:15], s[44:45]
	v_add_co_u32 v7, vcc_lo, v7, s28
	s_wait_alu 0xfffd
	v_add_co_ci_u32_e64 v8, null, s29, v8, vcc_lo
	s_wait_alu 0xfffe
	v_add_co_u32 v9, vcc_lo, s36, v5
	s_wait_alu 0xfffd
	v_add_co_ci_u32_e64 v10, null, s37, v6, vcc_lo
	global_load_u16 v7, v[7:8], off
	global_load_u16 v8, v[9:10], off
	s_wait_loadcnt 0x0
	v_mul_f16_e32 v7, v7, v8
	s_delay_alu instid0(VALU_DEP_1) | instskip(NEXT) | instid1(VALU_DEP_1)
	v_cvt_f32_f16_e32 v7, v7
	v_add_f32_e32 v19, v19, v7
	s_or_b32 exec_lo, exec_lo, s5
	s_and_saveexec_b32 s5, s3
	s_cbranch_execnz .LBB421_16
	s_branch .LBB421_17
.LBB421_26:                             ;   in Loop: Header=BB421_4 Depth=1
	ds_load_b32 v19, v14
	s_wait_alu 0xfffe
	s_or_b32 exec_lo, exec_lo, s5
	s_and_saveexec_b32 s5, s3
	s_cbranch_execz .LBB421_21
.LBB421_27:                             ;   in Loop: Header=BB421_4 Depth=1
	s_wait_dscnt 0x0
	ds_bpermute_b32 v20, v17, v19
	s_wait_dscnt 0x0
	v_add_f32_e32 v19, v19, v20
	ds_bpermute_b32 v7, v7, v19
	s_wait_dscnt 0x0
	v_add_f32_e32 v7, v19, v7
	;; [unrolled: 3-line block ×5, first 2 shown]
	s_wait_alu 0xfffe
	s_or_b32 exec_lo, exec_lo, s5
                                        ; implicit-def: $vgpr7
	s_and_saveexec_b32 s5, s0
	s_cbranch_execz .LBB421_31
.LBB421_28:                             ;   in Loop: Header=BB421_4 Depth=1
	s_wait_dscnt 0x0
	v_mul_f32_e32 v7, v18, v19
	s_cmp_eq_f32 s21, 0
	s_cbranch_scc1 .LBB421_30
; %bb.29:                               ;   in Loop: Header=BB421_4 Depth=1
	s_add_nc_u64 s[36:37], s[30:31], s[26:27]
	global_load_u16 v8, v11, s[36:37]
	s_wait_loadcnt 0x0
	v_fma_mix_f32 v7, s21, v8, v7 op_sel_hi:[0,1,0]
.LBB421_30:                             ;   in Loop: Header=BB421_4 Depth=1
	s_delay_alu instid0(VALU_DEP_1)
	v_cvt_f16_f32_e32 v7, v7
	s_or_b32 s34, s34, exec_lo
.LBB421_31:                             ;   in Loop: Header=BB421_4 Depth=1
	s_wait_alu 0xfffe
	s_or_b32 exec_lo, exec_lo, s5
.LBB421_32:                             ;   in Loop: Header=BB421_4 Depth=1
	s_and_saveexec_b32 s5, s34
	s_cbranch_execz .LBB421_2
; %bb.33:                               ;   in Loop: Header=BB421_4 Depth=1
	s_add_nc_u64 s[30:31], s[30:31], s[26:27]
	global_store_b16 v11, v7, s[30:31]
	s_branch .LBB421_2
.LBB421_34:
	s_endpgm
	.section	.rodata,"a",@progbits
	.p2align	6, 0x0
	.amdhsa_kernel _ZL32rocblas_gemvt_warp_reduce_kernelILb1ELi1024ElDF16_PKfDF16_EviiT3_lPKT2_lT1_lS5_lS6_lS2_lPT4_lS6_li
		.amdhsa_group_segment_fixed_size 128
		.amdhsa_private_segment_fixed_size 0
		.amdhsa_kernarg_size 140
		.amdhsa_user_sgpr_count 2
		.amdhsa_user_sgpr_dispatch_ptr 0
		.amdhsa_user_sgpr_queue_ptr 0
		.amdhsa_user_sgpr_kernarg_segment_ptr 1
		.amdhsa_user_sgpr_dispatch_id 0
		.amdhsa_user_sgpr_private_segment_size 0
		.amdhsa_wavefront_size32 1
		.amdhsa_uses_dynamic_stack 0
		.amdhsa_enable_private_segment 0
		.amdhsa_system_sgpr_workgroup_id_x 1
		.amdhsa_system_sgpr_workgroup_id_y 0
		.amdhsa_system_sgpr_workgroup_id_z 1
		.amdhsa_system_sgpr_workgroup_info 0
		.amdhsa_system_vgpr_workitem_id 0
		.amdhsa_next_free_vgpr 23
		.amdhsa_next_free_sgpr 52
		.amdhsa_reserve_vcc 1
		.amdhsa_float_round_mode_32 0
		.amdhsa_float_round_mode_16_64 0
		.amdhsa_float_denorm_mode_32 3
		.amdhsa_float_denorm_mode_16_64 3
		.amdhsa_fp16_overflow 0
		.amdhsa_workgroup_processor_mode 1
		.amdhsa_memory_ordered 1
		.amdhsa_forward_progress 1
		.amdhsa_inst_pref_size 13
		.amdhsa_round_robin_scheduling 0
		.amdhsa_exception_fp_ieee_invalid_op 0
		.amdhsa_exception_fp_denorm_src 0
		.amdhsa_exception_fp_ieee_div_zero 0
		.amdhsa_exception_fp_ieee_overflow 0
		.amdhsa_exception_fp_ieee_underflow 0
		.amdhsa_exception_fp_ieee_inexact 0
		.amdhsa_exception_int_div_zero 0
	.end_amdhsa_kernel
	.section	.text._ZL32rocblas_gemvt_warp_reduce_kernelILb1ELi1024ElDF16_PKfDF16_EviiT3_lPKT2_lT1_lS5_lS6_lS2_lPT4_lS6_li,"axG",@progbits,_ZL32rocblas_gemvt_warp_reduce_kernelILb1ELi1024ElDF16_PKfDF16_EviiT3_lPKT2_lT1_lS5_lS6_lS2_lPT4_lS6_li,comdat
.Lfunc_end421:
	.size	_ZL32rocblas_gemvt_warp_reduce_kernelILb1ELi1024ElDF16_PKfDF16_EviiT3_lPKT2_lT1_lS5_lS6_lS2_lPT4_lS6_li, .Lfunc_end421-_ZL32rocblas_gemvt_warp_reduce_kernelILb1ELi1024ElDF16_PKfDF16_EviiT3_lPKT2_lT1_lS5_lS6_lS2_lPT4_lS6_li
                                        ; -- End function
	.set _ZL32rocblas_gemvt_warp_reduce_kernelILb1ELi1024ElDF16_PKfDF16_EviiT3_lPKT2_lT1_lS5_lS6_lS2_lPT4_lS6_li.num_vgpr, 23
	.set _ZL32rocblas_gemvt_warp_reduce_kernelILb1ELi1024ElDF16_PKfDF16_EviiT3_lPKT2_lT1_lS5_lS6_lS2_lPT4_lS6_li.num_agpr, 0
	.set _ZL32rocblas_gemvt_warp_reduce_kernelILb1ELi1024ElDF16_PKfDF16_EviiT3_lPKT2_lT1_lS5_lS6_lS2_lPT4_lS6_li.numbered_sgpr, 52
	.set _ZL32rocblas_gemvt_warp_reduce_kernelILb1ELi1024ElDF16_PKfDF16_EviiT3_lPKT2_lT1_lS5_lS6_lS2_lPT4_lS6_li.num_named_barrier, 0
	.set _ZL32rocblas_gemvt_warp_reduce_kernelILb1ELi1024ElDF16_PKfDF16_EviiT3_lPKT2_lT1_lS5_lS6_lS2_lPT4_lS6_li.private_seg_size, 0
	.set _ZL32rocblas_gemvt_warp_reduce_kernelILb1ELi1024ElDF16_PKfDF16_EviiT3_lPKT2_lT1_lS5_lS6_lS2_lPT4_lS6_li.uses_vcc, 1
	.set _ZL32rocblas_gemvt_warp_reduce_kernelILb1ELi1024ElDF16_PKfDF16_EviiT3_lPKT2_lT1_lS5_lS6_lS2_lPT4_lS6_li.uses_flat_scratch, 0
	.set _ZL32rocblas_gemvt_warp_reduce_kernelILb1ELi1024ElDF16_PKfDF16_EviiT3_lPKT2_lT1_lS5_lS6_lS2_lPT4_lS6_li.has_dyn_sized_stack, 0
	.set _ZL32rocblas_gemvt_warp_reduce_kernelILb1ELi1024ElDF16_PKfDF16_EviiT3_lPKT2_lT1_lS5_lS6_lS2_lPT4_lS6_li.has_recursion, 0
	.set _ZL32rocblas_gemvt_warp_reduce_kernelILb1ELi1024ElDF16_PKfDF16_EviiT3_lPKT2_lT1_lS5_lS6_lS2_lPT4_lS6_li.has_indirect_call, 0
	.section	.AMDGPU.csdata,"",@progbits
; Kernel info:
; codeLenInByte = 1588
; TotalNumSgprs: 54
; NumVgprs: 23
; ScratchSize: 0
; MemoryBound: 0
; FloatMode: 240
; IeeeMode: 1
; LDSByteSize: 128 bytes/workgroup (compile time only)
; SGPRBlocks: 0
; VGPRBlocks: 2
; NumSGPRsForWavesPerEU: 54
; NumVGPRsForWavesPerEU: 23
; Occupancy: 16
; WaveLimiterHint : 0
; COMPUTE_PGM_RSRC2:SCRATCH_EN: 0
; COMPUTE_PGM_RSRC2:USER_SGPR: 2
; COMPUTE_PGM_RSRC2:TRAP_HANDLER: 0
; COMPUTE_PGM_RSRC2:TGID_X_EN: 1
; COMPUTE_PGM_RSRC2:TGID_Y_EN: 0
; COMPUTE_PGM_RSRC2:TGID_Z_EN: 1
; COMPUTE_PGM_RSRC2:TIDIG_COMP_CNT: 0
	.section	.text._ZL32rocblas_gemvt_warp_reduce_kernelILb1ELi1024EiDF16_fDF16_EviiT3_lPKT2_lT1_lS3_lS4_lS0_lPT4_lS4_li,"axG",@progbits,_ZL32rocblas_gemvt_warp_reduce_kernelILb1ELi1024EiDF16_fDF16_EviiT3_lPKT2_lT1_lS3_lS4_lS0_lPT4_lS4_li,comdat
	.globl	_ZL32rocblas_gemvt_warp_reduce_kernelILb1ELi1024EiDF16_fDF16_EviiT3_lPKT2_lT1_lS3_lS4_lS0_lPT4_lS4_li ; -- Begin function _ZL32rocblas_gemvt_warp_reduce_kernelILb1ELi1024EiDF16_fDF16_EviiT3_lPKT2_lT1_lS3_lS4_lS0_lPT4_lS4_li
	.p2align	8
	.type	_ZL32rocblas_gemvt_warp_reduce_kernelILb1ELi1024EiDF16_fDF16_EviiT3_lPKT2_lT1_lS3_lS4_lS0_lPT4_lS4_li,@function
_ZL32rocblas_gemvt_warp_reduce_kernelILb1ELi1024EiDF16_fDF16_EviiT3_lPKT2_lT1_lS3_lS4_lS0_lPT4_lS4_li: ; @_ZL32rocblas_gemvt_warp_reduce_kernelILb1ELi1024EiDF16_fDF16_EviiT3_lPKT2_lT1_lS3_lS4_lS0_lPT4_lS4_li
; %bb.0:
	s_load_b32 s19, s[0:1], 0x88
	s_lshr_b32 s24, ttmp7, 16
	s_wait_kmcnt 0x0
	s_cmp_ge_u32 s24, s19
	s_cbranch_scc1 .LBB422_34
; %bb.1:
	s_clause 0x9
	s_load_b96 s[20:22], s[0:1], 0x40
	s_load_b128 s[4:7], s[0:1], 0x68
	s_load_b128 s[12:15], s[0:1], 0x18
	s_load_b32 s33, s[0:1], 0x8
	s_load_b96 s[16:18], s[0:1], 0x50
	s_load_b128 s[8:11], s[0:1], 0x30
	s_load_b32 s23, s[0:1], 0x0
	s_load_b32 s3, s[0:1], 0x28
	;; [unrolled: 1-line block ×3, first 2 shown]
	s_load_b64 s[26:27], s[0:1], 0x80
	v_and_b32_e32 v1, 31, v0
	v_lshrrev_b32_e32 v2, 3, v0
	v_mov_b32_e32 v9, 0
	v_mbcnt_lo_u32_b32 v15, -1, 0
	v_cmp_eq_u32_e64 s0, 0, v0
	v_lshlrev_b32_e32 v10, 2, v1
	v_cmp_eq_u32_e64 s2, 0, v1
	v_and_b32_e32 v11, 0x7c, v2
	v_cmp_gt_u32_e64 s1, 32, v0
	v_lshl_or_b32 v16, v15, 2, 64
	s_wait_kmcnt 0x0
	s_lshl_b64 s[20:21], s[20:21], 1
	s_lshl_b64 s[28:29], s[6:7], 1
	;; [unrolled: 1-line block ×3, first 2 shown]
	s_cmp_eq_f32 s33, 0
	v_mul_lo_u32 v12, v0, s22
	s_mov_b32 s25, 0
	v_cmp_gt_i32_e32 vcc_lo, s23, v0
	s_cselect_b32 s34, -1, 0
	s_cmp_neq_f32 s33, 0
	s_mul_i32 s38, s35, ttmp9
	s_mul_i32 s40, s3, ttmp9
	v_cndmask_b32_e32 v1, 0, v0, vcc_lo
	s_cselect_b32 s6, -1, 0
	s_cmp_neq_f32 s18, 1.0
	s_delay_alu instid0(VALU_DEP_1) | instskip(SKIP_1) | instid1(SALU_CYCLE_1)
	v_lshlrev_b32_e32 v1, 1, v1
	s_cselect_b32 s7, -1, 0
	s_or_b32 s35, s6, s7
	s_cmp_neq_f32 s18, 0
	s_add_nc_u64 s[6:7], s[10:11], s[20:21]
	s_add_nc_u64 s[10:11], s[4:5], s[28:29]
	;; [unrolled: 1-line block ×3, first 2 shown]
	s_cselect_b32 s36, -1, 0
	s_ashr_i32 s3, s23, 31
	s_ashr_i32 s41, s40, 31
	s_lshr_b32 s3, s3, 22
	s_ashr_i32 s39, s38, 31
	s_add_co_i32 s3, s23, s3
	s_lshl_b32 s37, s22, 10
	s_and_b32 s14, s3, 0xfffffc00
	v_add_co_u32 v4, s3, s4, v1
	v_or_b32_e32 v2, s14, v0
	v_add_co_ci_u32_e64 v5, null, s5, 0, s3
	s_lshl_b64 s[4:5], s[40:41], 1
	v_cmp_gt_i32_e64 s3, s14, v0
	v_mul_lo_u32 v3, s22, v2
	s_wait_alu 0xfffe
	v_add_co_u32 v13, vcc_lo, v4, s4
	s_add_nc_u64 s[20:21], s[30:31], s[4:5]
	s_wait_alu 0xfffd
	v_add_co_ci_u32_e64 v14, null, s5, v5, vcc_lo
	s_add_nc_u64 s[12:13], s[12:13], s[20:21]
	v_cmp_gt_i32_e64 s4, s23, v2
	v_ashrrev_i32_e32 v4, 31, v3
	v_add_co_u32 v1, s5, s12, v1
	s_wait_alu 0xf1ff
	v_add_co_ci_u32_e64 v2, null, s13, 0, s5
	s_delay_alu instid0(VALU_DEP_3)
	v_lshlrev_b64_e32 v[3:4], 1, v[3:4]
	s_ashr_i32 s15, s14, 31
	s_lshl_b64 s[12:13], s[8:9], 1
	s_lshl_b64 s[20:21], s[38:39], 1
	s_wait_alu 0xfffe
	s_lshl_b64 s[22:23], s[14:15], 1
	s_branch .LBB422_4
.LBB422_2:                              ;   in Loop: Header=BB422_4 Depth=1
	s_wait_alu 0xfffe
	s_or_b32 exec_lo, exec_lo, s5
.LBB422_3:                              ;   in Loop: Header=BB422_4 Depth=1
	s_add_co_i32 s24, s24, 0x10000
	s_wait_alu 0xfffe
	s_cmp_lt_u32 s24, s19
	s_cbranch_scc0 .LBB422_34
.LBB422_4:                              ; =>This Loop Header: Depth=1
                                        ;     Child Loop BB422_23 Depth 2
	s_and_not1_b32 vcc_lo, exec_lo, s35
	s_wait_alu 0xfffe
	s_cbranch_vccnz .LBB422_3
; %bb.5:                                ;   in Loop: Header=BB422_4 Depth=1
	s_mul_u64 s[28:29], s[26:27], s[24:25]
	s_and_not1_b32 vcc_lo, exec_lo, s34
	s_lshl_b64 s[28:29], s[28:29], 1
	s_delay_alu instid0(SALU_CYCLE_1)
	s_add_nc_u64 s[28:29], s[10:11], s[28:29]
	s_wait_alu 0xfffe
	s_cbranch_vccnz .LBB422_9
; %bb.6:                                ;   in Loop: Header=BB422_4 Depth=1
	s_mov_b32 s5, 0
	s_mov_b32 s15, 0
                                        ; implicit-def: $vgpr5
	s_and_saveexec_b32 s30, s0
	s_cbranch_execz .LBB422_10
; %bb.7:                                ;   in Loop: Header=BB422_4 Depth=1
	s_and_not1_b32 vcc_lo, exec_lo, s36
	s_wait_alu 0xfffe
	s_cbranch_vccnz .LBB422_11
; %bb.8:                                ;   in Loop: Header=BB422_4 Depth=1
	s_add_nc_u64 s[38:39], s[28:29], s[20:21]
	global_load_u16 v5, v9, s[38:39]
	s_wait_loadcnt 0x0
	v_fma_mixlo_f16 v5, s18, v5, 0 op_sel_hi:[0,1,0]
	s_branch .LBB422_12
.LBB422_9:                              ;   in Loop: Header=BB422_4 Depth=1
	s_mov_b32 s15, 0
                                        ; implicit-def: $vgpr5
	s_cbranch_execnz .LBB422_13
	s_branch .LBB422_32
.LBB422_10:                             ;   in Loop: Header=BB422_4 Depth=1
	s_wait_alu 0xfffe
	s_or_b32 exec_lo, exec_lo, s30
	s_delay_alu instid0(SALU_CYCLE_1)
	s_and_b32 vcc_lo, exec_lo, s5
	s_wait_alu 0xfffe
	s_cbranch_vccnz .LBB422_13
	s_branch .LBB422_32
.LBB422_11:                             ;   in Loop: Header=BB422_4 Depth=1
	v_mov_b32_e32 v5, 0
.LBB422_12:                             ;   in Loop: Header=BB422_4 Depth=1
	s_mov_b32 s15, exec_lo
	s_or_b32 exec_lo, exec_lo, s30
	s_delay_alu instid0(SALU_CYCLE_1)
	s_and_b32 vcc_lo, exec_lo, s5
	s_wait_alu 0xfffe
	s_cbranch_vccz .LBB422_32
.LBB422_13:                             ;   in Loop: Header=BB422_4 Depth=1
	s_mul_u64 s[30:31], s[16:17], s[24:25]
	s_wait_dscnt 0x0
	v_mov_b32_e32 v17, 0
	s_wait_alu 0xfffe
	s_lshl_b64 s[30:31], s[30:31], 1
	s_wait_alu 0xfffe
	s_add_nc_u64 s[30:31], s[6:7], s[30:31]
	s_and_saveexec_b32 s38, s3
	s_cbranch_execnz .LBB422_22
; %bb.14:                               ;   in Loop: Header=BB422_4 Depth=1
	s_wait_alu 0xfffe
	s_or_b32 exec_lo, exec_lo, s38
	s_and_saveexec_b32 s5, s4
	s_cbranch_execnz .LBB422_25
.LBB422_15:                             ;   in Loop: Header=BB422_4 Depth=1
	s_wait_alu 0xfffe
	s_or_b32 exec_lo, exec_lo, s5
	s_and_saveexec_b32 s5, s1
.LBB422_16:                             ;   in Loop: Header=BB422_4 Depth=1
	ds_store_b32 v10, v9
.LBB422_17:                             ;   in Loop: Header=BB422_4 Depth=1
	s_wait_alu 0xfffe
	s_or_b32 exec_lo, exec_lo, s5
	ds_bpermute_b32 v6, v16, v17
	v_cmp_gt_u32_e32 vcc_lo, 24, v15
	s_wait_dscnt 0x0
	s_barrier_signal -1
	s_barrier_wait -1
	global_inv scope:SCOPE_SE
	s_wait_alu 0xfffd
	v_cndmask_b32_e64 v5, 0, 8, vcc_lo
	v_cmp_gt_u32_e32 vcc_lo, 28, v15
	s_delay_alu instid0(VALU_DEP_2)
	v_add_lshl_u32 v5, v5, v15, 2
	v_add_f32_e32 v7, v17, v6
	s_wait_alu 0xfffd
	v_cndmask_b32_e64 v6, 0, 4, vcc_lo
	v_cmp_gt_u32_e32 vcc_lo, 30, v15
	ds_bpermute_b32 v8, v5, v7
	v_add_lshl_u32 v6, v6, v15, 2
	s_wait_dscnt 0x0
	v_add_f32_e32 v8, v7, v8
	s_wait_alu 0xfffd
	v_cndmask_b32_e64 v7, 0, 2, vcc_lo
	v_cmp_ne_u32_e32 vcc_lo, 31, v15
	ds_bpermute_b32 v17, v6, v8
	v_add_lshl_u32 v7, v7, v15, 2
	s_wait_alu 0xfffd
	v_add_co_ci_u32_e64 v18, null, 0, v15, vcc_lo
	s_wait_dscnt 0x0
	v_add_f32_e32 v8, v8, v17
	ds_bpermute_b32 v17, v7, v8
	s_wait_dscnt 0x0
	v_dual_add_f32 v17, v8, v17 :: v_dual_lshlrev_b32 v8, 2, v18
	ds_bpermute_b32 v18, v8, v17
	s_and_saveexec_b32 s5, s2
	s_cbranch_execz .LBB422_19
; %bb.18:                               ;   in Loop: Header=BB422_4 Depth=1
	s_wait_dscnt 0x0
	v_add_f32_e32 v17, v17, v18
	ds_store_b32 v11, v17
.LBB422_19:                             ;   in Loop: Header=BB422_4 Depth=1
	s_wait_alu 0xfffe
	s_or_b32 exec_lo, exec_lo, s5
	v_mov_b32_e32 v17, 0
	s_wait_loadcnt_dscnt 0x0
	s_barrier_signal -1
	s_barrier_wait -1
	global_inv scope:SCOPE_SE
	s_and_saveexec_b32 s5, s1
	s_cbranch_execnz .LBB422_26
; %bb.20:                               ;   in Loop: Header=BB422_4 Depth=1
	s_wait_alu 0xfffe
	s_or_b32 exec_lo, exec_lo, s5
	s_and_saveexec_b32 s5, s1
	s_cbranch_execnz .LBB422_27
.LBB422_21:                             ;   in Loop: Header=BB422_4 Depth=1
	s_wait_alu 0xfffe
	s_or_b32 exec_lo, exec_lo, s5
                                        ; implicit-def: $vgpr5
	s_and_saveexec_b32 s5, s0
	s_cbranch_execnz .LBB422_28
	s_branch .LBB422_31
.LBB422_22:                             ;   in Loop: Header=BB422_4 Depth=1
	v_mad_co_u64_u32 v[5:6], null, s12, s24, v[1:2]
	v_dual_mov_b32 v17, 0 :: v_dual_mov_b32 v18, v0
	s_mov_b32 s39, 0
	s_delay_alu instid0(VALU_DEP_2)
	v_mad_co_u64_u32 v[6:7], null, s13, s24, v[6:7]
	v_mov_b32_e32 v7, v12
.LBB422_23:                             ;   Parent Loop BB422_4 Depth=1
                                        ; =>  This Inner Loop Header: Depth=2
	s_delay_alu instid0(VALU_DEP_1) | instskip(NEXT) | instid1(VALU_DEP_1)
	v_ashrrev_i32_e32 v8, 31, v7
	v_lshlrev_b64_e32 v[19:20], 1, v[7:8]
	v_add_nc_u32_e32 v7, s37, v7
	s_wait_alu 0xfffe
	s_delay_alu instid0(VALU_DEP_2) | instskip(SKIP_1) | instid1(VALU_DEP_3)
	v_add_co_u32 v19, vcc_lo, s30, v19
	s_wait_alu 0xfffd
	v_add_co_ci_u32_e64 v20, null, s31, v20, vcc_lo
	global_load_u16 v8, v[5:6], off
	global_load_u16 v19, v[19:20], off
	v_add_co_u32 v5, vcc_lo, 0x800, v5
	s_wait_alu 0xfffd
	v_add_co_ci_u32_e64 v6, null, 0, v6, vcc_lo
	s_wait_loadcnt 0x0
	v_mul_f16_e32 v8, v8, v19
	s_delay_alu instid0(VALU_DEP_1) | instskip(NEXT) | instid1(VALU_DEP_1)
	v_cvt_f32_f16_e32 v8, v8
	v_dual_add_f32 v17, v17, v8 :: v_dual_add_nc_u32 v18, 0x400, v18
	s_delay_alu instid0(VALU_DEP_1)
	v_cmp_le_i32_e64 s5, s14, v18
	s_or_b32 s39, s5, s39
	s_wait_alu 0xfffe
	s_and_not1_b32 exec_lo, exec_lo, s39
	s_cbranch_execnz .LBB422_23
; %bb.24:                               ;   in Loop: Header=BB422_4 Depth=1
	s_or_b32 exec_lo, exec_lo, s39
	s_delay_alu instid0(SALU_CYCLE_1)
	s_or_b32 exec_lo, exec_lo, s38
	s_and_saveexec_b32 s5, s4
	s_cbranch_execz .LBB422_15
.LBB422_25:                             ;   in Loop: Header=BB422_4 Depth=1
	s_mul_u64 s[38:39], s[8:9], s[24:25]
	s_wait_alu 0xfffe
	s_lshl_b64 s[38:39], s[38:39], 1
	s_wait_alu 0xfffe
	v_add_co_u32 v5, vcc_lo, v13, s38
	s_wait_alu 0xfffd
	v_add_co_ci_u32_e64 v6, null, s39, v14, vcc_lo
	s_delay_alu instid0(VALU_DEP_2) | instskip(SKIP_1) | instid1(VALU_DEP_2)
	v_add_co_u32 v5, vcc_lo, v5, s22
	s_wait_alu 0xfffd
	v_add_co_ci_u32_e64 v6, null, s23, v6, vcc_lo
	v_add_co_u32 v7, vcc_lo, s30, v3
	s_wait_alu 0xfffd
	v_add_co_ci_u32_e64 v8, null, s31, v4, vcc_lo
	global_load_u16 v5, v[5:6], off
	global_load_u16 v6, v[7:8], off
	s_wait_loadcnt 0x0
	v_mul_f16_e32 v5, v5, v6
	s_delay_alu instid0(VALU_DEP_1) | instskip(NEXT) | instid1(VALU_DEP_1)
	v_cvt_f32_f16_e32 v5, v5
	v_add_f32_e32 v17, v17, v5
	s_or_b32 exec_lo, exec_lo, s5
	s_and_saveexec_b32 s5, s1
	s_cbranch_execnz .LBB422_16
	s_branch .LBB422_17
.LBB422_26:                             ;   in Loop: Header=BB422_4 Depth=1
	ds_load_b32 v17, v10
	s_wait_alu 0xfffe
	s_or_b32 exec_lo, exec_lo, s5
	s_and_saveexec_b32 s5, s1
	s_cbranch_execz .LBB422_21
.LBB422_27:                             ;   in Loop: Header=BB422_4 Depth=1
	s_wait_dscnt 0x0
	ds_bpermute_b32 v18, v16, v17
	s_wait_dscnt 0x0
	v_add_f32_e32 v17, v17, v18
	ds_bpermute_b32 v5, v5, v17
	s_wait_dscnt 0x0
	v_add_f32_e32 v5, v17, v5
	;; [unrolled: 3-line block ×5, first 2 shown]
	s_wait_alu 0xfffe
	s_or_b32 exec_lo, exec_lo, s5
                                        ; implicit-def: $vgpr5
	s_and_saveexec_b32 s5, s0
	s_cbranch_execz .LBB422_31
.LBB422_28:                             ;   in Loop: Header=BB422_4 Depth=1
	s_wait_dscnt 0x0
	v_mul_f32_e32 v5, s33, v17
	s_and_not1_b32 vcc_lo, exec_lo, s36
	s_wait_alu 0xfffe
	s_cbranch_vccnz .LBB422_30
; %bb.29:                               ;   in Loop: Header=BB422_4 Depth=1
	s_add_nc_u64 s[30:31], s[28:29], s[20:21]
	global_load_u16 v6, v9, s[30:31]
	s_wait_loadcnt 0x0
	v_fma_mix_f32 v5, s18, v6, v5 op_sel_hi:[0,1,0]
.LBB422_30:                             ;   in Loop: Header=BB422_4 Depth=1
	s_delay_alu instid0(VALU_DEP_1)
	v_cvt_f16_f32_e32 v5, v5
	s_or_b32 s15, s15, exec_lo
.LBB422_31:                             ;   in Loop: Header=BB422_4 Depth=1
	s_wait_alu 0xfffe
	s_or_b32 exec_lo, exec_lo, s5
.LBB422_32:                             ;   in Loop: Header=BB422_4 Depth=1
	s_wait_alu 0xfffe
	s_and_saveexec_b32 s5, s15
	s_cbranch_execz .LBB422_2
; %bb.33:                               ;   in Loop: Header=BB422_4 Depth=1
	s_add_nc_u64 s[28:29], s[28:29], s[20:21]
	global_store_b16 v9, v5, s[28:29]
	s_branch .LBB422_2
.LBB422_34:
	s_endpgm
	.section	.rodata,"a",@progbits
	.p2align	6, 0x0
	.amdhsa_kernel _ZL32rocblas_gemvt_warp_reduce_kernelILb1ELi1024EiDF16_fDF16_EviiT3_lPKT2_lT1_lS3_lS4_lS0_lPT4_lS4_li
		.amdhsa_group_segment_fixed_size 128
		.amdhsa_private_segment_fixed_size 0
		.amdhsa_kernarg_size 140
		.amdhsa_user_sgpr_count 2
		.amdhsa_user_sgpr_dispatch_ptr 0
		.amdhsa_user_sgpr_queue_ptr 0
		.amdhsa_user_sgpr_kernarg_segment_ptr 1
		.amdhsa_user_sgpr_dispatch_id 0
		.amdhsa_user_sgpr_private_segment_size 0
		.amdhsa_wavefront_size32 1
		.amdhsa_uses_dynamic_stack 0
		.amdhsa_enable_private_segment 0
		.amdhsa_system_sgpr_workgroup_id_x 1
		.amdhsa_system_sgpr_workgroup_id_y 0
		.amdhsa_system_sgpr_workgroup_id_z 1
		.amdhsa_system_sgpr_workgroup_info 0
		.amdhsa_system_vgpr_workitem_id 0
		.amdhsa_next_free_vgpr 21
		.amdhsa_next_free_sgpr 42
		.amdhsa_reserve_vcc 1
		.amdhsa_float_round_mode_32 0
		.amdhsa_float_round_mode_16_64 0
		.amdhsa_float_denorm_mode_32 3
		.amdhsa_float_denorm_mode_16_64 3
		.amdhsa_fp16_overflow 0
		.amdhsa_workgroup_processor_mode 1
		.amdhsa_memory_ordered 1
		.amdhsa_forward_progress 1
		.amdhsa_inst_pref_size 13
		.amdhsa_round_robin_scheduling 0
		.amdhsa_exception_fp_ieee_invalid_op 0
		.amdhsa_exception_fp_denorm_src 0
		.amdhsa_exception_fp_ieee_div_zero 0
		.amdhsa_exception_fp_ieee_overflow 0
		.amdhsa_exception_fp_ieee_underflow 0
		.amdhsa_exception_fp_ieee_inexact 0
		.amdhsa_exception_int_div_zero 0
	.end_amdhsa_kernel
	.section	.text._ZL32rocblas_gemvt_warp_reduce_kernelILb1ELi1024EiDF16_fDF16_EviiT3_lPKT2_lT1_lS3_lS4_lS0_lPT4_lS4_li,"axG",@progbits,_ZL32rocblas_gemvt_warp_reduce_kernelILb1ELi1024EiDF16_fDF16_EviiT3_lPKT2_lT1_lS3_lS4_lS0_lPT4_lS4_li,comdat
.Lfunc_end422:
	.size	_ZL32rocblas_gemvt_warp_reduce_kernelILb1ELi1024EiDF16_fDF16_EviiT3_lPKT2_lT1_lS3_lS4_lS0_lPT4_lS4_li, .Lfunc_end422-_ZL32rocblas_gemvt_warp_reduce_kernelILb1ELi1024EiDF16_fDF16_EviiT3_lPKT2_lT1_lS3_lS4_lS0_lPT4_lS4_li
                                        ; -- End function
	.set _ZL32rocblas_gemvt_warp_reduce_kernelILb1ELi1024EiDF16_fDF16_EviiT3_lPKT2_lT1_lS3_lS4_lS0_lPT4_lS4_li.num_vgpr, 21
	.set _ZL32rocblas_gemvt_warp_reduce_kernelILb1ELi1024EiDF16_fDF16_EviiT3_lPKT2_lT1_lS3_lS4_lS0_lPT4_lS4_li.num_agpr, 0
	.set _ZL32rocblas_gemvt_warp_reduce_kernelILb1ELi1024EiDF16_fDF16_EviiT3_lPKT2_lT1_lS3_lS4_lS0_lPT4_lS4_li.numbered_sgpr, 42
	.set _ZL32rocblas_gemvt_warp_reduce_kernelILb1ELi1024EiDF16_fDF16_EviiT3_lPKT2_lT1_lS3_lS4_lS0_lPT4_lS4_li.num_named_barrier, 0
	.set _ZL32rocblas_gemvt_warp_reduce_kernelILb1ELi1024EiDF16_fDF16_EviiT3_lPKT2_lT1_lS3_lS4_lS0_lPT4_lS4_li.private_seg_size, 0
	.set _ZL32rocblas_gemvt_warp_reduce_kernelILb1ELi1024EiDF16_fDF16_EviiT3_lPKT2_lT1_lS3_lS4_lS0_lPT4_lS4_li.uses_vcc, 1
	.set _ZL32rocblas_gemvt_warp_reduce_kernelILb1ELi1024EiDF16_fDF16_EviiT3_lPKT2_lT1_lS3_lS4_lS0_lPT4_lS4_li.uses_flat_scratch, 0
	.set _ZL32rocblas_gemvt_warp_reduce_kernelILb1ELi1024EiDF16_fDF16_EviiT3_lPKT2_lT1_lS3_lS4_lS0_lPT4_lS4_li.has_dyn_sized_stack, 0
	.set _ZL32rocblas_gemvt_warp_reduce_kernelILb1ELi1024EiDF16_fDF16_EviiT3_lPKT2_lT1_lS3_lS4_lS0_lPT4_lS4_li.has_recursion, 0
	.set _ZL32rocblas_gemvt_warp_reduce_kernelILb1ELi1024EiDF16_fDF16_EviiT3_lPKT2_lT1_lS3_lS4_lS0_lPT4_lS4_li.has_indirect_call, 0
	.section	.AMDGPU.csdata,"",@progbits
; Kernel info:
; codeLenInByte = 1580
; TotalNumSgprs: 44
; NumVgprs: 21
; ScratchSize: 0
; MemoryBound: 0
; FloatMode: 240
; IeeeMode: 1
; LDSByteSize: 128 bytes/workgroup (compile time only)
; SGPRBlocks: 0
; VGPRBlocks: 2
; NumSGPRsForWavesPerEU: 44
; NumVGPRsForWavesPerEU: 21
; Occupancy: 16
; WaveLimiterHint : 0
; COMPUTE_PGM_RSRC2:SCRATCH_EN: 0
; COMPUTE_PGM_RSRC2:USER_SGPR: 2
; COMPUTE_PGM_RSRC2:TRAP_HANDLER: 0
; COMPUTE_PGM_RSRC2:TGID_X_EN: 1
; COMPUTE_PGM_RSRC2:TGID_Y_EN: 0
; COMPUTE_PGM_RSRC2:TGID_Z_EN: 1
; COMPUTE_PGM_RSRC2:TIDIG_COMP_CNT: 0
	.section	.text._ZL32rocblas_gemvt_warp_reduce_kernelILb1ELi1024ElDF16_fDF16_EviiT3_lPKT2_lT1_lS3_lS4_lS0_lPT4_lS4_li,"axG",@progbits,_ZL32rocblas_gemvt_warp_reduce_kernelILb1ELi1024ElDF16_fDF16_EviiT3_lPKT2_lT1_lS3_lS4_lS0_lPT4_lS4_li,comdat
	.globl	_ZL32rocblas_gemvt_warp_reduce_kernelILb1ELi1024ElDF16_fDF16_EviiT3_lPKT2_lT1_lS3_lS4_lS0_lPT4_lS4_li ; -- Begin function _ZL32rocblas_gemvt_warp_reduce_kernelILb1ELi1024ElDF16_fDF16_EviiT3_lPKT2_lT1_lS3_lS4_lS0_lPT4_lS4_li
	.p2align	8
	.type	_ZL32rocblas_gemvt_warp_reduce_kernelILb1ELi1024ElDF16_fDF16_EviiT3_lPKT2_lT1_lS3_lS4_lS0_lPT4_lS4_li,@function
_ZL32rocblas_gemvt_warp_reduce_kernelILb1ELi1024ElDF16_fDF16_EviiT3_lPKT2_lT1_lS3_lS4_lS0_lPT4_lS4_li: ; @_ZL32rocblas_gemvt_warp_reduce_kernelILb1ELi1024ElDF16_fDF16_EviiT3_lPKT2_lT1_lS3_lS4_lS0_lPT4_lS4_li
; %bb.0:
	s_load_b32 s33, s[0:1], 0x88
	s_lshr_b32 s6, ttmp7, 16
	s_wait_kmcnt 0x0
	s_cmp_ge_u32 s6, s33
	s_cbranch_scc1 .LBB423_34
; %bb.1:
	s_clause 0x4
	s_load_b512 s[8:23], s[0:1], 0x18
	s_load_b256 s[24:31], s[0:1], 0x68
	s_load_b32 s34, s[0:1], 0x8
	s_load_b32 s35, s[0:1], 0x58
	;; [unrolled: 1-line block ×3, first 2 shown]
	s_mov_b32 s2, ttmp9
	v_dual_mov_b32 v11, 0 :: v_dual_and_b32 v4, 31, v0
	v_lshrrev_b32_e32 v7, 3, v0
	v_mbcnt_lo_u32_b32 v16, -1, 0
	v_cmp_eq_u32_e64 s0, 0, v0
	v_cmp_gt_u32_e64 s1, 32, v0
	v_lshlrev_b32_e32 v12, 2, v4
	s_mov_b32 s7, 0
	v_lshl_or_b32 v17, v16, 2, 64
	s_wait_kmcnt 0x0
	s_lshl_b64 s[4:5], s[18:19], 1
	s_lshl_b64 s[18:19], s[26:27], 1
	s_lshl_b64 s[26:27], s[10:11], 1
	s_cmp_eq_f32 s34, 0
	v_cmp_gt_i32_e32 vcc_lo, s39, v0
	v_mad_co_u64_u32 v[1:2], null, s20, v0, 0
	s_cselect_b32 s36, -1, 0
	s_cmp_neq_f32 s34, 0
	v_cndmask_b32_e32 v3, 0, v0, vcc_lo
	s_add_nc_u64 s[10:11], s[16:17], s[4:5]
	s_add_nc_u64 s[16:17], s[24:25], s[18:19]
	s_cselect_b32 s3, -1, 0
	s_cmp_neq_f32 s35, 1.0
	v_lshlrev_b32_e32 v8, 1, v3
	s_add_nc_u64 s[4:5], s[8:9], s[26:27]
	v_mad_co_u64_u32 v[2:3], null, s21, v0, v[2:3]
	s_cselect_b32 s37, -1, 0
	v_add_co_u32 v3, s4, s4, v8
	s_or_b32 s37, s3, s37
	s_cmp_neq_f32 s35, 0
	s_wait_alu 0xf1ff
	v_add_co_ci_u32_e64 v9, null, s5, 0, s4
	s_cselect_b32 s38, -1, 0
	s_ashr_i32 s3, s39, 31
	s_delay_alu instid0(SALU_CYCLE_1) | instskip(NEXT) | instid1(SALU_CYCLE_1)
	s_lshr_b32 s3, s3, 22
	s_add_co_i32 s3, s39, s3
	s_delay_alu instid0(SALU_CYCLE_1)
	s_and_b32 s18, s3, 0xfffffc00
	s_ashr_i32 s3, ttmp9, 31
	v_or_b32_e32 v10, s18, v0
	s_mul_u64 s[4:5], s[12:13], s[2:3]
	s_ashr_i32 s19, s18, 31
	s_wait_alu 0xfffe
	s_lshl_b64 s[12:13], s[4:5], 1
	s_mul_i32 s4, s20, s19
	v_mul_lo_u32 v15, s21, v10
	v_mad_co_u64_u32 v[5:6], null, s20, v10, 0
	v_add_co_u32 v13, vcc_lo, v3, s12
	s_wait_alu 0xfffd
	v_add_co_ci_u32_e64 v14, null, s13, v9, vcc_lo
	s_add_nc_u64 s[12:13], s[12:13], s[26:27]
	s_mul_u64 s[24:25], s[28:29], s[2:3]
	s_wait_alu 0xfffe
	v_add3_u32 v6, v6, s4, v15
	v_cmp_eq_u32_e64 s4, 0, v4
	v_lshlrev_b64_e32 v[3:4], 1, v[1:2]
	s_add_nc_u64 s[8:9], s[8:9], s[12:13]
	v_cmp_gt_i32_e64 s2, s18, v0
	v_add_co_u32 v1, s5, s8, v8
	v_lshlrev_b64_e32 v[5:6], 1, v[5:6]
	s_delay_alu instid0(VALU_DEP_4)
	v_add_co_u32 v3, vcc_lo, s10, v3
	v_cmp_gt_i32_e64 s3, s39, v10
	v_and_b32_e32 v15, 0x7c, v7
	s_wait_alu 0xf1ff
	v_add_co_ci_u32_e64 v2, null, s9, 0, s5
	s_wait_alu 0xfffd
	v_add_co_ci_u32_e64 v4, null, s11, v4, vcc_lo
	s_lshl_b64 s[8:9], s[14:15], 1
	s_lshl_b64 s[12:13], s[22:23], 1
	;; [unrolled: 1-line block ×5, first 2 shown]
	s_branch .LBB423_4
.LBB423_2:                              ;   in Loop: Header=BB423_4 Depth=1
	s_wait_alu 0xfffe
	s_or_b32 exec_lo, exec_lo, s5
.LBB423_3:                              ;   in Loop: Header=BB423_4 Depth=1
	s_add_co_i32 s6, s6, 0x10000
	s_wait_alu 0xfffe
	s_cmp_lt_u32 s6, s33
	s_cbranch_scc0 .LBB423_34
.LBB423_4:                              ; =>This Loop Header: Depth=1
                                        ;     Child Loop BB423_23 Depth 2
	s_and_not1_b32 vcc_lo, exec_lo, s37
	s_wait_alu 0xfffe
	s_cbranch_vccnz .LBB423_3
; %bb.5:                                ;   in Loop: Header=BB423_4 Depth=1
	s_mul_u64 s[28:29], s[30:31], s[6:7]
	s_and_not1_b32 vcc_lo, exec_lo, s36
	s_lshl_b64 s[28:29], s[28:29], 1
	s_delay_alu instid0(SALU_CYCLE_1)
	s_add_nc_u64 s[28:29], s[16:17], s[28:29]
	s_wait_alu 0xfffe
	s_cbranch_vccnz .LBB423_9
; %bb.6:                                ;   in Loop: Header=BB423_4 Depth=1
	s_mov_b32 s5, 0
	s_mov_b32 s19, 0
                                        ; implicit-def: $vgpr7
	s_and_saveexec_b32 s39, s0
	s_cbranch_execz .LBB423_10
; %bb.7:                                ;   in Loop: Header=BB423_4 Depth=1
	s_and_not1_b32 vcc_lo, exec_lo, s38
	s_wait_alu 0xfffe
	s_cbranch_vccnz .LBB423_11
; %bb.8:                                ;   in Loop: Header=BB423_4 Depth=1
	s_add_nc_u64 s[40:41], s[28:29], s[24:25]
	global_load_u16 v7, v11, s[40:41]
	s_wait_loadcnt 0x0
	v_fma_mixlo_f16 v7, s35, v7, 0 op_sel_hi:[0,1,0]
	s_branch .LBB423_12
.LBB423_9:                              ;   in Loop: Header=BB423_4 Depth=1
	s_mov_b32 s19, 0
                                        ; implicit-def: $vgpr7
	s_cbranch_execnz .LBB423_13
	s_branch .LBB423_32
.LBB423_10:                             ;   in Loop: Header=BB423_4 Depth=1
	s_wait_alu 0xfffe
	s_or_b32 exec_lo, exec_lo, s39
	s_delay_alu instid0(SALU_CYCLE_1)
	s_and_b32 vcc_lo, exec_lo, s5
	s_wait_alu 0xfffe
	s_cbranch_vccnz .LBB423_13
	s_branch .LBB423_32
.LBB423_11:                             ;   in Loop: Header=BB423_4 Depth=1
	v_mov_b32_e32 v7, 0
.LBB423_12:                             ;   in Loop: Header=BB423_4 Depth=1
	s_mov_b32 s19, exec_lo
	s_or_b32 exec_lo, exec_lo, s39
	s_delay_alu instid0(SALU_CYCLE_1)
	s_and_b32 vcc_lo, exec_lo, s5
	s_wait_alu 0xfffe
	s_cbranch_vccz .LBB423_32
.LBB423_13:                             ;   in Loop: Header=BB423_4 Depth=1
	s_wait_dscnt 0x0
	v_mov_b32_e32 v18, 0
	s_and_saveexec_b32 s39, s2
	s_cbranch_execnz .LBB423_22
; %bb.14:                               ;   in Loop: Header=BB423_4 Depth=1
	s_wait_alu 0xfffe
	s_or_b32 exec_lo, exec_lo, s39
	s_and_saveexec_b32 s5, s3
	s_cbranch_execnz .LBB423_25
.LBB423_15:                             ;   in Loop: Header=BB423_4 Depth=1
	s_wait_alu 0xfffe
	s_or_b32 exec_lo, exec_lo, s5
	s_and_saveexec_b32 s5, s1
.LBB423_16:                             ;   in Loop: Header=BB423_4 Depth=1
	ds_store_b32 v12, v11
.LBB423_17:                             ;   in Loop: Header=BB423_4 Depth=1
	s_wait_alu 0xfffe
	s_or_b32 exec_lo, exec_lo, s5
	ds_bpermute_b32 v8, v17, v18
	v_cmp_gt_u32_e32 vcc_lo, 24, v16
	s_wait_dscnt 0x0
	s_barrier_signal -1
	s_barrier_wait -1
	global_inv scope:SCOPE_SE
	s_wait_alu 0xfffd
	v_cndmask_b32_e64 v7, 0, 8, vcc_lo
	v_cmp_gt_u32_e32 vcc_lo, 28, v16
	s_delay_alu instid0(VALU_DEP_2)
	v_add_lshl_u32 v7, v7, v16, 2
	v_add_f32_e32 v9, v18, v8
	s_wait_alu 0xfffd
	v_cndmask_b32_e64 v8, 0, 4, vcc_lo
	v_cmp_gt_u32_e32 vcc_lo, 30, v16
	ds_bpermute_b32 v10, v7, v9
	v_add_lshl_u32 v8, v8, v16, 2
	s_wait_dscnt 0x0
	v_add_f32_e32 v10, v9, v10
	s_wait_alu 0xfffd
	v_cndmask_b32_e64 v9, 0, 2, vcc_lo
	v_cmp_ne_u32_e32 vcc_lo, 31, v16
	ds_bpermute_b32 v18, v8, v10
	v_add_lshl_u32 v9, v9, v16, 2
	s_wait_alu 0xfffd
	v_add_co_ci_u32_e64 v19, null, 0, v16, vcc_lo
	s_wait_dscnt 0x0
	v_add_f32_e32 v10, v10, v18
	ds_bpermute_b32 v18, v9, v10
	s_wait_dscnt 0x0
	v_add_f32_e32 v18, v10, v18
	v_lshlrev_b32_e32 v10, 2, v19
	ds_bpermute_b32 v19, v10, v18
	s_and_saveexec_b32 s5, s4
	s_cbranch_execz .LBB423_19
; %bb.18:                               ;   in Loop: Header=BB423_4 Depth=1
	s_wait_dscnt 0x0
	v_add_f32_e32 v18, v18, v19
	ds_store_b32 v15, v18
.LBB423_19:                             ;   in Loop: Header=BB423_4 Depth=1
	s_wait_alu 0xfffe
	s_or_b32 exec_lo, exec_lo, s5
	v_mov_b32_e32 v18, 0
	s_wait_loadcnt_dscnt 0x0
	s_barrier_signal -1
	s_barrier_wait -1
	global_inv scope:SCOPE_SE
	s_and_saveexec_b32 s5, s1
	s_cbranch_execnz .LBB423_26
; %bb.20:                               ;   in Loop: Header=BB423_4 Depth=1
	s_wait_alu 0xfffe
	s_or_b32 exec_lo, exec_lo, s5
	s_and_saveexec_b32 s5, s1
	s_cbranch_execnz .LBB423_27
.LBB423_21:                             ;   in Loop: Header=BB423_4 Depth=1
	s_wait_alu 0xfffe
	s_or_b32 exec_lo, exec_lo, s5
                                        ; implicit-def: $vgpr7
	s_and_saveexec_b32 s5, s0
	s_cbranch_execnz .LBB423_28
	s_branch .LBB423_31
.LBB423_22:                             ;   in Loop: Header=BB423_4 Depth=1
	v_mad_co_u64_u32 v[7:8], null, s8, s6, v[1:2]
	v_mad_co_u64_u32 v[9:10], null, s12, s6, v[3:4]
	v_mov_b32_e32 v18, 0
	s_mov_b32 s40, 0
	s_delay_alu instid0(VALU_DEP_2) | instskip(NEXT) | instid1(VALU_DEP_3)
	v_mad_co_u64_u32 v[19:20], null, s9, s6, v[8:9]
	v_mad_co_u64_u32 v[20:21], null, s13, s6, v[10:11]
	s_delay_alu instid0(VALU_DEP_2) | instskip(NEXT) | instid1(VALU_DEP_2)
	v_dual_mov_b32 v8, v19 :: v_dual_mov_b32 v19, v0
	v_mov_b32_e32 v10, v20
.LBB423_23:                             ;   Parent Loop BB423_4 Depth=1
                                        ; =>  This Inner Loop Header: Depth=2
	global_load_u16 v20, v[7:8], off
	global_load_u16 v21, v[9:10], off
	v_add_co_u32 v7, vcc_lo, 0x800, v7
	s_wait_alu 0xfffd
	v_add_co_ci_u32_e64 v8, null, 0, v8, vcc_lo
	v_add_co_u32 v9, vcc_lo, v9, s20
	s_wait_alu 0xfffd
	v_add_co_ci_u32_e64 v10, null, s21, v10, vcc_lo
	s_wait_loadcnt 0x0
	v_mul_f16_e32 v20, v20, v21
	s_delay_alu instid0(VALU_DEP_1) | instskip(NEXT) | instid1(VALU_DEP_1)
	v_cvt_f32_f16_e32 v20, v20
	v_dual_add_f32 v18, v18, v20 :: v_dual_add_nc_u32 v19, 0x400, v19
	s_delay_alu instid0(VALU_DEP_1)
	v_cmp_le_i32_e64 s5, s18, v19
	s_wait_alu 0xfffe
	s_or_b32 s40, s5, s40
	s_wait_alu 0xfffe
	s_and_not1_b32 exec_lo, exec_lo, s40
	s_cbranch_execnz .LBB423_23
; %bb.24:                               ;   in Loop: Header=BB423_4 Depth=1
	s_or_b32 exec_lo, exec_lo, s40
	s_delay_alu instid0(SALU_CYCLE_1)
	s_or_b32 exec_lo, exec_lo, s39
	s_and_saveexec_b32 s5, s3
	s_cbranch_execz .LBB423_15
.LBB423_25:                             ;   in Loop: Header=BB423_4 Depth=1
	s_mul_u64 s[40:41], s[14:15], s[6:7]
	s_mul_u64 s[42:43], s[22:23], s[6:7]
	s_wait_alu 0xfffe
	s_lshl_b64 s[40:41], s[40:41], 1
	s_lshl_b64 s[42:43], s[42:43], 1
	s_wait_alu 0xfffe
	v_add_co_u32 v7, vcc_lo, v13, s40
	s_wait_alu 0xfffd
	v_add_co_ci_u32_e64 v8, null, s41, v14, vcc_lo
	s_add_nc_u64 s[40:41], s[10:11], s[42:43]
	v_add_co_u32 v7, vcc_lo, v7, s26
	s_wait_alu 0xfffd
	v_add_co_ci_u32_e64 v8, null, s27, v8, vcc_lo
	s_wait_alu 0xfffe
	v_add_co_u32 v9, vcc_lo, s40, v5
	s_wait_alu 0xfffd
	v_add_co_ci_u32_e64 v10, null, s41, v6, vcc_lo
	global_load_u16 v7, v[7:8], off
	global_load_u16 v8, v[9:10], off
	s_wait_loadcnt 0x0
	v_mul_f16_e32 v7, v7, v8
	s_delay_alu instid0(VALU_DEP_1) | instskip(NEXT) | instid1(VALU_DEP_1)
	v_cvt_f32_f16_e32 v7, v7
	v_add_f32_e32 v18, v18, v7
	s_or_b32 exec_lo, exec_lo, s5
	s_and_saveexec_b32 s5, s1
	s_cbranch_execnz .LBB423_16
	s_branch .LBB423_17
.LBB423_26:                             ;   in Loop: Header=BB423_4 Depth=1
	ds_load_b32 v18, v12
	s_wait_alu 0xfffe
	s_or_b32 exec_lo, exec_lo, s5
	s_and_saveexec_b32 s5, s1
	s_cbranch_execz .LBB423_21
.LBB423_27:                             ;   in Loop: Header=BB423_4 Depth=1
	s_wait_dscnt 0x0
	ds_bpermute_b32 v19, v17, v18
	s_wait_dscnt 0x0
	v_add_f32_e32 v18, v18, v19
	ds_bpermute_b32 v7, v7, v18
	s_wait_dscnt 0x0
	v_add_f32_e32 v7, v18, v7
	;; [unrolled: 3-line block ×5, first 2 shown]
	s_wait_alu 0xfffe
	s_or_b32 exec_lo, exec_lo, s5
                                        ; implicit-def: $vgpr7
	s_and_saveexec_b32 s5, s0
	s_cbranch_execz .LBB423_31
.LBB423_28:                             ;   in Loop: Header=BB423_4 Depth=1
	s_wait_dscnt 0x0
	v_mul_f32_e32 v7, s34, v18
	s_and_not1_b32 vcc_lo, exec_lo, s38
	s_wait_alu 0xfffe
	s_cbranch_vccnz .LBB423_30
; %bb.29:                               ;   in Loop: Header=BB423_4 Depth=1
	s_add_nc_u64 s[40:41], s[28:29], s[24:25]
	global_load_u16 v8, v11, s[40:41]
	s_wait_loadcnt 0x0
	v_fma_mix_f32 v7, s35, v8, v7 op_sel_hi:[0,1,0]
.LBB423_30:                             ;   in Loop: Header=BB423_4 Depth=1
	s_delay_alu instid0(VALU_DEP_1)
	v_cvt_f16_f32_e32 v7, v7
	s_or_b32 s19, s19, exec_lo
.LBB423_31:                             ;   in Loop: Header=BB423_4 Depth=1
	s_wait_alu 0xfffe
	s_or_b32 exec_lo, exec_lo, s5
.LBB423_32:                             ;   in Loop: Header=BB423_4 Depth=1
	s_wait_alu 0xfffe
	s_and_saveexec_b32 s5, s19
	s_cbranch_execz .LBB423_2
; %bb.33:                               ;   in Loop: Header=BB423_4 Depth=1
	s_add_nc_u64 s[28:29], s[28:29], s[24:25]
	global_store_b16 v11, v7, s[28:29]
	s_branch .LBB423_2
.LBB423_34:
	s_endpgm
	.section	.rodata,"a",@progbits
	.p2align	6, 0x0
	.amdhsa_kernel _ZL32rocblas_gemvt_warp_reduce_kernelILb1ELi1024ElDF16_fDF16_EviiT3_lPKT2_lT1_lS3_lS4_lS0_lPT4_lS4_li
		.amdhsa_group_segment_fixed_size 128
		.amdhsa_private_segment_fixed_size 0
		.amdhsa_kernarg_size 140
		.amdhsa_user_sgpr_count 2
		.amdhsa_user_sgpr_dispatch_ptr 0
		.amdhsa_user_sgpr_queue_ptr 0
		.amdhsa_user_sgpr_kernarg_segment_ptr 1
		.amdhsa_user_sgpr_dispatch_id 0
		.amdhsa_user_sgpr_private_segment_size 0
		.amdhsa_wavefront_size32 1
		.amdhsa_uses_dynamic_stack 0
		.amdhsa_enable_private_segment 0
		.amdhsa_system_sgpr_workgroup_id_x 1
		.amdhsa_system_sgpr_workgroup_id_y 0
		.amdhsa_system_sgpr_workgroup_id_z 1
		.amdhsa_system_sgpr_workgroup_info 0
		.amdhsa_system_vgpr_workitem_id 0
		.amdhsa_next_free_vgpr 22
		.amdhsa_next_free_sgpr 44
		.amdhsa_reserve_vcc 1
		.amdhsa_float_round_mode_32 0
		.amdhsa_float_round_mode_16_64 0
		.amdhsa_float_denorm_mode_32 3
		.amdhsa_float_denorm_mode_16_64 3
		.amdhsa_fp16_overflow 0
		.amdhsa_workgroup_processor_mode 1
		.amdhsa_memory_ordered 1
		.amdhsa_forward_progress 1
		.amdhsa_inst_pref_size 13
		.amdhsa_round_robin_scheduling 0
		.amdhsa_exception_fp_ieee_invalid_op 0
		.amdhsa_exception_fp_denorm_src 0
		.amdhsa_exception_fp_ieee_div_zero 0
		.amdhsa_exception_fp_ieee_overflow 0
		.amdhsa_exception_fp_ieee_underflow 0
		.amdhsa_exception_fp_ieee_inexact 0
		.amdhsa_exception_int_div_zero 0
	.end_amdhsa_kernel
	.section	.text._ZL32rocblas_gemvt_warp_reduce_kernelILb1ELi1024ElDF16_fDF16_EviiT3_lPKT2_lT1_lS3_lS4_lS0_lPT4_lS4_li,"axG",@progbits,_ZL32rocblas_gemvt_warp_reduce_kernelILb1ELi1024ElDF16_fDF16_EviiT3_lPKT2_lT1_lS3_lS4_lS0_lPT4_lS4_li,comdat
.Lfunc_end423:
	.size	_ZL32rocblas_gemvt_warp_reduce_kernelILb1ELi1024ElDF16_fDF16_EviiT3_lPKT2_lT1_lS3_lS4_lS0_lPT4_lS4_li, .Lfunc_end423-_ZL32rocblas_gemvt_warp_reduce_kernelILb1ELi1024ElDF16_fDF16_EviiT3_lPKT2_lT1_lS3_lS4_lS0_lPT4_lS4_li
                                        ; -- End function
	.set _ZL32rocblas_gemvt_warp_reduce_kernelILb1ELi1024ElDF16_fDF16_EviiT3_lPKT2_lT1_lS3_lS4_lS0_lPT4_lS4_li.num_vgpr, 22
	.set _ZL32rocblas_gemvt_warp_reduce_kernelILb1ELi1024ElDF16_fDF16_EviiT3_lPKT2_lT1_lS3_lS4_lS0_lPT4_lS4_li.num_agpr, 0
	.set _ZL32rocblas_gemvt_warp_reduce_kernelILb1ELi1024ElDF16_fDF16_EviiT3_lPKT2_lT1_lS3_lS4_lS0_lPT4_lS4_li.numbered_sgpr, 44
	.set _ZL32rocblas_gemvt_warp_reduce_kernelILb1ELi1024ElDF16_fDF16_EviiT3_lPKT2_lT1_lS3_lS4_lS0_lPT4_lS4_li.num_named_barrier, 0
	.set _ZL32rocblas_gemvt_warp_reduce_kernelILb1ELi1024ElDF16_fDF16_EviiT3_lPKT2_lT1_lS3_lS4_lS0_lPT4_lS4_li.private_seg_size, 0
	.set _ZL32rocblas_gemvt_warp_reduce_kernelILb1ELi1024ElDF16_fDF16_EviiT3_lPKT2_lT1_lS3_lS4_lS0_lPT4_lS4_li.uses_vcc, 1
	.set _ZL32rocblas_gemvt_warp_reduce_kernelILb1ELi1024ElDF16_fDF16_EviiT3_lPKT2_lT1_lS3_lS4_lS0_lPT4_lS4_li.uses_flat_scratch, 0
	.set _ZL32rocblas_gemvt_warp_reduce_kernelILb1ELi1024ElDF16_fDF16_EviiT3_lPKT2_lT1_lS3_lS4_lS0_lPT4_lS4_li.has_dyn_sized_stack, 0
	.set _ZL32rocblas_gemvt_warp_reduce_kernelILb1ELi1024ElDF16_fDF16_EviiT3_lPKT2_lT1_lS3_lS4_lS0_lPT4_lS4_li.has_recursion, 0
	.set _ZL32rocblas_gemvt_warp_reduce_kernelILb1ELi1024ElDF16_fDF16_EviiT3_lPKT2_lT1_lS3_lS4_lS0_lPT4_lS4_li.has_indirect_call, 0
	.section	.AMDGPU.csdata,"",@progbits
; Kernel info:
; codeLenInByte = 1596
; TotalNumSgprs: 46
; NumVgprs: 22
; ScratchSize: 0
; MemoryBound: 0
; FloatMode: 240
; IeeeMode: 1
; LDSByteSize: 128 bytes/workgroup (compile time only)
; SGPRBlocks: 0
; VGPRBlocks: 2
; NumSGPRsForWavesPerEU: 46
; NumVGPRsForWavesPerEU: 22
; Occupancy: 16
; WaveLimiterHint : 0
; COMPUTE_PGM_RSRC2:SCRATCH_EN: 0
; COMPUTE_PGM_RSRC2:USER_SGPR: 2
; COMPUTE_PGM_RSRC2:TRAP_HANDLER: 0
; COMPUTE_PGM_RSRC2:TGID_X_EN: 1
; COMPUTE_PGM_RSRC2:TGID_Y_EN: 0
; COMPUTE_PGM_RSRC2:TGID_Z_EN: 1
; COMPUTE_PGM_RSRC2:TIDIG_COMP_CNT: 0
	.section	.text._ZL34rocblas_gemvn_sm_mn_batched_kernelILi32ELi24EPKDF16_PKfKPDF16_EviiT2_lPKT1_lilS9_lilS6_lPT3_lili,"axG",@progbits,_ZL34rocblas_gemvn_sm_mn_batched_kernelILi32ELi24EPKDF16_PKfKPDF16_EviiT2_lPKT1_lilS9_lilS6_lPT3_lili,comdat
	.globl	_ZL34rocblas_gemvn_sm_mn_batched_kernelILi32ELi24EPKDF16_PKfKPDF16_EviiT2_lPKT1_lilS9_lilS6_lPT3_lili ; -- Begin function _ZL34rocblas_gemvn_sm_mn_batched_kernelILi32ELi24EPKDF16_PKfKPDF16_EviiT2_lPKT1_lilS9_lilS6_lPT3_lili
	.p2align	8
	.type	_ZL34rocblas_gemvn_sm_mn_batched_kernelILi32ELi24EPKDF16_PKfKPDF16_EviiT2_lPKT1_lilS9_lilS6_lPT3_lili,@function
_ZL34rocblas_gemvn_sm_mn_batched_kernelILi32ELi24EPKDF16_PKfKPDF16_EviiT2_lPKT1_lilS9_lilS6_lPT3_lili: ; @_ZL34rocblas_gemvn_sm_mn_batched_kernelILi32ELi24EPKDF16_PKfKPDF16_EviiT2_lPKT1_lilS9_lilS6_lPT3_lili
; %bb.0:
	s_endpgm
	.section	.rodata,"a",@progbits
	.p2align	6, 0x0
	.amdhsa_kernel _ZL34rocblas_gemvn_sm_mn_batched_kernelILi32ELi24EPKDF16_PKfKPDF16_EviiT2_lPKT1_lilS9_lilS6_lPT3_lili
		.amdhsa_group_segment_fixed_size 0
		.amdhsa_private_segment_fixed_size 0
		.amdhsa_kernarg_size 140
		.amdhsa_user_sgpr_count 2
		.amdhsa_user_sgpr_dispatch_ptr 0
		.amdhsa_user_sgpr_queue_ptr 0
		.amdhsa_user_sgpr_kernarg_segment_ptr 1
		.amdhsa_user_sgpr_dispatch_id 0
		.amdhsa_user_sgpr_private_segment_size 0
		.amdhsa_wavefront_size32 1
		.amdhsa_uses_dynamic_stack 0
		.amdhsa_enable_private_segment 0
		.amdhsa_system_sgpr_workgroup_id_x 1
		.amdhsa_system_sgpr_workgroup_id_y 0
		.amdhsa_system_sgpr_workgroup_id_z 0
		.amdhsa_system_sgpr_workgroup_info 0
		.amdhsa_system_vgpr_workitem_id 0
		.amdhsa_next_free_vgpr 1
		.amdhsa_next_free_sgpr 1
		.amdhsa_reserve_vcc 0
		.amdhsa_float_round_mode_32 0
		.amdhsa_float_round_mode_16_64 0
		.amdhsa_float_denorm_mode_32 3
		.amdhsa_float_denorm_mode_16_64 3
		.amdhsa_fp16_overflow 0
		.amdhsa_workgroup_processor_mode 1
		.amdhsa_memory_ordered 1
		.amdhsa_forward_progress 1
		.amdhsa_inst_pref_size 1
		.amdhsa_round_robin_scheduling 0
		.amdhsa_exception_fp_ieee_invalid_op 0
		.amdhsa_exception_fp_denorm_src 0
		.amdhsa_exception_fp_ieee_div_zero 0
		.amdhsa_exception_fp_ieee_overflow 0
		.amdhsa_exception_fp_ieee_underflow 0
		.amdhsa_exception_fp_ieee_inexact 0
		.amdhsa_exception_int_div_zero 0
	.end_amdhsa_kernel
	.section	.text._ZL34rocblas_gemvn_sm_mn_batched_kernelILi32ELi24EPKDF16_PKfKPDF16_EviiT2_lPKT1_lilS9_lilS6_lPT3_lili,"axG",@progbits,_ZL34rocblas_gemvn_sm_mn_batched_kernelILi32ELi24EPKDF16_PKfKPDF16_EviiT2_lPKT1_lilS9_lilS6_lPT3_lili,comdat
.Lfunc_end424:
	.size	_ZL34rocblas_gemvn_sm_mn_batched_kernelILi32ELi24EPKDF16_PKfKPDF16_EviiT2_lPKT1_lilS9_lilS6_lPT3_lili, .Lfunc_end424-_ZL34rocblas_gemvn_sm_mn_batched_kernelILi32ELi24EPKDF16_PKfKPDF16_EviiT2_lPKT1_lilS9_lilS6_lPT3_lili
                                        ; -- End function
	.set _ZL34rocblas_gemvn_sm_mn_batched_kernelILi32ELi24EPKDF16_PKfKPDF16_EviiT2_lPKT1_lilS9_lilS6_lPT3_lili.num_vgpr, 0
	.set _ZL34rocblas_gemvn_sm_mn_batched_kernelILi32ELi24EPKDF16_PKfKPDF16_EviiT2_lPKT1_lilS9_lilS6_lPT3_lili.num_agpr, 0
	.set _ZL34rocblas_gemvn_sm_mn_batched_kernelILi32ELi24EPKDF16_PKfKPDF16_EviiT2_lPKT1_lilS9_lilS6_lPT3_lili.numbered_sgpr, 0
	.set _ZL34rocblas_gemvn_sm_mn_batched_kernelILi32ELi24EPKDF16_PKfKPDF16_EviiT2_lPKT1_lilS9_lilS6_lPT3_lili.num_named_barrier, 0
	.set _ZL34rocblas_gemvn_sm_mn_batched_kernelILi32ELi24EPKDF16_PKfKPDF16_EviiT2_lPKT1_lilS9_lilS6_lPT3_lili.private_seg_size, 0
	.set _ZL34rocblas_gemvn_sm_mn_batched_kernelILi32ELi24EPKDF16_PKfKPDF16_EviiT2_lPKT1_lilS9_lilS6_lPT3_lili.uses_vcc, 0
	.set _ZL34rocblas_gemvn_sm_mn_batched_kernelILi32ELi24EPKDF16_PKfKPDF16_EviiT2_lPKT1_lilS9_lilS6_lPT3_lili.uses_flat_scratch, 0
	.set _ZL34rocblas_gemvn_sm_mn_batched_kernelILi32ELi24EPKDF16_PKfKPDF16_EviiT2_lPKT1_lilS9_lilS6_lPT3_lili.has_dyn_sized_stack, 0
	.set _ZL34rocblas_gemvn_sm_mn_batched_kernelILi32ELi24EPKDF16_PKfKPDF16_EviiT2_lPKT1_lilS9_lilS6_lPT3_lili.has_recursion, 0
	.set _ZL34rocblas_gemvn_sm_mn_batched_kernelILi32ELi24EPKDF16_PKfKPDF16_EviiT2_lPKT1_lilS9_lilS6_lPT3_lili.has_indirect_call, 0
	.section	.AMDGPU.csdata,"",@progbits
; Kernel info:
; codeLenInByte = 4
; TotalNumSgprs: 0
; NumVgprs: 0
; ScratchSize: 0
; MemoryBound: 0
; FloatMode: 240
; IeeeMode: 1
; LDSByteSize: 0 bytes/workgroup (compile time only)
; SGPRBlocks: 0
; VGPRBlocks: 0
; NumSGPRsForWavesPerEU: 1
; NumVGPRsForWavesPerEU: 1
; Occupancy: 16
; WaveLimiterHint : 0
; COMPUTE_PGM_RSRC2:SCRATCH_EN: 0
; COMPUTE_PGM_RSRC2:USER_SGPR: 2
; COMPUTE_PGM_RSRC2:TRAP_HANDLER: 0
; COMPUTE_PGM_RSRC2:TGID_X_EN: 1
; COMPUTE_PGM_RSRC2:TGID_Y_EN: 0
; COMPUTE_PGM_RSRC2:TGID_Z_EN: 0
; COMPUTE_PGM_RSRC2:TIDIG_COMP_CNT: 0
	.section	.text._ZL34rocblas_gemvn_sm_mn_batched_kernelILi32ELi24EPKDF16_fKPDF16_EviiT2_lPKT1_lilS7_lilS4_lPT3_lili,"axG",@progbits,_ZL34rocblas_gemvn_sm_mn_batched_kernelILi32ELi24EPKDF16_fKPDF16_EviiT2_lPKT1_lilS7_lilS4_lPT3_lili,comdat
	.globl	_ZL34rocblas_gemvn_sm_mn_batched_kernelILi32ELi24EPKDF16_fKPDF16_EviiT2_lPKT1_lilS7_lilS4_lPT3_lili ; -- Begin function _ZL34rocblas_gemvn_sm_mn_batched_kernelILi32ELi24EPKDF16_fKPDF16_EviiT2_lPKT1_lilS7_lilS4_lPT3_lili
	.p2align	8
	.type	_ZL34rocblas_gemvn_sm_mn_batched_kernelILi32ELi24EPKDF16_fKPDF16_EviiT2_lPKT1_lilS7_lilS4_lPT3_lili,@function
_ZL34rocblas_gemvn_sm_mn_batched_kernelILi32ELi24EPKDF16_fKPDF16_EviiT2_lPKT1_lilS7_lilS4_lPT3_lili: ; @_ZL34rocblas_gemvn_sm_mn_batched_kernelILi32ELi24EPKDF16_fKPDF16_EviiT2_lPKT1_lilS7_lilS4_lPT3_lili
; %bb.0:
	s_endpgm
	.section	.rodata,"a",@progbits
	.p2align	6, 0x0
	.amdhsa_kernel _ZL34rocblas_gemvn_sm_mn_batched_kernelILi32ELi24EPKDF16_fKPDF16_EviiT2_lPKT1_lilS7_lilS4_lPT3_lili
		.amdhsa_group_segment_fixed_size 0
		.amdhsa_private_segment_fixed_size 0
		.amdhsa_kernarg_size 140
		.amdhsa_user_sgpr_count 2
		.amdhsa_user_sgpr_dispatch_ptr 0
		.amdhsa_user_sgpr_queue_ptr 0
		.amdhsa_user_sgpr_kernarg_segment_ptr 1
		.amdhsa_user_sgpr_dispatch_id 0
		.amdhsa_user_sgpr_private_segment_size 0
		.amdhsa_wavefront_size32 1
		.amdhsa_uses_dynamic_stack 0
		.amdhsa_enable_private_segment 0
		.amdhsa_system_sgpr_workgroup_id_x 1
		.amdhsa_system_sgpr_workgroup_id_y 0
		.amdhsa_system_sgpr_workgroup_id_z 0
		.amdhsa_system_sgpr_workgroup_info 0
		.amdhsa_system_vgpr_workitem_id 0
		.amdhsa_next_free_vgpr 1
		.amdhsa_next_free_sgpr 1
		.amdhsa_reserve_vcc 0
		.amdhsa_float_round_mode_32 0
		.amdhsa_float_round_mode_16_64 0
		.amdhsa_float_denorm_mode_32 3
		.amdhsa_float_denorm_mode_16_64 3
		.amdhsa_fp16_overflow 0
		.amdhsa_workgroup_processor_mode 1
		.amdhsa_memory_ordered 1
		.amdhsa_forward_progress 1
		.amdhsa_inst_pref_size 1
		.amdhsa_round_robin_scheduling 0
		.amdhsa_exception_fp_ieee_invalid_op 0
		.amdhsa_exception_fp_denorm_src 0
		.amdhsa_exception_fp_ieee_div_zero 0
		.amdhsa_exception_fp_ieee_overflow 0
		.amdhsa_exception_fp_ieee_underflow 0
		.amdhsa_exception_fp_ieee_inexact 0
		.amdhsa_exception_int_div_zero 0
	.end_amdhsa_kernel
	.section	.text._ZL34rocblas_gemvn_sm_mn_batched_kernelILi32ELi24EPKDF16_fKPDF16_EviiT2_lPKT1_lilS7_lilS4_lPT3_lili,"axG",@progbits,_ZL34rocblas_gemvn_sm_mn_batched_kernelILi32ELi24EPKDF16_fKPDF16_EviiT2_lPKT1_lilS7_lilS4_lPT3_lili,comdat
.Lfunc_end425:
	.size	_ZL34rocblas_gemvn_sm_mn_batched_kernelILi32ELi24EPKDF16_fKPDF16_EviiT2_lPKT1_lilS7_lilS4_lPT3_lili, .Lfunc_end425-_ZL34rocblas_gemvn_sm_mn_batched_kernelILi32ELi24EPKDF16_fKPDF16_EviiT2_lPKT1_lilS7_lilS4_lPT3_lili
                                        ; -- End function
	.set _ZL34rocblas_gemvn_sm_mn_batched_kernelILi32ELi24EPKDF16_fKPDF16_EviiT2_lPKT1_lilS7_lilS4_lPT3_lili.num_vgpr, 0
	.set _ZL34rocblas_gemvn_sm_mn_batched_kernelILi32ELi24EPKDF16_fKPDF16_EviiT2_lPKT1_lilS7_lilS4_lPT3_lili.num_agpr, 0
	.set _ZL34rocblas_gemvn_sm_mn_batched_kernelILi32ELi24EPKDF16_fKPDF16_EviiT2_lPKT1_lilS7_lilS4_lPT3_lili.numbered_sgpr, 0
	.set _ZL34rocblas_gemvn_sm_mn_batched_kernelILi32ELi24EPKDF16_fKPDF16_EviiT2_lPKT1_lilS7_lilS4_lPT3_lili.num_named_barrier, 0
	.set _ZL34rocblas_gemvn_sm_mn_batched_kernelILi32ELi24EPKDF16_fKPDF16_EviiT2_lPKT1_lilS7_lilS4_lPT3_lili.private_seg_size, 0
	.set _ZL34rocblas_gemvn_sm_mn_batched_kernelILi32ELi24EPKDF16_fKPDF16_EviiT2_lPKT1_lilS7_lilS4_lPT3_lili.uses_vcc, 0
	.set _ZL34rocblas_gemvn_sm_mn_batched_kernelILi32ELi24EPKDF16_fKPDF16_EviiT2_lPKT1_lilS7_lilS4_lPT3_lili.uses_flat_scratch, 0
	.set _ZL34rocblas_gemvn_sm_mn_batched_kernelILi32ELi24EPKDF16_fKPDF16_EviiT2_lPKT1_lilS7_lilS4_lPT3_lili.has_dyn_sized_stack, 0
	.set _ZL34rocblas_gemvn_sm_mn_batched_kernelILi32ELi24EPKDF16_fKPDF16_EviiT2_lPKT1_lilS7_lilS4_lPT3_lili.has_recursion, 0
	.set _ZL34rocblas_gemvn_sm_mn_batched_kernelILi32ELi24EPKDF16_fKPDF16_EviiT2_lPKT1_lilS7_lilS4_lPT3_lili.has_indirect_call, 0
	.section	.AMDGPU.csdata,"",@progbits
; Kernel info:
; codeLenInByte = 4
; TotalNumSgprs: 0
; NumVgprs: 0
; ScratchSize: 0
; MemoryBound: 0
; FloatMode: 240
; IeeeMode: 1
; LDSByteSize: 0 bytes/workgroup (compile time only)
; SGPRBlocks: 0
; VGPRBlocks: 0
; NumSGPRsForWavesPerEU: 1
; NumVGPRsForWavesPerEU: 1
; Occupancy: 16
; WaveLimiterHint : 0
; COMPUTE_PGM_RSRC2:SCRATCH_EN: 0
; COMPUTE_PGM_RSRC2:USER_SGPR: 2
; COMPUTE_PGM_RSRC2:TRAP_HANDLER: 0
; COMPUTE_PGM_RSRC2:TGID_X_EN: 1
; COMPUTE_PGM_RSRC2:TGID_Y_EN: 0
; COMPUTE_PGM_RSRC2:TGID_Z_EN: 0
; COMPUTE_PGM_RSRC2:TIDIG_COMP_CNT: 0
	.section	.text._ZL20rocblas_gemvn_kernelILi64ELi4EiPKDF16_PKfKPDF16_EviiT3_lPKT2_lT1_lS9_lSA_lS6_lPT4_lSA_li,"axG",@progbits,_ZL20rocblas_gemvn_kernelILi64ELi4EiPKDF16_PKfKPDF16_EviiT3_lPKT2_lT1_lS9_lSA_lS6_lPT4_lSA_li,comdat
	.globl	_ZL20rocblas_gemvn_kernelILi64ELi4EiPKDF16_PKfKPDF16_EviiT3_lPKT2_lT1_lS9_lSA_lS6_lPT4_lSA_li ; -- Begin function _ZL20rocblas_gemvn_kernelILi64ELi4EiPKDF16_PKfKPDF16_EviiT3_lPKT2_lT1_lS9_lSA_lS6_lPT4_lSA_li
	.p2align	8
	.type	_ZL20rocblas_gemvn_kernelILi64ELi4EiPKDF16_PKfKPDF16_EviiT3_lPKT2_lT1_lS9_lSA_lS6_lPT4_lSA_li,@function
_ZL20rocblas_gemvn_kernelILi64ELi4EiPKDF16_PKfKPDF16_EviiT3_lPKT2_lT1_lS9_lSA_lS6_lPT4_lSA_li: ; @_ZL20rocblas_gemvn_kernelILi64ELi4EiPKDF16_PKfKPDF16_EviiT3_lPKT2_lT1_lS9_lSA_lS6_lPT4_lSA_li
; %bb.0:
	s_clause 0x1
	s_load_b64 s[2:3], s[0:1], 0x9c
	s_load_b32 s33, s[0:1], 0x88
	s_lshr_b32 s10, ttmp7, 16
	s_wait_kmcnt 0x0
	s_lshr_b32 s4, s2, 16
	s_and_b32 s2, s2, 0xffff
	s_and_b32 s3, s3, 0xffff
	s_mul_i32 s2, s4, s2
	s_delay_alu instid0(SALU_CYCLE_1) | instskip(NEXT) | instid1(SALU_CYCLE_1)
	s_mul_i32 s2, s2, s3
	s_cmp_lg_u32 s2, 0x100
	s_cselect_b32 s2, -1, 0
	s_cmp_ge_u32 s10, s33
	s_cselect_b32 s3, -1, 0
	s_delay_alu instid0(SALU_CYCLE_1) | instskip(NEXT) | instid1(SALU_CYCLE_1)
	s_or_b32 s2, s2, s3
	s_and_b32 vcc_lo, exec_lo, s2
	s_cbranch_vccnz .LBB426_56
; %bb.1:
	s_clause 0x2
	s_load_b32 s6, s[0:1], 0x78
	s_load_b64 s[8:9], s[0:1], 0x0
	s_load_b256 s[12:19], s[0:1], 0x8
	v_and_b32_e32 v9, 0x3ff, v0
	v_bfe_u32 v8, v0, 10, 10
	s_clause 0x3
	s_load_b32 s35, s[0:1], 0x28
	s_load_b128 s[28:31], s[0:1], 0x38
	s_load_b32 s34, s[0:1], 0x48
	s_load_b256 s[20:27], s[0:1], 0x58
	s_lshl_b32 s36, ttmp9, 8
	v_mov_b32_e32 v1, 0
	v_or_b32_e32 v23, s36, v9
	v_lshl_add_u32 v5, v8, 6, v9
	v_lshlrev_b32_e32 v24, 2, v8
	v_lshlrev_b32_e32 v6, 2, v9
	s_mov_b32 s11, 0
	v_add_nc_u32_e32 v7, 0x80, v23
	v_add_nc_u32_e32 v0, s36, v5
	v_add_nc_u32_e32 v4, 64, v23
	v_or_b32_e32 v11, s36, v5
	v_add_nc_u32_e32 v10, 0xc0, v23
	v_or_b32_e32 v12, 3, v24
	v_lshl_add_u32 v25, v8, 8, v6
	s_wait_kmcnt 0x0
	v_mad_co_u64_u32 v[2:3], null, s6, v0, 0
	s_ashr_i32 s3, s6, 31
	v_cmp_gt_i32_e64 s2, s8, v7
	v_mul_lo_u32 v7, s35, v24
	s_ashr_i32 s7, s9, 31
	v_cmp_gt_i32_e64 s1, s8, v4
	s_wait_alu 0xfffe
	s_lshr_b32 s7, s7, 28
	v_mad_co_u64_u32 v[3:4], null, s3, v0, v[3:4]
	v_mul_lo_u32 v4, s6, v11
	v_cmp_gt_i32_e64 s6, s8, v11
	v_mul_lo_u32 v11, v8, s35
	v_cmp_gt_i32_e64 s3, s8, v10
	v_or_b32_e32 v10, 2, v24
	s_wait_alu 0xfffe
	s_add_co_i32 s7, s9, s7
	v_mul_lo_u32 v13, v8, s34
	s_ashr_i32 s5, s8, 31
	s_mov_b32 s4, s8
	s_wait_alu 0xfffe
	s_and_b32 s37, s7, -16
	v_cmp_gt_i64_e32 vcc_lo, s[4:5], v[0:1]
	v_lshl_add_u32 v0, v8, 10, v6
	v_add3_u32 v26, v7, s35, v9
	v_mad_co_u64_u32 v[6:7], null, s35, v10, v[9:10]
	s_wait_alu 0xfffe
	s_sub_co_i32 s5, s9, s37
	v_mad_co_u64_u32 v[7:8], null, s35, v12, v[9:10]
	v_lshl_add_u32 v27, v11, 2, v9
	v_mad_co_u64_u32 v[8:9], null, s34, v24, s[34:35]
	v_mul_lo_u32 v28, s34, v10
	v_mul_lo_u32 v29, s34, v12
	s_wait_alu 0xfffe
	s_cmp_gt_i32 s5, 0
	v_cmp_gt_u32_e64 s5, 0x100, v5
	v_lshlrev_b64_e32 v[9:10], 1, v[2:3]
	v_cmp_gt_i32_e64 s0, s8, v23
	v_cmp_gt_i32_e64 s4, s37, v24
	v_ashrrev_i32_e32 v5, 31, v4
	v_lshlrev_b32_e32 v30, 2, v13
	s_cselect_b32 s38, -1, 0
	s_and_b32 s39, s5, vcc_lo
	s_lshl_b32 s40, s35, 4
	s_lshl_b32 s41, s34, 4
	s_lshl_b64 s[18:19], s[18:19], 1
	s_lshl_b64 s[30:31], s[30:31], 1
	;; [unrolled: 1-line block ×3, first 2 shown]
	s_branch .LBB426_4
.LBB426_2:                              ;   in Loop: Header=BB426_4 Depth=1
	s_wait_alu 0xfffe
	s_or_b32 exec_lo, exec_lo, s7
.LBB426_3:                              ;   in Loop: Header=BB426_4 Depth=1
	s_add_co_i32 s10, s10, 0x10000
	s_delay_alu instid0(SALU_CYCLE_1)
	s_cmp_lt_u32 s10, s33
	s_cbranch_scc0 .LBB426_56
.LBB426_4:                              ; =>This Loop Header: Depth=1
                                        ;     Child Loop BB426_24 Depth 2
	s_mul_u64 s[42:43], s[14:15], s[10:11]
	s_mul_u64 s[44:45], s[22:23], s[10:11]
	s_wait_alu 0xfffe
	s_lshl_b64 s[42:43], s[42:43], 2
	s_lshl_b64 s[44:45], s[44:45], 2
	s_wait_alu 0xfffe
	s_add_nc_u64 s[42:43], s[12:13], s[42:43]
	s_add_nc_u64 s[44:45], s[20:21], s[44:45]
	s_clause 0x1
	global_load_b32 v31, v1, s[42:43]
	global_load_b32 v11, v1, s[44:45]
	s_wait_loadcnt 0x1
	v_cmp_eq_f32_e64 s7, 0, v31
	s_wait_loadcnt 0x0
	v_cmp_eq_f32_e32 vcc_lo, 1.0, v11
	v_readfirstlane_b32 s42, v11
	s_and_b32 s8, s7, vcc_lo
	s_wait_alu 0xfffe
	s_and_b32 vcc_lo, exec_lo, s8
	s_wait_alu 0xfffe
	s_cbranch_vccnz .LBB426_3
; %bb.5:                                ;   in Loop: Header=BB426_4 Depth=1
	v_mov_b32_e32 v13, 0
	v_dual_mov_b32 v14, 0 :: v_dual_mov_b32 v11, 0
	v_cmp_neq_f32_e64 s8, 0, v31
	v_mov_b32_e32 v12, 0
	s_and_b32 vcc_lo, exec_lo, s7
	s_wait_alu 0xfffe
	s_cbranch_vccnz .LBB426_7
; %bb.6:                                ;   in Loop: Header=BB426_4 Depth=1
	s_lshl_b64 s[44:45], s[10:11], 3
	s_wait_alu 0xfffe
	s_add_nc_u64 s[44:45], s[16:17], s[44:45]
	global_load_b64 v[11:12], v1, s[44:45]
	s_wait_loadcnt 0x0
	v_add_co_u32 v11, vcc_lo, v11, s18
	s_wait_alu 0xfffd
	v_add_co_ci_u32_e64 v12, null, s19, v12, vcc_lo
.LBB426_7:                              ;   in Loop: Header=BB426_4 Depth=1
	s_and_not1_b32 vcc_lo, exec_lo, s8
	s_wait_alu 0xfffe
	s_cbranch_vccnz .LBB426_9
; %bb.8:                                ;   in Loop: Header=BB426_4 Depth=1
	s_lshl_b64 s[44:45], s[10:11], 3
	s_wait_alu 0xfffe
	s_add_nc_u64 s[44:45], s[28:29], s[44:45]
	global_load_b64 v[13:14], v1, s[44:45]
	s_wait_loadcnt 0x0
	v_add_co_u32 v13, vcc_lo, v13, s30
	s_wait_alu 0xfffd
	v_add_co_ci_u32_e64 v14, null, s31, v14, vcc_lo
.LBB426_9:                              ;   in Loop: Header=BB426_4 Depth=1
	s_lshl_b64 s[44:45], s[10:11], 3
	s_wait_alu 0xfffe
	s_add_nc_u64 s[44:45], s[24:25], s[44:45]
	global_load_b64 v[15:16], v1, s[44:45]
	s_wait_loadcnt 0x0
	v_add_co_u32 v32, vcc_lo, v15, s26
	s_wait_alu 0xfffd
	v_add_co_ci_u32_e64 v33, null, s27, v16, vcc_lo
	s_and_not1_b32 vcc_lo, exec_lo, s7
	s_wait_alu 0xfffe
	s_cbranch_vccnz .LBB426_13
; %bb.10:                               ;   in Loop: Header=BB426_4 Depth=1
	s_mov_b32 s7, 0
	s_mov_b32 s8, 0
                                        ; implicit-def: $vgpr15
	s_and_saveexec_b32 s43, s39
	s_cbranch_execz .LBB426_14
; %bb.11:                               ;   in Loop: Header=BB426_4 Depth=1
	s_cmp_eq_f32 s42, 0
	s_cbranch_scc1 .LBB426_16
; %bb.12:                               ;   in Loop: Header=BB426_4 Depth=1
	v_add_co_u32 v15, vcc_lo, v32, v9
	s_wait_alu 0xfffd
	v_add_co_ci_u32_e64 v16, null, v33, v10, vcc_lo
	flat_load_u16 v15, v[15:16]
	s_wait_loadcnt_dscnt 0x0
	v_fma_mixlo_f16 v15, s42, v15, 0 op_sel_hi:[0,1,0]
	s_branch .LBB426_17
.LBB426_13:                             ;   in Loop: Header=BB426_4 Depth=1
	s_mov_b32 s8, 0
                                        ; implicit-def: $vgpr15
	s_cbranch_execz .LBB426_15
	s_branch .LBB426_18
.LBB426_14:                             ;   in Loop: Header=BB426_4 Depth=1
	s_wait_alu 0xfffe
	s_or_b32 exec_lo, exec_lo, s43
	s_delay_alu instid0(SALU_CYCLE_1)
	s_and_b32 vcc_lo, exec_lo, s7
	s_wait_alu 0xfffe
	s_cbranch_vccnz .LBB426_18
.LBB426_15:                             ;   in Loop: Header=BB426_4 Depth=1
	v_dual_mov_b32 v12, v3 :: v_dual_mov_b32 v11, v2
	s_wait_alu 0xfffe
	s_and_saveexec_b32 s7, s8
	s_cbranch_execz .LBB426_2
	s_branch .LBB426_55
.LBB426_16:                             ;   in Loop: Header=BB426_4 Depth=1
	v_mov_b32_e32 v15, 0
.LBB426_17:                             ;   in Loop: Header=BB426_4 Depth=1
	s_mov_b32 s8, exec_lo
	s_wait_alu 0xfffe
	s_or_b32 exec_lo, exec_lo, s43
	s_delay_alu instid0(SALU_CYCLE_1)
	s_and_b32 vcc_lo, exec_lo, s7
	s_wait_alu 0xfffe
	s_cbranch_vccz .LBB426_15
.LBB426_18:                             ;   in Loop: Header=BB426_4 Depth=1
	v_dual_mov_b32 v34, 0 :: v_dual_mov_b32 v35, 0
	v_dual_mov_b32 v38, v24 :: v_dual_mov_b32 v37, 0
	v_mov_b32_e32 v36, 0
	s_and_saveexec_b32 s7, s4
	s_cbranch_execz .LBB426_30
; %bb.19:                               ;   in Loop: Header=BB426_4 Depth=1
	v_dual_mov_b32 v34, 0 :: v_dual_mov_b32 v39, v27
	v_dual_mov_b32 v40, v7 :: v_dual_mov_b32 v41, v6
	;; [unrolled: 1-line block ×4, first 2 shown]
	v_mov_b32_e32 v36, 0
	s_mov_b32 s43, 0
	s_mov_b32 s44, 0
	s_branch .LBB426_24
.LBB426_20:                             ;   in Loop: Header=BB426_24 Depth=2
	s_or_b32 exec_lo, exec_lo, s48
	s_wait_loadcnt_dscnt 0x303
	v_fma_mix_f32 v15, v55, v59, v36 op_sel_hi:[0,1,0]
	s_wait_loadcnt_dscnt 0x202
	s_delay_alu instid0(VALU_DEP_1) | instskip(SKIP_1) | instid1(VALU_DEP_1)
	v_fma_mix_f32 v15, v56, v60, v15 op_sel_hi:[0,1,0]
	s_wait_loadcnt_dscnt 0x101
	v_fma_mix_f32 v15, v57, v61, v15 op_sel_hi:[0,1,0]
	s_wait_loadcnt_dscnt 0x0
	s_delay_alu instid0(VALU_DEP_1)
	v_fma_mix_f32 v36, v58, v62, v15 op_sel_hi:[0,1,0]
.LBB426_21:                             ;   in Loop: Header=BB426_24 Depth=2
	s_or_b32 exec_lo, exec_lo, s47
	s_wait_loadcnt_dscnt 0x303
	v_fma_mix_f32 v15, v55, v51, v35 op_sel_hi:[0,1,0]
	s_wait_loadcnt_dscnt 0x202
	s_delay_alu instid0(VALU_DEP_1) | instskip(SKIP_1) | instid1(VALU_DEP_1)
	v_fma_mix_f32 v15, v56, v52, v15 op_sel_hi:[0,1,0]
	s_wait_loadcnt_dscnt 0x101
	v_fma_mix_f32 v15, v57, v53, v15 op_sel_hi:[0,1,0]
	s_wait_loadcnt_dscnt 0x0
	s_delay_alu instid0(VALU_DEP_1)
	v_fma_mix_f32 v35, v58, v54, v15 op_sel_hi:[0,1,0]
.LBB426_22:                             ;   in Loop: Header=BB426_24 Depth=2
	s_or_b32 exec_lo, exec_lo, s46
	s_wait_loadcnt_dscnt 0x303
	v_fma_mix_f32 v15, v43, v47, v34 op_sel_hi:[1,1,0]
	s_wait_loadcnt_dscnt 0x202
	s_delay_alu instid0(VALU_DEP_1) | instskip(SKIP_1) | instid1(VALU_DEP_1)
	v_fma_mix_f32 v15, v44, v48, v15 op_sel_hi:[1,1,0]
	s_wait_loadcnt_dscnt 0x101
	v_fma_mix_f32 v15, v45, v49, v15 op_sel_hi:[1,1,0]
	s_wait_loadcnt_dscnt 0x0
	s_delay_alu instid0(VALU_DEP_1)
	v_fma_mix_f32 v34, v46, v50, v15 op_sel_hi:[1,1,0]
.LBB426_23:                             ;   in Loop: Header=BB426_24 Depth=2
	s_wait_alu 0xfffe
	s_or_b32 exec_lo, exec_lo, s45
	v_add_nc_u32_e32 v38, 16, v38
	v_add_nc_u32_e32 v42, s40, v42
	;; [unrolled: 1-line block ×5, first 2 shown]
	v_cmp_le_i32_e32 vcc_lo, s37, v38
	s_add_co_i32 s44, s44, s41
	s_or_b32 s43, vcc_lo, s43
	s_wait_alu 0xfffe
	s_and_not1_b32 exec_lo, exec_lo, s43
	s_cbranch_execz .LBB426_29
.LBB426_24:                             ;   Parent Loop BB426_4 Depth=1
                                        ; =>  This Inner Loop Header: Depth=2
	s_and_saveexec_b32 s45, s0
	s_cbranch_execz .LBB426_23
; %bb.25:                               ;   in Loop: Header=BB426_24 Depth=2
	s_wait_alu 0xfffe
	v_add_nc_u32_e32 v15, s44, v30
	v_add_nc_u32_e32 v17, s44, v8
	;; [unrolled: 1-line block ×5, first 2 shown]
	v_ashrrev_i32_e32 v16, 31, v15
	v_ashrrev_i32_e32 v18, 31, v17
	;; [unrolled: 1-line block ×5, first 2 shown]
	v_lshlrev_b64_e32 v[15:16], 1, v[15:16]
	v_lshlrev_b64_e32 v[17:18], 1, v[17:18]
	;; [unrolled: 1-line block ×3, first 2 shown]
	s_delay_alu instid0(VALU_DEP_3) | instskip(SKIP_1) | instid1(VALU_DEP_4)
	v_add_co_u32 v45, vcc_lo, v13, v15
	s_wait_alu 0xfffd
	v_add_co_ci_u32_e64 v46, null, v14, v16, vcc_lo
	s_delay_alu instid0(VALU_DEP_4)
	v_add_co_u32 v47, vcc_lo, v13, v17
	v_add_nc_u32_e32 v17, s36, v42
	s_wait_alu 0xfffd
	v_add_co_ci_u32_e64 v48, null, v14, v18, vcc_lo
	v_lshlrev_b64_e32 v[15:16], 1, v[21:22]
	v_add_co_u32 v49, vcc_lo, v13, v19
	v_add_nc_u32_e32 v21, s36, v41
	s_wait_alu 0xfffd
	v_add_co_ci_u32_e64 v50, null, v14, v20, vcc_lo
	v_lshlrev_b64_e32 v[19:20], 1, v[43:44]
	v_add_nc_u32_e32 v43, s36, v40
	v_ashrrev_i32_e32 v18, 31, v17
	v_ashrrev_i32_e32 v22, 31, v21
	v_add_co_u32 v51, vcc_lo, v13, v15
	s_delay_alu instid0(VALU_DEP_4)
	v_ashrrev_i32_e32 v44, 31, v43
	s_wait_alu 0xfffd
	v_add_co_ci_u32_e64 v52, null, v14, v16, vcc_lo
	v_lshlrev_b64_e32 v[17:18], 1, v[17:18]
	v_add_co_u32 v15, vcc_lo, v11, v19
	s_wait_alu 0xfffd
	v_add_co_ci_u32_e64 v16, null, v12, v20, vcc_lo
	v_lshlrev_b64_e32 v[19:20], 1, v[21:22]
	v_lshlrev_b64_e32 v[21:22], 1, v[43:44]
	v_add_co_u32 v17, vcc_lo, v11, v17
	s_wait_alu 0xfffd
	v_add_co_ci_u32_e64 v18, null, v12, v18, vcc_lo
	s_delay_alu instid0(VALU_DEP_4)
	v_add_co_u32 v19, vcc_lo, v11, v19
	s_wait_alu 0xfffd
	v_add_co_ci_u32_e64 v20, null, v12, v20, vcc_lo
	v_add_co_u32 v21, vcc_lo, v11, v21
	s_wait_alu 0xfffd
	v_add_co_ci_u32_e64 v22, null, v12, v22, vcc_lo
	s_clause 0x3
	flat_load_u16 v43, v[45:46]
	flat_load_u16 v44, v[47:48]
	;; [unrolled: 1-line block ×4, first 2 shown]
	s_clause 0x3
	flat_load_u16 v47, v[15:16]
	flat_load_u16 v48, v[17:18]
	;; [unrolled: 1-line block ×4, first 2 shown]
	s_and_saveexec_b32 s46, s1
	s_cbranch_execz .LBB426_22
; %bb.26:                               ;   in Loop: Header=BB426_24 Depth=2
	s_clause 0x3
	flat_load_u16 v51, v[15:16] offset:128
	flat_load_u16 v52, v[17:18] offset:128
	;; [unrolled: 1-line block ×4, first 2 shown]
	s_wait_loadcnt_dscnt 0xb0b
	v_cvt_f32_f16_e32 v55, v43
	s_wait_loadcnt_dscnt 0xa0a
	v_cvt_f32_f16_e32 v56, v44
	s_wait_loadcnt_dscnt 0x909
	v_cvt_f32_f16_e32 v57, v45
	s_wait_loadcnt_dscnt 0x808
	v_cvt_f32_f16_e32 v58, v46
	s_and_saveexec_b32 s47, s2
	s_cbranch_execz .LBB426_21
; %bb.27:                               ;   in Loop: Header=BB426_24 Depth=2
	s_clause 0x3
	flat_load_u16 v59, v[15:16] offset:256
	flat_load_u16 v60, v[17:18] offset:256
	;; [unrolled: 1-line block ×4, first 2 shown]
	s_and_saveexec_b32 s48, s3
	s_cbranch_execz .LBB426_20
; %bb.28:                               ;   in Loop: Header=BB426_24 Depth=2
	s_clause 0x3
	flat_load_u16 v15, v[15:16] offset:384
	flat_load_u16 v16, v[17:18] offset:384
	flat_load_u16 v17, v[19:20] offset:384
	flat_load_u16 v18, v[21:22] offset:384
	s_wait_loadcnt_dscnt 0x303
	v_fma_mix_f32 v15, v55, v15, v37 op_sel_hi:[0,1,0]
	s_wait_loadcnt_dscnt 0x202
	s_delay_alu instid0(VALU_DEP_1) | instskip(SKIP_1) | instid1(VALU_DEP_1)
	v_fma_mix_f32 v15, v56, v16, v15 op_sel_hi:[0,1,0]
	s_wait_loadcnt_dscnt 0x101
	v_fma_mix_f32 v15, v57, v17, v15 op_sel_hi:[0,1,0]
	s_wait_loadcnt_dscnt 0x0
	s_delay_alu instid0(VALU_DEP_1)
	v_fma_mix_f32 v37, v58, v18, v15 op_sel_hi:[0,1,0]
	s_branch .LBB426_20
.LBB426_29:                             ;   in Loop: Header=BB426_4 Depth=1
	s_or_b32 exec_lo, exec_lo, s43
.LBB426_30:                             ;   in Loop: Header=BB426_4 Depth=1
	s_wait_alu 0xfffe
	s_or_b32 exec_lo, exec_lo, s7
	s_delay_alu instid0(SALU_CYCLE_1)
	s_and_not1_b32 vcc_lo, exec_lo, s38
	s_wait_alu 0xfffe
	s_cbranch_vccnz .LBB426_48
; %bb.31:                               ;   in Loop: Header=BB426_4 Depth=1
	v_cmp_gt_i32_e32 vcc_lo, s9, v38
	v_dual_mov_b32 v19, 0 :: v_dual_mov_b32 v20, 0
	v_or_b32_e32 v15, 1, v38
	v_dual_mov_b32 v21, 0 :: v_dual_mov_b32 v22, 0
	s_and_saveexec_b32 s43, vcc_lo
	s_cbranch_execz .LBB426_39
; %bb.32:                               ;   in Loop: Header=BB426_4 Depth=1
	v_mul_lo_u32 v16, v38, s34
	v_dual_mov_b32 v21, 0 :: v_dual_mov_b32 v20, 0
	v_mov_b32_e32 v19, 0
	s_mov_b32 s44, exec_lo
	s_delay_alu instid0(VALU_DEP_3) | instskip(NEXT) | instid1(VALU_DEP_1)
	v_ashrrev_i32_e32 v17, 31, v16
	v_lshlrev_b64_e32 v[16:17], 1, v[16:17]
	s_delay_alu instid0(VALU_DEP_1) | instskip(SKIP_1) | instid1(VALU_DEP_2)
	v_add_co_u32 v16, s7, v13, v16
	s_wait_alu 0xf1ff
	v_add_co_ci_u32_e64 v17, null, v14, v17, s7
	flat_load_u16 v16, v[16:17]
	v_cmpx_gt_i32_e64 s9, v15
	s_cbranch_execz .LBB426_38
; %bb.33:                               ;   in Loop: Header=BB426_4 Depth=1
	v_mul_lo_u32 v17, v15, s34
	v_dual_mov_b32 v20, 0 :: v_dual_mov_b32 v19, 0
	s_mov_b32 s45, exec_lo
	s_delay_alu instid0(VALU_DEP_2) | instskip(NEXT) | instid1(VALU_DEP_1)
	v_ashrrev_i32_e32 v18, 31, v17
	v_lshlrev_b64_e32 v[17:18], 1, v[17:18]
	s_delay_alu instid0(VALU_DEP_1) | instskip(SKIP_1) | instid1(VALU_DEP_2)
	v_add_co_u32 v17, s7, v13, v17
	s_wait_alu 0xf1ff
	v_add_co_ci_u32_e64 v18, null, v14, v18, s7
	flat_load_u16 v17, v[17:18]
	v_or_b32_e32 v18, 2, v38
	s_delay_alu instid0(VALU_DEP_1)
	v_cmpx_gt_i32_e64 s9, v18
	s_cbranch_execz .LBB426_37
; %bb.34:                               ;   in Loop: Header=BB426_4 Depth=1
	v_mul_lo_u32 v18, v18, s34
	v_or_b32_e32 v20, 3, v38
	s_mov_b32 s46, exec_lo
	s_delay_alu instid0(VALU_DEP_2) | instskip(NEXT) | instid1(VALU_DEP_1)
	v_ashrrev_i32_e32 v19, 31, v18
	v_lshlrev_b64_e32 v[18:19], 1, v[18:19]
	s_delay_alu instid0(VALU_DEP_1) | instskip(SKIP_1) | instid1(VALU_DEP_2)
	v_add_co_u32 v18, s7, v13, v18
	s_wait_alu 0xf1ff
	v_add_co_ci_u32_e64 v19, null, v14, v19, s7
	flat_load_u16 v18, v[18:19]
	v_mov_b32_e32 v19, 0
	v_cmpx_gt_i32_e64 s9, v20
	s_cbranch_execz .LBB426_36
; %bb.35:                               ;   in Loop: Header=BB426_4 Depth=1
	v_mul_lo_u32 v19, v20, s34
	s_delay_alu instid0(VALU_DEP_1) | instskip(NEXT) | instid1(VALU_DEP_1)
	v_ashrrev_i32_e32 v20, 31, v19
	v_lshlrev_b64_e32 v[19:20], 1, v[19:20]
	s_delay_alu instid0(VALU_DEP_1) | instskip(SKIP_1) | instid1(VALU_DEP_2)
	v_add_co_u32 v13, s7, v13, v19
	s_wait_alu 0xf1ff
	v_add_co_ci_u32_e64 v14, null, v14, v20, s7
	flat_load_u16 v13, v[13:14]
	s_wait_loadcnt_dscnt 0x0
	v_cvt_f32_f16_e32 v19, v13
.LBB426_36:                             ;   in Loop: Header=BB426_4 Depth=1
	s_or_b32 exec_lo, exec_lo, s46
	s_wait_loadcnt_dscnt 0x0
	v_cvt_f32_f16_e32 v20, v18
.LBB426_37:                             ;   in Loop: Header=BB426_4 Depth=1
	s_wait_alu 0xfffe
	s_or_b32 exec_lo, exec_lo, s45
	s_wait_loadcnt_dscnt 0x0
	v_cvt_f32_f16_e32 v21, v17
.LBB426_38:                             ;   in Loop: Header=BB426_4 Depth=1
	s_wait_alu 0xfffe
	s_or_b32 exec_lo, exec_lo, s44
	s_wait_loadcnt_dscnt 0x0
	v_cvt_f32_f16_e32 v22, v16
.LBB426_39:                             ;   in Loop: Header=BB426_4 Depth=1
	s_wait_alu 0xfffe
	s_or_b32 exec_lo, exec_lo, s43
	s_and_saveexec_b32 s7, s0
	s_cbranch_execz .LBB426_47
; %bb.40:                               ;   in Loop: Header=BB426_4 Depth=1
	v_mul_lo_u32 v14, v38, s35
	v_or_b32_e32 v13, 2, v38
	v_mul_lo_u32 v17, v15, s35
	v_or_b32_e32 v16, 3, v38
	s_delay_alu instid0(VALU_DEP_3) | instskip(NEXT) | instid1(VALU_DEP_2)
	v_mul_lo_u32 v18, v13, s35
	v_mul_lo_u32 v38, v16, s35
	v_cndmask_b32_e32 v14, 0, v14, vcc_lo
	v_cmp_gt_i32_e32 vcc_lo, s9, v15
	s_wait_alu 0xfffd
	v_cndmask_b32_e32 v15, 0, v17, vcc_lo
	v_cmp_gt_i32_e32 vcc_lo, s9, v13
	v_add_nc_u32_e32 v13, v14, v23
	s_delay_alu instid0(VALU_DEP_3)
	v_add_nc_u32_e32 v15, v15, v23
	s_wait_alu 0xfffd
	v_cndmask_b32_e32 v17, 0, v18, vcc_lo
	v_cmp_gt_i32_e32 vcc_lo, s9, v16
	v_ashrrev_i32_e32 v14, 31, v13
	s_wait_alu 0xfffd
	v_cndmask_b32_e32 v16, 0, v38, vcc_lo
	s_delay_alu instid0(VALU_DEP_2) | instskip(NEXT) | instid1(VALU_DEP_2)
	v_lshlrev_b64_e32 v[13:14], 1, v[13:14]
	v_add_nc_u32_e32 v38, v16, v23
	v_add_nc_u32_e32 v17, v17, v23
	v_ashrrev_i32_e32 v16, 31, v15
	s_delay_alu instid0(VALU_DEP_4) | instskip(NEXT) | instid1(VALU_DEP_4)
	v_add_co_u32 v13, vcc_lo, v11, v13
	v_ashrrev_i32_e32 v39, 31, v38
	s_delay_alu instid0(VALU_DEP_4) | instskip(NEXT) | instid1(VALU_DEP_4)
	v_ashrrev_i32_e32 v18, 31, v17
	v_lshlrev_b64_e32 v[15:16], 1, v[15:16]
	s_wait_alu 0xfffd
	v_add_co_ci_u32_e64 v14, null, v12, v14, vcc_lo
	v_lshlrev_b64_e32 v[38:39], 1, v[38:39]
	v_lshlrev_b64_e32 v[17:18], 1, v[17:18]
	s_delay_alu instid0(VALU_DEP_4) | instskip(SKIP_2) | instid1(VALU_DEP_3)
	v_add_co_u32 v15, vcc_lo, v11, v15
	s_wait_alu 0xfffd
	v_add_co_ci_u32_e64 v16, null, v12, v16, vcc_lo
	v_add_co_u32 v17, vcc_lo, v11, v17
	s_wait_alu 0xfffd
	v_add_co_ci_u32_e64 v18, null, v12, v18, vcc_lo
	;; [unrolled: 3-line block ×3, first 2 shown]
	s_clause 0x3
	flat_load_u16 v38, v[13:14]
	flat_load_u16 v39, v[15:16]
	flat_load_u16 v40, v[17:18]
	flat_load_u16 v41, v[11:12]
	s_and_saveexec_b32 s43, s1
	s_cbranch_execz .LBB426_46
; %bb.41:                               ;   in Loop: Header=BB426_4 Depth=1
	s_clause 0x3
	flat_load_u16 v42, v[13:14] offset:128
	flat_load_u16 v43, v[15:16] offset:128
	flat_load_u16 v44, v[17:18] offset:128
	flat_load_u16 v45, v[11:12] offset:128
	s_and_saveexec_b32 s44, s2
	s_cbranch_execz .LBB426_45
; %bb.42:                               ;   in Loop: Header=BB426_4 Depth=1
	s_clause 0x3
	flat_load_u16 v46, v[13:14] offset:256
	flat_load_u16 v47, v[15:16] offset:256
	flat_load_u16 v48, v[17:18] offset:256
	flat_load_u16 v49, v[11:12] offset:256
	;; [unrolled: 8-line block ×3, first 2 shown]
	s_wait_loadcnt_dscnt 0x303
	v_fma_mix_f32 v12, v22, v13, v37 op_sel_hi:[0,1,0]
	s_wait_loadcnt_dscnt 0x202
	s_delay_alu instid0(VALU_DEP_1) | instskip(SKIP_1) | instid1(VALU_DEP_1)
	v_fma_mix_f32 v12, v21, v14, v12 op_sel_hi:[0,1,0]
	s_wait_loadcnt_dscnt 0x101
	v_fma_mix_f32 v12, v20, v15, v12 op_sel_hi:[0,1,0]
	s_wait_loadcnt_dscnt 0x0
	s_delay_alu instid0(VALU_DEP_1)
	v_fma_mix_f32 v37, v19, v11, v12 op_sel_hi:[0,1,0]
.LBB426_44:                             ;   in Loop: Header=BB426_4 Depth=1
	s_wait_alu 0xfffe
	s_or_b32 exec_lo, exec_lo, s45
	s_wait_loadcnt_dscnt 0x303
	v_fma_mix_f32 v11, v22, v46, v36 op_sel_hi:[0,1,0]
	s_wait_loadcnt_dscnt 0x202
	s_delay_alu instid0(VALU_DEP_1) | instskip(SKIP_1) | instid1(VALU_DEP_1)
	v_fma_mix_f32 v11, v21, v47, v11 op_sel_hi:[0,1,0]
	s_wait_loadcnt_dscnt 0x101
	v_fma_mix_f32 v11, v20, v48, v11 op_sel_hi:[0,1,0]
	s_wait_loadcnt_dscnt 0x0
	s_delay_alu instid0(VALU_DEP_1)
	v_fma_mix_f32 v36, v19, v49, v11 op_sel_hi:[0,1,0]
.LBB426_45:                             ;   in Loop: Header=BB426_4 Depth=1
	s_wait_alu 0xfffe
	s_or_b32 exec_lo, exec_lo, s44
	s_wait_loadcnt_dscnt 0x303
	v_fma_mix_f32 v11, v22, v42, v35 op_sel_hi:[0,1,0]
	s_wait_loadcnt_dscnt 0x202
	s_delay_alu instid0(VALU_DEP_1) | instskip(SKIP_1) | instid1(VALU_DEP_1)
	v_fma_mix_f32 v11, v21, v43, v11 op_sel_hi:[0,1,0]
	s_wait_loadcnt_dscnt 0x101
	v_fma_mix_f32 v11, v20, v44, v11 op_sel_hi:[0,1,0]
	s_wait_loadcnt_dscnt 0x0
	s_delay_alu instid0(VALU_DEP_1)
	v_fma_mix_f32 v35, v19, v45, v11 op_sel_hi:[0,1,0]
.LBB426_46:                             ;   in Loop: Header=BB426_4 Depth=1
	s_wait_alu 0xfffe
	s_or_b32 exec_lo, exec_lo, s43
	s_wait_loadcnt_dscnt 0x303
	v_fma_mix_f32 v11, v22, v38, v34 op_sel_hi:[0,1,0]
	s_wait_loadcnt_dscnt 0x202
	s_delay_alu instid0(VALU_DEP_1) | instskip(SKIP_1) | instid1(VALU_DEP_1)
	v_fma_mix_f32 v11, v21, v39, v11 op_sel_hi:[0,1,0]
	s_wait_loadcnt_dscnt 0x101
	v_fma_mix_f32 v11, v20, v40, v11 op_sel_hi:[0,1,0]
	s_wait_loadcnt_dscnt 0x0
	s_delay_alu instid0(VALU_DEP_1)
	v_fma_mix_f32 v34, v19, v41, v11 op_sel_hi:[0,1,0]
.LBB426_47:                             ;   in Loop: Header=BB426_4 Depth=1
	s_wait_alu 0xfffe
	s_or_b32 exec_lo, exec_lo, s7
.LBB426_48:                             ;   in Loop: Header=BB426_4 Depth=1
	ds_store_2addr_stride64_b32 v0, v34, v35 offset1:1
	ds_store_2addr_stride64_b32 v0, v36, v37 offset0:2 offset1:3
	s_wait_dscnt 0x0
	s_barrier_signal -1
	s_barrier_wait -1
	global_inv scope:SCOPE_SE
                                        ; implicit-def: $vgpr15
	s_and_saveexec_b32 s7, s5
	s_cbranch_execz .LBB426_54
; %bb.49:                               ;   in Loop: Header=BB426_4 Depth=1
	ds_load_2addr_stride64_b32 v[11:12], v25 offset1:4
	ds_load_2addr_stride64_b32 v[13:14], v25 offset0:8 offset1:12
	s_mov_b32 s44, s8
                                        ; implicit-def: $vgpr15
	s_wait_dscnt 0x1
	v_add_f32_e32 v11, v11, v12
	s_wait_dscnt 0x0
	s_delay_alu instid0(VALU_DEP_1) | instskip(NEXT) | instid1(VALU_DEP_1)
	v_add_f32_e32 v11, v13, v11
	v_add_f32_e32 v11, v14, v11
	ds_store_b32 v25, v11
	s_and_saveexec_b32 s43, s6
	s_cbranch_execz .LBB426_53
; %bb.50:                               ;   in Loop: Header=BB426_4 Depth=1
	v_mul_f32_e32 v11, v31, v11
	s_cmp_eq_f32 s42, 0
	s_cbranch_scc1 .LBB426_52
; %bb.51:                               ;   in Loop: Header=BB426_4 Depth=1
	v_lshlrev_b64_e32 v[12:13], 1, v[4:5]
	s_delay_alu instid0(VALU_DEP_1) | instskip(SKIP_1) | instid1(VALU_DEP_2)
	v_add_co_u32 v12, vcc_lo, v32, v12
	s_wait_alu 0xfffd
	v_add_co_ci_u32_e64 v13, null, v33, v13, vcc_lo
	flat_load_u16 v12, v[12:13]
	s_wait_loadcnt_dscnt 0x0
	v_fma_mix_f32 v11, s42, v12, v11 op_sel_hi:[0,1,0]
.LBB426_52:                             ;   in Loop: Header=BB426_4 Depth=1
	s_delay_alu instid0(VALU_DEP_1)
	v_cvt_f16_f32_e32 v15, v11
	s_or_b32 s44, s8, exec_lo
.LBB426_53:                             ;   in Loop: Header=BB426_4 Depth=1
	s_wait_alu 0xfffe
	s_or_b32 exec_lo, exec_lo, s43
	s_delay_alu instid0(SALU_CYCLE_1)
	s_and_not1_b32 s8, s8, exec_lo
	s_and_b32 s42, s44, exec_lo
	s_wait_alu 0xfffe
	s_or_b32 s8, s8, s42
.LBB426_54:                             ;   in Loop: Header=BB426_4 Depth=1
	s_wait_alu 0xfffe
	s_or_b32 exec_lo, exec_lo, s7
	v_dual_mov_b32 v12, v5 :: v_dual_mov_b32 v11, v4
	s_and_saveexec_b32 s7, s8
	s_cbranch_execz .LBB426_2
.LBB426_55:                             ;   in Loop: Header=BB426_4 Depth=1
	s_delay_alu instid0(VALU_DEP_1) | instskip(NEXT) | instid1(VALU_DEP_1)
	v_lshlrev_b64_e32 v[11:12], 1, v[11:12]
	v_add_co_u32 v11, vcc_lo, v32, v11
	s_wait_alu 0xfffd
	s_delay_alu instid0(VALU_DEP_2)
	v_add_co_ci_u32_e64 v12, null, v33, v12, vcc_lo
	flat_store_b16 v[11:12], v15
	s_branch .LBB426_2
.LBB426_56:
	s_endpgm
	.section	.rodata,"a",@progbits
	.p2align	6, 0x0
	.amdhsa_kernel _ZL20rocblas_gemvn_kernelILi64ELi4EiPKDF16_PKfKPDF16_EviiT3_lPKT2_lT1_lS9_lSA_lS6_lPT4_lSA_li
		.amdhsa_group_segment_fixed_size 4096
		.amdhsa_private_segment_fixed_size 0
		.amdhsa_kernarg_size 400
		.amdhsa_user_sgpr_count 2
		.amdhsa_user_sgpr_dispatch_ptr 0
		.amdhsa_user_sgpr_queue_ptr 0
		.amdhsa_user_sgpr_kernarg_segment_ptr 1
		.amdhsa_user_sgpr_dispatch_id 0
		.amdhsa_user_sgpr_private_segment_size 0
		.amdhsa_wavefront_size32 1
		.amdhsa_uses_dynamic_stack 0
		.amdhsa_enable_private_segment 0
		.amdhsa_system_sgpr_workgroup_id_x 1
		.amdhsa_system_sgpr_workgroup_id_y 0
		.amdhsa_system_sgpr_workgroup_id_z 1
		.amdhsa_system_sgpr_workgroup_info 0
		.amdhsa_system_vgpr_workitem_id 1
		.amdhsa_next_free_vgpr 63
		.amdhsa_next_free_sgpr 49
		.amdhsa_reserve_vcc 1
		.amdhsa_float_round_mode_32 0
		.amdhsa_float_round_mode_16_64 0
		.amdhsa_float_denorm_mode_32 3
		.amdhsa_float_denorm_mode_16_64 3
		.amdhsa_fp16_overflow 0
		.amdhsa_workgroup_processor_mode 1
		.amdhsa_memory_ordered 1
		.amdhsa_forward_progress 1
		.amdhsa_inst_pref_size 27
		.amdhsa_round_robin_scheduling 0
		.amdhsa_exception_fp_ieee_invalid_op 0
		.amdhsa_exception_fp_denorm_src 0
		.amdhsa_exception_fp_ieee_div_zero 0
		.amdhsa_exception_fp_ieee_overflow 0
		.amdhsa_exception_fp_ieee_underflow 0
		.amdhsa_exception_fp_ieee_inexact 0
		.amdhsa_exception_int_div_zero 0
	.end_amdhsa_kernel
	.section	.text._ZL20rocblas_gemvn_kernelILi64ELi4EiPKDF16_PKfKPDF16_EviiT3_lPKT2_lT1_lS9_lSA_lS6_lPT4_lSA_li,"axG",@progbits,_ZL20rocblas_gemvn_kernelILi64ELi4EiPKDF16_PKfKPDF16_EviiT3_lPKT2_lT1_lS9_lSA_lS6_lPT4_lSA_li,comdat
.Lfunc_end426:
	.size	_ZL20rocblas_gemvn_kernelILi64ELi4EiPKDF16_PKfKPDF16_EviiT3_lPKT2_lT1_lS9_lSA_lS6_lPT4_lSA_li, .Lfunc_end426-_ZL20rocblas_gemvn_kernelILi64ELi4EiPKDF16_PKfKPDF16_EviiT3_lPKT2_lT1_lS9_lSA_lS6_lPT4_lSA_li
                                        ; -- End function
	.set _ZL20rocblas_gemvn_kernelILi64ELi4EiPKDF16_PKfKPDF16_EviiT3_lPKT2_lT1_lS9_lSA_lS6_lPT4_lSA_li.num_vgpr, 63
	.set _ZL20rocblas_gemvn_kernelILi64ELi4EiPKDF16_PKfKPDF16_EviiT3_lPKT2_lT1_lS9_lSA_lS6_lPT4_lSA_li.num_agpr, 0
	.set _ZL20rocblas_gemvn_kernelILi64ELi4EiPKDF16_PKfKPDF16_EviiT3_lPKT2_lT1_lS9_lSA_lS6_lPT4_lSA_li.numbered_sgpr, 49
	.set _ZL20rocblas_gemvn_kernelILi64ELi4EiPKDF16_PKfKPDF16_EviiT3_lPKT2_lT1_lS9_lSA_lS6_lPT4_lSA_li.num_named_barrier, 0
	.set _ZL20rocblas_gemvn_kernelILi64ELi4EiPKDF16_PKfKPDF16_EviiT3_lPKT2_lT1_lS9_lSA_lS6_lPT4_lSA_li.private_seg_size, 0
	.set _ZL20rocblas_gemvn_kernelILi64ELi4EiPKDF16_PKfKPDF16_EviiT3_lPKT2_lT1_lS9_lSA_lS6_lPT4_lSA_li.uses_vcc, 1
	.set _ZL20rocblas_gemvn_kernelILi64ELi4EiPKDF16_PKfKPDF16_EviiT3_lPKT2_lT1_lS9_lSA_lS6_lPT4_lSA_li.uses_flat_scratch, 1
	.set _ZL20rocblas_gemvn_kernelILi64ELi4EiPKDF16_PKfKPDF16_EviiT3_lPKT2_lT1_lS9_lSA_lS6_lPT4_lSA_li.has_dyn_sized_stack, 0
	.set _ZL20rocblas_gemvn_kernelILi64ELi4EiPKDF16_PKfKPDF16_EviiT3_lPKT2_lT1_lS9_lSA_lS6_lPT4_lSA_li.has_recursion, 0
	.set _ZL20rocblas_gemvn_kernelILi64ELi4EiPKDF16_PKfKPDF16_EviiT3_lPKT2_lT1_lS9_lSA_lS6_lPT4_lSA_li.has_indirect_call, 0
	.section	.AMDGPU.csdata,"",@progbits
; Kernel info:
; codeLenInByte = 3444
; TotalNumSgprs: 51
; NumVgprs: 63
; ScratchSize: 0
; MemoryBound: 0
; FloatMode: 240
; IeeeMode: 1
; LDSByteSize: 4096 bytes/workgroup (compile time only)
; SGPRBlocks: 0
; VGPRBlocks: 7
; NumSGPRsForWavesPerEU: 51
; NumVGPRsForWavesPerEU: 63
; Occupancy: 16
; WaveLimiterHint : 1
; COMPUTE_PGM_RSRC2:SCRATCH_EN: 0
; COMPUTE_PGM_RSRC2:USER_SGPR: 2
; COMPUTE_PGM_RSRC2:TRAP_HANDLER: 0
; COMPUTE_PGM_RSRC2:TGID_X_EN: 1
; COMPUTE_PGM_RSRC2:TGID_Y_EN: 0
; COMPUTE_PGM_RSRC2:TGID_Z_EN: 1
; COMPUTE_PGM_RSRC2:TIDIG_COMP_CNT: 1
	.section	.text._ZL20rocblas_gemvn_kernelILi64ELi4ElPKDF16_PKfKPDF16_EviiT3_lPKT2_lT1_lS9_lSA_lS6_lPT4_lSA_li,"axG",@progbits,_ZL20rocblas_gemvn_kernelILi64ELi4ElPKDF16_PKfKPDF16_EviiT3_lPKT2_lT1_lS9_lSA_lS6_lPT4_lSA_li,comdat
	.globl	_ZL20rocblas_gemvn_kernelILi64ELi4ElPKDF16_PKfKPDF16_EviiT3_lPKT2_lT1_lS9_lSA_lS6_lPT4_lSA_li ; -- Begin function _ZL20rocblas_gemvn_kernelILi64ELi4ElPKDF16_PKfKPDF16_EviiT3_lPKT2_lT1_lS9_lSA_lS6_lPT4_lSA_li
	.p2align	8
	.type	_ZL20rocblas_gemvn_kernelILi64ELi4ElPKDF16_PKfKPDF16_EviiT3_lPKT2_lT1_lS9_lSA_lS6_lPT4_lSA_li,@function
_ZL20rocblas_gemvn_kernelILi64ELi4ElPKDF16_PKfKPDF16_EviiT3_lPKT2_lT1_lS9_lSA_lS6_lPT4_lSA_li: ; @_ZL20rocblas_gemvn_kernelILi64ELi4ElPKDF16_PKfKPDF16_EviiT3_lPKT2_lT1_lS9_lSA_lS6_lPT4_lSA_li
; %bb.0:
	s_clause 0x1
	s_load_b64 s[2:3], s[0:1], 0x9c
	s_load_b32 s33, s[0:1], 0x88
	s_lshr_b32 s10, ttmp7, 16
	s_wait_kmcnt 0x0
	s_lshr_b32 s4, s2, 16
	s_and_b32 s2, s2, 0xffff
	s_and_b32 s3, s3, 0xffff
	s_mul_i32 s2, s4, s2
	s_delay_alu instid0(SALU_CYCLE_1) | instskip(NEXT) | instid1(SALU_CYCLE_1)
	s_mul_i32 s2, s2, s3
	s_cmp_lg_u32 s2, 0x100
	s_cselect_b32 s2, -1, 0
	s_cmp_ge_u32 s10, s33
	s_cselect_b32 s3, -1, 0
	s_delay_alu instid0(SALU_CYCLE_1) | instskip(NEXT) | instid1(SALU_CYCLE_1)
	s_or_b32 s2, s2, s3
	s_and_b32 vcc_lo, exec_lo, s2
	s_cbranch_vccnz .LBB427_56
; %bb.1:
	s_clause 0x6
	s_load_b64 s[38:39], s[0:1], 0x78
	s_load_b64 s[8:9], s[0:1], 0x0
	s_load_b256 s[12:19], s[0:1], 0x8
	s_load_b64 s[34:35], s[0:1], 0x28
	s_load_b128 s[28:31], s[0:1], 0x38
	s_load_b64 s[36:37], s[0:1], 0x48
	s_load_b256 s[20:27], s[0:1], 0x58
	v_dual_mov_b32 v1, 0 :: v_dual_and_b32 v2, 0x3ff, v0
	s_lshl_b32 s6, ttmp9, 8
	v_bfe_u32 v26, v0, 10, 10
	s_mov_b32 s11, 0
	s_delay_alu instid0(VALU_DEP_2) | instskip(SKIP_1) | instid1(VALU_DEP_3)
	v_or_b32_e32 v8, s6, v2
	v_lshlrev_b32_e32 v16, 2, v2
	v_lshl_add_u32 v5, v26, 6, v2
	s_delay_alu instid0(VALU_DEP_3) | instskip(SKIP_2) | instid1(VALU_DEP_4)
	v_add_nc_u32_e32 v6, 0x80, v8
	v_add_nc_u32_e32 v7, 0xc0, v8
	;; [unrolled: 1-line block ×3, first 2 shown]
	v_or_b32_e32 v17, s6, v5
	v_lshl_add_u32 v41, v26, 8, v16
	v_ashrrev_i32_e32 v9, 31, v8
	s_wait_kmcnt 0x0
	s_ashr_i32 s3, s9, 31
	v_cmp_gt_i32_e64 s2, s8, v6
	s_lshr_b32 s3, s3, 28
	s_ashr_i32 s5, s8, 31
	s_add_co_i32 s7, s9, s3
	v_cmp_gt_i32_e64 s3, s8, v7
	v_mad_co_u64_u32 v[6:7], null, s36, v26, 0
	s_mov_b32 s4, s8
	s_wait_alu 0xfffe
	s_and_b32 s42, s7, -16
	v_cmp_gt_i32_e64 s1, s8, v4
	v_mul_lo_u32 v18, s39, v17
	v_cmp_gt_i32_e64 s0, s8, v8
	v_mad_co_u64_u32 v[14:15], null, s37, v26, v[7:8]
	v_lshlrev_b32_e32 v40, 2, v26
	v_lshlrev_b64_e32 v[8:9], 1, v[8:9]
	s_delay_alu instid0(VALU_DEP_3) | instskip(NEXT) | instid1(VALU_DEP_3)
	v_mov_b32_e32 v7, v14
	v_or_b32_e32 v19, 3, v40
	v_or_b32_e32 v29, 2, v40
	v_mad_co_u64_u32 v[22:23], null, s36, v40, s[36:37]
	v_mad_co_u64_u32 v[24:25], null, s34, v40, s[34:35]
	s_delay_alu instid0(VALU_DEP_4) | instskip(SKIP_3) | instid1(VALU_DEP_3)
	v_mad_co_u64_u32 v[10:11], null, s34, v19, 0
	v_mad_co_u64_u32 v[12:13], null, s36, v19, 0
	;; [unrolled: 1-line block ×3, first 2 shown]
	v_lshlrev_b64_e32 v[6:7], 3, v[6:7]
	v_mad_co_u64_u32 v[14:15], null, s35, v19, v[11:12]
	s_delay_alu instid0(VALU_DEP_1) | instskip(NEXT) | instid1(VALU_DEP_1)
	v_dual_mov_b32 v11, v14 :: v_dual_add_nc_u32 v0, s6, v5
	v_mad_co_u64_u32 v[2:3], null, s38, v0, 0
	v_cmp_gt_i64_e32 vcc_lo, s[4:5], v[0:1]
	s_sub_co_i32 s5, s9, s42
	s_delay_alu instid0(VALU_DEP_3)
	v_lshlrev_b64_e32 v[10:11], 1, v[10:11]
	s_wait_alu 0xfffe
	s_cmp_gt_i32 s5, 0
	v_cmp_gt_u32_e64 s5, 0x100, v5
	s_cselect_b32 s43, -1, 0
	v_mad_co_u64_u32 v[3:4], null, s39, v0, v[3:4]
	v_mad_co_u64_u32 v[4:5], null, s38, v17, 0
	s_ashr_i32 s7, s6, 31
	v_lshl_add_u32 v0, v26, 10, v16
	s_wait_alu 0xfffe
	s_mul_i32 s7, s38, s7
	v_mad_co_u64_u32 v[15:16], null, s37, v19, v[13:14]
	v_cmp_gt_i32_e64 s6, s8, v17
	s_wait_alu 0xfffe
	v_add3_u32 v5, v5, s7, v18
	v_mad_co_u64_u32 v[16:17], null, s34, v26, 0
	v_mad_co_u64_u32 v[18:19], null, s34, v29, 0
	v_mov_b32_e32 v13, v15
	v_cmp_gt_i32_e64 s4, s42, v40
	s_and_b32 s44, s5, vcc_lo
	s_lshl_b64 s[38:39], s[36:37], 5
	v_dual_mov_b32 v14, v17 :: v_dual_mov_b32 v17, v25
	v_mov_b32_e32 v15, v19
	v_lshlrev_b64_e32 v[12:13], 1, v[12:13]
	s_lshl_b64 s[40:41], s[34:35], 5
	s_lshl_b64 s[18:19], s[18:19], 1
	;; [unrolled: 1-line block ×3, first 2 shown]
	v_mad_co_u64_u32 v[26:27], null, s35, v26, v[14:15]
	v_mov_b32_e32 v14, v21
	v_mad_co_u64_u32 v[27:28], null, s35, v29, v[15:16]
	v_mov_b32_e32 v15, v23
	s_lshl_b64 s[26:27], s[26:27], 1
	s_delay_alu instid0(VALU_DEP_1)
	v_mad_co_u64_u32 v[28:29], null, s37, v29, v[14:15]
	v_mad_co_u64_u32 v[14:15], null, s37, v40, v[15:16]
	;; [unrolled: 1-line block ×3, first 2 shown]
	v_mov_b32_e32 v17, v26
	v_mov_b32_e32 v19, v27
	;; [unrolled: 1-line block ×4, first 2 shown]
	s_delay_alu instid0(VALU_DEP_4) | instskip(SKIP_4) | instid1(VALU_DEP_4)
	v_lshlrev_b64_e32 v[14:15], 3, v[16:17]
	v_mov_b32_e32 v25, v29
	v_lshlrev_b64_e32 v[16:17], 1, v[18:19]
	v_lshlrev_b64_e32 v[18:19], 1, v[20:21]
	;; [unrolled: 1-line block ×5, first 2 shown]
	s_branch .LBB427_4
.LBB427_2:                              ;   in Loop: Header=BB427_4 Depth=1
	s_wait_alu 0xfffe
	s_or_b32 exec_lo, exec_lo, s7
.LBB427_3:                              ;   in Loop: Header=BB427_4 Depth=1
	s_add_co_i32 s10, s10, 0x10000
	s_delay_alu instid0(SALU_CYCLE_1)
	s_cmp_lt_u32 s10, s33
	s_cbranch_scc0 .LBB427_56
.LBB427_4:                              ; =>This Loop Header: Depth=1
                                        ;     Child Loop BB427_24 Depth 2
	s_mul_u64 s[46:47], s[14:15], s[10:11]
	s_mul_u64 s[48:49], s[22:23], s[10:11]
	s_lshl_b64 s[46:47], s[46:47], 2
	s_lshl_b64 s[48:49], s[48:49], 2
	s_add_nc_u64 s[46:47], s[12:13], s[46:47]
	s_add_nc_u64 s[48:49], s[20:21], s[48:49]
	s_clause 0x1
	global_load_b32 v42, v1, s[46:47]
	global_load_b32 v26, v1, s[48:49]
	s_wait_loadcnt 0x1
	v_cmp_eq_f32_e64 s7, 0, v42
	s_wait_loadcnt 0x0
	v_cmp_eq_f32_e32 vcc_lo, 1.0, v26
	v_readfirstlane_b32 s45, v26
	s_and_b32 s8, s7, vcc_lo
	s_wait_alu 0xfffe
	s_and_b32 vcc_lo, exec_lo, s8
	s_wait_alu 0xfffe
	s_cbranch_vccnz .LBB427_3
; %bb.5:                                ;   in Loop: Header=BB427_4 Depth=1
	v_mov_b32_e32 v28, 0
	v_dual_mov_b32 v29, 0 :: v_dual_mov_b32 v26, 0
	v_cmp_neq_f32_e64 s8, 0, v42
	v_mov_b32_e32 v27, 0
	s_and_b32 vcc_lo, exec_lo, s7
	s_wait_alu 0xfffe
	s_cbranch_vccnz .LBB427_7
; %bb.6:                                ;   in Loop: Header=BB427_4 Depth=1
	s_lshl_b64 s[46:47], s[10:11], 3
	s_delay_alu instid0(SALU_CYCLE_1)
	s_add_nc_u64 s[46:47], s[16:17], s[46:47]
	global_load_b64 v[26:27], v1, s[46:47]
	s_wait_loadcnt 0x0
	v_add_co_u32 v26, vcc_lo, v26, s18
	s_wait_alu 0xfffd
	v_add_co_ci_u32_e64 v27, null, s19, v27, vcc_lo
.LBB427_7:                              ;   in Loop: Header=BB427_4 Depth=1
	s_and_not1_b32 vcc_lo, exec_lo, s8
	s_wait_alu 0xfffe
	s_cbranch_vccnz .LBB427_9
; %bb.8:                                ;   in Loop: Header=BB427_4 Depth=1
	s_lshl_b64 s[46:47], s[10:11], 3
	s_delay_alu instid0(SALU_CYCLE_1)
	s_add_nc_u64 s[46:47], s[28:29], s[46:47]
	global_load_b64 v[28:29], v1, s[46:47]
	s_wait_loadcnt 0x0
	v_add_co_u32 v28, vcc_lo, v28, s30
	s_wait_alu 0xfffd
	v_add_co_ci_u32_e64 v29, null, s31, v29, vcc_lo
.LBB427_9:                              ;   in Loop: Header=BB427_4 Depth=1
	s_lshl_b64 s[46:47], s[10:11], 3
	s_delay_alu instid0(SALU_CYCLE_1)
	s_add_nc_u64 s[46:47], s[24:25], s[46:47]
	global_load_b64 v[30:31], v1, s[46:47]
	s_wait_loadcnt 0x0
	v_add_co_u32 v43, vcc_lo, v30, s26
	s_wait_alu 0xfffd
	v_add_co_ci_u32_e64 v44, null, s27, v31, vcc_lo
	s_and_not1_b32 vcc_lo, exec_lo, s7
	s_wait_alu 0xfffe
	s_cbranch_vccnz .LBB427_13
; %bb.10:                               ;   in Loop: Header=BB427_4 Depth=1
	s_mov_b32 s7, 0
	s_mov_b32 s8, 0
                                        ; implicit-def: $vgpr30
	s_and_saveexec_b32 s46, s44
	s_cbranch_execz .LBB427_14
; %bb.11:                               ;   in Loop: Header=BB427_4 Depth=1
	s_cmp_eq_f32 s45, 0
	s_cbranch_scc1 .LBB427_16
; %bb.12:                               ;   in Loop: Header=BB427_4 Depth=1
	v_add_co_u32 v30, vcc_lo, v43, v24
	s_wait_alu 0xfffd
	v_add_co_ci_u32_e64 v31, null, v44, v25, vcc_lo
	flat_load_u16 v30, v[30:31]
	s_wait_loadcnt_dscnt 0x0
	v_fma_mixlo_f16 v30, s45, v30, 0 op_sel_hi:[0,1,0]
	s_branch .LBB427_17
.LBB427_13:                             ;   in Loop: Header=BB427_4 Depth=1
	s_mov_b32 s8, 0
                                        ; implicit-def: $vgpr30
	s_cbranch_execz .LBB427_15
	s_branch .LBB427_18
.LBB427_14:                             ;   in Loop: Header=BB427_4 Depth=1
	s_or_b32 exec_lo, exec_lo, s46
	s_wait_alu 0xfffe
	s_and_b32 vcc_lo, exec_lo, s7
	s_wait_alu 0xfffe
	s_cbranch_vccnz .LBB427_18
.LBB427_15:                             ;   in Loop: Header=BB427_4 Depth=1
	v_dual_mov_b32 v27, v3 :: v_dual_mov_b32 v26, v2
	s_wait_alu 0xfffe
	s_and_saveexec_b32 s7, s8
	s_cbranch_execz .LBB427_2
	s_branch .LBB427_55
.LBB427_16:                             ;   in Loop: Header=BB427_4 Depth=1
	v_mov_b32_e32 v30, 0
.LBB427_17:                             ;   in Loop: Header=BB427_4 Depth=1
	s_mov_b32 s8, exec_lo
	s_or_b32 exec_lo, exec_lo, s46
	s_wait_alu 0xfffe
	s_and_b32 vcc_lo, exec_lo, s7
	s_wait_alu 0xfffe
	s_cbranch_vccz .LBB427_15
.LBB427_18:                             ;   in Loop: Header=BB427_4 Depth=1
	v_dual_mov_b32 v45, 0 :: v_dual_mov_b32 v46, 0
	v_dual_mov_b32 v49, v40 :: v_dual_mov_b32 v48, 0
	v_mov_b32_e32 v47, 0
	s_and_saveexec_b32 s46, s4
	s_cbranch_execz .LBB427_30
; %bb.19:                               ;   in Loop: Header=BB427_4 Depth=1
	v_add_co_u32 v50, vcc_lo, v26, v10
	s_wait_alu 0xfffd
	v_add_co_ci_u32_e64 v51, null, v27, v11, vcc_lo
	v_add_co_u32 v52, vcc_lo, v26, v14
	s_wait_alu 0xfffd
	v_add_co_ci_u32_e64 v53, null, v27, v15, vcc_lo
	;; [unrolled: 3-line block ×3, first 2 shown]
	v_add_co_u32 v56, vcc_lo, v26, v22
	v_dual_mov_b32 v31, v29 :: v_dual_mov_b32 v46, 0
	s_wait_alu 0xfffd
	v_add_co_ci_u32_e64 v57, null, v27, v23, vcc_lo
	v_dual_mov_b32 v45, 0 :: v_dual_mov_b32 v30, v28
	v_dual_mov_b32 v49, v40 :: v_dual_mov_b32 v48, 0
	v_mov_b32_e32 v47, 0
	s_mov_b32 s47, 0
	s_branch .LBB427_24
.LBB427_20:                             ;   in Loop: Header=BB427_24 Depth=2
	s_or_b32 exec_lo, exec_lo, s50
	s_wait_loadcnt_dscnt 0x303
	v_fma_mix_f32 v32, v70, v74, v47 op_sel_hi:[0,1,0]
	s_wait_loadcnt_dscnt 0x202
	s_delay_alu instid0(VALU_DEP_1) | instskip(SKIP_1) | instid1(VALU_DEP_1)
	v_fma_mix_f32 v32, v71, v75, v32 op_sel_hi:[0,1,0]
	s_wait_loadcnt_dscnt 0x101
	v_fma_mix_f32 v32, v72, v76, v32 op_sel_hi:[0,1,0]
	s_wait_loadcnt_dscnt 0x0
	s_delay_alu instid0(VALU_DEP_1)
	v_fma_mix_f32 v47, v73, v77, v32 op_sel_hi:[0,1,0]
.LBB427_21:                             ;   in Loop: Header=BB427_24 Depth=2
	s_or_b32 exec_lo, exec_lo, s49
	s_wait_loadcnt_dscnt 0x303
	v_fma_mix_f32 v32, v70, v66, v46 op_sel_hi:[0,1,0]
	s_wait_loadcnt_dscnt 0x202
	s_delay_alu instid0(VALU_DEP_1) | instskip(SKIP_1) | instid1(VALU_DEP_1)
	v_fma_mix_f32 v32, v71, v67, v32 op_sel_hi:[0,1,0]
	s_wait_loadcnt_dscnt 0x101
	v_fma_mix_f32 v32, v72, v68, v32 op_sel_hi:[0,1,0]
	s_wait_loadcnt_dscnt 0x0
	s_delay_alu instid0(VALU_DEP_1)
	v_fma_mix_f32 v46, v73, v69, v32 op_sel_hi:[0,1,0]
.LBB427_22:                             ;   in Loop: Header=BB427_24 Depth=2
	s_or_b32 exec_lo, exec_lo, s48
	s_wait_loadcnt_dscnt 0x303
	v_fma_mix_f32 v32, v58, v62, v45 op_sel_hi:[1,1,0]
	s_wait_loadcnt_dscnt 0x202
	s_delay_alu instid0(VALU_DEP_1) | instskip(SKIP_1) | instid1(VALU_DEP_1)
	v_fma_mix_f32 v32, v59, v63, v32 op_sel_hi:[1,1,0]
	s_wait_loadcnt_dscnt 0x101
	v_fma_mix_f32 v32, v60, v64, v32 op_sel_hi:[1,1,0]
	s_wait_loadcnt_dscnt 0x0
	s_delay_alu instid0(VALU_DEP_1)
	v_fma_mix_f32 v45, v61, v65, v32 op_sel_hi:[1,1,0]
.LBB427_23:                             ;   in Loop: Header=BB427_24 Depth=2
	s_wait_alu 0xfffe
	s_or_b32 exec_lo, exec_lo, s7
	v_add_co_u32 v30, vcc_lo, v30, s38
	s_wait_alu 0xfffd
	v_add_co_ci_u32_e64 v31, null, s39, v31, vcc_lo
	v_add_co_u32 v50, vcc_lo, v50, s40
	v_add_nc_u32_e32 v49, 16, v49
	s_wait_alu 0xfffd
	v_add_co_ci_u32_e64 v51, null, s41, v51, vcc_lo
	v_add_co_u32 v52, vcc_lo, v52, s40
	s_wait_alu 0xfffd
	v_add_co_ci_u32_e64 v53, null, s41, v53, vcc_lo
	v_add_co_u32 v54, vcc_lo, v54, s40
	s_wait_alu 0xfffd
	v_add_co_ci_u32_e64 v55, null, s41, v55, vcc_lo
	v_cmp_le_i32_e32 vcc_lo, s42, v49
	v_add_co_u32 v56, s7, v56, s40
	s_wait_alu 0xf1ff
	v_add_co_ci_u32_e64 v57, null, s41, v57, s7
	s_or_b32 s47, vcc_lo, s47
	s_delay_alu instid0(SALU_CYCLE_1)
	s_and_not1_b32 exec_lo, exec_lo, s47
	s_cbranch_execz .LBB427_29
.LBB427_24:                             ;   Parent Loop BB427_4 Depth=1
                                        ; =>  This Inner Loop Header: Depth=2
	s_and_saveexec_b32 s7, s0
	s_cbranch_execz .LBB427_23
; %bb.25:                               ;   in Loop: Header=BB427_24 Depth=2
	v_add_co_u32 v58, vcc_lo, v30, v6
	s_wait_alu 0xfffd
	v_add_co_ci_u32_e64 v59, null, v31, v7, vcc_lo
	v_add_co_u32 v60, vcc_lo, v30, v20
	s_wait_alu 0xfffd
	v_add_co_ci_u32_e64 v61, null, v31, v21, vcc_lo
	;; [unrolled: 3-line block ×8, first 2 shown]
	s_clause 0x3
	flat_load_u16 v58, v[58:59]
	flat_load_u16 v59, v[60:61]
	flat_load_u16 v60, v[62:63]
	flat_load_u16 v61, v[64:65]
	flat_load_u16 v62, v[32:33]
	flat_load_u16 v63, v[34:35]
	flat_load_u16 v64, v[36:37]
	flat_load_u16 v65, v[38:39]
	s_and_saveexec_b32 s48, s1
	s_cbranch_execz .LBB427_22
; %bb.26:                               ;   in Loop: Header=BB427_24 Depth=2
	flat_load_u16 v66, v[32:33] offset:128
	flat_load_u16 v67, v[34:35] offset:128
	;; [unrolled: 1-line block ×4, first 2 shown]
	s_wait_loadcnt_dscnt 0xb0b
	v_cvt_f32_f16_e32 v70, v58
	s_wait_loadcnt_dscnt 0xa0a
	v_cvt_f32_f16_e32 v71, v59
	;; [unrolled: 2-line block ×4, first 2 shown]
	s_and_saveexec_b32 s49, s2
	s_cbranch_execz .LBB427_21
; %bb.27:                               ;   in Loop: Header=BB427_24 Depth=2
	flat_load_u16 v74, v[32:33] offset:256
	flat_load_u16 v75, v[34:35] offset:256
	;; [unrolled: 1-line block ×4, first 2 shown]
	s_and_saveexec_b32 s50, s3
	s_cbranch_execz .LBB427_20
; %bb.28:                               ;   in Loop: Header=BB427_24 Depth=2
	flat_load_u16 v32, v[32:33] offset:384
	flat_load_u16 v33, v[34:35] offset:384
	;; [unrolled: 1-line block ×4, first 2 shown]
	s_wait_loadcnt_dscnt 0x303
	v_fma_mix_f32 v32, v70, v32, v48 op_sel_hi:[0,1,0]
	s_wait_loadcnt_dscnt 0x202
	s_delay_alu instid0(VALU_DEP_1) | instskip(SKIP_1) | instid1(VALU_DEP_1)
	v_fma_mix_f32 v32, v71, v33, v32 op_sel_hi:[0,1,0]
	s_wait_loadcnt_dscnt 0x101
	v_fma_mix_f32 v32, v72, v34, v32 op_sel_hi:[0,1,0]
	s_wait_loadcnt_dscnt 0x0
	s_delay_alu instid0(VALU_DEP_1)
	v_fma_mix_f32 v48, v73, v35, v32 op_sel_hi:[0,1,0]
	s_branch .LBB427_20
.LBB427_29:                             ;   in Loop: Header=BB427_4 Depth=1
	s_or_b32 exec_lo, exec_lo, s47
.LBB427_30:                             ;   in Loop: Header=BB427_4 Depth=1
	s_delay_alu instid0(SALU_CYCLE_1) | instskip(NEXT) | instid1(SALU_CYCLE_1)
	s_or_b32 exec_lo, exec_lo, s46
	s_and_not1_b32 vcc_lo, exec_lo, s43
	s_wait_alu 0xfffe
	s_cbranch_vccnz .LBB427_48
; %bb.31:                               ;   in Loop: Header=BB427_4 Depth=1
	v_cmp_gt_i32_e32 vcc_lo, s9, v49
	v_dual_mov_b32 v34, 0 :: v_dual_mov_b32 v35, 0
	v_or_b32_e32 v30, 1, v49
	v_dual_mov_b32 v36, 0 :: v_dual_mov_b32 v37, 0
	s_and_saveexec_b32 s46, vcc_lo
	s_cbranch_execz .LBB427_39
; %bb.32:                               ;   in Loop: Header=BB427_4 Depth=1
	v_mad_co_u64_u32 v[31:32], null, s36, v49, 0
	v_dual_mov_b32 v36, 0 :: v_dual_mov_b32 v35, 0
	v_mov_b32_e32 v34, 0
	s_mov_b32 s47, exec_lo
	s_delay_alu instid0(VALU_DEP_3) | instskip(NEXT) | instid1(VALU_DEP_1)
	v_mad_co_u64_u32 v[32:33], null, s37, v49, v[32:33]
	v_lshlrev_b64_e32 v[31:32], 1, v[31:32]
	s_delay_alu instid0(VALU_DEP_1) | instskip(SKIP_1) | instid1(VALU_DEP_2)
	v_add_co_u32 v31, s7, v28, v31
	s_wait_alu 0xf1ff
	v_add_co_ci_u32_e64 v32, null, v29, v32, s7
	flat_load_u16 v31, v[31:32]
	v_cmpx_gt_i32_e64 s9, v30
	s_cbranch_execz .LBB427_38
; %bb.33:                               ;   in Loop: Header=BB427_4 Depth=1
	v_mad_co_u64_u32 v[32:33], null, s36, v30, 0
	v_mov_b32_e32 v35, 0
	s_mov_b32 s48, exec_lo
	s_delay_alu instid0(VALU_DEP_2) | instskip(SKIP_1) | instid1(VALU_DEP_2)
	v_mad_co_u64_u32 v[33:34], null, s37, v30, v[33:34]
	v_mov_b32_e32 v34, 0
	v_lshlrev_b64_e32 v[32:33], 1, v[32:33]
	s_delay_alu instid0(VALU_DEP_1) | instskip(SKIP_1) | instid1(VALU_DEP_2)
	v_add_co_u32 v32, s7, v28, v32
	s_wait_alu 0xf1ff
	v_add_co_ci_u32_e64 v33, null, v29, v33, s7
	flat_load_u16 v32, v[32:33]
	v_or_b32_e32 v33, 2, v49
	s_delay_alu instid0(VALU_DEP_1)
	v_cmpx_gt_i32_e64 s9, v33
	s_cbranch_execz .LBB427_37
; %bb.34:                               ;   in Loop: Header=BB427_4 Depth=1
	v_mad_co_u64_u32 v[34:35], null, s36, v33, 0
	s_mov_b32 s49, exec_lo
	v_mad_co_u64_u32 v[35:36], null, s37, v33, v[35:36]
	s_delay_alu instid0(VALU_DEP_1) | instskip(SKIP_1) | instid1(VALU_DEP_2)
	v_lshlrev_b64_e32 v[33:34], 1, v[34:35]
	v_or_b32_e32 v35, 3, v49
	v_add_co_u32 v33, s7, v28, v33
	s_wait_alu 0xf1ff
	s_delay_alu instid0(VALU_DEP_3)
	v_add_co_ci_u32_e64 v34, null, v29, v34, s7
	flat_load_u16 v33, v[33:34]
	v_mov_b32_e32 v34, 0
	v_cmpx_gt_i32_e64 s9, v35
	s_cbranch_execz .LBB427_36
; %bb.35:                               ;   in Loop: Header=BB427_4 Depth=1
	v_mad_co_u64_u32 v[36:37], null, s36, v35, 0
	s_delay_alu instid0(VALU_DEP_1) | instskip(NEXT) | instid1(VALU_DEP_1)
	v_mov_b32_e32 v34, v37
	v_mad_co_u64_u32 v[34:35], null, s37, v35, v[34:35]
	s_delay_alu instid0(VALU_DEP_1) | instskip(NEXT) | instid1(VALU_DEP_1)
	v_mov_b32_e32 v37, v34
	v_lshlrev_b64_e32 v[34:35], 1, v[36:37]
	s_delay_alu instid0(VALU_DEP_1) | instskip(SKIP_1) | instid1(VALU_DEP_2)
	v_add_co_u32 v28, s7, v28, v34
	s_wait_alu 0xf1ff
	v_add_co_ci_u32_e64 v29, null, v29, v35, s7
	flat_load_u16 v28, v[28:29]
	s_wait_loadcnt_dscnt 0x0
	v_cvt_f32_f16_e32 v34, v28
.LBB427_36:                             ;   in Loop: Header=BB427_4 Depth=1
	s_or_b32 exec_lo, exec_lo, s49
	s_wait_loadcnt_dscnt 0x0
	v_cvt_f32_f16_e32 v35, v33
.LBB427_37:                             ;   in Loop: Header=BB427_4 Depth=1
	s_or_b32 exec_lo, exec_lo, s48
	s_wait_loadcnt_dscnt 0x0
	v_cvt_f32_f16_e32 v36, v32
.LBB427_38:                             ;   in Loop: Header=BB427_4 Depth=1
	s_or_b32 exec_lo, exec_lo, s47
	s_wait_loadcnt_dscnt 0x0
	v_cvt_f32_f16_e32 v37, v31
.LBB427_39:                             ;   in Loop: Header=BB427_4 Depth=1
	s_or_b32 exec_lo, exec_lo, s46
	s_and_saveexec_b32 s46, s0
	s_cbranch_execz .LBB427_47
; %bb.40:                               ;   in Loop: Header=BB427_4 Depth=1
	v_mad_co_u64_u32 v[28:29], null, s34, v49, 0
	v_or_b32_e32 v52, 2, v49
	v_mad_co_u64_u32 v[31:32], null, s34, v30, 0
	v_or_b32_e32 v53, 3, v49
	v_cmp_gt_i32_e64 s7, s9, v30
	s_delay_alu instid0(VALU_DEP_4) | instskip(SKIP_3) | instid1(VALU_DEP_4)
	v_mad_co_u64_u32 v[38:39], null, s34, v52, 0
	v_mad_co_u64_u32 v[49:50], null, s35, v49, v[29:30]
	;; [unrolled: 1-line block ×4, first 2 shown]
	v_mov_b32_e32 v30, v39
	s_delay_alu instid0(VALU_DEP_4)
	v_dual_cndmask_b32 v50, 0, v28 :: v_dual_cndmask_b32 v51, 0, v49
	s_wait_alu 0xf1ff
	v_cndmask_b32_e64 v28, 0, v31, s7
	v_cndmask_b32_e64 v29, 0, v29, s7
	v_mad_co_u64_u32 v[30:31], null, s35, v52, v[30:31]
	v_mov_b32_e32 v31, v33
	v_lshlrev_b64_e32 v[49:50], 1, v[50:51]
	v_cmp_gt_i32_e32 vcc_lo, s9, v52
	v_lshlrev_b64_e32 v[51:52], 1, v[28:29]
	s_wait_alu 0xfffd
	v_cndmask_b32_e32 v39, 0, v30, vcc_lo
	s_delay_alu instid0(VALU_DEP_4)
	v_add_co_u32 v28, s7, v26, v49
	s_wait_alu 0xf1ff
	v_add_co_ci_u32_e64 v29, null, v27, v50, s7
	v_mad_co_u64_u32 v[30:31], null, s35, v53, v[31:32]
	v_cndmask_b32_e32 v38, 0, v38, vcc_lo
	v_add_co_u32 v28, vcc_lo, v28, v8
	s_wait_alu 0xfffd
	v_add_co_ci_u32_e64 v29, null, v29, v9, vcc_lo
	v_cmp_gt_i32_e32 vcc_lo, s9, v53
	v_add_co_u32 v31, s7, v26, v51
	s_wait_alu 0xf1ff
	v_add_co_ci_u32_e64 v49, null, v27, v52, s7
	s_wait_alu 0xfffd
	v_dual_cndmask_b32 v32, 0, v32 :: v_dual_cndmask_b32 v33, 0, v30
	v_lshlrev_b64_e32 v[38:39], 1, v[38:39]
	v_add_co_u32 v30, vcc_lo, v31, v8
	s_wait_alu 0xfffd
	v_add_co_ci_u32_e64 v31, null, v49, v9, vcc_lo
	v_lshlrev_b64_e32 v[32:33], 1, v[32:33]
	s_delay_alu instid0(VALU_DEP_4) | instskip(SKIP_2) | instid1(VALU_DEP_3)
	v_add_co_u32 v38, vcc_lo, v26, v38
	s_wait_alu 0xfffd
	v_add_co_ci_u32_e64 v39, null, v27, v39, vcc_lo
	v_add_co_u32 v32, vcc_lo, v26, v32
	s_wait_alu 0xfffd
	v_add_co_ci_u32_e64 v33, null, v27, v33, vcc_lo
	;; [unrolled: 3-line block ×4, first 2 shown]
	s_clause 0x3
	flat_load_u16 v38, v[28:29]
	flat_load_u16 v39, v[30:31]
	;; [unrolled: 1-line block ×4, first 2 shown]
	s_and_saveexec_b32 s7, s1
	s_cbranch_execz .LBB427_46
; %bb.41:                               ;   in Loop: Header=BB427_4 Depth=1
	s_clause 0x3
	flat_load_u16 v51, v[28:29] offset:128
	flat_load_u16 v52, v[30:31] offset:128
	flat_load_u16 v53, v[26:27] offset:128
	flat_load_u16 v54, v[32:33] offset:128
	s_and_saveexec_b32 s47, s2
	s_cbranch_execz .LBB427_45
; %bb.42:                               ;   in Loop: Header=BB427_4 Depth=1
	s_clause 0x3
	flat_load_u16 v55, v[28:29] offset:256
	flat_load_u16 v56, v[30:31] offset:256
	flat_load_u16 v57, v[26:27] offset:256
	flat_load_u16 v58, v[32:33] offset:256
	;; [unrolled: 8-line block ×3, first 2 shown]
	s_wait_loadcnt_dscnt 0x303
	v_fma_mix_f32 v28, v37, v28, v48 op_sel_hi:[0,1,0]
	s_wait_loadcnt_dscnt 0x202
	s_delay_alu instid0(VALU_DEP_1) | instskip(SKIP_1) | instid1(VALU_DEP_1)
	v_fma_mix_f32 v28, v36, v29, v28 op_sel_hi:[0,1,0]
	s_wait_loadcnt_dscnt 0x101
	v_fma_mix_f32 v26, v35, v26, v28 op_sel_hi:[0,1,0]
	s_wait_loadcnt_dscnt 0x0
	s_delay_alu instid0(VALU_DEP_1)
	v_fma_mix_f32 v48, v34, v27, v26 op_sel_hi:[0,1,0]
.LBB427_44:                             ;   in Loop: Header=BB427_4 Depth=1
	s_or_b32 exec_lo, exec_lo, s48
	s_wait_loadcnt_dscnt 0x303
	v_fma_mix_f32 v26, v37, v55, v47 op_sel_hi:[0,1,0]
	s_wait_loadcnt_dscnt 0x202
	s_delay_alu instid0(VALU_DEP_1) | instskip(SKIP_1) | instid1(VALU_DEP_1)
	v_fma_mix_f32 v26, v36, v56, v26 op_sel_hi:[0,1,0]
	s_wait_loadcnt_dscnt 0x101
	v_fma_mix_f32 v26, v35, v57, v26 op_sel_hi:[0,1,0]
	s_wait_loadcnt_dscnt 0x0
	s_delay_alu instid0(VALU_DEP_1)
	v_fma_mix_f32 v47, v34, v58, v26 op_sel_hi:[0,1,0]
.LBB427_45:                             ;   in Loop: Header=BB427_4 Depth=1
	s_or_b32 exec_lo, exec_lo, s47
	s_wait_loadcnt_dscnt 0x303
	v_fma_mix_f32 v26, v37, v51, v46 op_sel_hi:[0,1,0]
	s_wait_loadcnt_dscnt 0x202
	s_delay_alu instid0(VALU_DEP_1) | instskip(SKIP_1) | instid1(VALU_DEP_1)
	v_fma_mix_f32 v26, v36, v52, v26 op_sel_hi:[0,1,0]
	s_wait_loadcnt_dscnt 0x101
	v_fma_mix_f32 v26, v35, v53, v26 op_sel_hi:[0,1,0]
	s_wait_loadcnt_dscnt 0x0
	s_delay_alu instid0(VALU_DEP_1)
	v_fma_mix_f32 v46, v34, v54, v26 op_sel_hi:[0,1,0]
.LBB427_46:                             ;   in Loop: Header=BB427_4 Depth=1
	s_wait_alu 0xfffe
	s_or_b32 exec_lo, exec_lo, s7
	s_wait_loadcnt_dscnt 0x303
	v_fma_mix_f32 v26, v37, v38, v45 op_sel_hi:[0,1,0]
	s_wait_loadcnt_dscnt 0x202
	s_delay_alu instid0(VALU_DEP_1) | instskip(SKIP_1) | instid1(VALU_DEP_1)
	v_fma_mix_f32 v26, v36, v39, v26 op_sel_hi:[0,1,0]
	s_wait_loadcnt_dscnt 0x101
	v_fma_mix_f32 v26, v35, v49, v26 op_sel_hi:[0,1,0]
	s_wait_loadcnt_dscnt 0x0
	s_delay_alu instid0(VALU_DEP_1)
	v_fma_mix_f32 v45, v34, v50, v26 op_sel_hi:[0,1,0]
.LBB427_47:                             ;   in Loop: Header=BB427_4 Depth=1
	s_or_b32 exec_lo, exec_lo, s46
.LBB427_48:                             ;   in Loop: Header=BB427_4 Depth=1
	ds_store_2addr_stride64_b32 v0, v45, v46 offset1:1
	ds_store_2addr_stride64_b32 v0, v47, v48 offset0:2 offset1:3
	s_wait_dscnt 0x0
	s_barrier_signal -1
	s_barrier_wait -1
	global_inv scope:SCOPE_SE
                                        ; implicit-def: $vgpr30
	s_and_saveexec_b32 s7, s5
	s_cbranch_execz .LBB427_54
; %bb.49:                               ;   in Loop: Header=BB427_4 Depth=1
	ds_load_2addr_stride64_b32 v[26:27], v41 offset1:4
	ds_load_2addr_stride64_b32 v[28:29], v41 offset0:8 offset1:12
	s_mov_b32 s47, s8
                                        ; implicit-def: $vgpr30
	s_wait_dscnt 0x1
	v_add_f32_e32 v26, v26, v27
	s_wait_dscnt 0x0
	s_delay_alu instid0(VALU_DEP_1) | instskip(NEXT) | instid1(VALU_DEP_1)
	v_add_f32_e32 v26, v28, v26
	v_add_f32_e32 v26, v29, v26
	ds_store_b32 v41, v26
	s_and_saveexec_b32 s46, s6
	s_cbranch_execz .LBB427_53
; %bb.50:                               ;   in Loop: Header=BB427_4 Depth=1
	v_mul_f32_e32 v26, v42, v26
	s_cmp_eq_f32 s45, 0
	s_cbranch_scc1 .LBB427_52
; %bb.51:                               ;   in Loop: Header=BB427_4 Depth=1
	v_lshlrev_b64_e32 v[27:28], 1, v[4:5]
	s_delay_alu instid0(VALU_DEP_1) | instskip(SKIP_1) | instid1(VALU_DEP_2)
	v_add_co_u32 v27, vcc_lo, v43, v27
	s_wait_alu 0xfffd
	v_add_co_ci_u32_e64 v28, null, v44, v28, vcc_lo
	flat_load_u16 v27, v[27:28]
	s_wait_loadcnt_dscnt 0x0
	v_fma_mix_f32 v26, s45, v27, v26 op_sel_hi:[0,1,0]
.LBB427_52:                             ;   in Loop: Header=BB427_4 Depth=1
	s_delay_alu instid0(VALU_DEP_1)
	v_cvt_f16_f32_e32 v30, v26
	s_or_b32 s47, s8, exec_lo
.LBB427_53:                             ;   in Loop: Header=BB427_4 Depth=1
	s_or_b32 exec_lo, exec_lo, s46
	s_delay_alu instid0(SALU_CYCLE_1)
	s_and_not1_b32 s8, s8, exec_lo
	s_and_b32 s45, s47, exec_lo
	s_wait_alu 0xfffe
	s_or_b32 s8, s8, s45
.LBB427_54:                             ;   in Loop: Header=BB427_4 Depth=1
	s_wait_alu 0xfffe
	s_or_b32 exec_lo, exec_lo, s7
	v_dual_mov_b32 v27, v5 :: v_dual_mov_b32 v26, v4
	s_and_saveexec_b32 s7, s8
	s_cbranch_execz .LBB427_2
.LBB427_55:                             ;   in Loop: Header=BB427_4 Depth=1
	s_delay_alu instid0(VALU_DEP_1) | instskip(NEXT) | instid1(VALU_DEP_1)
	v_lshlrev_b64_e32 v[26:27], 1, v[26:27]
	v_add_co_u32 v26, vcc_lo, v43, v26
	s_wait_alu 0xfffd
	s_delay_alu instid0(VALU_DEP_2)
	v_add_co_ci_u32_e64 v27, null, v44, v27, vcc_lo
	flat_store_b16 v[26:27], v30
	s_branch .LBB427_2
.LBB427_56:
	s_endpgm
	.section	.rodata,"a",@progbits
	.p2align	6, 0x0
	.amdhsa_kernel _ZL20rocblas_gemvn_kernelILi64ELi4ElPKDF16_PKfKPDF16_EviiT3_lPKT2_lT1_lS9_lSA_lS6_lPT4_lSA_li
		.amdhsa_group_segment_fixed_size 4096
		.amdhsa_private_segment_fixed_size 0
		.amdhsa_kernarg_size 400
		.amdhsa_user_sgpr_count 2
		.amdhsa_user_sgpr_dispatch_ptr 0
		.amdhsa_user_sgpr_queue_ptr 0
		.amdhsa_user_sgpr_kernarg_segment_ptr 1
		.amdhsa_user_sgpr_dispatch_id 0
		.amdhsa_user_sgpr_private_segment_size 0
		.amdhsa_wavefront_size32 1
		.amdhsa_uses_dynamic_stack 0
		.amdhsa_enable_private_segment 0
		.amdhsa_system_sgpr_workgroup_id_x 1
		.amdhsa_system_sgpr_workgroup_id_y 0
		.amdhsa_system_sgpr_workgroup_id_z 1
		.amdhsa_system_sgpr_workgroup_info 0
		.amdhsa_system_vgpr_workitem_id 1
		.amdhsa_next_free_vgpr 78
		.amdhsa_next_free_sgpr 51
		.amdhsa_reserve_vcc 1
		.amdhsa_float_round_mode_32 0
		.amdhsa_float_round_mode_16_64 0
		.amdhsa_float_denorm_mode_32 3
		.amdhsa_float_denorm_mode_16_64 3
		.amdhsa_fp16_overflow 0
		.amdhsa_workgroup_processor_mode 1
		.amdhsa_memory_ordered 1
		.amdhsa_forward_progress 1
		.amdhsa_inst_pref_size 30
		.amdhsa_round_robin_scheduling 0
		.amdhsa_exception_fp_ieee_invalid_op 0
		.amdhsa_exception_fp_denorm_src 0
		.amdhsa_exception_fp_ieee_div_zero 0
		.amdhsa_exception_fp_ieee_overflow 0
		.amdhsa_exception_fp_ieee_underflow 0
		.amdhsa_exception_fp_ieee_inexact 0
		.amdhsa_exception_int_div_zero 0
	.end_amdhsa_kernel
	.section	.text._ZL20rocblas_gemvn_kernelILi64ELi4ElPKDF16_PKfKPDF16_EviiT3_lPKT2_lT1_lS9_lSA_lS6_lPT4_lSA_li,"axG",@progbits,_ZL20rocblas_gemvn_kernelILi64ELi4ElPKDF16_PKfKPDF16_EviiT3_lPKT2_lT1_lS9_lSA_lS6_lPT4_lSA_li,comdat
.Lfunc_end427:
	.size	_ZL20rocblas_gemvn_kernelILi64ELi4ElPKDF16_PKfKPDF16_EviiT3_lPKT2_lT1_lS9_lSA_lS6_lPT4_lSA_li, .Lfunc_end427-_ZL20rocblas_gemvn_kernelILi64ELi4ElPKDF16_PKfKPDF16_EviiT3_lPKT2_lT1_lS9_lSA_lS6_lPT4_lSA_li
                                        ; -- End function
	.set _ZL20rocblas_gemvn_kernelILi64ELi4ElPKDF16_PKfKPDF16_EviiT3_lPKT2_lT1_lS9_lSA_lS6_lPT4_lSA_li.num_vgpr, 78
	.set _ZL20rocblas_gemvn_kernelILi64ELi4ElPKDF16_PKfKPDF16_EviiT3_lPKT2_lT1_lS9_lSA_lS6_lPT4_lSA_li.num_agpr, 0
	.set _ZL20rocblas_gemvn_kernelILi64ELi4ElPKDF16_PKfKPDF16_EviiT3_lPKT2_lT1_lS9_lSA_lS6_lPT4_lSA_li.numbered_sgpr, 51
	.set _ZL20rocblas_gemvn_kernelILi64ELi4ElPKDF16_PKfKPDF16_EviiT3_lPKT2_lT1_lS9_lSA_lS6_lPT4_lSA_li.num_named_barrier, 0
	.set _ZL20rocblas_gemvn_kernelILi64ELi4ElPKDF16_PKfKPDF16_EviiT3_lPKT2_lT1_lS9_lSA_lS6_lPT4_lSA_li.private_seg_size, 0
	.set _ZL20rocblas_gemvn_kernelILi64ELi4ElPKDF16_PKfKPDF16_EviiT3_lPKT2_lT1_lS9_lSA_lS6_lPT4_lSA_li.uses_vcc, 1
	.set _ZL20rocblas_gemvn_kernelILi64ELi4ElPKDF16_PKfKPDF16_EviiT3_lPKT2_lT1_lS9_lSA_lS6_lPT4_lSA_li.uses_flat_scratch, 1
	.set _ZL20rocblas_gemvn_kernelILi64ELi4ElPKDF16_PKfKPDF16_EviiT3_lPKT2_lT1_lS9_lSA_lS6_lPT4_lSA_li.has_dyn_sized_stack, 0
	.set _ZL20rocblas_gemvn_kernelILi64ELi4ElPKDF16_PKfKPDF16_EviiT3_lPKT2_lT1_lS9_lSA_lS6_lPT4_lSA_li.has_recursion, 0
	.set _ZL20rocblas_gemvn_kernelILi64ELi4ElPKDF16_PKfKPDF16_EviiT3_lPKT2_lT1_lS9_lSA_lS6_lPT4_lSA_li.has_indirect_call, 0
	.section	.AMDGPU.csdata,"",@progbits
; Kernel info:
; codeLenInByte = 3724
; TotalNumSgprs: 53
; NumVgprs: 78
; ScratchSize: 0
; MemoryBound: 0
; FloatMode: 240
; IeeeMode: 1
; LDSByteSize: 4096 bytes/workgroup (compile time only)
; SGPRBlocks: 0
; VGPRBlocks: 9
; NumSGPRsForWavesPerEU: 53
; NumVGPRsForWavesPerEU: 78
; Occupancy: 16
; WaveLimiterHint : 1
; COMPUTE_PGM_RSRC2:SCRATCH_EN: 0
; COMPUTE_PGM_RSRC2:USER_SGPR: 2
; COMPUTE_PGM_RSRC2:TRAP_HANDLER: 0
; COMPUTE_PGM_RSRC2:TGID_X_EN: 1
; COMPUTE_PGM_RSRC2:TGID_Y_EN: 0
; COMPUTE_PGM_RSRC2:TGID_Z_EN: 1
; COMPUTE_PGM_RSRC2:TIDIG_COMP_CNT: 1
	.section	.text._ZL20rocblas_gemvn_kernelILi64ELi4EiPKDF16_fKPDF16_EviiT3_lPKT2_lT1_lS7_lS8_lS4_lPT4_lS8_li,"axG",@progbits,_ZL20rocblas_gemvn_kernelILi64ELi4EiPKDF16_fKPDF16_EviiT3_lPKT2_lT1_lS7_lS8_lS4_lPT4_lS8_li,comdat
	.globl	_ZL20rocblas_gemvn_kernelILi64ELi4EiPKDF16_fKPDF16_EviiT3_lPKT2_lT1_lS7_lS8_lS4_lPT4_lS8_li ; -- Begin function _ZL20rocblas_gemvn_kernelILi64ELi4EiPKDF16_fKPDF16_EviiT3_lPKT2_lT1_lS7_lS8_lS4_lPT4_lS8_li
	.p2align	8
	.type	_ZL20rocblas_gemvn_kernelILi64ELi4EiPKDF16_fKPDF16_EviiT3_lPKT2_lT1_lS7_lS8_lS4_lPT4_lS8_li,@function
_ZL20rocblas_gemvn_kernelILi64ELi4EiPKDF16_fKPDF16_EviiT3_lPKT2_lT1_lS7_lS8_lS4_lPT4_lS8_li: ; @_ZL20rocblas_gemvn_kernelILi64ELi4EiPKDF16_fKPDF16_EviiT3_lPKT2_lT1_lS7_lS8_lS4_lPT4_lS8_li
; %bb.0:
	s_clause 0x1
	s_load_b64 s[2:3], s[0:1], 0x9c
	s_load_b32 s23, s[0:1], 0x88
	s_lshr_b32 s24, ttmp7, 16
	s_wait_kmcnt 0x0
	s_lshr_b32 s4, s2, 16
	s_and_b32 s2, s2, 0xffff
	s_and_b32 s3, s3, 0xffff
	s_mul_i32 s2, s4, s2
	s_delay_alu instid0(SALU_CYCLE_1) | instskip(NEXT) | instid1(SALU_CYCLE_1)
	s_mul_i32 s2, s2, s3
	s_cmp_lg_u32 s2, 0x100
	s_cselect_b32 s2, -1, 0
	s_cmp_ge_u32 s24, s23
	s_cselect_b32 s3, -1, 0
	s_delay_alu instid0(SALU_CYCLE_1) | instskip(NEXT) | instid1(SALU_CYCLE_1)
	s_or_b32 s2, s2, s3
	s_and_b32 vcc_lo, exec_lo, s2
	s_cbranch_vccnz .LBB428_59
; %bb.1:
	s_clause 0x7
	s_load_b32 s4, s[0:1], 0x78
	s_load_b96 s[20:22], s[0:1], 0x0
	s_load_b32 s27, s[0:1], 0x58
	s_load_b32 s28, s[0:1], 0x28
	s_load_b128 s[8:11], s[0:1], 0x38
	s_load_b32 s26, s[0:1], 0x48
	s_load_b128 s[12:15], s[0:1], 0x68
	s_load_b128 s[16:19], s[0:1], 0x18
	v_and_b32_e32 v9, 0x3ff, v0
	v_bfe_u32 v8, v0, 10, 10
	v_mov_b32_e32 v1, 0
	s_mov_b32 s25, 0
	s_delay_alu instid0(VALU_DEP_3) | instskip(NEXT) | instid1(VALU_DEP_3)
	v_lshlrev_b32_e32 v0, 2, v9
	v_lshl_add_u32 v2, v8, 6, v9
	v_lshlrev_b32_e32 v23, 2, v8
	s_delay_alu instid0(VALU_DEP_3)
	v_lshl_add_u32 v24, v8, 10, v0
	v_lshl_add_u32 v25, v8, 8, v0
	s_wait_kmcnt 0x0
	s_ashr_i32 s5, s4, 31
	s_cmp_eq_f32 s22, 0
	s_mov_b32 s2, s20
	v_cmp_gt_u32_e64 s0, 0x100, v2
	v_mul_lo_u32 v10, s28, v23
	s_cselect_b32 s29, -1, 0
	s_cmp_neq_f32 s27, 1.0
	v_or_b32_e32 v12, 3, v23
	v_mul_lo_u32 v13, v8, s26
	s_cselect_b32 s1, -1, 0
	s_cmp_neq_f32 s22, 0
	s_delay_alu instid0(VALU_DEP_2)
	v_mul_lo_u32 v30, s26, v12
	s_cselect_b32 s6, -1, 0
	s_lshl_b32 s30, ttmp9, 8
	s_ashr_i32 s3, s20, 31
	v_add_nc_u32_e32 v0, s30, v2
	v_or_b32_e32 v4, s30, v2
	v_or_b32_e32 v27, s30, v9
	s_or_b32 s31, s6, s1
	s_cmp_neq_f32 s27, 0
	v_cmp_gt_i64_e32 vcc_lo, s[2:3], v[0:1]
	v_mad_co_u64_u32 v[2:3], null, s4, v0, 0
	v_cmp_gt_i32_e64 s2, s20, v4
	v_mul_lo_u32 v4, s4, v4
	v_add_nc_u32_e32 v6, 0x80, v27
	v_add_nc_u32_e32 v11, 0xc0, v27
	s_cselect_b32 s33, -1, 0
	s_ashr_i32 s3, s21, 31
	v_cndmask_b32_e64 v26, 0, 1, s6
	v_cmp_gt_i32_e64 s4, s20, v6
	s_wait_alu 0xfffe
	s_lshr_b32 s3, s3, 28
	v_mad_co_u64_u32 v[6:7], null, s5, v0, v[3:4]
	v_cmp_gt_i32_e64 s5, s20, v11
	v_mul_lo_u32 v11, v8, s28
	v_add3_u32 v0, v10, s28, v9
	v_or_b32_e32 v10, 2, v23
	v_add_nc_u32_e32 v5, 64, v27
	s_wait_alu 0xfffe
	s_add_co_i32 s6, s21, s3
	v_mov_b32_e32 v3, v6
	s_wait_alu 0xfffe
	s_and_b32 s34, s6, -16
	v_mad_co_u64_u32 v[6:7], null, s28, v10, v[9:10]
	v_mad_co_u64_u32 v[7:8], null, s28, v12, v[9:10]
	v_lshl_add_u32 v28, v11, 2, v9
	v_mad_co_u64_u32 v[8:9], null, s26, v23, s[26:27]
	v_mul_lo_u32 v29, s26, v10
	s_sub_co_i32 s7, s21, s34
	v_lshlrev_b64_e32 v[9:10], 1, v[2:3]
	v_cmp_gt_i32_e64 s1, s20, v27
	v_cmp_gt_i32_e64 s3, s20, v5
	;; [unrolled: 1-line block ×3, first 2 shown]
	v_ashrrev_i32_e32 v5, 31, v4
	v_lshlrev_b32_e32 v31, 2, v13
	s_wait_alu 0xfffe
	s_cmp_gt_i32 s7, 0
	s_cselect_b32 s20, -1, 0
	s_and_b32 s35, s0, vcc_lo
	s_lshl_b32 s36, s28, 4
	s_lshl_b32 s37, s26, 4
	s_lshl_b64 s[18:19], s[18:19], 1
	s_lshl_b64 s[10:11], s[10:11], 1
	s_lshl_b64 s[14:15], s[14:15], 1
	s_branch .LBB428_4
.LBB428_2:                              ;   in Loop: Header=BB428_4 Depth=1
	s_wait_alu 0xfffe
	s_or_b32 exec_lo, exec_lo, s7
.LBB428_3:                              ;   in Loop: Header=BB428_4 Depth=1
	s_add_co_i32 s24, s24, 0x10000
	s_delay_alu instid0(SALU_CYCLE_1)
	s_cmp_lt_u32 s24, s23
	s_cbranch_scc0 .LBB428_59
.LBB428_4:                              ; =>This Loop Header: Depth=1
                                        ;     Child Loop BB428_27 Depth 2
	s_and_not1_b32 vcc_lo, exec_lo, s31
	s_wait_alu 0xfffe
	s_cbranch_vccnz .LBB428_3
; %bb.5:                                ;   in Loop: Header=BB428_4 Depth=1
	s_and_not1_b32 vcc_lo, exec_lo, s29
	s_wait_alu 0xfffe
	s_cbranch_vccnz .LBB428_7
; %bb.6:                                ;   in Loop: Header=BB428_4 Depth=1
	s_mov_b32 s7, 0
	s_branch .LBB428_8
.LBB428_7:                              ;   in Loop: Header=BB428_4 Depth=1
	s_mov_b32 s7, -1
.LBB428_8:                              ;   in Loop: Header=BB428_4 Depth=1
	v_mov_b32_e32 v13, 0
	v_dual_mov_b32 v14, 0 :: v_dual_mov_b32 v11, 0
	v_mov_b32_e32 v12, 0
	s_wait_alu 0xfffe
	s_and_not1_b32 vcc_lo, exec_lo, s7
	s_wait_alu 0xfffe
	s_cbranch_vccnz .LBB428_10
; %bb.9:                                ;   in Loop: Header=BB428_4 Depth=1
	s_lshl_b64 s[38:39], s[24:25], 3
	s_delay_alu instid0(SALU_CYCLE_1)
	s_add_nc_u64 s[38:39], s[16:17], s[38:39]
	global_load_b64 v[11:12], v1, s[38:39]
	s_wait_loadcnt 0x0
	v_add_co_u32 v11, vcc_lo, v11, s18
	s_wait_alu 0xfffd
	v_add_co_ci_u32_e64 v12, null, s19, v12, vcc_lo
.LBB428_10:                             ;   in Loop: Header=BB428_4 Depth=1
	v_cmp_ne_u32_e32 vcc_lo, 1, v26
	s_cbranch_vccnz .LBB428_12
; %bb.11:                               ;   in Loop: Header=BB428_4 Depth=1
	s_lshl_b64 s[38:39], s[24:25], 3
	s_delay_alu instid0(SALU_CYCLE_1)
	s_add_nc_u64 s[38:39], s[8:9], s[38:39]
	global_load_b64 v[13:14], v1, s[38:39]
	s_wait_loadcnt 0x0
	v_add_co_u32 v13, vcc_lo, v13, s10
	s_wait_alu 0xfffd
	v_add_co_ci_u32_e64 v14, null, s11, v14, vcc_lo
.LBB428_12:                             ;   in Loop: Header=BB428_4 Depth=1
	s_lshl_b64 s[38:39], s[24:25], 3
	s_delay_alu instid0(SALU_CYCLE_1)
	s_add_nc_u64 s[38:39], s[12:13], s[38:39]
	global_load_b64 v[15:16], v1, s[38:39]
	s_wait_loadcnt 0x0
	v_add_co_u32 v32, vcc_lo, v15, s14
	s_wait_alu 0xfffd
	v_add_co_ci_u32_e64 v33, null, s15, v16, vcc_lo
	s_and_not1_b32 vcc_lo, exec_lo, s29
	s_wait_alu 0xfffe
	s_cbranch_vccnz .LBB428_16
; %bb.13:                               ;   in Loop: Header=BB428_4 Depth=1
	s_mov_b32 s7, 0
	s_mov_b32 s38, 0
                                        ; implicit-def: $vgpr15
	s_and_saveexec_b32 s39, s35
	s_cbranch_execz .LBB428_17
; %bb.14:                               ;   in Loop: Header=BB428_4 Depth=1
	s_and_not1_b32 vcc_lo, exec_lo, s33
	s_wait_alu 0xfffe
	s_cbranch_vccnz .LBB428_19
; %bb.15:                               ;   in Loop: Header=BB428_4 Depth=1
	v_add_co_u32 v15, vcc_lo, v32, v9
	s_wait_alu 0xfffd
	v_add_co_ci_u32_e64 v16, null, v33, v10, vcc_lo
	flat_load_u16 v15, v[15:16]
	s_wait_loadcnt_dscnt 0x0
	v_fma_mixlo_f16 v15, s27, v15, 0 op_sel_hi:[0,1,0]
	s_branch .LBB428_20
.LBB428_16:                             ;   in Loop: Header=BB428_4 Depth=1
	s_mov_b32 s38, 0
                                        ; implicit-def: $vgpr15
	s_cbranch_execz .LBB428_18
	s_branch .LBB428_21
.LBB428_17:                             ;   in Loop: Header=BB428_4 Depth=1
	s_or_b32 exec_lo, exec_lo, s39
	s_wait_alu 0xfffe
	s_and_b32 vcc_lo, exec_lo, s7
	s_wait_alu 0xfffe
	s_cbranch_vccnz .LBB428_21
.LBB428_18:                             ;   in Loop: Header=BB428_4 Depth=1
	v_dual_mov_b32 v12, v3 :: v_dual_mov_b32 v11, v2
	s_and_saveexec_b32 s7, s38
	s_cbranch_execz .LBB428_2
	s_branch .LBB428_58
.LBB428_19:                             ;   in Loop: Header=BB428_4 Depth=1
	v_mov_b32_e32 v15, 0
.LBB428_20:                             ;   in Loop: Header=BB428_4 Depth=1
	s_mov_b32 s38, exec_lo
	s_or_b32 exec_lo, exec_lo, s39
	s_delay_alu instid0(SALU_CYCLE_1)
	s_and_b32 vcc_lo, exec_lo, s7
	s_wait_alu 0xfffe
	s_cbranch_vccz .LBB428_18
.LBB428_21:                             ;   in Loop: Header=BB428_4 Depth=1
	v_dual_mov_b32 v34, 0 :: v_dual_mov_b32 v35, 0
	v_dual_mov_b32 v38, v23 :: v_dual_mov_b32 v37, 0
	v_mov_b32_e32 v36, 0
	s_and_saveexec_b32 s7, s6
	s_cbranch_execz .LBB428_33
; %bb.22:                               ;   in Loop: Header=BB428_4 Depth=1
	v_dual_mov_b32 v34, 0 :: v_dual_mov_b32 v39, v28
	v_dual_mov_b32 v40, v7 :: v_dual_mov_b32 v41, v6
	;; [unrolled: 1-line block ×4, first 2 shown]
	v_mov_b32_e32 v36, 0
	s_mov_b32 s39, 0
	s_mov_b32 s40, 0
	s_branch .LBB428_27
.LBB428_23:                             ;   in Loop: Header=BB428_27 Depth=2
	s_or_b32 exec_lo, exec_lo, s44
	s_wait_loadcnt_dscnt 0x303
	v_fma_mix_f32 v15, v55, v59, v36 op_sel_hi:[0,1,0]
	s_wait_loadcnt_dscnt 0x202
	s_delay_alu instid0(VALU_DEP_1) | instskip(SKIP_1) | instid1(VALU_DEP_1)
	v_fma_mix_f32 v15, v56, v60, v15 op_sel_hi:[0,1,0]
	s_wait_loadcnt_dscnt 0x101
	v_fma_mix_f32 v15, v57, v61, v15 op_sel_hi:[0,1,0]
	s_wait_loadcnt_dscnt 0x0
	s_delay_alu instid0(VALU_DEP_1)
	v_fma_mix_f32 v36, v58, v62, v15 op_sel_hi:[0,1,0]
.LBB428_24:                             ;   in Loop: Header=BB428_27 Depth=2
	s_or_b32 exec_lo, exec_lo, s43
	s_wait_loadcnt_dscnt 0x303
	v_fma_mix_f32 v15, v55, v51, v35 op_sel_hi:[0,1,0]
	s_wait_loadcnt_dscnt 0x202
	s_delay_alu instid0(VALU_DEP_1) | instskip(SKIP_1) | instid1(VALU_DEP_1)
	v_fma_mix_f32 v15, v56, v52, v15 op_sel_hi:[0,1,0]
	s_wait_loadcnt_dscnt 0x101
	v_fma_mix_f32 v15, v57, v53, v15 op_sel_hi:[0,1,0]
	s_wait_loadcnt_dscnt 0x0
	s_delay_alu instid0(VALU_DEP_1)
	v_fma_mix_f32 v35, v58, v54, v15 op_sel_hi:[0,1,0]
.LBB428_25:                             ;   in Loop: Header=BB428_27 Depth=2
	s_or_b32 exec_lo, exec_lo, s42
	s_wait_loadcnt_dscnt 0x303
	v_fma_mix_f32 v15, v43, v47, v34 op_sel_hi:[1,1,0]
	s_wait_loadcnt_dscnt 0x202
	s_delay_alu instid0(VALU_DEP_1) | instskip(SKIP_1) | instid1(VALU_DEP_1)
	v_fma_mix_f32 v15, v44, v48, v15 op_sel_hi:[1,1,0]
	s_wait_loadcnt_dscnt 0x101
	v_fma_mix_f32 v15, v45, v49, v15 op_sel_hi:[1,1,0]
	s_wait_loadcnt_dscnt 0x0
	s_delay_alu instid0(VALU_DEP_1)
	v_fma_mix_f32 v34, v46, v50, v15 op_sel_hi:[1,1,0]
.LBB428_26:                             ;   in Loop: Header=BB428_27 Depth=2
	s_wait_alu 0xfffe
	s_or_b32 exec_lo, exec_lo, s41
	v_add_nc_u32_e32 v38, 16, v38
	v_add_nc_u32_e32 v42, s36, v42
	;; [unrolled: 1-line block ×5, first 2 shown]
	v_cmp_le_i32_e32 vcc_lo, s34, v38
	s_add_co_i32 s40, s40, s37
	s_or_b32 s39, vcc_lo, s39
	s_delay_alu instid0(SALU_CYCLE_1)
	s_and_not1_b32 exec_lo, exec_lo, s39
	s_cbranch_execz .LBB428_32
.LBB428_27:                             ;   Parent Loop BB428_4 Depth=1
                                        ; =>  This Inner Loop Header: Depth=2
	s_and_saveexec_b32 s41, s1
	s_cbranch_execz .LBB428_26
; %bb.28:                               ;   in Loop: Header=BB428_27 Depth=2
	s_wait_alu 0xfffe
	v_add_nc_u32_e32 v15, s40, v31
	v_add_nc_u32_e32 v17, s40, v8
	;; [unrolled: 1-line block ×5, first 2 shown]
	v_ashrrev_i32_e32 v16, 31, v15
	v_ashrrev_i32_e32 v18, 31, v17
	;; [unrolled: 1-line block ×5, first 2 shown]
	v_lshlrev_b64_e32 v[15:16], 1, v[15:16]
	v_lshlrev_b64_e32 v[17:18], 1, v[17:18]
	;; [unrolled: 1-line block ×3, first 2 shown]
	s_delay_alu instid0(VALU_DEP_3) | instskip(SKIP_1) | instid1(VALU_DEP_4)
	v_add_co_u32 v45, vcc_lo, v13, v15
	s_wait_alu 0xfffd
	v_add_co_ci_u32_e64 v46, null, v14, v16, vcc_lo
	s_delay_alu instid0(VALU_DEP_4)
	v_add_co_u32 v47, vcc_lo, v13, v17
	v_add_nc_u32_e32 v17, s30, v42
	s_wait_alu 0xfffd
	v_add_co_ci_u32_e64 v48, null, v14, v18, vcc_lo
	v_lshlrev_b64_e32 v[15:16], 1, v[21:22]
	v_add_co_u32 v49, vcc_lo, v13, v19
	v_add_nc_u32_e32 v21, s30, v41
	s_wait_alu 0xfffd
	v_add_co_ci_u32_e64 v50, null, v14, v20, vcc_lo
	v_lshlrev_b64_e32 v[19:20], 1, v[43:44]
	v_add_nc_u32_e32 v43, s30, v40
	v_ashrrev_i32_e32 v18, 31, v17
	v_ashrrev_i32_e32 v22, 31, v21
	v_add_co_u32 v51, vcc_lo, v13, v15
	s_delay_alu instid0(VALU_DEP_4)
	v_ashrrev_i32_e32 v44, 31, v43
	s_wait_alu 0xfffd
	v_add_co_ci_u32_e64 v52, null, v14, v16, vcc_lo
	v_lshlrev_b64_e32 v[17:18], 1, v[17:18]
	v_add_co_u32 v15, vcc_lo, v11, v19
	s_wait_alu 0xfffd
	v_add_co_ci_u32_e64 v16, null, v12, v20, vcc_lo
	v_lshlrev_b64_e32 v[19:20], 1, v[21:22]
	v_lshlrev_b64_e32 v[21:22], 1, v[43:44]
	v_add_co_u32 v17, vcc_lo, v11, v17
	s_wait_alu 0xfffd
	v_add_co_ci_u32_e64 v18, null, v12, v18, vcc_lo
	s_delay_alu instid0(VALU_DEP_4)
	v_add_co_u32 v19, vcc_lo, v11, v19
	s_wait_alu 0xfffd
	v_add_co_ci_u32_e64 v20, null, v12, v20, vcc_lo
	v_add_co_u32 v21, vcc_lo, v11, v21
	s_wait_alu 0xfffd
	v_add_co_ci_u32_e64 v22, null, v12, v22, vcc_lo
	s_clause 0x3
	flat_load_u16 v43, v[45:46]
	flat_load_u16 v44, v[47:48]
	;; [unrolled: 1-line block ×4, first 2 shown]
	s_clause 0x3
	flat_load_u16 v47, v[15:16]
	flat_load_u16 v48, v[17:18]
	flat_load_u16 v49, v[19:20]
	flat_load_u16 v50, v[21:22]
	s_and_saveexec_b32 s42, s3
	s_cbranch_execz .LBB428_25
; %bb.29:                               ;   in Loop: Header=BB428_27 Depth=2
	s_clause 0x3
	flat_load_u16 v51, v[15:16] offset:128
	flat_load_u16 v52, v[17:18] offset:128
	flat_load_u16 v53, v[19:20] offset:128
	flat_load_u16 v54, v[21:22] offset:128
	s_wait_loadcnt_dscnt 0xb0b
	v_cvt_f32_f16_e32 v55, v43
	s_wait_loadcnt_dscnt 0xa0a
	v_cvt_f32_f16_e32 v56, v44
	;; [unrolled: 2-line block ×4, first 2 shown]
	s_and_saveexec_b32 s43, s4
	s_cbranch_execz .LBB428_24
; %bb.30:                               ;   in Loop: Header=BB428_27 Depth=2
	s_clause 0x3
	flat_load_u16 v59, v[15:16] offset:256
	flat_load_u16 v60, v[17:18] offset:256
	;; [unrolled: 1-line block ×4, first 2 shown]
	s_and_saveexec_b32 s44, s5
	s_cbranch_execz .LBB428_23
; %bb.31:                               ;   in Loop: Header=BB428_27 Depth=2
	s_clause 0x3
	flat_load_u16 v15, v[15:16] offset:384
	flat_load_u16 v16, v[17:18] offset:384
	;; [unrolled: 1-line block ×4, first 2 shown]
	s_wait_loadcnt_dscnt 0x303
	v_fma_mix_f32 v15, v55, v15, v37 op_sel_hi:[0,1,0]
	s_wait_loadcnt_dscnt 0x202
	s_delay_alu instid0(VALU_DEP_1) | instskip(SKIP_1) | instid1(VALU_DEP_1)
	v_fma_mix_f32 v15, v56, v16, v15 op_sel_hi:[0,1,0]
	s_wait_loadcnt_dscnt 0x101
	v_fma_mix_f32 v15, v57, v17, v15 op_sel_hi:[0,1,0]
	s_wait_loadcnt_dscnt 0x0
	s_delay_alu instid0(VALU_DEP_1)
	v_fma_mix_f32 v37, v58, v18, v15 op_sel_hi:[0,1,0]
	s_branch .LBB428_23
.LBB428_32:                             ;   in Loop: Header=BB428_4 Depth=1
	s_or_b32 exec_lo, exec_lo, s39
.LBB428_33:                             ;   in Loop: Header=BB428_4 Depth=1
	s_wait_alu 0xfffe
	s_or_b32 exec_lo, exec_lo, s7
	s_delay_alu instid0(SALU_CYCLE_1)
	s_and_not1_b32 vcc_lo, exec_lo, s20
	s_wait_alu 0xfffe
	s_cbranch_vccnz .LBB428_51
; %bb.34:                               ;   in Loop: Header=BB428_4 Depth=1
	v_cmp_gt_i32_e32 vcc_lo, s21, v38
	v_dual_mov_b32 v19, 0 :: v_dual_mov_b32 v20, 0
	v_or_b32_e32 v15, 1, v38
	v_dual_mov_b32 v21, 0 :: v_dual_mov_b32 v22, 0
	s_and_saveexec_b32 s39, vcc_lo
	s_cbranch_execz .LBB428_42
; %bb.35:                               ;   in Loop: Header=BB428_4 Depth=1
	v_mul_lo_u32 v16, v38, s26
	v_dual_mov_b32 v21, 0 :: v_dual_mov_b32 v20, 0
	v_mov_b32_e32 v19, 0
	s_mov_b32 s40, exec_lo
	s_delay_alu instid0(VALU_DEP_3) | instskip(NEXT) | instid1(VALU_DEP_1)
	v_ashrrev_i32_e32 v17, 31, v16
	v_lshlrev_b64_e32 v[16:17], 1, v[16:17]
	s_delay_alu instid0(VALU_DEP_1) | instskip(SKIP_1) | instid1(VALU_DEP_2)
	v_add_co_u32 v16, s7, v13, v16
	s_wait_alu 0xf1ff
	v_add_co_ci_u32_e64 v17, null, v14, v17, s7
	flat_load_u16 v16, v[16:17]
	v_cmpx_gt_i32_e64 s21, v15
	s_cbranch_execz .LBB428_41
; %bb.36:                               ;   in Loop: Header=BB428_4 Depth=1
	v_mul_lo_u32 v17, v15, s26
	v_dual_mov_b32 v20, 0 :: v_dual_mov_b32 v19, 0
	s_mov_b32 s41, exec_lo
	s_delay_alu instid0(VALU_DEP_2) | instskip(NEXT) | instid1(VALU_DEP_1)
	v_ashrrev_i32_e32 v18, 31, v17
	v_lshlrev_b64_e32 v[17:18], 1, v[17:18]
	s_delay_alu instid0(VALU_DEP_1) | instskip(SKIP_1) | instid1(VALU_DEP_2)
	v_add_co_u32 v17, s7, v13, v17
	s_wait_alu 0xf1ff
	v_add_co_ci_u32_e64 v18, null, v14, v18, s7
	flat_load_u16 v17, v[17:18]
	v_or_b32_e32 v18, 2, v38
	s_delay_alu instid0(VALU_DEP_1)
	v_cmpx_gt_i32_e64 s21, v18
	s_cbranch_execz .LBB428_40
; %bb.37:                               ;   in Loop: Header=BB428_4 Depth=1
	v_mul_lo_u32 v18, v18, s26
	v_or_b32_e32 v20, 3, v38
	s_mov_b32 s42, exec_lo
	s_delay_alu instid0(VALU_DEP_2) | instskip(NEXT) | instid1(VALU_DEP_1)
	v_ashrrev_i32_e32 v19, 31, v18
	v_lshlrev_b64_e32 v[18:19], 1, v[18:19]
	s_delay_alu instid0(VALU_DEP_1) | instskip(SKIP_1) | instid1(VALU_DEP_2)
	v_add_co_u32 v18, s7, v13, v18
	s_wait_alu 0xf1ff
	v_add_co_ci_u32_e64 v19, null, v14, v19, s7
	flat_load_u16 v18, v[18:19]
	v_mov_b32_e32 v19, 0
	v_cmpx_gt_i32_e64 s21, v20
	s_cbranch_execz .LBB428_39
; %bb.38:                               ;   in Loop: Header=BB428_4 Depth=1
	v_mul_lo_u32 v19, v20, s26
	s_delay_alu instid0(VALU_DEP_1) | instskip(NEXT) | instid1(VALU_DEP_1)
	v_ashrrev_i32_e32 v20, 31, v19
	v_lshlrev_b64_e32 v[19:20], 1, v[19:20]
	s_delay_alu instid0(VALU_DEP_1) | instskip(SKIP_1) | instid1(VALU_DEP_2)
	v_add_co_u32 v13, s7, v13, v19
	s_wait_alu 0xf1ff
	v_add_co_ci_u32_e64 v14, null, v14, v20, s7
	flat_load_u16 v13, v[13:14]
	s_wait_loadcnt_dscnt 0x0
	v_cvt_f32_f16_e32 v19, v13
.LBB428_39:                             ;   in Loop: Header=BB428_4 Depth=1
	s_or_b32 exec_lo, exec_lo, s42
	s_wait_loadcnt_dscnt 0x0
	v_cvt_f32_f16_e32 v20, v18
.LBB428_40:                             ;   in Loop: Header=BB428_4 Depth=1
	s_wait_alu 0xfffe
	s_or_b32 exec_lo, exec_lo, s41
	s_wait_loadcnt_dscnt 0x0
	v_cvt_f32_f16_e32 v21, v17
.LBB428_41:                             ;   in Loop: Header=BB428_4 Depth=1
	s_wait_alu 0xfffe
	s_or_b32 exec_lo, exec_lo, s40
	s_wait_loadcnt_dscnt 0x0
	v_cvt_f32_f16_e32 v22, v16
.LBB428_42:                             ;   in Loop: Header=BB428_4 Depth=1
	s_or_b32 exec_lo, exec_lo, s39
	s_and_saveexec_b32 s7, s1
	s_cbranch_execz .LBB428_50
; %bb.43:                               ;   in Loop: Header=BB428_4 Depth=1
	v_mul_lo_u32 v14, v38, s28
	v_or_b32_e32 v13, 2, v38
	v_mul_lo_u32 v17, v15, s28
	v_or_b32_e32 v16, 3, v38
	s_delay_alu instid0(VALU_DEP_3) | instskip(NEXT) | instid1(VALU_DEP_2)
	v_mul_lo_u32 v18, v13, s28
	v_mul_lo_u32 v38, v16, s28
	v_cndmask_b32_e32 v14, 0, v14, vcc_lo
	v_cmp_gt_i32_e32 vcc_lo, s21, v15
	s_wait_alu 0xfffd
	v_cndmask_b32_e32 v15, 0, v17, vcc_lo
	v_cmp_gt_i32_e32 vcc_lo, s21, v13
	v_add_nc_u32_e32 v13, v14, v27
	s_delay_alu instid0(VALU_DEP_3)
	v_add_nc_u32_e32 v15, v15, v27
	s_wait_alu 0xfffd
	v_cndmask_b32_e32 v17, 0, v18, vcc_lo
	v_cmp_gt_i32_e32 vcc_lo, s21, v16
	v_ashrrev_i32_e32 v14, 31, v13
	s_wait_alu 0xfffd
	v_cndmask_b32_e32 v16, 0, v38, vcc_lo
	s_delay_alu instid0(VALU_DEP_2) | instskip(NEXT) | instid1(VALU_DEP_2)
	v_lshlrev_b64_e32 v[13:14], 1, v[13:14]
	v_add_nc_u32_e32 v38, v16, v27
	v_add_nc_u32_e32 v17, v17, v27
	v_ashrrev_i32_e32 v16, 31, v15
	s_delay_alu instid0(VALU_DEP_4) | instskip(NEXT) | instid1(VALU_DEP_4)
	v_add_co_u32 v13, vcc_lo, v11, v13
	v_ashrrev_i32_e32 v39, 31, v38
	s_delay_alu instid0(VALU_DEP_4) | instskip(NEXT) | instid1(VALU_DEP_4)
	v_ashrrev_i32_e32 v18, 31, v17
	v_lshlrev_b64_e32 v[15:16], 1, v[15:16]
	s_wait_alu 0xfffd
	v_add_co_ci_u32_e64 v14, null, v12, v14, vcc_lo
	v_lshlrev_b64_e32 v[38:39], 1, v[38:39]
	v_lshlrev_b64_e32 v[17:18], 1, v[17:18]
	s_delay_alu instid0(VALU_DEP_4) | instskip(SKIP_2) | instid1(VALU_DEP_3)
	v_add_co_u32 v15, vcc_lo, v11, v15
	s_wait_alu 0xfffd
	v_add_co_ci_u32_e64 v16, null, v12, v16, vcc_lo
	v_add_co_u32 v17, vcc_lo, v11, v17
	s_wait_alu 0xfffd
	v_add_co_ci_u32_e64 v18, null, v12, v18, vcc_lo
	;; [unrolled: 3-line block ×3, first 2 shown]
	s_clause 0x3
	flat_load_u16 v38, v[13:14]
	flat_load_u16 v39, v[15:16]
	;; [unrolled: 1-line block ×4, first 2 shown]
	s_and_saveexec_b32 s39, s3
	s_cbranch_execz .LBB428_49
; %bb.44:                               ;   in Loop: Header=BB428_4 Depth=1
	s_clause 0x3
	flat_load_u16 v42, v[13:14] offset:128
	flat_load_u16 v43, v[15:16] offset:128
	flat_load_u16 v44, v[17:18] offset:128
	flat_load_u16 v45, v[11:12] offset:128
	s_and_saveexec_b32 s40, s4
	s_cbranch_execz .LBB428_48
; %bb.45:                               ;   in Loop: Header=BB428_4 Depth=1
	s_clause 0x3
	flat_load_u16 v46, v[13:14] offset:256
	flat_load_u16 v47, v[15:16] offset:256
	flat_load_u16 v48, v[17:18] offset:256
	flat_load_u16 v49, v[11:12] offset:256
	s_and_saveexec_b32 s41, s5
	s_cbranch_execz .LBB428_47
; %bb.46:                               ;   in Loop: Header=BB428_4 Depth=1
	s_clause 0x3
	flat_load_u16 v13, v[13:14] offset:384
	flat_load_u16 v14, v[15:16] offset:384
	flat_load_u16 v15, v[17:18] offset:384
	flat_load_u16 v11, v[11:12] offset:384
	s_wait_loadcnt_dscnt 0x303
	v_fma_mix_f32 v12, v22, v13, v37 op_sel_hi:[0,1,0]
	s_wait_loadcnt_dscnt 0x202
	s_delay_alu instid0(VALU_DEP_1) | instskip(SKIP_1) | instid1(VALU_DEP_1)
	v_fma_mix_f32 v12, v21, v14, v12 op_sel_hi:[0,1,0]
	s_wait_loadcnt_dscnt 0x101
	v_fma_mix_f32 v12, v20, v15, v12 op_sel_hi:[0,1,0]
	s_wait_loadcnt_dscnt 0x0
	s_delay_alu instid0(VALU_DEP_1)
	v_fma_mix_f32 v37, v19, v11, v12 op_sel_hi:[0,1,0]
.LBB428_47:                             ;   in Loop: Header=BB428_4 Depth=1
	s_wait_alu 0xfffe
	s_or_b32 exec_lo, exec_lo, s41
	s_wait_loadcnt_dscnt 0x303
	v_fma_mix_f32 v11, v22, v46, v36 op_sel_hi:[0,1,0]
	s_wait_loadcnt_dscnt 0x202
	s_delay_alu instid0(VALU_DEP_1) | instskip(SKIP_1) | instid1(VALU_DEP_1)
	v_fma_mix_f32 v11, v21, v47, v11 op_sel_hi:[0,1,0]
	s_wait_loadcnt_dscnt 0x101
	v_fma_mix_f32 v11, v20, v48, v11 op_sel_hi:[0,1,0]
	s_wait_loadcnt_dscnt 0x0
	s_delay_alu instid0(VALU_DEP_1)
	v_fma_mix_f32 v36, v19, v49, v11 op_sel_hi:[0,1,0]
.LBB428_48:                             ;   in Loop: Header=BB428_4 Depth=1
	s_wait_alu 0xfffe
	s_or_b32 exec_lo, exec_lo, s40
	s_wait_loadcnt_dscnt 0x303
	v_fma_mix_f32 v11, v22, v42, v35 op_sel_hi:[0,1,0]
	s_wait_loadcnt_dscnt 0x202
	s_delay_alu instid0(VALU_DEP_1) | instskip(SKIP_1) | instid1(VALU_DEP_1)
	v_fma_mix_f32 v11, v21, v43, v11 op_sel_hi:[0,1,0]
	s_wait_loadcnt_dscnt 0x101
	v_fma_mix_f32 v11, v20, v44, v11 op_sel_hi:[0,1,0]
	s_wait_loadcnt_dscnt 0x0
	s_delay_alu instid0(VALU_DEP_1)
	v_fma_mix_f32 v35, v19, v45, v11 op_sel_hi:[0,1,0]
.LBB428_49:                             ;   in Loop: Header=BB428_4 Depth=1
	s_or_b32 exec_lo, exec_lo, s39
	s_wait_loadcnt_dscnt 0x303
	v_fma_mix_f32 v11, v22, v38, v34 op_sel_hi:[0,1,0]
	s_wait_loadcnt_dscnt 0x202
	s_delay_alu instid0(VALU_DEP_1) | instskip(SKIP_1) | instid1(VALU_DEP_1)
	v_fma_mix_f32 v11, v21, v39, v11 op_sel_hi:[0,1,0]
	s_wait_loadcnt_dscnt 0x101
	v_fma_mix_f32 v11, v20, v40, v11 op_sel_hi:[0,1,0]
	s_wait_loadcnt_dscnt 0x0
	s_delay_alu instid0(VALU_DEP_1)
	v_fma_mix_f32 v34, v19, v41, v11 op_sel_hi:[0,1,0]
.LBB428_50:                             ;   in Loop: Header=BB428_4 Depth=1
	s_wait_alu 0xfffe
	s_or_b32 exec_lo, exec_lo, s7
.LBB428_51:                             ;   in Loop: Header=BB428_4 Depth=1
	ds_store_2addr_stride64_b32 v24, v34, v35 offset1:1
	ds_store_2addr_stride64_b32 v24, v36, v37 offset0:2 offset1:3
	s_wait_dscnt 0x0
	s_barrier_signal -1
	s_barrier_wait -1
	global_inv scope:SCOPE_SE
                                        ; implicit-def: $vgpr15
	s_and_saveexec_b32 s7, s0
	s_cbranch_execz .LBB428_57
; %bb.52:                               ;   in Loop: Header=BB428_4 Depth=1
	ds_load_2addr_stride64_b32 v[11:12], v25 offset1:4
	ds_load_2addr_stride64_b32 v[13:14], v25 offset0:8 offset1:12
	s_mov_b32 s40, s38
                                        ; implicit-def: $vgpr15
	s_wait_dscnt 0x1
	v_add_f32_e32 v11, v11, v12
	s_wait_dscnt 0x0
	s_delay_alu instid0(VALU_DEP_1) | instskip(NEXT) | instid1(VALU_DEP_1)
	v_add_f32_e32 v11, v13, v11
	v_add_f32_e32 v11, v14, v11
	ds_store_b32 v25, v11
	s_and_saveexec_b32 s39, s2
	s_cbranch_execz .LBB428_56
; %bb.53:                               ;   in Loop: Header=BB428_4 Depth=1
	v_mul_f32_e32 v11, s22, v11
	s_and_not1_b32 vcc_lo, exec_lo, s33
	s_wait_alu 0xfffe
	s_cbranch_vccnz .LBB428_55
; %bb.54:                               ;   in Loop: Header=BB428_4 Depth=1
	v_lshlrev_b64_e32 v[12:13], 1, v[4:5]
	s_delay_alu instid0(VALU_DEP_1) | instskip(SKIP_1) | instid1(VALU_DEP_2)
	v_add_co_u32 v12, vcc_lo, v32, v12
	s_wait_alu 0xfffd
	v_add_co_ci_u32_e64 v13, null, v33, v13, vcc_lo
	flat_load_u16 v12, v[12:13]
	s_wait_loadcnt_dscnt 0x0
	v_fma_mix_f32 v11, s27, v12, v11 op_sel_hi:[0,1,0]
.LBB428_55:                             ;   in Loop: Header=BB428_4 Depth=1
	s_delay_alu instid0(VALU_DEP_1)
	v_cvt_f16_f32_e32 v15, v11
	s_or_b32 s40, s38, exec_lo
.LBB428_56:                             ;   in Loop: Header=BB428_4 Depth=1
	s_or_b32 exec_lo, exec_lo, s39
	s_delay_alu instid0(SALU_CYCLE_1) | instskip(SKIP_2) | instid1(SALU_CYCLE_1)
	s_and_not1_b32 s38, s38, exec_lo
	s_wait_alu 0xfffe
	s_and_b32 s39, s40, exec_lo
	s_or_b32 s38, s38, s39
.LBB428_57:                             ;   in Loop: Header=BB428_4 Depth=1
	s_wait_alu 0xfffe
	s_or_b32 exec_lo, exec_lo, s7
	v_dual_mov_b32 v12, v5 :: v_dual_mov_b32 v11, v4
	s_and_saveexec_b32 s7, s38
	s_cbranch_execz .LBB428_2
.LBB428_58:                             ;   in Loop: Header=BB428_4 Depth=1
	s_delay_alu instid0(VALU_DEP_1) | instskip(NEXT) | instid1(VALU_DEP_1)
	v_lshlrev_b64_e32 v[11:12], 1, v[11:12]
	v_add_co_u32 v11, vcc_lo, v32, v11
	s_wait_alu 0xfffd
	s_delay_alu instid0(VALU_DEP_2)
	v_add_co_ci_u32_e64 v12, null, v33, v12, vcc_lo
	flat_store_b16 v[11:12], v15
	s_branch .LBB428_2
.LBB428_59:
	s_endpgm
	.section	.rodata,"a",@progbits
	.p2align	6, 0x0
	.amdhsa_kernel _ZL20rocblas_gemvn_kernelILi64ELi4EiPKDF16_fKPDF16_EviiT3_lPKT2_lT1_lS7_lS8_lS4_lPT4_lS8_li
		.amdhsa_group_segment_fixed_size 4096
		.amdhsa_private_segment_fixed_size 0
		.amdhsa_kernarg_size 400
		.amdhsa_user_sgpr_count 2
		.amdhsa_user_sgpr_dispatch_ptr 0
		.amdhsa_user_sgpr_queue_ptr 0
		.amdhsa_user_sgpr_kernarg_segment_ptr 1
		.amdhsa_user_sgpr_dispatch_id 0
		.amdhsa_user_sgpr_private_segment_size 0
		.amdhsa_wavefront_size32 1
		.amdhsa_uses_dynamic_stack 0
		.amdhsa_enable_private_segment 0
		.amdhsa_system_sgpr_workgroup_id_x 1
		.amdhsa_system_sgpr_workgroup_id_y 0
		.amdhsa_system_sgpr_workgroup_id_z 1
		.amdhsa_system_sgpr_workgroup_info 0
		.amdhsa_system_vgpr_workitem_id 1
		.amdhsa_next_free_vgpr 63
		.amdhsa_next_free_sgpr 45
		.amdhsa_reserve_vcc 1
		.amdhsa_float_round_mode_32 0
		.amdhsa_float_round_mode_16_64 0
		.amdhsa_float_denorm_mode_32 3
		.amdhsa_float_denorm_mode_16_64 3
		.amdhsa_fp16_overflow 0
		.amdhsa_workgroup_processor_mode 1
		.amdhsa_memory_ordered 1
		.amdhsa_forward_progress 1
		.amdhsa_inst_pref_size 27
		.amdhsa_round_robin_scheduling 0
		.amdhsa_exception_fp_ieee_invalid_op 0
		.amdhsa_exception_fp_denorm_src 0
		.amdhsa_exception_fp_ieee_div_zero 0
		.amdhsa_exception_fp_ieee_overflow 0
		.amdhsa_exception_fp_ieee_underflow 0
		.amdhsa_exception_fp_ieee_inexact 0
		.amdhsa_exception_int_div_zero 0
	.end_amdhsa_kernel
	.section	.text._ZL20rocblas_gemvn_kernelILi64ELi4EiPKDF16_fKPDF16_EviiT3_lPKT2_lT1_lS7_lS8_lS4_lPT4_lS8_li,"axG",@progbits,_ZL20rocblas_gemvn_kernelILi64ELi4EiPKDF16_fKPDF16_EviiT3_lPKT2_lT1_lS7_lS8_lS4_lPT4_lS8_li,comdat
.Lfunc_end428:
	.size	_ZL20rocblas_gemvn_kernelILi64ELi4EiPKDF16_fKPDF16_EviiT3_lPKT2_lT1_lS7_lS8_lS4_lPT4_lS8_li, .Lfunc_end428-_ZL20rocblas_gemvn_kernelILi64ELi4EiPKDF16_fKPDF16_EviiT3_lPKT2_lT1_lS7_lS8_lS4_lPT4_lS8_li
                                        ; -- End function
	.set _ZL20rocblas_gemvn_kernelILi64ELi4EiPKDF16_fKPDF16_EviiT3_lPKT2_lT1_lS7_lS8_lS4_lPT4_lS8_li.num_vgpr, 63
	.set _ZL20rocblas_gemvn_kernelILi64ELi4EiPKDF16_fKPDF16_EviiT3_lPKT2_lT1_lS7_lS8_lS4_lPT4_lS8_li.num_agpr, 0
	.set _ZL20rocblas_gemvn_kernelILi64ELi4EiPKDF16_fKPDF16_EviiT3_lPKT2_lT1_lS7_lS8_lS4_lPT4_lS8_li.numbered_sgpr, 45
	.set _ZL20rocblas_gemvn_kernelILi64ELi4EiPKDF16_fKPDF16_EviiT3_lPKT2_lT1_lS7_lS8_lS4_lPT4_lS8_li.num_named_barrier, 0
	.set _ZL20rocblas_gemvn_kernelILi64ELi4EiPKDF16_fKPDF16_EviiT3_lPKT2_lT1_lS7_lS8_lS4_lPT4_lS8_li.private_seg_size, 0
	.set _ZL20rocblas_gemvn_kernelILi64ELi4EiPKDF16_fKPDF16_EviiT3_lPKT2_lT1_lS7_lS8_lS4_lPT4_lS8_li.uses_vcc, 1
	.set _ZL20rocblas_gemvn_kernelILi64ELi4EiPKDF16_fKPDF16_EviiT3_lPKT2_lT1_lS7_lS8_lS4_lPT4_lS8_li.uses_flat_scratch, 1
	.set _ZL20rocblas_gemvn_kernelILi64ELi4EiPKDF16_fKPDF16_EviiT3_lPKT2_lT1_lS7_lS8_lS4_lPT4_lS8_li.has_dyn_sized_stack, 0
	.set _ZL20rocblas_gemvn_kernelILi64ELi4EiPKDF16_fKPDF16_EviiT3_lPKT2_lT1_lS7_lS8_lS4_lPT4_lS8_li.has_recursion, 0
	.set _ZL20rocblas_gemvn_kernelILi64ELi4EiPKDF16_fKPDF16_EviiT3_lPKT2_lT1_lS7_lS8_lS4_lPT4_lS8_li.has_indirect_call, 0
	.section	.AMDGPU.csdata,"",@progbits
; Kernel info:
; codeLenInByte = 3412
; TotalNumSgprs: 47
; NumVgprs: 63
; ScratchSize: 0
; MemoryBound: 0
; FloatMode: 240
; IeeeMode: 1
; LDSByteSize: 4096 bytes/workgroup (compile time only)
; SGPRBlocks: 0
; VGPRBlocks: 7
; NumSGPRsForWavesPerEU: 47
; NumVGPRsForWavesPerEU: 63
; Occupancy: 16
; WaveLimiterHint : 1
; COMPUTE_PGM_RSRC2:SCRATCH_EN: 0
; COMPUTE_PGM_RSRC2:USER_SGPR: 2
; COMPUTE_PGM_RSRC2:TRAP_HANDLER: 0
; COMPUTE_PGM_RSRC2:TGID_X_EN: 1
; COMPUTE_PGM_RSRC2:TGID_Y_EN: 0
; COMPUTE_PGM_RSRC2:TGID_Z_EN: 1
; COMPUTE_PGM_RSRC2:TIDIG_COMP_CNT: 1
	.section	.text._ZL20rocblas_gemvn_kernelILi64ELi4ElPKDF16_fKPDF16_EviiT3_lPKT2_lT1_lS7_lS8_lS4_lPT4_lS8_li,"axG",@progbits,_ZL20rocblas_gemvn_kernelILi64ELi4ElPKDF16_fKPDF16_EviiT3_lPKT2_lT1_lS7_lS8_lS4_lPT4_lS8_li,comdat
	.globl	_ZL20rocblas_gemvn_kernelILi64ELi4ElPKDF16_fKPDF16_EviiT3_lPKT2_lT1_lS7_lS8_lS4_lPT4_lS8_li ; -- Begin function _ZL20rocblas_gemvn_kernelILi64ELi4ElPKDF16_fKPDF16_EviiT3_lPKT2_lT1_lS7_lS8_lS4_lPT4_lS8_li
	.p2align	8
	.type	_ZL20rocblas_gemvn_kernelILi64ELi4ElPKDF16_fKPDF16_EviiT3_lPKT2_lT1_lS7_lS8_lS4_lPT4_lS8_li,@function
_ZL20rocblas_gemvn_kernelILi64ELi4ElPKDF16_fKPDF16_EviiT3_lPKT2_lT1_lS7_lS8_lS4_lPT4_lS8_li: ; @_ZL20rocblas_gemvn_kernelILi64ELi4ElPKDF16_fKPDF16_EviiT3_lPKT2_lT1_lS7_lS8_lS4_lPT4_lS8_li
; %bb.0:
	s_clause 0x1
	s_load_b64 s[2:3], s[0:1], 0x9c
	s_load_b32 s23, s[0:1], 0x88
	s_lshr_b32 s24, ttmp7, 16
	s_wait_kmcnt 0x0
	s_lshr_b32 s4, s2, 16
	s_and_b32 s2, s2, 0xffff
	s_and_b32 s3, s3, 0xffff
	s_mul_i32 s2, s4, s2
	s_delay_alu instid0(SALU_CYCLE_1) | instskip(NEXT) | instid1(SALU_CYCLE_1)
	s_mul_i32 s2, s2, s3
	s_cmp_lg_u32 s2, 0x100
	s_cselect_b32 s2, -1, 0
	s_cmp_ge_u32 s24, s23
	s_cselect_b32 s3, -1, 0
	s_delay_alu instid0(SALU_CYCLE_1) | instskip(NEXT) | instid1(SALU_CYCLE_1)
	s_or_b32 s2, s2, s3
	s_and_b32 vcc_lo, exec_lo, s2
	s_cbranch_vccnz .LBB429_59
; %bb.1:
	s_clause 0x7
	s_load_b96 s[20:22], s[0:1], 0x0
	s_load_b32 s33, s[0:1], 0x58
	s_load_b64 s[26:27], s[0:1], 0x48
	s_load_b128 s[8:11], s[0:1], 0x18
	s_load_b64 s[28:29], s[0:1], 0x28
	s_load_b128 s[12:15], s[0:1], 0x38
	;; [unrolled: 2-line block ×3, first 2 shown]
	v_dual_mov_b32 v1, 0 :: v_dual_and_b32 v2, 0x3ff, v0
	v_bfe_u32 v26, v0, 10, 10
	s_mov_b32 s25, 0
	s_delay_alu instid0(VALU_DEP_2) | instskip(NEXT) | instid1(VALU_DEP_2)
	v_lshlrev_b32_e32 v16, 2, v2
	v_lshl_add_u32 v3, v26, 6, v2
	v_lshlrev_b32_e32 v40, 2, v26
	s_delay_alu instid0(VALU_DEP_2)
	v_cmp_gt_u32_e64 s0, 0x100, v3
	s_wait_kmcnt 0x0
	s_cmp_eq_f32 s22, 0
	v_mad_co_u64_u32 v[6:7], null, s26, v26, 0
	s_mov_b32 s2, s20
	s_cselect_b32 s36, -1, 0
	s_cmp_neq_f32 s33, 1.0
	v_or_b32_e32 v17, 3, v40
	s_cselect_b32 s1, -1, 0
	s_cmp_neq_f32 s22, 0
	s_delay_alu instid0(VALU_DEP_1)
	v_mad_co_u64_u32 v[12:13], null, s26, v17, 0
	s_cselect_b32 s4, -1, 0
	s_lshl_b32 s30, ttmp9, 8
	s_ashr_i32 s3, s20, 31
	v_add_nc_u32_e32 v0, s30, v3
	v_or_b32_e32 v8, s30, v2
	s_or_b32 s37, s4, s1
	s_cmp_neq_f32 s33, 0
	v_or_b32_e32 v18, s30, v3
	v_mad_co_u64_u32 v[2:3], null, s6, v0, 0
	v_add_nc_u32_e32 v4, 64, v8
	v_cmp_gt_i64_e32 vcc_lo, s[2:3], v[0:1]
	s_cselect_b32 s38, -1, 0
	s_ashr_i32 s2, s21, 31
	v_add_nc_u32_e32 v5, 0x80, v8
	s_wait_alu 0xfffe
	s_lshr_b32 s2, s2, 28
	v_add_nc_u32_e32 v10, 0xc0, v8
	s_wait_alu 0xfffe
	s_add_co_i32 s3, s21, s2
	v_cmp_gt_i32_e64 s2, s20, v4
	v_mad_co_u64_u32 v[3:4], null, s7, v0, v[3:4]
	v_mov_b32_e32 v0, v7
	v_cndmask_b32_e64 v42, 0, 1, s4
	v_cmp_gt_i32_e64 s4, s20, v10
	v_mad_co_u64_u32 v[10:11], null, s28, v17, 0
	s_delay_alu instid0(VALU_DEP_4)
	v_mad_co_u64_u32 v[14:15], null, s27, v26, v[0:1]
	s_wait_alu 0xfffe
	s_and_b32 s39, s3, -16
	v_mul_lo_u32 v19, s7, v18
	v_cmp_gt_i32_e64 s3, s20, v5
	s_sub_co_i32 s5, s21, s39
	v_mad_co_u64_u32 v[4:5], null, s6, v18, 0
	v_mov_b32_e32 v7, v14
	v_mad_co_u64_u32 v[14:15], null, s29, v17, v[11:12]
	s_wait_alu 0xfffe
	s_cmp_gt_i32 s5, 0
	v_lshl_add_u32 v41, v26, 10, v16
	s_cselect_b32 s40, -1, 0
	s_ashr_i32 s7, s30, 31
	v_lshl_add_u32 v0, v26, 8, v16
	s_wait_alu 0xfffe
	s_mul_i32 s7, s6, s7
	v_mov_b32_e32 v11, v14
	v_or_b32_e32 v29, 2, v40
	v_mad_co_u64_u32 v[15:16], null, s27, v17, v[13:14]
	v_cmp_gt_i32_e64 s6, s20, v18
	s_wait_alu 0xfffe
	v_add3_u32 v5, v5, s7, v19
	v_mad_co_u64_u32 v[16:17], null, s28, v26, 0
	v_mad_co_u64_u32 v[18:19], null, s28, v29, 0
	;; [unrolled: 1-line block ×5, first 2 shown]
	v_dual_mov_b32 v13, v15 :: v_dual_mov_b32 v14, v17
	s_delay_alu instid0(VALU_DEP_4)
	v_mov_b32_e32 v17, v25
	v_mov_b32_e32 v15, v19
	v_ashrrev_i32_e32 v9, 31, v8
	v_cmp_gt_i32_e64 s1, s20, v8
	v_lshlrev_b64_e32 v[6:7], 3, v[6:7]
	v_lshlrev_b64_e32 v[10:11], 1, v[10:11]
	v_mad_co_u64_u32 v[26:27], null, s29, v26, v[14:15]
	v_mov_b32_e32 v14, v21
	v_mad_co_u64_u32 v[27:28], null, s29, v29, v[15:16]
	v_mov_b32_e32 v15, v23
	v_lshlrev_b64_e32 v[8:9], 1, v[8:9]
	v_lshlrev_b64_e32 v[12:13], 1, v[12:13]
	v_cmp_gt_i32_e64 s5, s39, v40
	s_and_b32 s20, s0, vcc_lo
	v_mad_co_u64_u32 v[28:29], null, s27, v29, v[14:15]
	v_mad_co_u64_u32 v[14:15], null, s27, v40, v[15:16]
	;; [unrolled: 1-line block ×3, first 2 shown]
	v_mov_b32_e32 v17, v26
	v_mov_b32_e32 v19, v27
	;; [unrolled: 1-line block ×3, first 2 shown]
	s_lshl_b64 s[30:31], s[26:27], 5
	v_mov_b32_e32 v23, v14
	v_lshlrev_b64_e32 v[14:15], 3, v[16:17]
	v_mov_b32_e32 v25, v29
	v_lshlrev_b64_e32 v[16:17], 1, v[18:19]
	v_lshlrev_b64_e32 v[18:19], 1, v[20:21]
	;; [unrolled: 1-line block ×3, first 2 shown]
	s_lshl_b64 s[34:35], s[28:29], 5
	v_lshlrev_b64_e32 v[22:23], 1, v[24:25]
	v_lshlrev_b64_e32 v[24:25], 1, v[2:3]
	s_lshl_b64 s[10:11], s[10:11], 1
	s_lshl_b64 s[14:15], s[14:15], 1
	;; [unrolled: 1-line block ×3, first 2 shown]
	s_branch .LBB429_4
.LBB429_2:                              ;   in Loop: Header=BB429_4 Depth=1
	s_wait_alu 0xfffe
	s_or_b32 exec_lo, exec_lo, s7
.LBB429_3:                              ;   in Loop: Header=BB429_4 Depth=1
	s_add_co_i32 s24, s24, 0x10000
	s_delay_alu instid0(SALU_CYCLE_1)
	s_cmp_lt_u32 s24, s23
	s_cbranch_scc0 .LBB429_59
.LBB429_4:                              ; =>This Loop Header: Depth=1
                                        ;     Child Loop BB429_27 Depth 2
	s_and_not1_b32 vcc_lo, exec_lo, s37
	s_wait_alu 0xfffe
	s_cbranch_vccnz .LBB429_3
; %bb.5:                                ;   in Loop: Header=BB429_4 Depth=1
	s_and_not1_b32 vcc_lo, exec_lo, s36
	s_wait_alu 0xfffe
	s_cbranch_vccnz .LBB429_7
; %bb.6:                                ;   in Loop: Header=BB429_4 Depth=1
	s_mov_b32 s7, 0
	s_branch .LBB429_8
.LBB429_7:                              ;   in Loop: Header=BB429_4 Depth=1
	s_mov_b32 s7, -1
.LBB429_8:                              ;   in Loop: Header=BB429_4 Depth=1
	v_mov_b32_e32 v28, 0
	v_dual_mov_b32 v29, 0 :: v_dual_mov_b32 v26, 0
	v_mov_b32_e32 v27, 0
	s_wait_alu 0xfffe
	s_and_not1_b32 vcc_lo, exec_lo, s7
	s_wait_alu 0xfffe
	s_cbranch_vccnz .LBB429_10
; %bb.9:                                ;   in Loop: Header=BB429_4 Depth=1
	s_lshl_b64 s[42:43], s[24:25], 3
	s_delay_alu instid0(SALU_CYCLE_1)
	s_add_nc_u64 s[42:43], s[8:9], s[42:43]
	global_load_b64 v[26:27], v1, s[42:43]
	s_wait_loadcnt 0x0
	v_add_co_u32 v26, vcc_lo, v26, s10
	s_wait_alu 0xfffd
	v_add_co_ci_u32_e64 v27, null, s11, v27, vcc_lo
.LBB429_10:                             ;   in Loop: Header=BB429_4 Depth=1
	v_cmp_ne_u32_e32 vcc_lo, 1, v42
	s_cbranch_vccnz .LBB429_12
; %bb.11:                               ;   in Loop: Header=BB429_4 Depth=1
	s_lshl_b64 s[42:43], s[24:25], 3
	s_delay_alu instid0(SALU_CYCLE_1)
	s_add_nc_u64 s[42:43], s[12:13], s[42:43]
	global_load_b64 v[28:29], v1, s[42:43]
	s_wait_loadcnt 0x0
	v_add_co_u32 v28, vcc_lo, v28, s14
	s_wait_alu 0xfffd
	v_add_co_ci_u32_e64 v29, null, s15, v29, vcc_lo
.LBB429_12:                             ;   in Loop: Header=BB429_4 Depth=1
	s_lshl_b64 s[42:43], s[24:25], 3
	s_delay_alu instid0(SALU_CYCLE_1)
	s_add_nc_u64 s[42:43], s[16:17], s[42:43]
	global_load_b64 v[30:31], v1, s[42:43]
	s_wait_loadcnt 0x0
	v_add_co_u32 v43, vcc_lo, v30, s18
	s_wait_alu 0xfffd
	v_add_co_ci_u32_e64 v44, null, s19, v31, vcc_lo
	s_and_not1_b32 vcc_lo, exec_lo, s36
	s_wait_alu 0xfffe
	s_cbranch_vccnz .LBB429_16
; %bb.13:                               ;   in Loop: Header=BB429_4 Depth=1
	s_mov_b32 s7, 0
	s_mov_b32 s41, 0
                                        ; implicit-def: $vgpr30
	s_and_saveexec_b32 s42, s20
	s_cbranch_execz .LBB429_17
; %bb.14:                               ;   in Loop: Header=BB429_4 Depth=1
	s_and_not1_b32 vcc_lo, exec_lo, s38
	s_wait_alu 0xfffe
	s_cbranch_vccnz .LBB429_19
; %bb.15:                               ;   in Loop: Header=BB429_4 Depth=1
	v_add_co_u32 v30, vcc_lo, v43, v24
	s_wait_alu 0xfffd
	v_add_co_ci_u32_e64 v31, null, v44, v25, vcc_lo
	flat_load_u16 v30, v[30:31]
	s_wait_loadcnt_dscnt 0x0
	v_fma_mixlo_f16 v30, s33, v30, 0 op_sel_hi:[0,1,0]
	s_branch .LBB429_20
.LBB429_16:                             ;   in Loop: Header=BB429_4 Depth=1
	s_mov_b32 s41, 0
                                        ; implicit-def: $vgpr30
	s_cbranch_execz .LBB429_18
	s_branch .LBB429_21
.LBB429_17:                             ;   in Loop: Header=BB429_4 Depth=1
	s_or_b32 exec_lo, exec_lo, s42
	s_wait_alu 0xfffe
	s_and_b32 vcc_lo, exec_lo, s7
	s_wait_alu 0xfffe
	s_cbranch_vccnz .LBB429_21
.LBB429_18:                             ;   in Loop: Header=BB429_4 Depth=1
	v_dual_mov_b32 v27, v3 :: v_dual_mov_b32 v26, v2
	s_and_saveexec_b32 s7, s41
	s_cbranch_execz .LBB429_2
	s_branch .LBB429_58
.LBB429_19:                             ;   in Loop: Header=BB429_4 Depth=1
	v_mov_b32_e32 v30, 0
.LBB429_20:                             ;   in Loop: Header=BB429_4 Depth=1
	s_mov_b32 s41, exec_lo
	s_or_b32 exec_lo, exec_lo, s42
	s_delay_alu instid0(SALU_CYCLE_1)
	s_and_b32 vcc_lo, exec_lo, s7
	s_wait_alu 0xfffe
	s_cbranch_vccz .LBB429_18
.LBB429_21:                             ;   in Loop: Header=BB429_4 Depth=1
	v_dual_mov_b32 v45, 0 :: v_dual_mov_b32 v46, 0
	v_dual_mov_b32 v49, v40 :: v_dual_mov_b32 v48, 0
	v_mov_b32_e32 v47, 0
	s_and_saveexec_b32 s42, s5
	s_cbranch_execz .LBB429_33
; %bb.22:                               ;   in Loop: Header=BB429_4 Depth=1
	v_add_co_u32 v50, vcc_lo, v26, v10
	s_wait_alu 0xfffd
	v_add_co_ci_u32_e64 v51, null, v27, v11, vcc_lo
	v_add_co_u32 v52, vcc_lo, v26, v14
	s_wait_alu 0xfffd
	v_add_co_ci_u32_e64 v53, null, v27, v15, vcc_lo
	;; [unrolled: 3-line block ×3, first 2 shown]
	v_add_co_u32 v56, vcc_lo, v26, v22
	v_dual_mov_b32 v31, v29 :: v_dual_mov_b32 v46, 0
	s_wait_alu 0xfffd
	v_add_co_ci_u32_e64 v57, null, v27, v23, vcc_lo
	v_dual_mov_b32 v45, 0 :: v_dual_mov_b32 v30, v28
	v_dual_mov_b32 v49, v40 :: v_dual_mov_b32 v48, 0
	v_mov_b32_e32 v47, 0
	s_mov_b32 s43, 0
	s_branch .LBB429_27
.LBB429_23:                             ;   in Loop: Header=BB429_27 Depth=2
	s_or_b32 exec_lo, exec_lo, s46
	s_wait_loadcnt_dscnt 0x303
	v_fma_mix_f32 v32, v70, v74, v47 op_sel_hi:[0,1,0]
	s_wait_loadcnt_dscnt 0x202
	s_delay_alu instid0(VALU_DEP_1) | instskip(SKIP_1) | instid1(VALU_DEP_1)
	v_fma_mix_f32 v32, v71, v75, v32 op_sel_hi:[0,1,0]
	s_wait_loadcnt_dscnt 0x101
	v_fma_mix_f32 v32, v72, v76, v32 op_sel_hi:[0,1,0]
	s_wait_loadcnt_dscnt 0x0
	s_delay_alu instid0(VALU_DEP_1)
	v_fma_mix_f32 v47, v73, v77, v32 op_sel_hi:[0,1,0]
.LBB429_24:                             ;   in Loop: Header=BB429_27 Depth=2
	s_or_b32 exec_lo, exec_lo, s45
	s_wait_loadcnt_dscnt 0x303
	v_fma_mix_f32 v32, v70, v66, v46 op_sel_hi:[0,1,0]
	s_wait_loadcnt_dscnt 0x202
	s_delay_alu instid0(VALU_DEP_1) | instskip(SKIP_1) | instid1(VALU_DEP_1)
	v_fma_mix_f32 v32, v71, v67, v32 op_sel_hi:[0,1,0]
	s_wait_loadcnt_dscnt 0x101
	v_fma_mix_f32 v32, v72, v68, v32 op_sel_hi:[0,1,0]
	s_wait_loadcnt_dscnt 0x0
	s_delay_alu instid0(VALU_DEP_1)
	v_fma_mix_f32 v46, v73, v69, v32 op_sel_hi:[0,1,0]
.LBB429_25:                             ;   in Loop: Header=BB429_27 Depth=2
	s_or_b32 exec_lo, exec_lo, s44
	s_wait_loadcnt_dscnt 0x303
	v_fma_mix_f32 v32, v58, v62, v45 op_sel_hi:[1,1,0]
	s_wait_loadcnt_dscnt 0x202
	s_delay_alu instid0(VALU_DEP_1) | instskip(SKIP_1) | instid1(VALU_DEP_1)
	v_fma_mix_f32 v32, v59, v63, v32 op_sel_hi:[1,1,0]
	s_wait_loadcnt_dscnt 0x101
	v_fma_mix_f32 v32, v60, v64, v32 op_sel_hi:[1,1,0]
	s_wait_loadcnt_dscnt 0x0
	s_delay_alu instid0(VALU_DEP_1)
	v_fma_mix_f32 v45, v61, v65, v32 op_sel_hi:[1,1,0]
.LBB429_26:                             ;   in Loop: Header=BB429_27 Depth=2
	s_wait_alu 0xfffe
	s_or_b32 exec_lo, exec_lo, s7
	v_add_co_u32 v30, vcc_lo, v30, s30
	s_wait_alu 0xfffd
	v_add_co_ci_u32_e64 v31, null, s31, v31, vcc_lo
	v_add_co_u32 v50, vcc_lo, v50, s34
	v_add_nc_u32_e32 v49, 16, v49
	s_wait_alu 0xfffd
	v_add_co_ci_u32_e64 v51, null, s35, v51, vcc_lo
	v_add_co_u32 v52, vcc_lo, v52, s34
	s_wait_alu 0xfffd
	v_add_co_ci_u32_e64 v53, null, s35, v53, vcc_lo
	v_add_co_u32 v54, vcc_lo, v54, s34
	s_wait_alu 0xfffd
	v_add_co_ci_u32_e64 v55, null, s35, v55, vcc_lo
	v_cmp_le_i32_e32 vcc_lo, s39, v49
	v_add_co_u32 v56, s7, v56, s34
	s_wait_alu 0xf1ff
	v_add_co_ci_u32_e64 v57, null, s35, v57, s7
	s_or_b32 s43, vcc_lo, s43
	s_delay_alu instid0(SALU_CYCLE_1)
	s_and_not1_b32 exec_lo, exec_lo, s43
	s_cbranch_execz .LBB429_32
.LBB429_27:                             ;   Parent Loop BB429_4 Depth=1
                                        ; =>  This Inner Loop Header: Depth=2
	s_and_saveexec_b32 s7, s1
	s_cbranch_execz .LBB429_26
; %bb.28:                               ;   in Loop: Header=BB429_27 Depth=2
	v_add_co_u32 v58, vcc_lo, v30, v6
	s_wait_alu 0xfffd
	v_add_co_ci_u32_e64 v59, null, v31, v7, vcc_lo
	v_add_co_u32 v60, vcc_lo, v30, v20
	s_wait_alu 0xfffd
	v_add_co_ci_u32_e64 v61, null, v31, v21, vcc_lo
	v_add_co_u32 v62, vcc_lo, v30, v18
	s_wait_alu 0xfffd
	v_add_co_ci_u32_e64 v63, null, v31, v19, vcc_lo
	v_add_co_u32 v64, vcc_lo, v30, v12
	s_wait_alu 0xfffd
	v_add_co_ci_u32_e64 v65, null, v31, v13, vcc_lo
	v_add_co_u32 v32, vcc_lo, v52, v8
	s_wait_alu 0xfffd
	v_add_co_ci_u32_e64 v33, null, v53, v9, vcc_lo
	v_add_co_u32 v34, vcc_lo, v56, v8
	s_wait_alu 0xfffd
	v_add_co_ci_u32_e64 v35, null, v57, v9, vcc_lo
	v_add_co_u32 v36, vcc_lo, v54, v8
	s_wait_alu 0xfffd
	v_add_co_ci_u32_e64 v37, null, v55, v9, vcc_lo
	v_add_co_u32 v38, vcc_lo, v50, v8
	s_wait_alu 0xfffd
	v_add_co_ci_u32_e64 v39, null, v51, v9, vcc_lo
	s_clause 0x3
	flat_load_u16 v58, v[58:59]
	flat_load_u16 v59, v[60:61]
	;; [unrolled: 1-line block ×8, first 2 shown]
	s_and_saveexec_b32 s44, s2
	s_cbranch_execz .LBB429_25
; %bb.29:                               ;   in Loop: Header=BB429_27 Depth=2
	flat_load_u16 v66, v[32:33] offset:128
	flat_load_u16 v67, v[34:35] offset:128
	flat_load_u16 v68, v[36:37] offset:128
	flat_load_u16 v69, v[38:39] offset:128
	s_wait_loadcnt_dscnt 0xb0b
	v_cvt_f32_f16_e32 v70, v58
	s_wait_loadcnt_dscnt 0xa0a
	v_cvt_f32_f16_e32 v71, v59
	;; [unrolled: 2-line block ×4, first 2 shown]
	s_and_saveexec_b32 s45, s3
	s_cbranch_execz .LBB429_24
; %bb.30:                               ;   in Loop: Header=BB429_27 Depth=2
	flat_load_u16 v74, v[32:33] offset:256
	flat_load_u16 v75, v[34:35] offset:256
	;; [unrolled: 1-line block ×4, first 2 shown]
	s_and_saveexec_b32 s46, s4
	s_cbranch_execz .LBB429_23
; %bb.31:                               ;   in Loop: Header=BB429_27 Depth=2
	flat_load_u16 v32, v[32:33] offset:384
	flat_load_u16 v33, v[34:35] offset:384
	;; [unrolled: 1-line block ×4, first 2 shown]
	s_wait_loadcnt_dscnt 0x303
	v_fma_mix_f32 v32, v70, v32, v48 op_sel_hi:[0,1,0]
	s_wait_loadcnt_dscnt 0x202
	s_delay_alu instid0(VALU_DEP_1) | instskip(SKIP_1) | instid1(VALU_DEP_1)
	v_fma_mix_f32 v32, v71, v33, v32 op_sel_hi:[0,1,0]
	s_wait_loadcnt_dscnt 0x101
	v_fma_mix_f32 v32, v72, v34, v32 op_sel_hi:[0,1,0]
	s_wait_loadcnt_dscnt 0x0
	s_delay_alu instid0(VALU_DEP_1)
	v_fma_mix_f32 v48, v73, v35, v32 op_sel_hi:[0,1,0]
	s_branch .LBB429_23
.LBB429_32:                             ;   in Loop: Header=BB429_4 Depth=1
	s_or_b32 exec_lo, exec_lo, s43
.LBB429_33:                             ;   in Loop: Header=BB429_4 Depth=1
	s_delay_alu instid0(SALU_CYCLE_1) | instskip(NEXT) | instid1(SALU_CYCLE_1)
	s_or_b32 exec_lo, exec_lo, s42
	s_and_not1_b32 vcc_lo, exec_lo, s40
	s_wait_alu 0xfffe
	s_cbranch_vccnz .LBB429_51
; %bb.34:                               ;   in Loop: Header=BB429_4 Depth=1
	v_cmp_gt_i32_e32 vcc_lo, s21, v49
	v_dual_mov_b32 v34, 0 :: v_dual_mov_b32 v35, 0
	v_or_b32_e32 v30, 1, v49
	v_dual_mov_b32 v36, 0 :: v_dual_mov_b32 v37, 0
	s_and_saveexec_b32 s42, vcc_lo
	s_cbranch_execz .LBB429_42
; %bb.35:                               ;   in Loop: Header=BB429_4 Depth=1
	v_mad_co_u64_u32 v[31:32], null, s26, v49, 0
	v_dual_mov_b32 v36, 0 :: v_dual_mov_b32 v35, 0
	v_mov_b32_e32 v34, 0
	s_mov_b32 s43, exec_lo
	s_delay_alu instid0(VALU_DEP_3) | instskip(NEXT) | instid1(VALU_DEP_1)
	v_mad_co_u64_u32 v[32:33], null, s27, v49, v[32:33]
	v_lshlrev_b64_e32 v[31:32], 1, v[31:32]
	s_delay_alu instid0(VALU_DEP_1) | instskip(SKIP_1) | instid1(VALU_DEP_2)
	v_add_co_u32 v31, s7, v28, v31
	s_wait_alu 0xf1ff
	v_add_co_ci_u32_e64 v32, null, v29, v32, s7
	flat_load_u16 v31, v[31:32]
	v_cmpx_gt_i32_e64 s21, v30
	s_cbranch_execz .LBB429_41
; %bb.36:                               ;   in Loop: Header=BB429_4 Depth=1
	v_mad_co_u64_u32 v[32:33], null, s26, v30, 0
	v_mov_b32_e32 v35, 0
	s_mov_b32 s44, exec_lo
	s_delay_alu instid0(VALU_DEP_2) | instskip(SKIP_1) | instid1(VALU_DEP_2)
	v_mad_co_u64_u32 v[33:34], null, s27, v30, v[33:34]
	v_mov_b32_e32 v34, 0
	v_lshlrev_b64_e32 v[32:33], 1, v[32:33]
	s_delay_alu instid0(VALU_DEP_1) | instskip(SKIP_1) | instid1(VALU_DEP_2)
	v_add_co_u32 v32, s7, v28, v32
	s_wait_alu 0xf1ff
	v_add_co_ci_u32_e64 v33, null, v29, v33, s7
	flat_load_u16 v32, v[32:33]
	v_or_b32_e32 v33, 2, v49
	s_delay_alu instid0(VALU_DEP_1)
	v_cmpx_gt_i32_e64 s21, v33
	s_cbranch_execz .LBB429_40
; %bb.37:                               ;   in Loop: Header=BB429_4 Depth=1
	v_mad_co_u64_u32 v[34:35], null, s26, v33, 0
	s_mov_b32 s45, exec_lo
	v_mad_co_u64_u32 v[35:36], null, s27, v33, v[35:36]
	s_delay_alu instid0(VALU_DEP_1) | instskip(SKIP_1) | instid1(VALU_DEP_2)
	v_lshlrev_b64_e32 v[33:34], 1, v[34:35]
	v_or_b32_e32 v35, 3, v49
	v_add_co_u32 v33, s7, v28, v33
	s_wait_alu 0xf1ff
	s_delay_alu instid0(VALU_DEP_3)
	v_add_co_ci_u32_e64 v34, null, v29, v34, s7
	flat_load_u16 v33, v[33:34]
	v_mov_b32_e32 v34, 0
	v_cmpx_gt_i32_e64 s21, v35
	s_cbranch_execz .LBB429_39
; %bb.38:                               ;   in Loop: Header=BB429_4 Depth=1
	v_mad_co_u64_u32 v[36:37], null, s26, v35, 0
	s_delay_alu instid0(VALU_DEP_1) | instskip(NEXT) | instid1(VALU_DEP_1)
	v_mov_b32_e32 v34, v37
	v_mad_co_u64_u32 v[34:35], null, s27, v35, v[34:35]
	s_delay_alu instid0(VALU_DEP_1) | instskip(NEXT) | instid1(VALU_DEP_1)
	v_mov_b32_e32 v37, v34
	v_lshlrev_b64_e32 v[34:35], 1, v[36:37]
	s_delay_alu instid0(VALU_DEP_1) | instskip(SKIP_1) | instid1(VALU_DEP_2)
	v_add_co_u32 v28, s7, v28, v34
	s_wait_alu 0xf1ff
	v_add_co_ci_u32_e64 v29, null, v29, v35, s7
	flat_load_u16 v28, v[28:29]
	s_wait_loadcnt_dscnt 0x0
	v_cvt_f32_f16_e32 v34, v28
.LBB429_39:                             ;   in Loop: Header=BB429_4 Depth=1
	s_or_b32 exec_lo, exec_lo, s45
	s_wait_loadcnt_dscnt 0x0
	v_cvt_f32_f16_e32 v35, v33
.LBB429_40:                             ;   in Loop: Header=BB429_4 Depth=1
	s_or_b32 exec_lo, exec_lo, s44
	s_wait_loadcnt_dscnt 0x0
	v_cvt_f32_f16_e32 v36, v32
.LBB429_41:                             ;   in Loop: Header=BB429_4 Depth=1
	s_or_b32 exec_lo, exec_lo, s43
	s_wait_loadcnt_dscnt 0x0
	v_cvt_f32_f16_e32 v37, v31
.LBB429_42:                             ;   in Loop: Header=BB429_4 Depth=1
	s_or_b32 exec_lo, exec_lo, s42
	s_and_saveexec_b32 s42, s1
	s_cbranch_execz .LBB429_50
; %bb.43:                               ;   in Loop: Header=BB429_4 Depth=1
	v_mad_co_u64_u32 v[28:29], null, s28, v49, 0
	v_or_b32_e32 v52, 2, v49
	v_mad_co_u64_u32 v[31:32], null, s28, v30, 0
	v_or_b32_e32 v53, 3, v49
	v_cmp_gt_i32_e64 s7, s21, v30
	s_delay_alu instid0(VALU_DEP_4) | instskip(SKIP_3) | instid1(VALU_DEP_4)
	v_mad_co_u64_u32 v[38:39], null, s28, v52, 0
	v_mad_co_u64_u32 v[49:50], null, s29, v49, v[29:30]
	;; [unrolled: 1-line block ×4, first 2 shown]
	v_mov_b32_e32 v30, v39
	s_delay_alu instid0(VALU_DEP_4)
	v_dual_cndmask_b32 v50, 0, v28 :: v_dual_cndmask_b32 v51, 0, v49
	s_wait_alu 0xf1ff
	v_cndmask_b32_e64 v28, 0, v31, s7
	v_cndmask_b32_e64 v29, 0, v29, s7
	v_mad_co_u64_u32 v[30:31], null, s29, v52, v[30:31]
	v_mov_b32_e32 v31, v33
	v_lshlrev_b64_e32 v[49:50], 1, v[50:51]
	v_cmp_gt_i32_e32 vcc_lo, s21, v52
	v_lshlrev_b64_e32 v[51:52], 1, v[28:29]
	s_wait_alu 0xfffd
	v_cndmask_b32_e32 v39, 0, v30, vcc_lo
	s_delay_alu instid0(VALU_DEP_4)
	v_add_co_u32 v28, s7, v26, v49
	s_wait_alu 0xf1ff
	v_add_co_ci_u32_e64 v29, null, v27, v50, s7
	v_mad_co_u64_u32 v[30:31], null, s29, v53, v[31:32]
	v_cndmask_b32_e32 v38, 0, v38, vcc_lo
	v_add_co_u32 v28, vcc_lo, v28, v8
	s_wait_alu 0xfffd
	v_add_co_ci_u32_e64 v29, null, v29, v9, vcc_lo
	v_cmp_gt_i32_e32 vcc_lo, s21, v53
	v_add_co_u32 v31, s7, v26, v51
	s_wait_alu 0xf1ff
	v_add_co_ci_u32_e64 v49, null, v27, v52, s7
	s_wait_alu 0xfffd
	v_dual_cndmask_b32 v32, 0, v32 :: v_dual_cndmask_b32 v33, 0, v30
	v_lshlrev_b64_e32 v[38:39], 1, v[38:39]
	v_add_co_u32 v30, vcc_lo, v31, v8
	s_wait_alu 0xfffd
	v_add_co_ci_u32_e64 v31, null, v49, v9, vcc_lo
	v_lshlrev_b64_e32 v[32:33], 1, v[32:33]
	s_delay_alu instid0(VALU_DEP_4) | instskip(SKIP_2) | instid1(VALU_DEP_3)
	v_add_co_u32 v38, vcc_lo, v26, v38
	s_wait_alu 0xfffd
	v_add_co_ci_u32_e64 v39, null, v27, v39, vcc_lo
	v_add_co_u32 v32, vcc_lo, v26, v32
	s_wait_alu 0xfffd
	v_add_co_ci_u32_e64 v33, null, v27, v33, vcc_lo
	;; [unrolled: 3-line block ×4, first 2 shown]
	s_clause 0x3
	flat_load_u16 v38, v[28:29]
	flat_load_u16 v39, v[30:31]
	;; [unrolled: 1-line block ×4, first 2 shown]
	s_and_saveexec_b32 s7, s2
	s_cbranch_execz .LBB429_49
; %bb.44:                               ;   in Loop: Header=BB429_4 Depth=1
	s_clause 0x3
	flat_load_u16 v51, v[28:29] offset:128
	flat_load_u16 v52, v[30:31] offset:128
	flat_load_u16 v53, v[26:27] offset:128
	flat_load_u16 v54, v[32:33] offset:128
	s_and_saveexec_b32 s43, s3
	s_cbranch_execz .LBB429_48
; %bb.45:                               ;   in Loop: Header=BB429_4 Depth=1
	s_clause 0x3
	flat_load_u16 v55, v[28:29] offset:256
	flat_load_u16 v56, v[30:31] offset:256
	flat_load_u16 v57, v[26:27] offset:256
	flat_load_u16 v58, v[32:33] offset:256
	;; [unrolled: 8-line block ×3, first 2 shown]
	s_wait_loadcnt_dscnt 0x303
	v_fma_mix_f32 v28, v37, v28, v48 op_sel_hi:[0,1,0]
	s_wait_loadcnt_dscnt 0x202
	s_delay_alu instid0(VALU_DEP_1) | instskip(SKIP_1) | instid1(VALU_DEP_1)
	v_fma_mix_f32 v28, v36, v29, v28 op_sel_hi:[0,1,0]
	s_wait_loadcnt_dscnt 0x101
	v_fma_mix_f32 v26, v35, v26, v28 op_sel_hi:[0,1,0]
	s_wait_loadcnt_dscnt 0x0
	s_delay_alu instid0(VALU_DEP_1)
	v_fma_mix_f32 v48, v34, v27, v26 op_sel_hi:[0,1,0]
.LBB429_47:                             ;   in Loop: Header=BB429_4 Depth=1
	s_or_b32 exec_lo, exec_lo, s44
	s_wait_loadcnt_dscnt 0x303
	v_fma_mix_f32 v26, v37, v55, v47 op_sel_hi:[0,1,0]
	s_wait_loadcnt_dscnt 0x202
	s_delay_alu instid0(VALU_DEP_1) | instskip(SKIP_1) | instid1(VALU_DEP_1)
	v_fma_mix_f32 v26, v36, v56, v26 op_sel_hi:[0,1,0]
	s_wait_loadcnt_dscnt 0x101
	v_fma_mix_f32 v26, v35, v57, v26 op_sel_hi:[0,1,0]
	s_wait_loadcnt_dscnt 0x0
	s_delay_alu instid0(VALU_DEP_1)
	v_fma_mix_f32 v47, v34, v58, v26 op_sel_hi:[0,1,0]
.LBB429_48:                             ;   in Loop: Header=BB429_4 Depth=1
	s_or_b32 exec_lo, exec_lo, s43
	s_wait_loadcnt_dscnt 0x303
	v_fma_mix_f32 v26, v37, v51, v46 op_sel_hi:[0,1,0]
	s_wait_loadcnt_dscnt 0x202
	s_delay_alu instid0(VALU_DEP_1) | instskip(SKIP_1) | instid1(VALU_DEP_1)
	v_fma_mix_f32 v26, v36, v52, v26 op_sel_hi:[0,1,0]
	s_wait_loadcnt_dscnt 0x101
	v_fma_mix_f32 v26, v35, v53, v26 op_sel_hi:[0,1,0]
	s_wait_loadcnt_dscnt 0x0
	s_delay_alu instid0(VALU_DEP_1)
	v_fma_mix_f32 v46, v34, v54, v26 op_sel_hi:[0,1,0]
.LBB429_49:                             ;   in Loop: Header=BB429_4 Depth=1
	s_wait_alu 0xfffe
	s_or_b32 exec_lo, exec_lo, s7
	s_wait_loadcnt_dscnt 0x303
	v_fma_mix_f32 v26, v37, v38, v45 op_sel_hi:[0,1,0]
	s_wait_loadcnt_dscnt 0x202
	s_delay_alu instid0(VALU_DEP_1) | instskip(SKIP_1) | instid1(VALU_DEP_1)
	v_fma_mix_f32 v26, v36, v39, v26 op_sel_hi:[0,1,0]
	s_wait_loadcnt_dscnt 0x101
	v_fma_mix_f32 v26, v35, v49, v26 op_sel_hi:[0,1,0]
	s_wait_loadcnt_dscnt 0x0
	s_delay_alu instid0(VALU_DEP_1)
	v_fma_mix_f32 v45, v34, v50, v26 op_sel_hi:[0,1,0]
.LBB429_50:                             ;   in Loop: Header=BB429_4 Depth=1
	s_or_b32 exec_lo, exec_lo, s42
.LBB429_51:                             ;   in Loop: Header=BB429_4 Depth=1
	ds_store_2addr_stride64_b32 v41, v45, v46 offset1:1
	ds_store_2addr_stride64_b32 v41, v47, v48 offset0:2 offset1:3
	s_wait_dscnt 0x0
	s_barrier_signal -1
	s_barrier_wait -1
	global_inv scope:SCOPE_SE
                                        ; implicit-def: $vgpr30
	s_and_saveexec_b32 s7, s0
	s_cbranch_execz .LBB429_57
; %bb.52:                               ;   in Loop: Header=BB429_4 Depth=1
	ds_load_2addr_stride64_b32 v[26:27], v0 offset1:4
	ds_load_2addr_stride64_b32 v[28:29], v0 offset0:8 offset1:12
	s_mov_b32 s43, s41
                                        ; implicit-def: $vgpr30
	s_wait_dscnt 0x1
	v_add_f32_e32 v26, v26, v27
	s_wait_dscnt 0x0
	s_delay_alu instid0(VALU_DEP_1) | instskip(NEXT) | instid1(VALU_DEP_1)
	v_add_f32_e32 v26, v28, v26
	v_add_f32_e32 v26, v29, v26
	ds_store_b32 v0, v26
	s_and_saveexec_b32 s42, s6
	s_cbranch_execz .LBB429_56
; %bb.53:                               ;   in Loop: Header=BB429_4 Depth=1
	v_mul_f32_e32 v26, s22, v26
	s_and_not1_b32 vcc_lo, exec_lo, s38
	s_wait_alu 0xfffe
	s_cbranch_vccnz .LBB429_55
; %bb.54:                               ;   in Loop: Header=BB429_4 Depth=1
	v_lshlrev_b64_e32 v[27:28], 1, v[4:5]
	s_delay_alu instid0(VALU_DEP_1) | instskip(SKIP_1) | instid1(VALU_DEP_2)
	v_add_co_u32 v27, vcc_lo, v43, v27
	s_wait_alu 0xfffd
	v_add_co_ci_u32_e64 v28, null, v44, v28, vcc_lo
	flat_load_u16 v27, v[27:28]
	s_wait_loadcnt_dscnt 0x0
	v_fma_mix_f32 v26, s33, v27, v26 op_sel_hi:[0,1,0]
.LBB429_55:                             ;   in Loop: Header=BB429_4 Depth=1
	s_delay_alu instid0(VALU_DEP_1)
	v_cvt_f16_f32_e32 v30, v26
	s_or_b32 s43, s41, exec_lo
.LBB429_56:                             ;   in Loop: Header=BB429_4 Depth=1
	s_or_b32 exec_lo, exec_lo, s42
	s_delay_alu instid0(SALU_CYCLE_1) | instskip(SKIP_1) | instid1(SALU_CYCLE_1)
	s_and_not1_b32 s41, s41, exec_lo
	s_and_b32 s42, s43, exec_lo
	s_or_b32 s41, s41, s42
.LBB429_57:                             ;   in Loop: Header=BB429_4 Depth=1
	s_wait_alu 0xfffe
	s_or_b32 exec_lo, exec_lo, s7
	v_dual_mov_b32 v27, v5 :: v_dual_mov_b32 v26, v4
	s_and_saveexec_b32 s7, s41
	s_cbranch_execz .LBB429_2
.LBB429_58:                             ;   in Loop: Header=BB429_4 Depth=1
	s_delay_alu instid0(VALU_DEP_1) | instskip(NEXT) | instid1(VALU_DEP_1)
	v_lshlrev_b64_e32 v[26:27], 1, v[26:27]
	v_add_co_u32 v26, vcc_lo, v43, v26
	s_wait_alu 0xfffd
	s_delay_alu instid0(VALU_DEP_2)
	v_add_co_ci_u32_e64 v27, null, v44, v27, vcc_lo
	flat_store_b16 v[26:27], v30
	s_branch .LBB429_2
.LBB429_59:
	s_endpgm
	.section	.rodata,"a",@progbits
	.p2align	6, 0x0
	.amdhsa_kernel _ZL20rocblas_gemvn_kernelILi64ELi4ElPKDF16_fKPDF16_EviiT3_lPKT2_lT1_lS7_lS8_lS4_lPT4_lS8_li
		.amdhsa_group_segment_fixed_size 4096
		.amdhsa_private_segment_fixed_size 0
		.amdhsa_kernarg_size 400
		.amdhsa_user_sgpr_count 2
		.amdhsa_user_sgpr_dispatch_ptr 0
		.amdhsa_user_sgpr_queue_ptr 0
		.amdhsa_user_sgpr_kernarg_segment_ptr 1
		.amdhsa_user_sgpr_dispatch_id 0
		.amdhsa_user_sgpr_private_segment_size 0
		.amdhsa_wavefront_size32 1
		.amdhsa_uses_dynamic_stack 0
		.amdhsa_enable_private_segment 0
		.amdhsa_system_sgpr_workgroup_id_x 1
		.amdhsa_system_sgpr_workgroup_id_y 0
		.amdhsa_system_sgpr_workgroup_id_z 1
		.amdhsa_system_sgpr_workgroup_info 0
		.amdhsa_system_vgpr_workitem_id 1
		.amdhsa_next_free_vgpr 78
		.amdhsa_next_free_sgpr 47
		.amdhsa_reserve_vcc 1
		.amdhsa_float_round_mode_32 0
		.amdhsa_float_round_mode_16_64 0
		.amdhsa_float_denorm_mode_32 3
		.amdhsa_float_denorm_mode_16_64 3
		.amdhsa_fp16_overflow 0
		.amdhsa_workgroup_processor_mode 1
		.amdhsa_memory_ordered 1
		.amdhsa_forward_progress 1
		.amdhsa_inst_pref_size 29
		.amdhsa_round_robin_scheduling 0
		.amdhsa_exception_fp_ieee_invalid_op 0
		.amdhsa_exception_fp_denorm_src 0
		.amdhsa_exception_fp_ieee_div_zero 0
		.amdhsa_exception_fp_ieee_overflow 0
		.amdhsa_exception_fp_ieee_underflow 0
		.amdhsa_exception_fp_ieee_inexact 0
		.amdhsa_exception_int_div_zero 0
	.end_amdhsa_kernel
	.section	.text._ZL20rocblas_gemvn_kernelILi64ELi4ElPKDF16_fKPDF16_EviiT3_lPKT2_lT1_lS7_lS8_lS4_lPT4_lS8_li,"axG",@progbits,_ZL20rocblas_gemvn_kernelILi64ELi4ElPKDF16_fKPDF16_EviiT3_lPKT2_lT1_lS7_lS8_lS4_lPT4_lS8_li,comdat
.Lfunc_end429:
	.size	_ZL20rocblas_gemvn_kernelILi64ELi4ElPKDF16_fKPDF16_EviiT3_lPKT2_lT1_lS7_lS8_lS4_lPT4_lS8_li, .Lfunc_end429-_ZL20rocblas_gemvn_kernelILi64ELi4ElPKDF16_fKPDF16_EviiT3_lPKT2_lT1_lS7_lS8_lS4_lPT4_lS8_li
                                        ; -- End function
	.set _ZL20rocblas_gemvn_kernelILi64ELi4ElPKDF16_fKPDF16_EviiT3_lPKT2_lT1_lS7_lS8_lS4_lPT4_lS8_li.num_vgpr, 78
	.set _ZL20rocblas_gemvn_kernelILi64ELi4ElPKDF16_fKPDF16_EviiT3_lPKT2_lT1_lS7_lS8_lS4_lPT4_lS8_li.num_agpr, 0
	.set _ZL20rocblas_gemvn_kernelILi64ELi4ElPKDF16_fKPDF16_EviiT3_lPKT2_lT1_lS7_lS8_lS4_lPT4_lS8_li.numbered_sgpr, 47
	.set _ZL20rocblas_gemvn_kernelILi64ELi4ElPKDF16_fKPDF16_EviiT3_lPKT2_lT1_lS7_lS8_lS4_lPT4_lS8_li.num_named_barrier, 0
	.set _ZL20rocblas_gemvn_kernelILi64ELi4ElPKDF16_fKPDF16_EviiT3_lPKT2_lT1_lS7_lS8_lS4_lPT4_lS8_li.private_seg_size, 0
	.set _ZL20rocblas_gemvn_kernelILi64ELi4ElPKDF16_fKPDF16_EviiT3_lPKT2_lT1_lS7_lS8_lS4_lPT4_lS8_li.uses_vcc, 1
	.set _ZL20rocblas_gemvn_kernelILi64ELi4ElPKDF16_fKPDF16_EviiT3_lPKT2_lT1_lS7_lS8_lS4_lPT4_lS8_li.uses_flat_scratch, 1
	.set _ZL20rocblas_gemvn_kernelILi64ELi4ElPKDF16_fKPDF16_EviiT3_lPKT2_lT1_lS7_lS8_lS4_lPT4_lS8_li.has_dyn_sized_stack, 0
	.set _ZL20rocblas_gemvn_kernelILi64ELi4ElPKDF16_fKPDF16_EviiT3_lPKT2_lT1_lS7_lS8_lS4_lPT4_lS8_li.has_recursion, 0
	.set _ZL20rocblas_gemvn_kernelILi64ELi4ElPKDF16_fKPDF16_EviiT3_lPKT2_lT1_lS7_lS8_lS4_lPT4_lS8_li.has_indirect_call, 0
	.section	.AMDGPU.csdata,"",@progbits
; Kernel info:
; codeLenInByte = 3708
; TotalNumSgprs: 49
; NumVgprs: 78
; ScratchSize: 0
; MemoryBound: 0
; FloatMode: 240
; IeeeMode: 1
; LDSByteSize: 4096 bytes/workgroup (compile time only)
; SGPRBlocks: 0
; VGPRBlocks: 9
; NumSGPRsForWavesPerEU: 49
; NumVGPRsForWavesPerEU: 78
; Occupancy: 16
; WaveLimiterHint : 1
; COMPUTE_PGM_RSRC2:SCRATCH_EN: 0
; COMPUTE_PGM_RSRC2:USER_SGPR: 2
; COMPUTE_PGM_RSRC2:TRAP_HANDLER: 0
; COMPUTE_PGM_RSRC2:TGID_X_EN: 1
; COMPUTE_PGM_RSRC2:TGID_Y_EN: 0
; COMPUTE_PGM_RSRC2:TGID_Z_EN: 1
; COMPUTE_PGM_RSRC2:TIDIG_COMP_CNT: 1
	.section	.text._ZL20rocblas_gemvn_kernelILi32ELi16EiPKDF16_PKfKPDF16_EviiT3_lPKT2_lT1_lS9_lSA_lS6_lPT4_lSA_li,"axG",@progbits,_ZL20rocblas_gemvn_kernelILi32ELi16EiPKDF16_PKfKPDF16_EviiT3_lPKT2_lT1_lS9_lSA_lS6_lPT4_lSA_li,comdat
	.globl	_ZL20rocblas_gemvn_kernelILi32ELi16EiPKDF16_PKfKPDF16_EviiT3_lPKT2_lT1_lS9_lSA_lS6_lPT4_lSA_li ; -- Begin function _ZL20rocblas_gemvn_kernelILi32ELi16EiPKDF16_PKfKPDF16_EviiT3_lPKT2_lT1_lS9_lSA_lS6_lPT4_lSA_li
	.p2align	8
	.type	_ZL20rocblas_gemvn_kernelILi32ELi16EiPKDF16_PKfKPDF16_EviiT3_lPKT2_lT1_lS9_lSA_lS6_lPT4_lSA_li,@function
_ZL20rocblas_gemvn_kernelILi32ELi16EiPKDF16_PKfKPDF16_EviiT3_lPKT2_lT1_lS9_lSA_lS6_lPT4_lSA_li: ; @_ZL20rocblas_gemvn_kernelILi32ELi16EiPKDF16_PKfKPDF16_EviiT3_lPKT2_lT1_lS9_lSA_lS6_lPT4_lSA_li
; %bb.0:
	s_clause 0x1
	s_load_b64 s[2:3], s[0:1], 0x9c
	s_load_b32 s33, s[0:1], 0x88
	s_lshr_b32 s10, ttmp7, 16
	s_wait_kmcnt 0x0
	s_lshr_b32 s4, s2, 16
	s_and_b32 s2, s2, 0xffff
	s_and_b32 s3, s3, 0xffff
	s_mul_i32 s2, s4, s2
	s_delay_alu instid0(SALU_CYCLE_1) | instskip(NEXT) | instid1(SALU_CYCLE_1)
	s_mul_i32 s2, s2, s3
	s_cmp_lg_u32 s2, 0x200
	s_cselect_b32 s2, -1, 0
	s_cmp_ge_u32 s10, s33
	s_cselect_b32 s3, -1, 0
	s_delay_alu instid0(SALU_CYCLE_1) | instskip(NEXT) | instid1(SALU_CYCLE_1)
	s_or_b32 s2, s2, s3
	s_and_b32 vcc_lo, exec_lo, s2
	s_cbranch_vccnz .LBB430_56
; %bb.1:
	s_clause 0x2
	s_load_b32 s6, s[0:1], 0x78
	s_load_b64 s[8:9], s[0:1], 0x0
	s_load_b256 s[12:19], s[0:1], 0x8
	v_and_b32_e32 v9, 0x3ff, v0
	v_bfe_u32 v8, v0, 10, 10
	s_clause 0x3
	s_load_b32 s35, s[0:1], 0x28
	s_load_b128 s[28:31], s[0:1], 0x38
	s_load_b32 s34, s[0:1], 0x48
	s_load_b256 s[20:27], s[0:1], 0x58
	s_lshl_b32 s36, ttmp9, 7
	v_mov_b32_e32 v1, 0
	v_add_nc_u32_e32 v25, s36, v9
	v_lshl_add_u32 v5, v8, 5, v9
	v_lshlrev_b32_e32 v26, 2, v8
	v_lshlrev_b32_e32 v6, 2, v9
	s_mov_b32 s11, 0
	v_add_nc_u32_e32 v4, 32, v25
	v_add_nc_u32_e32 v0, s36, v5
	v_or_b32_e32 v11, s36, v5
	v_add_nc_u32_e32 v7, 64, v25
	v_add_nc_u32_e32 v10, 0x60, v25
	v_or_b32_e32 v12, 3, v26
	v_lshl_add_u32 v27, v8, 7, v6
	s_wait_kmcnt 0x0
	v_mad_co_u64_u32 v[2:3], null, s6, v0, 0
	s_ashr_i32 s3, s6, 31
	s_ashr_i32 s7, s9, 31
	v_cmp_gt_i32_e64 s1, s8, v4
	s_wait_alu 0xfffe
	s_lshr_b32 s7, s7, 26
	v_cmp_gt_i32_e64 s2, s8, v7
	v_mul_lo_u32 v7, s35, v26
	v_mad_co_u64_u32 v[3:4], null, s3, v0, v[3:4]
	v_mul_lo_u32 v4, s6, v11
	s_wait_alu 0xfffe
	s_add_co_i32 s37, s9, s7
	v_cmp_gt_i32_e64 s6, s8, v11
	v_mul_lo_u32 v11, v8, s35
	s_ashr_i32 s5, s8, 31
	s_mov_b32 s4, s8
	v_cmp_gt_i32_e64 s3, s8, v10
	s_wait_alu 0xfffe
	s_and_not1_b32 s37, s37, 63
	v_or_b32_e32 v10, 2, v26
	v_cmp_gt_i64_e32 vcc_lo, s[4:5], v[0:1]
	s_wait_alu 0xfffe
	s_sub_co_i32 s5, s9, s37
	v_mul_lo_u32 v13, v8, s34
	s_wait_alu 0xfffe
	s_cmp_gt_i32 s5, 0
	v_cmp_gt_u32_e64 s5, 0x80, v5
	v_ashrrev_i32_e32 v5, 31, v4
	v_lshl_add_u32 v0, v8, 9, v6
	v_add3_u32 v28, v7, s35, v9
	v_mad_co_u64_u32 v[6:7], null, s35, v10, v[9:10]
	v_mad_co_u64_u32 v[7:8], null, s35, v12, v[9:10]
	v_lshl_add_u32 v29, v11, 2, v9
	v_mad_co_u64_u32 v[8:9], null, s34, v26, s[34:35]
	v_mul_lo_u32 v30, s34, v10
	v_mul_lo_u32 v31, s34, v12
	v_lshlrev_b64_e32 v[9:10], 1, v[2:3]
	v_lshlrev_b64_e32 v[11:12], 1, v[4:5]
	v_cmp_gt_i32_e64 s0, s8, v25
	v_cmp_gt_i32_e64 s4, s37, v26
	v_lshlrev_b32_e32 v32, 2, v13
	s_cselect_b32 s38, -1, 0
	s_and_b32 s39, s5, vcc_lo
	s_lshl_b32 s40, s35, 6
	s_lshl_b32 s41, s34, 6
	s_lshl_b64 s[18:19], s[18:19], 1
	s_lshl_b64 s[30:31], s[30:31], 1
	;; [unrolled: 1-line block ×3, first 2 shown]
	s_branch .LBB430_4
.LBB430_2:                              ;   in Loop: Header=BB430_4 Depth=1
	s_wait_alu 0xfffe
	s_or_b32 exec_lo, exec_lo, s7
.LBB430_3:                              ;   in Loop: Header=BB430_4 Depth=1
	s_add_co_i32 s10, s10, 0x10000
	s_delay_alu instid0(SALU_CYCLE_1)
	s_cmp_lt_u32 s10, s33
	s_cbranch_scc0 .LBB430_56
.LBB430_4:                              ; =>This Loop Header: Depth=1
                                        ;     Child Loop BB430_24 Depth 2
	s_mul_u64 s[42:43], s[14:15], s[10:11]
	s_mul_u64 s[44:45], s[22:23], s[10:11]
	s_wait_alu 0xfffe
	s_lshl_b64 s[42:43], s[42:43], 2
	s_lshl_b64 s[44:45], s[44:45], 2
	s_wait_alu 0xfffe
	s_add_nc_u64 s[42:43], s[12:13], s[42:43]
	s_add_nc_u64 s[44:45], s[20:21], s[44:45]
	s_clause 0x1
	global_load_b32 v33, v1, s[42:43]
	global_load_b32 v13, v1, s[44:45]
	s_wait_loadcnt 0x1
	v_cmp_eq_f32_e64 s7, 0, v33
	s_wait_loadcnt 0x0
	v_cmp_eq_f32_e32 vcc_lo, 1.0, v13
	v_readfirstlane_b32 s42, v13
	s_and_b32 s8, s7, vcc_lo
	s_wait_alu 0xfffe
	s_and_b32 vcc_lo, exec_lo, s8
	s_wait_alu 0xfffe
	s_cbranch_vccnz .LBB430_3
; %bb.5:                                ;   in Loop: Header=BB430_4 Depth=1
	v_mov_b32_e32 v15, 0
	v_dual_mov_b32 v16, 0 :: v_dual_mov_b32 v13, 0
	v_cmp_neq_f32_e64 s8, 0, v33
	v_mov_b32_e32 v14, 0
	s_and_b32 vcc_lo, exec_lo, s7
	s_wait_alu 0xfffe
	s_cbranch_vccnz .LBB430_7
; %bb.6:                                ;   in Loop: Header=BB430_4 Depth=1
	s_lshl_b64 s[44:45], s[10:11], 3
	s_wait_alu 0xfffe
	s_add_nc_u64 s[44:45], s[16:17], s[44:45]
	global_load_b64 v[13:14], v1, s[44:45]
	s_wait_loadcnt 0x0
	v_add_co_u32 v13, vcc_lo, v13, s18
	s_wait_alu 0xfffd
	v_add_co_ci_u32_e64 v14, null, s19, v14, vcc_lo
.LBB430_7:                              ;   in Loop: Header=BB430_4 Depth=1
	s_and_not1_b32 vcc_lo, exec_lo, s8
	s_wait_alu 0xfffe
	s_cbranch_vccnz .LBB430_9
; %bb.8:                                ;   in Loop: Header=BB430_4 Depth=1
	s_lshl_b64 s[44:45], s[10:11], 3
	s_wait_alu 0xfffe
	s_add_nc_u64 s[44:45], s[28:29], s[44:45]
	global_load_b64 v[15:16], v1, s[44:45]
	s_wait_loadcnt 0x0
	v_add_co_u32 v15, vcc_lo, v15, s30
	s_wait_alu 0xfffd
	v_add_co_ci_u32_e64 v16, null, s31, v16, vcc_lo
.LBB430_9:                              ;   in Loop: Header=BB430_4 Depth=1
	s_lshl_b64 s[44:45], s[10:11], 3
	s_wait_alu 0xfffe
	s_add_nc_u64 s[44:45], s[24:25], s[44:45]
	global_load_b64 v[17:18], v1, s[44:45]
	s_wait_loadcnt 0x0
	v_add_co_u32 v34, vcc_lo, v17, s26
	s_wait_alu 0xfffd
	v_add_co_ci_u32_e64 v35, null, s27, v18, vcc_lo
	s_and_not1_b32 vcc_lo, exec_lo, s7
	s_wait_alu 0xfffe
	s_cbranch_vccnz .LBB430_13
; %bb.10:                               ;   in Loop: Header=BB430_4 Depth=1
	s_mov_b32 s7, 0
	s_mov_b32 s8, 0
                                        ; implicit-def: $vgpr17
	s_and_saveexec_b32 s43, s39
	s_cbranch_execz .LBB430_14
; %bb.11:                               ;   in Loop: Header=BB430_4 Depth=1
	s_cmp_eq_f32 s42, 0
	s_cbranch_scc1 .LBB430_16
; %bb.12:                               ;   in Loop: Header=BB430_4 Depth=1
	v_add_co_u32 v17, vcc_lo, v34, v9
	s_wait_alu 0xfffd
	v_add_co_ci_u32_e64 v18, null, v35, v10, vcc_lo
	flat_load_u16 v17, v[17:18]
	s_wait_loadcnt_dscnt 0x0
	v_fma_mixlo_f16 v17, s42, v17, 0 op_sel_hi:[0,1,0]
	s_branch .LBB430_17
.LBB430_13:                             ;   in Loop: Header=BB430_4 Depth=1
	s_mov_b32 s8, 0
                                        ; implicit-def: $vgpr17
	s_cbranch_execz .LBB430_15
	s_branch .LBB430_18
.LBB430_14:                             ;   in Loop: Header=BB430_4 Depth=1
	s_wait_alu 0xfffe
	s_or_b32 exec_lo, exec_lo, s43
	s_delay_alu instid0(SALU_CYCLE_1)
	s_and_b32 vcc_lo, exec_lo, s7
	s_wait_alu 0xfffe
	s_cbranch_vccnz .LBB430_18
.LBB430_15:                             ;   in Loop: Header=BB430_4 Depth=1
	v_dual_mov_b32 v14, v3 :: v_dual_mov_b32 v13, v2
	s_wait_alu 0xfffe
	s_and_saveexec_b32 s7, s8
	s_cbranch_execz .LBB430_2
	s_branch .LBB430_55
.LBB430_16:                             ;   in Loop: Header=BB430_4 Depth=1
	v_mov_b32_e32 v17, 0
.LBB430_17:                             ;   in Loop: Header=BB430_4 Depth=1
	s_mov_b32 s8, exec_lo
	s_wait_alu 0xfffe
	s_or_b32 exec_lo, exec_lo, s43
	s_delay_alu instid0(SALU_CYCLE_1)
	s_and_b32 vcc_lo, exec_lo, s7
	s_wait_alu 0xfffe
	s_cbranch_vccz .LBB430_15
.LBB430_18:                             ;   in Loop: Header=BB430_4 Depth=1
	v_dual_mov_b32 v36, 0 :: v_dual_mov_b32 v37, 0
	v_dual_mov_b32 v40, v26 :: v_dual_mov_b32 v39, 0
	v_mov_b32_e32 v38, 0
	s_and_saveexec_b32 s7, s4
	s_cbranch_execz .LBB430_30
; %bb.19:                               ;   in Loop: Header=BB430_4 Depth=1
	v_dual_mov_b32 v36, 0 :: v_dual_mov_b32 v41, v29
	v_dual_mov_b32 v42, v7 :: v_dual_mov_b32 v43, v6
	;; [unrolled: 1-line block ×4, first 2 shown]
	v_mov_b32_e32 v38, 0
	s_mov_b32 s43, 0
	s_mov_b32 s44, 0
	s_branch .LBB430_24
.LBB430_20:                             ;   in Loop: Header=BB430_24 Depth=2
	s_or_b32 exec_lo, exec_lo, s48
	s_wait_loadcnt_dscnt 0x303
	v_fma_mix_f32 v17, v57, v61, v38 op_sel_hi:[0,1,0]
	s_wait_loadcnt_dscnt 0x202
	s_delay_alu instid0(VALU_DEP_1) | instskip(SKIP_1) | instid1(VALU_DEP_1)
	v_fma_mix_f32 v17, v58, v62, v17 op_sel_hi:[0,1,0]
	s_wait_loadcnt_dscnt 0x101
	v_fma_mix_f32 v17, v59, v63, v17 op_sel_hi:[0,1,0]
	s_wait_loadcnt_dscnt 0x0
	s_delay_alu instid0(VALU_DEP_1)
	v_fma_mix_f32 v38, v60, v64, v17 op_sel_hi:[0,1,0]
.LBB430_21:                             ;   in Loop: Header=BB430_24 Depth=2
	s_or_b32 exec_lo, exec_lo, s47
	s_wait_loadcnt_dscnt 0x303
	v_fma_mix_f32 v17, v57, v53, v37 op_sel_hi:[0,1,0]
	s_wait_loadcnt_dscnt 0x202
	s_delay_alu instid0(VALU_DEP_1) | instskip(SKIP_1) | instid1(VALU_DEP_1)
	v_fma_mix_f32 v17, v58, v54, v17 op_sel_hi:[0,1,0]
	s_wait_loadcnt_dscnt 0x101
	v_fma_mix_f32 v17, v59, v55, v17 op_sel_hi:[0,1,0]
	s_wait_loadcnt_dscnt 0x0
	s_delay_alu instid0(VALU_DEP_1)
	v_fma_mix_f32 v37, v60, v56, v17 op_sel_hi:[0,1,0]
.LBB430_22:                             ;   in Loop: Header=BB430_24 Depth=2
	s_or_b32 exec_lo, exec_lo, s46
	s_wait_loadcnt_dscnt 0x303
	v_fma_mix_f32 v17, v45, v49, v36 op_sel_hi:[1,1,0]
	s_wait_loadcnt_dscnt 0x202
	s_delay_alu instid0(VALU_DEP_1) | instskip(SKIP_1) | instid1(VALU_DEP_1)
	v_fma_mix_f32 v17, v46, v50, v17 op_sel_hi:[1,1,0]
	s_wait_loadcnt_dscnt 0x101
	v_fma_mix_f32 v17, v47, v51, v17 op_sel_hi:[1,1,0]
	s_wait_loadcnt_dscnt 0x0
	s_delay_alu instid0(VALU_DEP_1)
	v_fma_mix_f32 v36, v48, v52, v17 op_sel_hi:[1,1,0]
.LBB430_23:                             ;   in Loop: Header=BB430_24 Depth=2
	s_wait_alu 0xfffe
	s_or_b32 exec_lo, exec_lo, s45
	v_add_nc_u32_e32 v40, 64, v40
	v_add_nc_u32_e32 v44, s40, v44
	;; [unrolled: 1-line block ×5, first 2 shown]
	v_cmp_le_i32_e32 vcc_lo, s37, v40
	s_add_co_i32 s44, s44, s41
	s_or_b32 s43, vcc_lo, s43
	s_wait_alu 0xfffe
	s_and_not1_b32 exec_lo, exec_lo, s43
	s_cbranch_execz .LBB430_29
.LBB430_24:                             ;   Parent Loop BB430_4 Depth=1
                                        ; =>  This Inner Loop Header: Depth=2
	s_and_saveexec_b32 s45, s0
	s_cbranch_execz .LBB430_23
; %bb.25:                               ;   in Loop: Header=BB430_24 Depth=2
	s_wait_alu 0xfffe
	v_add_nc_u32_e32 v17, s44, v32
	v_add_nc_u32_e32 v19, s44, v8
	;; [unrolled: 1-line block ×5, first 2 shown]
	v_ashrrev_i32_e32 v18, 31, v17
	v_ashrrev_i32_e32 v20, 31, v19
	;; [unrolled: 1-line block ×5, first 2 shown]
	v_lshlrev_b64_e32 v[17:18], 1, v[17:18]
	v_lshlrev_b64_e32 v[19:20], 1, v[19:20]
	;; [unrolled: 1-line block ×3, first 2 shown]
	s_delay_alu instid0(VALU_DEP_3) | instskip(SKIP_1) | instid1(VALU_DEP_4)
	v_add_co_u32 v47, vcc_lo, v15, v17
	s_wait_alu 0xfffd
	v_add_co_ci_u32_e64 v48, null, v16, v18, vcc_lo
	s_delay_alu instid0(VALU_DEP_4)
	v_add_co_u32 v49, vcc_lo, v15, v19
	v_add_nc_u32_e32 v19, s36, v44
	s_wait_alu 0xfffd
	v_add_co_ci_u32_e64 v50, null, v16, v20, vcc_lo
	v_lshlrev_b64_e32 v[17:18], 1, v[23:24]
	v_add_co_u32 v51, vcc_lo, v15, v21
	v_add_nc_u32_e32 v23, s36, v43
	s_wait_alu 0xfffd
	v_add_co_ci_u32_e64 v52, null, v16, v22, vcc_lo
	v_lshlrev_b64_e32 v[21:22], 1, v[45:46]
	v_add_nc_u32_e32 v45, s36, v42
	v_ashrrev_i32_e32 v20, 31, v19
	v_ashrrev_i32_e32 v24, 31, v23
	v_add_co_u32 v53, vcc_lo, v15, v17
	s_delay_alu instid0(VALU_DEP_4)
	v_ashrrev_i32_e32 v46, 31, v45
	s_wait_alu 0xfffd
	v_add_co_ci_u32_e64 v54, null, v16, v18, vcc_lo
	v_lshlrev_b64_e32 v[19:20], 1, v[19:20]
	v_add_co_u32 v17, vcc_lo, v13, v21
	s_wait_alu 0xfffd
	v_add_co_ci_u32_e64 v18, null, v14, v22, vcc_lo
	v_lshlrev_b64_e32 v[21:22], 1, v[23:24]
	v_lshlrev_b64_e32 v[23:24], 1, v[45:46]
	v_add_co_u32 v19, vcc_lo, v13, v19
	s_wait_alu 0xfffd
	v_add_co_ci_u32_e64 v20, null, v14, v20, vcc_lo
	s_delay_alu instid0(VALU_DEP_4)
	v_add_co_u32 v21, vcc_lo, v13, v21
	s_wait_alu 0xfffd
	v_add_co_ci_u32_e64 v22, null, v14, v22, vcc_lo
	v_add_co_u32 v23, vcc_lo, v13, v23
	s_wait_alu 0xfffd
	v_add_co_ci_u32_e64 v24, null, v14, v24, vcc_lo
	s_clause 0x3
	flat_load_u16 v45, v[47:48]
	flat_load_u16 v46, v[49:50]
	;; [unrolled: 1-line block ×4, first 2 shown]
	s_clause 0x3
	flat_load_u16 v49, v[17:18]
	flat_load_u16 v50, v[19:20]
	flat_load_u16 v51, v[21:22]
	flat_load_u16 v52, v[23:24]
	s_and_saveexec_b32 s46, s1
	s_cbranch_execz .LBB430_22
; %bb.26:                               ;   in Loop: Header=BB430_24 Depth=2
	s_clause 0x3
	flat_load_u16 v53, v[17:18] offset:64
	flat_load_u16 v54, v[19:20] offset:64
	flat_load_u16 v55, v[21:22] offset:64
	flat_load_u16 v56, v[23:24] offset:64
	s_wait_loadcnt_dscnt 0xb0b
	v_cvt_f32_f16_e32 v57, v45
	s_wait_loadcnt_dscnt 0xa0a
	v_cvt_f32_f16_e32 v58, v46
	;; [unrolled: 2-line block ×4, first 2 shown]
	s_and_saveexec_b32 s47, s2
	s_cbranch_execz .LBB430_21
; %bb.27:                               ;   in Loop: Header=BB430_24 Depth=2
	s_clause 0x3
	flat_load_u16 v61, v[17:18] offset:128
	flat_load_u16 v62, v[19:20] offset:128
	;; [unrolled: 1-line block ×4, first 2 shown]
	s_and_saveexec_b32 s48, s3
	s_cbranch_execz .LBB430_20
; %bb.28:                               ;   in Loop: Header=BB430_24 Depth=2
	s_clause 0x3
	flat_load_u16 v17, v[17:18] offset:192
	flat_load_u16 v18, v[19:20] offset:192
	;; [unrolled: 1-line block ×4, first 2 shown]
	s_wait_loadcnt_dscnt 0x303
	v_fma_mix_f32 v17, v57, v17, v39 op_sel_hi:[0,1,0]
	s_wait_loadcnt_dscnt 0x202
	s_delay_alu instid0(VALU_DEP_1) | instskip(SKIP_1) | instid1(VALU_DEP_1)
	v_fma_mix_f32 v17, v58, v18, v17 op_sel_hi:[0,1,0]
	s_wait_loadcnt_dscnt 0x101
	v_fma_mix_f32 v17, v59, v19, v17 op_sel_hi:[0,1,0]
	s_wait_loadcnt_dscnt 0x0
	s_delay_alu instid0(VALU_DEP_1)
	v_fma_mix_f32 v39, v60, v20, v17 op_sel_hi:[0,1,0]
	s_branch .LBB430_20
.LBB430_29:                             ;   in Loop: Header=BB430_4 Depth=1
	s_or_b32 exec_lo, exec_lo, s43
.LBB430_30:                             ;   in Loop: Header=BB430_4 Depth=1
	s_wait_alu 0xfffe
	s_or_b32 exec_lo, exec_lo, s7
	s_delay_alu instid0(SALU_CYCLE_1)
	s_and_not1_b32 vcc_lo, exec_lo, s38
	s_wait_alu 0xfffe
	s_cbranch_vccnz .LBB430_48
; %bb.31:                               ;   in Loop: Header=BB430_4 Depth=1
	v_cmp_gt_i32_e32 vcc_lo, s9, v40
	v_dual_mov_b32 v21, 0 :: v_dual_mov_b32 v22, 0
	v_or_b32_e32 v17, 1, v40
	v_dual_mov_b32 v23, 0 :: v_dual_mov_b32 v24, 0
	s_and_saveexec_b32 s43, vcc_lo
	s_cbranch_execz .LBB430_39
; %bb.32:                               ;   in Loop: Header=BB430_4 Depth=1
	v_mul_lo_u32 v18, v40, s34
	v_dual_mov_b32 v23, 0 :: v_dual_mov_b32 v22, 0
	v_mov_b32_e32 v21, 0
	s_mov_b32 s44, exec_lo
	s_delay_alu instid0(VALU_DEP_3) | instskip(NEXT) | instid1(VALU_DEP_1)
	v_ashrrev_i32_e32 v19, 31, v18
	v_lshlrev_b64_e32 v[18:19], 1, v[18:19]
	s_delay_alu instid0(VALU_DEP_1) | instskip(SKIP_1) | instid1(VALU_DEP_2)
	v_add_co_u32 v18, s7, v15, v18
	s_wait_alu 0xf1ff
	v_add_co_ci_u32_e64 v19, null, v16, v19, s7
	flat_load_u16 v18, v[18:19]
	v_cmpx_gt_i32_e64 s9, v17
	s_cbranch_execz .LBB430_38
; %bb.33:                               ;   in Loop: Header=BB430_4 Depth=1
	v_mul_lo_u32 v19, v17, s34
	v_dual_mov_b32 v22, 0 :: v_dual_mov_b32 v21, 0
	s_mov_b32 s45, exec_lo
	s_delay_alu instid0(VALU_DEP_2) | instskip(NEXT) | instid1(VALU_DEP_1)
	v_ashrrev_i32_e32 v20, 31, v19
	v_lshlrev_b64_e32 v[19:20], 1, v[19:20]
	s_delay_alu instid0(VALU_DEP_1) | instskip(SKIP_1) | instid1(VALU_DEP_2)
	v_add_co_u32 v19, s7, v15, v19
	s_wait_alu 0xf1ff
	v_add_co_ci_u32_e64 v20, null, v16, v20, s7
	flat_load_u16 v19, v[19:20]
	v_or_b32_e32 v20, 2, v40
	s_delay_alu instid0(VALU_DEP_1)
	v_cmpx_gt_i32_e64 s9, v20
	s_cbranch_execz .LBB430_37
; %bb.34:                               ;   in Loop: Header=BB430_4 Depth=1
	v_mul_lo_u32 v20, v20, s34
	v_or_b32_e32 v22, 3, v40
	s_mov_b32 s46, exec_lo
	s_delay_alu instid0(VALU_DEP_2) | instskip(NEXT) | instid1(VALU_DEP_1)
	v_ashrrev_i32_e32 v21, 31, v20
	v_lshlrev_b64_e32 v[20:21], 1, v[20:21]
	s_delay_alu instid0(VALU_DEP_1) | instskip(SKIP_1) | instid1(VALU_DEP_2)
	v_add_co_u32 v20, s7, v15, v20
	s_wait_alu 0xf1ff
	v_add_co_ci_u32_e64 v21, null, v16, v21, s7
	flat_load_u16 v20, v[20:21]
	v_mov_b32_e32 v21, 0
	v_cmpx_gt_i32_e64 s9, v22
	s_cbranch_execz .LBB430_36
; %bb.35:                               ;   in Loop: Header=BB430_4 Depth=1
	v_mul_lo_u32 v21, v22, s34
	s_delay_alu instid0(VALU_DEP_1) | instskip(NEXT) | instid1(VALU_DEP_1)
	v_ashrrev_i32_e32 v22, 31, v21
	v_lshlrev_b64_e32 v[21:22], 1, v[21:22]
	s_delay_alu instid0(VALU_DEP_1) | instskip(SKIP_1) | instid1(VALU_DEP_2)
	v_add_co_u32 v15, s7, v15, v21
	s_wait_alu 0xf1ff
	v_add_co_ci_u32_e64 v16, null, v16, v22, s7
	flat_load_u16 v15, v[15:16]
	s_wait_loadcnt_dscnt 0x0
	v_cvt_f32_f16_e32 v21, v15
.LBB430_36:                             ;   in Loop: Header=BB430_4 Depth=1
	s_or_b32 exec_lo, exec_lo, s46
	s_wait_loadcnt_dscnt 0x0
	v_cvt_f32_f16_e32 v22, v20
.LBB430_37:                             ;   in Loop: Header=BB430_4 Depth=1
	s_wait_alu 0xfffe
	s_or_b32 exec_lo, exec_lo, s45
	s_wait_loadcnt_dscnt 0x0
	v_cvt_f32_f16_e32 v23, v19
.LBB430_38:                             ;   in Loop: Header=BB430_4 Depth=1
	s_wait_alu 0xfffe
	s_or_b32 exec_lo, exec_lo, s44
	s_wait_loadcnt_dscnt 0x0
	v_cvt_f32_f16_e32 v24, v18
.LBB430_39:                             ;   in Loop: Header=BB430_4 Depth=1
	s_wait_alu 0xfffe
	s_or_b32 exec_lo, exec_lo, s43
	s_and_saveexec_b32 s7, s0
	s_cbranch_execz .LBB430_47
; %bb.40:                               ;   in Loop: Header=BB430_4 Depth=1
	v_mul_lo_u32 v16, v40, s35
	v_or_b32_e32 v15, 2, v40
	v_mul_lo_u32 v19, v17, s35
	v_or_b32_e32 v18, 3, v40
	s_delay_alu instid0(VALU_DEP_3) | instskip(NEXT) | instid1(VALU_DEP_2)
	v_mul_lo_u32 v20, v15, s35
	v_mul_lo_u32 v40, v18, s35
	v_cndmask_b32_e32 v16, 0, v16, vcc_lo
	v_cmp_gt_i32_e32 vcc_lo, s9, v17
	s_wait_alu 0xfffd
	v_cndmask_b32_e32 v17, 0, v19, vcc_lo
	v_cmp_gt_i32_e32 vcc_lo, s9, v15
	v_add_nc_u32_e32 v15, v16, v25
	s_delay_alu instid0(VALU_DEP_3)
	v_add_nc_u32_e32 v17, v17, v25
	s_wait_alu 0xfffd
	v_cndmask_b32_e32 v19, 0, v20, vcc_lo
	v_cmp_gt_i32_e32 vcc_lo, s9, v18
	v_ashrrev_i32_e32 v16, 31, v15
	s_wait_alu 0xfffd
	v_cndmask_b32_e32 v18, 0, v40, vcc_lo
	s_delay_alu instid0(VALU_DEP_2) | instskip(NEXT) | instid1(VALU_DEP_2)
	v_lshlrev_b64_e32 v[15:16], 1, v[15:16]
	v_add_nc_u32_e32 v40, v18, v25
	v_add_nc_u32_e32 v19, v19, v25
	v_ashrrev_i32_e32 v18, 31, v17
	s_delay_alu instid0(VALU_DEP_4) | instskip(NEXT) | instid1(VALU_DEP_4)
	v_add_co_u32 v15, vcc_lo, v13, v15
	v_ashrrev_i32_e32 v41, 31, v40
	s_delay_alu instid0(VALU_DEP_4) | instskip(NEXT) | instid1(VALU_DEP_4)
	v_ashrrev_i32_e32 v20, 31, v19
	v_lshlrev_b64_e32 v[17:18], 1, v[17:18]
	s_wait_alu 0xfffd
	v_add_co_ci_u32_e64 v16, null, v14, v16, vcc_lo
	v_lshlrev_b64_e32 v[40:41], 1, v[40:41]
	v_lshlrev_b64_e32 v[19:20], 1, v[19:20]
	s_delay_alu instid0(VALU_DEP_4) | instskip(SKIP_2) | instid1(VALU_DEP_3)
	v_add_co_u32 v17, vcc_lo, v13, v17
	s_wait_alu 0xfffd
	v_add_co_ci_u32_e64 v18, null, v14, v18, vcc_lo
	v_add_co_u32 v19, vcc_lo, v13, v19
	s_wait_alu 0xfffd
	v_add_co_ci_u32_e64 v20, null, v14, v20, vcc_lo
	;; [unrolled: 3-line block ×3, first 2 shown]
	s_clause 0x3
	flat_load_u16 v40, v[15:16]
	flat_load_u16 v41, v[17:18]
	;; [unrolled: 1-line block ×4, first 2 shown]
	s_and_saveexec_b32 s43, s1
	s_cbranch_execz .LBB430_46
; %bb.41:                               ;   in Loop: Header=BB430_4 Depth=1
	s_clause 0x3
	flat_load_u16 v44, v[15:16] offset:64
	flat_load_u16 v45, v[17:18] offset:64
	flat_load_u16 v46, v[19:20] offset:64
	flat_load_u16 v47, v[13:14] offset:64
	s_and_saveexec_b32 s44, s2
	s_cbranch_execz .LBB430_45
; %bb.42:                               ;   in Loop: Header=BB430_4 Depth=1
	s_clause 0x3
	flat_load_u16 v48, v[15:16] offset:128
	flat_load_u16 v49, v[17:18] offset:128
	flat_load_u16 v50, v[19:20] offset:128
	flat_load_u16 v51, v[13:14] offset:128
	;; [unrolled: 8-line block ×3, first 2 shown]
	s_wait_loadcnt_dscnt 0x303
	v_fma_mix_f32 v14, v24, v15, v39 op_sel_hi:[0,1,0]
	s_wait_loadcnt_dscnt 0x202
	s_delay_alu instid0(VALU_DEP_1) | instskip(SKIP_1) | instid1(VALU_DEP_1)
	v_fma_mix_f32 v14, v23, v16, v14 op_sel_hi:[0,1,0]
	s_wait_loadcnt_dscnt 0x101
	v_fma_mix_f32 v14, v22, v17, v14 op_sel_hi:[0,1,0]
	s_wait_loadcnt_dscnt 0x0
	s_delay_alu instid0(VALU_DEP_1)
	v_fma_mix_f32 v39, v21, v13, v14 op_sel_hi:[0,1,0]
.LBB430_44:                             ;   in Loop: Header=BB430_4 Depth=1
	s_wait_alu 0xfffe
	s_or_b32 exec_lo, exec_lo, s45
	s_wait_loadcnt_dscnt 0x303
	v_fma_mix_f32 v13, v24, v48, v38 op_sel_hi:[0,1,0]
	s_wait_loadcnt_dscnt 0x202
	s_delay_alu instid0(VALU_DEP_1) | instskip(SKIP_1) | instid1(VALU_DEP_1)
	v_fma_mix_f32 v13, v23, v49, v13 op_sel_hi:[0,1,0]
	s_wait_loadcnt_dscnt 0x101
	v_fma_mix_f32 v13, v22, v50, v13 op_sel_hi:[0,1,0]
	s_wait_loadcnt_dscnt 0x0
	s_delay_alu instid0(VALU_DEP_1)
	v_fma_mix_f32 v38, v21, v51, v13 op_sel_hi:[0,1,0]
.LBB430_45:                             ;   in Loop: Header=BB430_4 Depth=1
	s_wait_alu 0xfffe
	s_or_b32 exec_lo, exec_lo, s44
	s_wait_loadcnt_dscnt 0x303
	v_fma_mix_f32 v13, v24, v44, v37 op_sel_hi:[0,1,0]
	s_wait_loadcnt_dscnt 0x202
	s_delay_alu instid0(VALU_DEP_1) | instskip(SKIP_1) | instid1(VALU_DEP_1)
	v_fma_mix_f32 v13, v23, v45, v13 op_sel_hi:[0,1,0]
	s_wait_loadcnt_dscnt 0x101
	v_fma_mix_f32 v13, v22, v46, v13 op_sel_hi:[0,1,0]
	s_wait_loadcnt_dscnt 0x0
	s_delay_alu instid0(VALU_DEP_1)
	v_fma_mix_f32 v37, v21, v47, v13 op_sel_hi:[0,1,0]
.LBB430_46:                             ;   in Loop: Header=BB430_4 Depth=1
	s_wait_alu 0xfffe
	s_or_b32 exec_lo, exec_lo, s43
	s_wait_loadcnt_dscnt 0x303
	v_fma_mix_f32 v13, v24, v40, v36 op_sel_hi:[0,1,0]
	s_wait_loadcnt_dscnt 0x202
	s_delay_alu instid0(VALU_DEP_1) | instskip(SKIP_1) | instid1(VALU_DEP_1)
	v_fma_mix_f32 v13, v23, v41, v13 op_sel_hi:[0,1,0]
	s_wait_loadcnt_dscnt 0x101
	v_fma_mix_f32 v13, v22, v42, v13 op_sel_hi:[0,1,0]
	s_wait_loadcnt_dscnt 0x0
	s_delay_alu instid0(VALU_DEP_1)
	v_fma_mix_f32 v36, v21, v43, v13 op_sel_hi:[0,1,0]
.LBB430_47:                             ;   in Loop: Header=BB430_4 Depth=1
	s_wait_alu 0xfffe
	s_or_b32 exec_lo, exec_lo, s7
.LBB430_48:                             ;   in Loop: Header=BB430_4 Depth=1
	ds_store_2addr_b32 v0, v36, v37 offset1:32
	ds_store_2addr_b32 v0, v38, v39 offset0:64 offset1:96
	s_wait_dscnt 0x0
	s_barrier_signal -1
	s_barrier_wait -1
	global_inv scope:SCOPE_SE
                                        ; implicit-def: $vgpr17
	s_and_saveexec_b32 s7, s5
	s_cbranch_execz .LBB430_54
; %bb.49:                               ;   in Loop: Header=BB430_4 Depth=1
	ds_load_2addr_stride64_b32 v[13:14], v27 offset1:2
	ds_load_2addr_stride64_b32 v[15:16], v27 offset0:4 offset1:6
	ds_load_2addr_stride64_b32 v[17:18], v27 offset0:8 offset1:10
	s_mov_b32 s44, s8
	s_wait_dscnt 0x2
	v_add_f32_e32 v19, v13, v14
	ds_load_2addr_stride64_b32 v[13:14], v27 offset0:12 offset1:14
	s_wait_dscnt 0x2
	v_add_f32_e32 v15, v15, v19
	s_delay_alu instid0(VALU_DEP_1) | instskip(SKIP_3) | instid1(VALU_DEP_1)
	v_add_f32_e32 v19, v16, v15
	ds_load_2addr_stride64_b32 v[15:16], v27 offset0:16 offset1:18
	s_wait_dscnt 0x2
	v_add_f32_e32 v17, v17, v19
	v_add_f32_e32 v19, v18, v17
	ds_load_2addr_stride64_b32 v[17:18], v27 offset0:20 offset1:22
	s_wait_dscnt 0x2
	v_add_f32_e32 v13, v13, v19
	s_delay_alu instid0(VALU_DEP_1) | instskip(SKIP_1) | instid1(VALU_DEP_1)
	v_add_f32_e32 v13, v14, v13
	s_wait_dscnt 0x1
	v_add_f32_e32 v15, v15, v13
	ds_load_2addr_stride64_b32 v[13:14], v27 offset0:24 offset1:26
	v_add_f32_e32 v15, v16, v15
	s_wait_dscnt 0x1
	s_delay_alu instid0(VALU_DEP_1) | instskip(SKIP_3) | instid1(VALU_DEP_1)
	v_add_f32_e32 v17, v17, v15
	ds_load_2addr_stride64_b32 v[15:16], v27 offset0:28 offset1:30
	v_add_f32_e32 v17, v18, v17
	s_wait_dscnt 0x1
	v_add_f32_e32 v13, v13, v17
                                        ; implicit-def: $vgpr17
	s_delay_alu instid0(VALU_DEP_1) | instskip(SKIP_1) | instid1(VALU_DEP_1)
	v_add_f32_e32 v13, v14, v13
	s_wait_dscnt 0x0
	v_add_f32_e32 v13, v15, v13
	s_delay_alu instid0(VALU_DEP_1)
	v_add_f32_e32 v13, v16, v13
	ds_store_b32 v27, v13
	s_and_saveexec_b32 s43, s6
	s_cbranch_execz .LBB430_53
; %bb.50:                               ;   in Loop: Header=BB430_4 Depth=1
	v_mul_f32_e32 v13, v33, v13
	s_cmp_eq_f32 s42, 0
	s_cbranch_scc1 .LBB430_52
; %bb.51:                               ;   in Loop: Header=BB430_4 Depth=1
	v_add_co_u32 v14, vcc_lo, v34, v11
	s_wait_alu 0xfffd
	v_add_co_ci_u32_e64 v15, null, v35, v12, vcc_lo
	flat_load_u16 v14, v[14:15]
	s_wait_loadcnt_dscnt 0x0
	v_fma_mix_f32 v13, s42, v14, v13 op_sel_hi:[0,1,0]
.LBB430_52:                             ;   in Loop: Header=BB430_4 Depth=1
	s_delay_alu instid0(VALU_DEP_1)
	v_cvt_f16_f32_e32 v17, v13
	s_or_b32 s44, s8, exec_lo
.LBB430_53:                             ;   in Loop: Header=BB430_4 Depth=1
	s_wait_alu 0xfffe
	s_or_b32 exec_lo, exec_lo, s43
	s_delay_alu instid0(SALU_CYCLE_1)
	s_and_not1_b32 s8, s8, exec_lo
	s_and_b32 s42, s44, exec_lo
	s_wait_alu 0xfffe
	s_or_b32 s8, s8, s42
.LBB430_54:                             ;   in Loop: Header=BB430_4 Depth=1
	s_wait_alu 0xfffe
	s_or_b32 exec_lo, exec_lo, s7
	v_dual_mov_b32 v14, v5 :: v_dual_mov_b32 v13, v4
	s_and_saveexec_b32 s7, s8
	s_cbranch_execz .LBB430_2
.LBB430_55:                             ;   in Loop: Header=BB430_4 Depth=1
	s_delay_alu instid0(VALU_DEP_1) | instskip(NEXT) | instid1(VALU_DEP_1)
	v_lshlrev_b64_e32 v[13:14], 1, v[13:14]
	v_add_co_u32 v13, vcc_lo, v34, v13
	s_wait_alu 0xfffd
	s_delay_alu instid0(VALU_DEP_2)
	v_add_co_ci_u32_e64 v14, null, v35, v14, vcc_lo
	flat_store_b16 v[13:14], v17
	s_branch .LBB430_2
.LBB430_56:
	s_endpgm
	.section	.rodata,"a",@progbits
	.p2align	6, 0x0
	.amdhsa_kernel _ZL20rocblas_gemvn_kernelILi32ELi16EiPKDF16_PKfKPDF16_EviiT3_lPKT2_lT1_lS9_lSA_lS6_lPT4_lSA_li
		.amdhsa_group_segment_fixed_size 8192
		.amdhsa_private_segment_fixed_size 0
		.amdhsa_kernarg_size 400
		.amdhsa_user_sgpr_count 2
		.amdhsa_user_sgpr_dispatch_ptr 0
		.amdhsa_user_sgpr_queue_ptr 0
		.amdhsa_user_sgpr_kernarg_segment_ptr 1
		.amdhsa_user_sgpr_dispatch_id 0
		.amdhsa_user_sgpr_private_segment_size 0
		.amdhsa_wavefront_size32 1
		.amdhsa_uses_dynamic_stack 0
		.amdhsa_enable_private_segment 0
		.amdhsa_system_sgpr_workgroup_id_x 1
		.amdhsa_system_sgpr_workgroup_id_y 0
		.amdhsa_system_sgpr_workgroup_id_z 1
		.amdhsa_system_sgpr_workgroup_info 0
		.amdhsa_system_vgpr_workitem_id 1
		.amdhsa_next_free_vgpr 65
		.amdhsa_next_free_sgpr 49
		.amdhsa_reserve_vcc 1
		.amdhsa_float_round_mode_32 0
		.amdhsa_float_round_mode_16_64 0
		.amdhsa_float_denorm_mode_32 3
		.amdhsa_float_denorm_mode_16_64 3
		.amdhsa_fp16_overflow 0
		.amdhsa_workgroup_processor_mode 1
		.amdhsa_memory_ordered 1
		.amdhsa_forward_progress 1
		.amdhsa_inst_pref_size 28
		.amdhsa_round_robin_scheduling 0
		.amdhsa_exception_fp_ieee_invalid_op 0
		.amdhsa_exception_fp_denorm_src 0
		.amdhsa_exception_fp_ieee_div_zero 0
		.amdhsa_exception_fp_ieee_overflow 0
		.amdhsa_exception_fp_ieee_underflow 0
		.amdhsa_exception_fp_ieee_inexact 0
		.amdhsa_exception_int_div_zero 0
	.end_amdhsa_kernel
	.section	.text._ZL20rocblas_gemvn_kernelILi32ELi16EiPKDF16_PKfKPDF16_EviiT3_lPKT2_lT1_lS9_lSA_lS6_lPT4_lSA_li,"axG",@progbits,_ZL20rocblas_gemvn_kernelILi32ELi16EiPKDF16_PKfKPDF16_EviiT3_lPKT2_lT1_lS9_lSA_lS6_lPT4_lSA_li,comdat
.Lfunc_end430:
	.size	_ZL20rocblas_gemvn_kernelILi32ELi16EiPKDF16_PKfKPDF16_EviiT3_lPKT2_lT1_lS9_lSA_lS6_lPT4_lSA_li, .Lfunc_end430-_ZL20rocblas_gemvn_kernelILi32ELi16EiPKDF16_PKfKPDF16_EviiT3_lPKT2_lT1_lS9_lSA_lS6_lPT4_lSA_li
                                        ; -- End function
	.set _ZL20rocblas_gemvn_kernelILi32ELi16EiPKDF16_PKfKPDF16_EviiT3_lPKT2_lT1_lS9_lSA_lS6_lPT4_lSA_li.num_vgpr, 65
	.set _ZL20rocblas_gemvn_kernelILi32ELi16EiPKDF16_PKfKPDF16_EviiT3_lPKT2_lT1_lS9_lSA_lS6_lPT4_lSA_li.num_agpr, 0
	.set _ZL20rocblas_gemvn_kernelILi32ELi16EiPKDF16_PKfKPDF16_EviiT3_lPKT2_lT1_lS9_lSA_lS6_lPT4_lSA_li.numbered_sgpr, 49
	.set _ZL20rocblas_gemvn_kernelILi32ELi16EiPKDF16_PKfKPDF16_EviiT3_lPKT2_lT1_lS9_lSA_lS6_lPT4_lSA_li.num_named_barrier, 0
	.set _ZL20rocblas_gemvn_kernelILi32ELi16EiPKDF16_PKfKPDF16_EviiT3_lPKT2_lT1_lS9_lSA_lS6_lPT4_lSA_li.private_seg_size, 0
	.set _ZL20rocblas_gemvn_kernelILi32ELi16EiPKDF16_PKfKPDF16_EviiT3_lPKT2_lT1_lS9_lSA_lS6_lPT4_lSA_li.uses_vcc, 1
	.set _ZL20rocblas_gemvn_kernelILi32ELi16EiPKDF16_PKfKPDF16_EviiT3_lPKT2_lT1_lS9_lSA_lS6_lPT4_lSA_li.uses_flat_scratch, 1
	.set _ZL20rocblas_gemvn_kernelILi32ELi16EiPKDF16_PKfKPDF16_EviiT3_lPKT2_lT1_lS9_lSA_lS6_lPT4_lSA_li.has_dyn_sized_stack, 0
	.set _ZL20rocblas_gemvn_kernelILi32ELi16EiPKDF16_PKfKPDF16_EviiT3_lPKT2_lT1_lS9_lSA_lS6_lPT4_lSA_li.has_recursion, 0
	.set _ZL20rocblas_gemvn_kernelILi32ELi16EiPKDF16_PKfKPDF16_EviiT3_lPKT2_lT1_lS9_lSA_lS6_lPT4_lSA_li.has_indirect_call, 0
	.section	.AMDGPU.csdata,"",@progbits
; Kernel info:
; codeLenInByte = 3572
; TotalNumSgprs: 51
; NumVgprs: 65
; ScratchSize: 0
; MemoryBound: 0
; FloatMode: 240
; IeeeMode: 1
; LDSByteSize: 8192 bytes/workgroup (compile time only)
; SGPRBlocks: 0
; VGPRBlocks: 8
; NumSGPRsForWavesPerEU: 51
; NumVGPRsForWavesPerEU: 65
; Occupancy: 16
; WaveLimiterHint : 1
; COMPUTE_PGM_RSRC2:SCRATCH_EN: 0
; COMPUTE_PGM_RSRC2:USER_SGPR: 2
; COMPUTE_PGM_RSRC2:TRAP_HANDLER: 0
; COMPUTE_PGM_RSRC2:TGID_X_EN: 1
; COMPUTE_PGM_RSRC2:TGID_Y_EN: 0
; COMPUTE_PGM_RSRC2:TGID_Z_EN: 1
; COMPUTE_PGM_RSRC2:TIDIG_COMP_CNT: 1
	.section	.text._ZL20rocblas_gemvn_kernelILi32ELi16ElPKDF16_PKfKPDF16_EviiT3_lPKT2_lT1_lS9_lSA_lS6_lPT4_lSA_li,"axG",@progbits,_ZL20rocblas_gemvn_kernelILi32ELi16ElPKDF16_PKfKPDF16_EviiT3_lPKT2_lT1_lS9_lSA_lS6_lPT4_lSA_li,comdat
	.globl	_ZL20rocblas_gemvn_kernelILi32ELi16ElPKDF16_PKfKPDF16_EviiT3_lPKT2_lT1_lS9_lSA_lS6_lPT4_lSA_li ; -- Begin function _ZL20rocblas_gemvn_kernelILi32ELi16ElPKDF16_PKfKPDF16_EviiT3_lPKT2_lT1_lS9_lSA_lS6_lPT4_lSA_li
	.p2align	8
	.type	_ZL20rocblas_gemvn_kernelILi32ELi16ElPKDF16_PKfKPDF16_EviiT3_lPKT2_lT1_lS9_lSA_lS6_lPT4_lSA_li,@function
_ZL20rocblas_gemvn_kernelILi32ELi16ElPKDF16_PKfKPDF16_EviiT3_lPKT2_lT1_lS9_lSA_lS6_lPT4_lSA_li: ; @_ZL20rocblas_gemvn_kernelILi32ELi16ElPKDF16_PKfKPDF16_EviiT3_lPKT2_lT1_lS9_lSA_lS6_lPT4_lSA_li
; %bb.0:
	s_clause 0x1
	s_load_b64 s[2:3], s[0:1], 0x9c
	s_load_b32 s33, s[0:1], 0x88
	s_lshr_b32 s10, ttmp7, 16
	s_wait_kmcnt 0x0
	s_lshr_b32 s4, s2, 16
	s_and_b32 s2, s2, 0xffff
	s_and_b32 s3, s3, 0xffff
	s_mul_i32 s2, s4, s2
	s_delay_alu instid0(SALU_CYCLE_1) | instskip(NEXT) | instid1(SALU_CYCLE_1)
	s_mul_i32 s2, s2, s3
	s_cmp_lg_u32 s2, 0x200
	s_cselect_b32 s2, -1, 0
	s_cmp_ge_u32 s10, s33
	s_cselect_b32 s3, -1, 0
	s_delay_alu instid0(SALU_CYCLE_1) | instskip(NEXT) | instid1(SALU_CYCLE_1)
	s_or_b32 s2, s2, s3
	s_and_b32 vcc_lo, exec_lo, s2
	s_cbranch_vccnz .LBB431_56
; %bb.1:
	s_clause 0x6
	s_load_b64 s[6:7], s[0:1], 0x78
	s_load_b64 s[8:9], s[0:1], 0x0
	s_load_b256 s[12:19], s[0:1], 0x8
	s_load_b64 s[34:35], s[0:1], 0x28
	s_load_b128 s[28:31], s[0:1], 0x38
	s_load_b64 s[36:37], s[0:1], 0x48
	s_load_b256 s[20:27], s[0:1], 0x58
	v_dual_mov_b32 v1, 0 :: v_dual_and_b32 v2, 0x3ff, v0
	s_lshl_b32 s38, ttmp9, 7
	v_bfe_u32 v26, v0, 10, 10
	s_mov_b32 s11, 0
	s_delay_alu instid0(VALU_DEP_2) | instskip(SKIP_1) | instid1(VALU_DEP_3)
	v_add_nc_u32_e32 v8, s38, v2
	v_lshlrev_b32_e32 v16, 2, v2
	v_lshlrev_b32_e32 v40, 2, v26
	v_lshl_add_u32 v5, v26, 5, v2
	s_delay_alu instid0(VALU_DEP_4)
	v_add_nc_u32_e32 v6, 64, v8
	v_add_nc_u32_e32 v7, 0x60, v8
	v_lshl_add_u32 v41, v26, 7, v16
	v_or_b32_e32 v19, 3, v40
	v_add_nc_u32_e32 v0, s38, v5
	v_or_b32_e32 v17, s38, v5
	s_wait_kmcnt 0x0
	s_ashr_i32 s2, s9, 31
	v_mad_co_u64_u32 v[10:11], null, s34, v19, 0
	s_lshr_b32 s3, s2, 26
	v_cmp_gt_i32_e64 s2, s8, v6
	s_add_co_i32 s42, s9, s3
	v_cmp_gt_i32_e64 s3, s8, v7
	v_mad_co_u64_u32 v[6:7], null, s36, v26, 0
	v_mad_co_u64_u32 v[12:13], null, s36, v19, 0
	;; [unrolled: 1-line block ×3, first 2 shown]
	s_ashr_i32 s5, s8, 31
	s_mov_b32 s4, s8
	v_mad_co_u64_u32 v[14:15], null, s37, v26, v[7:8]
	s_and_not1_b32 s42, s42, 63
	v_cmp_gt_i64_e32 vcc_lo, s[4:5], v[0:1]
	s_sub_co_i32 s39, s9, s42
	v_cmp_gt_u32_e64 s5, 0x80, v5
	v_mul_lo_u32 v18, s7, v17
	s_wait_alu 0xfffe
	s_cmp_gt_i32 s39, 0
	v_mov_b32_e32 v7, v14
	v_mad_co_u64_u32 v[14:15], null, s35, v19, v[11:12]
	s_cselect_b32 s43, -1, 0
	s_ashr_i32 s38, s38, 31
	v_ashrrev_i32_e32 v9, 31, v8
	v_cmp_gt_i32_e64 s0, s8, v8
	v_lshlrev_b64_e32 v[6:7], 3, v[6:7]
	s_and_b32 s44, s5, vcc_lo
	v_mov_b32_e32 v11, v14
	v_mad_co_u64_u32 v[22:23], null, s36, v40, s[36:37]
	v_add_nc_u32_e32 v4, 32, v8
	v_or_b32_e32 v29, 2, v40
	v_mad_co_u64_u32 v[24:25], null, s34, v40, s[34:35]
	v_lshlrev_b64_e32 v[8:9], 1, v[8:9]
	s_delay_alu instid0(VALU_DEP_4)
	v_cmp_gt_i32_e64 s1, s8, v4
	v_mad_co_u64_u32 v[3:4], null, s7, v0, v[3:4]
	v_mad_co_u64_u32 v[4:5], null, s6, v17, 0
	s_wait_alu 0xfffe
	s_mul_i32 s7, s6, s38
	v_lshl_add_u32 v0, v26, 9, v16
	v_mad_co_u64_u32 v[15:16], null, s37, v19, v[13:14]
	v_cmp_gt_i32_e64 s6, s8, v17
	v_mad_co_u64_u32 v[16:17], null, s34, v26, 0
	s_wait_alu 0xfffe
	v_add3_u32 v5, v5, s7, v18
	v_mad_co_u64_u32 v[18:19], null, s34, v29, 0
	v_mad_co_u64_u32 v[20:21], null, s36, v29, 0
	s_delay_alu instid0(VALU_DEP_4) | instskip(SKIP_3) | instid1(VALU_DEP_4)
	v_dual_mov_b32 v13, v15 :: v_dual_mov_b32 v14, v17
	v_mov_b32_e32 v17, v25
	v_lshlrev_b64_e32 v[10:11], 1, v[10:11]
	v_mov_b32_e32 v15, v19
	v_lshlrev_b64_e32 v[12:13], 1, v[12:13]
	v_cmp_gt_i32_e64 s4, s42, v40
	s_lshl_b64 s[38:39], s[36:37], 7
	s_lshl_b64 s[40:41], s[34:35], 7
	v_mad_co_u64_u32 v[26:27], null, s35, v26, v[14:15]
	v_mov_b32_e32 v14, v21
	v_mad_co_u64_u32 v[27:28], null, s35, v29, v[15:16]
	v_mov_b32_e32 v15, v23
	s_lshl_b64 s[18:19], s[18:19], 1
	s_lshl_b64 s[30:31], s[30:31], 1
	;; [unrolled: 1-line block ×3, first 2 shown]
	s_delay_alu instid0(VALU_DEP_1)
	v_mad_co_u64_u32 v[28:29], null, s37, v29, v[14:15]
	v_mad_co_u64_u32 v[14:15], null, s37, v40, v[15:16]
	;; [unrolled: 1-line block ×3, first 2 shown]
	v_mov_b32_e32 v17, v26
	v_mov_b32_e32 v19, v27
	;; [unrolled: 1-line block ×4, first 2 shown]
	s_delay_alu instid0(VALU_DEP_4) | instskip(SKIP_4) | instid1(VALU_DEP_4)
	v_lshlrev_b64_e32 v[14:15], 3, v[16:17]
	v_mov_b32_e32 v25, v29
	v_lshlrev_b64_e32 v[16:17], 1, v[18:19]
	v_lshlrev_b64_e32 v[18:19], 1, v[20:21]
	;; [unrolled: 1-line block ×5, first 2 shown]
	s_branch .LBB431_4
.LBB431_2:                              ;   in Loop: Header=BB431_4 Depth=1
	s_wait_alu 0xfffe
	s_or_b32 exec_lo, exec_lo, s7
.LBB431_3:                              ;   in Loop: Header=BB431_4 Depth=1
	s_add_co_i32 s10, s10, 0x10000
	s_delay_alu instid0(SALU_CYCLE_1)
	s_cmp_lt_u32 s10, s33
	s_cbranch_scc0 .LBB431_56
.LBB431_4:                              ; =>This Loop Header: Depth=1
                                        ;     Child Loop BB431_24 Depth 2
	s_mul_u64 s[46:47], s[14:15], s[10:11]
	s_mul_u64 s[48:49], s[22:23], s[10:11]
	s_lshl_b64 s[46:47], s[46:47], 2
	s_lshl_b64 s[48:49], s[48:49], 2
	s_add_nc_u64 s[46:47], s[12:13], s[46:47]
	s_add_nc_u64 s[48:49], s[20:21], s[48:49]
	s_clause 0x1
	global_load_b32 v42, v1, s[46:47]
	global_load_b32 v26, v1, s[48:49]
	s_wait_loadcnt 0x1
	v_cmp_eq_f32_e64 s7, 0, v42
	s_wait_loadcnt 0x0
	v_cmp_eq_f32_e32 vcc_lo, 1.0, v26
	v_readfirstlane_b32 s45, v26
	s_and_b32 s8, s7, vcc_lo
	s_wait_alu 0xfffe
	s_and_b32 vcc_lo, exec_lo, s8
	s_wait_alu 0xfffe
	s_cbranch_vccnz .LBB431_3
; %bb.5:                                ;   in Loop: Header=BB431_4 Depth=1
	v_mov_b32_e32 v28, 0
	v_dual_mov_b32 v29, 0 :: v_dual_mov_b32 v26, 0
	v_cmp_neq_f32_e64 s8, 0, v42
	v_mov_b32_e32 v27, 0
	s_and_b32 vcc_lo, exec_lo, s7
	s_wait_alu 0xfffe
	s_cbranch_vccnz .LBB431_7
; %bb.6:                                ;   in Loop: Header=BB431_4 Depth=1
	s_lshl_b64 s[46:47], s[10:11], 3
	s_delay_alu instid0(SALU_CYCLE_1)
	s_add_nc_u64 s[46:47], s[16:17], s[46:47]
	global_load_b64 v[26:27], v1, s[46:47]
	s_wait_loadcnt 0x0
	v_add_co_u32 v26, vcc_lo, v26, s18
	s_wait_alu 0xfffd
	v_add_co_ci_u32_e64 v27, null, s19, v27, vcc_lo
.LBB431_7:                              ;   in Loop: Header=BB431_4 Depth=1
	s_and_not1_b32 vcc_lo, exec_lo, s8
	s_wait_alu 0xfffe
	s_cbranch_vccnz .LBB431_9
; %bb.8:                                ;   in Loop: Header=BB431_4 Depth=1
	s_lshl_b64 s[46:47], s[10:11], 3
	s_delay_alu instid0(SALU_CYCLE_1)
	s_add_nc_u64 s[46:47], s[28:29], s[46:47]
	global_load_b64 v[28:29], v1, s[46:47]
	s_wait_loadcnt 0x0
	v_add_co_u32 v28, vcc_lo, v28, s30
	s_wait_alu 0xfffd
	v_add_co_ci_u32_e64 v29, null, s31, v29, vcc_lo
.LBB431_9:                              ;   in Loop: Header=BB431_4 Depth=1
	s_lshl_b64 s[46:47], s[10:11], 3
	s_delay_alu instid0(SALU_CYCLE_1)
	s_add_nc_u64 s[46:47], s[24:25], s[46:47]
	global_load_b64 v[30:31], v1, s[46:47]
	s_wait_loadcnt 0x0
	v_add_co_u32 v43, vcc_lo, v30, s26
	s_wait_alu 0xfffd
	v_add_co_ci_u32_e64 v44, null, s27, v31, vcc_lo
	s_and_not1_b32 vcc_lo, exec_lo, s7
	s_wait_alu 0xfffe
	s_cbranch_vccnz .LBB431_13
; %bb.10:                               ;   in Loop: Header=BB431_4 Depth=1
	s_mov_b32 s7, 0
	s_mov_b32 s8, 0
                                        ; implicit-def: $vgpr30
	s_and_saveexec_b32 s46, s44
	s_cbranch_execz .LBB431_14
; %bb.11:                               ;   in Loop: Header=BB431_4 Depth=1
	s_cmp_eq_f32 s45, 0
	s_cbranch_scc1 .LBB431_16
; %bb.12:                               ;   in Loop: Header=BB431_4 Depth=1
	v_add_co_u32 v30, vcc_lo, v43, v24
	s_wait_alu 0xfffd
	v_add_co_ci_u32_e64 v31, null, v44, v25, vcc_lo
	flat_load_u16 v30, v[30:31]
	s_wait_loadcnt_dscnt 0x0
	v_fma_mixlo_f16 v30, s45, v30, 0 op_sel_hi:[0,1,0]
	s_branch .LBB431_17
.LBB431_13:                             ;   in Loop: Header=BB431_4 Depth=1
	s_mov_b32 s8, 0
                                        ; implicit-def: $vgpr30
	s_cbranch_execz .LBB431_15
	s_branch .LBB431_18
.LBB431_14:                             ;   in Loop: Header=BB431_4 Depth=1
	s_or_b32 exec_lo, exec_lo, s46
	s_wait_alu 0xfffe
	s_and_b32 vcc_lo, exec_lo, s7
	s_wait_alu 0xfffe
	s_cbranch_vccnz .LBB431_18
.LBB431_15:                             ;   in Loop: Header=BB431_4 Depth=1
	v_dual_mov_b32 v27, v3 :: v_dual_mov_b32 v26, v2
	s_wait_alu 0xfffe
	s_and_saveexec_b32 s7, s8
	s_cbranch_execz .LBB431_2
	s_branch .LBB431_55
.LBB431_16:                             ;   in Loop: Header=BB431_4 Depth=1
	v_mov_b32_e32 v30, 0
.LBB431_17:                             ;   in Loop: Header=BB431_4 Depth=1
	s_mov_b32 s8, exec_lo
	s_or_b32 exec_lo, exec_lo, s46
	s_wait_alu 0xfffe
	s_and_b32 vcc_lo, exec_lo, s7
	s_wait_alu 0xfffe
	s_cbranch_vccz .LBB431_15
.LBB431_18:                             ;   in Loop: Header=BB431_4 Depth=1
	v_dual_mov_b32 v45, 0 :: v_dual_mov_b32 v46, 0
	v_dual_mov_b32 v49, v40 :: v_dual_mov_b32 v48, 0
	v_mov_b32_e32 v47, 0
	s_and_saveexec_b32 s46, s4
	s_cbranch_execz .LBB431_30
; %bb.19:                               ;   in Loop: Header=BB431_4 Depth=1
	v_add_co_u32 v50, vcc_lo, v26, v10
	s_wait_alu 0xfffd
	v_add_co_ci_u32_e64 v51, null, v27, v11, vcc_lo
	v_add_co_u32 v52, vcc_lo, v26, v14
	s_wait_alu 0xfffd
	v_add_co_ci_u32_e64 v53, null, v27, v15, vcc_lo
	;; [unrolled: 3-line block ×3, first 2 shown]
	v_add_co_u32 v56, vcc_lo, v26, v22
	v_dual_mov_b32 v31, v29 :: v_dual_mov_b32 v46, 0
	s_wait_alu 0xfffd
	v_add_co_ci_u32_e64 v57, null, v27, v23, vcc_lo
	v_dual_mov_b32 v45, 0 :: v_dual_mov_b32 v30, v28
	v_dual_mov_b32 v49, v40 :: v_dual_mov_b32 v48, 0
	v_mov_b32_e32 v47, 0
	s_mov_b32 s47, 0
	s_branch .LBB431_24
.LBB431_20:                             ;   in Loop: Header=BB431_24 Depth=2
	s_or_b32 exec_lo, exec_lo, s50
	s_wait_loadcnt_dscnt 0x303
	v_fma_mix_f32 v32, v70, v74, v47 op_sel_hi:[0,1,0]
	s_wait_loadcnt_dscnt 0x202
	s_delay_alu instid0(VALU_DEP_1) | instskip(SKIP_1) | instid1(VALU_DEP_1)
	v_fma_mix_f32 v32, v71, v75, v32 op_sel_hi:[0,1,0]
	s_wait_loadcnt_dscnt 0x101
	v_fma_mix_f32 v32, v72, v76, v32 op_sel_hi:[0,1,0]
	s_wait_loadcnt_dscnt 0x0
	s_delay_alu instid0(VALU_DEP_1)
	v_fma_mix_f32 v47, v73, v77, v32 op_sel_hi:[0,1,0]
.LBB431_21:                             ;   in Loop: Header=BB431_24 Depth=2
	s_or_b32 exec_lo, exec_lo, s49
	s_wait_loadcnt_dscnt 0x303
	v_fma_mix_f32 v32, v70, v66, v46 op_sel_hi:[0,1,0]
	s_wait_loadcnt_dscnt 0x202
	s_delay_alu instid0(VALU_DEP_1) | instskip(SKIP_1) | instid1(VALU_DEP_1)
	v_fma_mix_f32 v32, v71, v67, v32 op_sel_hi:[0,1,0]
	s_wait_loadcnt_dscnt 0x101
	v_fma_mix_f32 v32, v72, v68, v32 op_sel_hi:[0,1,0]
	s_wait_loadcnt_dscnt 0x0
	s_delay_alu instid0(VALU_DEP_1)
	v_fma_mix_f32 v46, v73, v69, v32 op_sel_hi:[0,1,0]
.LBB431_22:                             ;   in Loop: Header=BB431_24 Depth=2
	s_or_b32 exec_lo, exec_lo, s48
	s_wait_loadcnt_dscnt 0x303
	v_fma_mix_f32 v32, v58, v62, v45 op_sel_hi:[1,1,0]
	s_wait_loadcnt_dscnt 0x202
	s_delay_alu instid0(VALU_DEP_1) | instskip(SKIP_1) | instid1(VALU_DEP_1)
	v_fma_mix_f32 v32, v59, v63, v32 op_sel_hi:[1,1,0]
	s_wait_loadcnt_dscnt 0x101
	v_fma_mix_f32 v32, v60, v64, v32 op_sel_hi:[1,1,0]
	s_wait_loadcnt_dscnt 0x0
	s_delay_alu instid0(VALU_DEP_1)
	v_fma_mix_f32 v45, v61, v65, v32 op_sel_hi:[1,1,0]
.LBB431_23:                             ;   in Loop: Header=BB431_24 Depth=2
	s_wait_alu 0xfffe
	s_or_b32 exec_lo, exec_lo, s7
	v_add_co_u32 v30, vcc_lo, v30, s38
	s_wait_alu 0xfffd
	v_add_co_ci_u32_e64 v31, null, s39, v31, vcc_lo
	v_add_co_u32 v50, vcc_lo, v50, s40
	v_add_nc_u32_e32 v49, 64, v49
	s_wait_alu 0xfffd
	v_add_co_ci_u32_e64 v51, null, s41, v51, vcc_lo
	v_add_co_u32 v52, vcc_lo, v52, s40
	s_wait_alu 0xfffd
	v_add_co_ci_u32_e64 v53, null, s41, v53, vcc_lo
	v_add_co_u32 v54, vcc_lo, v54, s40
	s_wait_alu 0xfffd
	v_add_co_ci_u32_e64 v55, null, s41, v55, vcc_lo
	v_cmp_le_i32_e32 vcc_lo, s42, v49
	v_add_co_u32 v56, s7, v56, s40
	s_wait_alu 0xf1ff
	v_add_co_ci_u32_e64 v57, null, s41, v57, s7
	s_or_b32 s47, vcc_lo, s47
	s_delay_alu instid0(SALU_CYCLE_1)
	s_and_not1_b32 exec_lo, exec_lo, s47
	s_cbranch_execz .LBB431_29
.LBB431_24:                             ;   Parent Loop BB431_4 Depth=1
                                        ; =>  This Inner Loop Header: Depth=2
	s_and_saveexec_b32 s7, s0
	s_cbranch_execz .LBB431_23
; %bb.25:                               ;   in Loop: Header=BB431_24 Depth=2
	v_add_co_u32 v58, vcc_lo, v30, v6
	s_wait_alu 0xfffd
	v_add_co_ci_u32_e64 v59, null, v31, v7, vcc_lo
	v_add_co_u32 v60, vcc_lo, v30, v20
	s_wait_alu 0xfffd
	v_add_co_ci_u32_e64 v61, null, v31, v21, vcc_lo
	v_add_co_u32 v62, vcc_lo, v30, v18
	s_wait_alu 0xfffd
	v_add_co_ci_u32_e64 v63, null, v31, v19, vcc_lo
	v_add_co_u32 v64, vcc_lo, v30, v12
	s_wait_alu 0xfffd
	v_add_co_ci_u32_e64 v65, null, v31, v13, vcc_lo
	v_add_co_u32 v32, vcc_lo, v52, v8
	s_wait_alu 0xfffd
	v_add_co_ci_u32_e64 v33, null, v53, v9, vcc_lo
	v_add_co_u32 v34, vcc_lo, v56, v8
	s_wait_alu 0xfffd
	v_add_co_ci_u32_e64 v35, null, v57, v9, vcc_lo
	v_add_co_u32 v36, vcc_lo, v54, v8
	s_wait_alu 0xfffd
	v_add_co_ci_u32_e64 v37, null, v55, v9, vcc_lo
	v_add_co_u32 v38, vcc_lo, v50, v8
	s_wait_alu 0xfffd
	v_add_co_ci_u32_e64 v39, null, v51, v9, vcc_lo
	s_clause 0x3
	flat_load_u16 v58, v[58:59]
	flat_load_u16 v59, v[60:61]
	;; [unrolled: 1-line block ×8, first 2 shown]
	s_and_saveexec_b32 s48, s1
	s_cbranch_execz .LBB431_22
; %bb.26:                               ;   in Loop: Header=BB431_24 Depth=2
	flat_load_u16 v66, v[32:33] offset:64
	flat_load_u16 v67, v[34:35] offset:64
	;; [unrolled: 1-line block ×4, first 2 shown]
	s_wait_loadcnt_dscnt 0xb0b
	v_cvt_f32_f16_e32 v70, v58
	s_wait_loadcnt_dscnt 0xa0a
	v_cvt_f32_f16_e32 v71, v59
	;; [unrolled: 2-line block ×4, first 2 shown]
	s_and_saveexec_b32 s49, s2
	s_cbranch_execz .LBB431_21
; %bb.27:                               ;   in Loop: Header=BB431_24 Depth=2
	flat_load_u16 v74, v[32:33] offset:128
	flat_load_u16 v75, v[34:35] offset:128
	flat_load_u16 v76, v[36:37] offset:128
	flat_load_u16 v77, v[38:39] offset:128
	s_and_saveexec_b32 s50, s3
	s_cbranch_execz .LBB431_20
; %bb.28:                               ;   in Loop: Header=BB431_24 Depth=2
	flat_load_u16 v32, v[32:33] offset:192
	flat_load_u16 v33, v[34:35] offset:192
	;; [unrolled: 1-line block ×4, first 2 shown]
	s_wait_loadcnt_dscnt 0x303
	v_fma_mix_f32 v32, v70, v32, v48 op_sel_hi:[0,1,0]
	s_wait_loadcnt_dscnt 0x202
	s_delay_alu instid0(VALU_DEP_1) | instskip(SKIP_1) | instid1(VALU_DEP_1)
	v_fma_mix_f32 v32, v71, v33, v32 op_sel_hi:[0,1,0]
	s_wait_loadcnt_dscnt 0x101
	v_fma_mix_f32 v32, v72, v34, v32 op_sel_hi:[0,1,0]
	s_wait_loadcnt_dscnt 0x0
	s_delay_alu instid0(VALU_DEP_1)
	v_fma_mix_f32 v48, v73, v35, v32 op_sel_hi:[0,1,0]
	s_branch .LBB431_20
.LBB431_29:                             ;   in Loop: Header=BB431_4 Depth=1
	s_or_b32 exec_lo, exec_lo, s47
.LBB431_30:                             ;   in Loop: Header=BB431_4 Depth=1
	s_delay_alu instid0(SALU_CYCLE_1) | instskip(NEXT) | instid1(SALU_CYCLE_1)
	s_or_b32 exec_lo, exec_lo, s46
	s_and_not1_b32 vcc_lo, exec_lo, s43
	s_wait_alu 0xfffe
	s_cbranch_vccnz .LBB431_48
; %bb.31:                               ;   in Loop: Header=BB431_4 Depth=1
	v_cmp_gt_i32_e32 vcc_lo, s9, v49
	v_dual_mov_b32 v34, 0 :: v_dual_mov_b32 v35, 0
	v_or_b32_e32 v30, 1, v49
	v_dual_mov_b32 v36, 0 :: v_dual_mov_b32 v37, 0
	s_and_saveexec_b32 s46, vcc_lo
	s_cbranch_execz .LBB431_39
; %bb.32:                               ;   in Loop: Header=BB431_4 Depth=1
	v_mad_co_u64_u32 v[31:32], null, s36, v49, 0
	v_dual_mov_b32 v36, 0 :: v_dual_mov_b32 v35, 0
	v_mov_b32_e32 v34, 0
	s_mov_b32 s47, exec_lo
	s_delay_alu instid0(VALU_DEP_3) | instskip(NEXT) | instid1(VALU_DEP_1)
	v_mad_co_u64_u32 v[32:33], null, s37, v49, v[32:33]
	v_lshlrev_b64_e32 v[31:32], 1, v[31:32]
	s_delay_alu instid0(VALU_DEP_1) | instskip(SKIP_1) | instid1(VALU_DEP_2)
	v_add_co_u32 v31, s7, v28, v31
	s_wait_alu 0xf1ff
	v_add_co_ci_u32_e64 v32, null, v29, v32, s7
	flat_load_u16 v31, v[31:32]
	v_cmpx_gt_i32_e64 s9, v30
	s_cbranch_execz .LBB431_38
; %bb.33:                               ;   in Loop: Header=BB431_4 Depth=1
	v_mad_co_u64_u32 v[32:33], null, s36, v30, 0
	v_mov_b32_e32 v35, 0
	s_mov_b32 s48, exec_lo
	s_delay_alu instid0(VALU_DEP_2) | instskip(SKIP_1) | instid1(VALU_DEP_2)
	v_mad_co_u64_u32 v[33:34], null, s37, v30, v[33:34]
	v_mov_b32_e32 v34, 0
	v_lshlrev_b64_e32 v[32:33], 1, v[32:33]
	s_delay_alu instid0(VALU_DEP_1) | instskip(SKIP_1) | instid1(VALU_DEP_2)
	v_add_co_u32 v32, s7, v28, v32
	s_wait_alu 0xf1ff
	v_add_co_ci_u32_e64 v33, null, v29, v33, s7
	flat_load_u16 v32, v[32:33]
	v_or_b32_e32 v33, 2, v49
	s_delay_alu instid0(VALU_DEP_1)
	v_cmpx_gt_i32_e64 s9, v33
	s_cbranch_execz .LBB431_37
; %bb.34:                               ;   in Loop: Header=BB431_4 Depth=1
	v_mad_co_u64_u32 v[34:35], null, s36, v33, 0
	s_mov_b32 s49, exec_lo
	v_mad_co_u64_u32 v[35:36], null, s37, v33, v[35:36]
	s_delay_alu instid0(VALU_DEP_1) | instskip(SKIP_1) | instid1(VALU_DEP_2)
	v_lshlrev_b64_e32 v[33:34], 1, v[34:35]
	v_or_b32_e32 v35, 3, v49
	v_add_co_u32 v33, s7, v28, v33
	s_wait_alu 0xf1ff
	s_delay_alu instid0(VALU_DEP_3)
	v_add_co_ci_u32_e64 v34, null, v29, v34, s7
	flat_load_u16 v33, v[33:34]
	v_mov_b32_e32 v34, 0
	v_cmpx_gt_i32_e64 s9, v35
	s_cbranch_execz .LBB431_36
; %bb.35:                               ;   in Loop: Header=BB431_4 Depth=1
	v_mad_co_u64_u32 v[36:37], null, s36, v35, 0
	s_delay_alu instid0(VALU_DEP_1) | instskip(NEXT) | instid1(VALU_DEP_1)
	v_mov_b32_e32 v34, v37
	v_mad_co_u64_u32 v[34:35], null, s37, v35, v[34:35]
	s_delay_alu instid0(VALU_DEP_1) | instskip(NEXT) | instid1(VALU_DEP_1)
	v_mov_b32_e32 v37, v34
	v_lshlrev_b64_e32 v[34:35], 1, v[36:37]
	s_delay_alu instid0(VALU_DEP_1) | instskip(SKIP_1) | instid1(VALU_DEP_2)
	v_add_co_u32 v28, s7, v28, v34
	s_wait_alu 0xf1ff
	v_add_co_ci_u32_e64 v29, null, v29, v35, s7
	flat_load_u16 v28, v[28:29]
	s_wait_loadcnt_dscnt 0x0
	v_cvt_f32_f16_e32 v34, v28
.LBB431_36:                             ;   in Loop: Header=BB431_4 Depth=1
	s_or_b32 exec_lo, exec_lo, s49
	s_wait_loadcnt_dscnt 0x0
	v_cvt_f32_f16_e32 v35, v33
.LBB431_37:                             ;   in Loop: Header=BB431_4 Depth=1
	s_or_b32 exec_lo, exec_lo, s48
	s_wait_loadcnt_dscnt 0x0
	v_cvt_f32_f16_e32 v36, v32
.LBB431_38:                             ;   in Loop: Header=BB431_4 Depth=1
	s_or_b32 exec_lo, exec_lo, s47
	s_wait_loadcnt_dscnt 0x0
	v_cvt_f32_f16_e32 v37, v31
.LBB431_39:                             ;   in Loop: Header=BB431_4 Depth=1
	s_or_b32 exec_lo, exec_lo, s46
	s_and_saveexec_b32 s46, s0
	s_cbranch_execz .LBB431_47
; %bb.40:                               ;   in Loop: Header=BB431_4 Depth=1
	v_mad_co_u64_u32 v[28:29], null, s34, v49, 0
	v_or_b32_e32 v52, 2, v49
	v_mad_co_u64_u32 v[31:32], null, s34, v30, 0
	v_or_b32_e32 v53, 3, v49
	v_cmp_gt_i32_e64 s7, s9, v30
	s_delay_alu instid0(VALU_DEP_4) | instskip(SKIP_3) | instid1(VALU_DEP_4)
	v_mad_co_u64_u32 v[38:39], null, s34, v52, 0
	v_mad_co_u64_u32 v[49:50], null, s35, v49, v[29:30]
	;; [unrolled: 1-line block ×4, first 2 shown]
	v_mov_b32_e32 v30, v39
	s_delay_alu instid0(VALU_DEP_4)
	v_dual_cndmask_b32 v50, 0, v28 :: v_dual_cndmask_b32 v51, 0, v49
	s_wait_alu 0xf1ff
	v_cndmask_b32_e64 v28, 0, v31, s7
	v_cndmask_b32_e64 v29, 0, v29, s7
	v_mad_co_u64_u32 v[30:31], null, s35, v52, v[30:31]
	v_mov_b32_e32 v31, v33
	v_lshlrev_b64_e32 v[49:50], 1, v[50:51]
	v_cmp_gt_i32_e32 vcc_lo, s9, v52
	v_lshlrev_b64_e32 v[51:52], 1, v[28:29]
	s_wait_alu 0xfffd
	v_cndmask_b32_e32 v39, 0, v30, vcc_lo
	s_delay_alu instid0(VALU_DEP_4)
	v_add_co_u32 v28, s7, v26, v49
	s_wait_alu 0xf1ff
	v_add_co_ci_u32_e64 v29, null, v27, v50, s7
	v_mad_co_u64_u32 v[30:31], null, s35, v53, v[31:32]
	v_cndmask_b32_e32 v38, 0, v38, vcc_lo
	v_add_co_u32 v28, vcc_lo, v28, v8
	s_wait_alu 0xfffd
	v_add_co_ci_u32_e64 v29, null, v29, v9, vcc_lo
	v_cmp_gt_i32_e32 vcc_lo, s9, v53
	v_add_co_u32 v31, s7, v26, v51
	s_wait_alu 0xf1ff
	v_add_co_ci_u32_e64 v49, null, v27, v52, s7
	s_wait_alu 0xfffd
	v_dual_cndmask_b32 v32, 0, v32 :: v_dual_cndmask_b32 v33, 0, v30
	v_lshlrev_b64_e32 v[38:39], 1, v[38:39]
	v_add_co_u32 v30, vcc_lo, v31, v8
	s_wait_alu 0xfffd
	v_add_co_ci_u32_e64 v31, null, v49, v9, vcc_lo
	v_lshlrev_b64_e32 v[32:33], 1, v[32:33]
	s_delay_alu instid0(VALU_DEP_4) | instskip(SKIP_2) | instid1(VALU_DEP_3)
	v_add_co_u32 v38, vcc_lo, v26, v38
	s_wait_alu 0xfffd
	v_add_co_ci_u32_e64 v39, null, v27, v39, vcc_lo
	v_add_co_u32 v32, vcc_lo, v26, v32
	s_wait_alu 0xfffd
	v_add_co_ci_u32_e64 v33, null, v27, v33, vcc_lo
	;; [unrolled: 3-line block ×4, first 2 shown]
	s_clause 0x3
	flat_load_u16 v38, v[28:29]
	flat_load_u16 v39, v[30:31]
	;; [unrolled: 1-line block ×4, first 2 shown]
	s_and_saveexec_b32 s7, s1
	s_cbranch_execz .LBB431_46
; %bb.41:                               ;   in Loop: Header=BB431_4 Depth=1
	s_clause 0x3
	flat_load_u16 v51, v[28:29] offset:64
	flat_load_u16 v52, v[30:31] offset:64
	flat_load_u16 v53, v[26:27] offset:64
	flat_load_u16 v54, v[32:33] offset:64
	s_and_saveexec_b32 s47, s2
	s_cbranch_execz .LBB431_45
; %bb.42:                               ;   in Loop: Header=BB431_4 Depth=1
	s_clause 0x3
	flat_load_u16 v55, v[28:29] offset:128
	flat_load_u16 v56, v[30:31] offset:128
	flat_load_u16 v57, v[26:27] offset:128
	flat_load_u16 v58, v[32:33] offset:128
	;; [unrolled: 8-line block ×3, first 2 shown]
	s_wait_loadcnt_dscnt 0x303
	v_fma_mix_f32 v28, v37, v28, v48 op_sel_hi:[0,1,0]
	s_wait_loadcnt_dscnt 0x202
	s_delay_alu instid0(VALU_DEP_1) | instskip(SKIP_1) | instid1(VALU_DEP_1)
	v_fma_mix_f32 v28, v36, v29, v28 op_sel_hi:[0,1,0]
	s_wait_loadcnt_dscnt 0x101
	v_fma_mix_f32 v26, v35, v26, v28 op_sel_hi:[0,1,0]
	s_wait_loadcnt_dscnt 0x0
	s_delay_alu instid0(VALU_DEP_1)
	v_fma_mix_f32 v48, v34, v27, v26 op_sel_hi:[0,1,0]
.LBB431_44:                             ;   in Loop: Header=BB431_4 Depth=1
	s_or_b32 exec_lo, exec_lo, s48
	s_wait_loadcnt_dscnt 0x303
	v_fma_mix_f32 v26, v37, v55, v47 op_sel_hi:[0,1,0]
	s_wait_loadcnt_dscnt 0x202
	s_delay_alu instid0(VALU_DEP_1) | instskip(SKIP_1) | instid1(VALU_DEP_1)
	v_fma_mix_f32 v26, v36, v56, v26 op_sel_hi:[0,1,0]
	s_wait_loadcnt_dscnt 0x101
	v_fma_mix_f32 v26, v35, v57, v26 op_sel_hi:[0,1,0]
	s_wait_loadcnt_dscnt 0x0
	s_delay_alu instid0(VALU_DEP_1)
	v_fma_mix_f32 v47, v34, v58, v26 op_sel_hi:[0,1,0]
.LBB431_45:                             ;   in Loop: Header=BB431_4 Depth=1
	s_or_b32 exec_lo, exec_lo, s47
	s_wait_loadcnt_dscnt 0x303
	v_fma_mix_f32 v26, v37, v51, v46 op_sel_hi:[0,1,0]
	s_wait_loadcnt_dscnt 0x202
	s_delay_alu instid0(VALU_DEP_1) | instskip(SKIP_1) | instid1(VALU_DEP_1)
	v_fma_mix_f32 v26, v36, v52, v26 op_sel_hi:[0,1,0]
	s_wait_loadcnt_dscnt 0x101
	v_fma_mix_f32 v26, v35, v53, v26 op_sel_hi:[0,1,0]
	s_wait_loadcnt_dscnt 0x0
	s_delay_alu instid0(VALU_DEP_1)
	v_fma_mix_f32 v46, v34, v54, v26 op_sel_hi:[0,1,0]
.LBB431_46:                             ;   in Loop: Header=BB431_4 Depth=1
	s_wait_alu 0xfffe
	s_or_b32 exec_lo, exec_lo, s7
	s_wait_loadcnt_dscnt 0x303
	v_fma_mix_f32 v26, v37, v38, v45 op_sel_hi:[0,1,0]
	s_wait_loadcnt_dscnt 0x202
	s_delay_alu instid0(VALU_DEP_1) | instskip(SKIP_1) | instid1(VALU_DEP_1)
	v_fma_mix_f32 v26, v36, v39, v26 op_sel_hi:[0,1,0]
	s_wait_loadcnt_dscnt 0x101
	v_fma_mix_f32 v26, v35, v49, v26 op_sel_hi:[0,1,0]
	s_wait_loadcnt_dscnt 0x0
	s_delay_alu instid0(VALU_DEP_1)
	v_fma_mix_f32 v45, v34, v50, v26 op_sel_hi:[0,1,0]
.LBB431_47:                             ;   in Loop: Header=BB431_4 Depth=1
	s_or_b32 exec_lo, exec_lo, s46
.LBB431_48:                             ;   in Loop: Header=BB431_4 Depth=1
	ds_store_2addr_b32 v0, v45, v46 offset1:32
	ds_store_2addr_b32 v0, v47, v48 offset0:64 offset1:96
	s_wait_dscnt 0x0
	s_barrier_signal -1
	s_barrier_wait -1
	global_inv scope:SCOPE_SE
                                        ; implicit-def: $vgpr30
	s_and_saveexec_b32 s7, s5
	s_cbranch_execz .LBB431_54
; %bb.49:                               ;   in Loop: Header=BB431_4 Depth=1
	ds_load_2addr_stride64_b32 v[26:27], v41 offset1:2
	ds_load_2addr_stride64_b32 v[28:29], v41 offset0:4 offset1:6
	ds_load_2addr_stride64_b32 v[30:31], v41 offset0:8 offset1:10
	s_mov_b32 s47, s8
	s_wait_dscnt 0x2
	v_add_f32_e32 v32, v26, v27
	ds_load_2addr_stride64_b32 v[26:27], v41 offset0:12 offset1:14
	s_wait_dscnt 0x2
	v_add_f32_e32 v28, v28, v32
	s_delay_alu instid0(VALU_DEP_1) | instskip(SKIP_3) | instid1(VALU_DEP_1)
	v_add_f32_e32 v32, v29, v28
	ds_load_2addr_stride64_b32 v[28:29], v41 offset0:16 offset1:18
	s_wait_dscnt 0x2
	v_add_f32_e32 v30, v30, v32
	v_add_f32_e32 v32, v31, v30
	ds_load_2addr_stride64_b32 v[30:31], v41 offset0:20 offset1:22
	s_wait_dscnt 0x2
	v_add_f32_e32 v26, v26, v32
	s_delay_alu instid0(VALU_DEP_1) | instskip(SKIP_1) | instid1(VALU_DEP_1)
	v_add_f32_e32 v26, v27, v26
	s_wait_dscnt 0x1
	v_add_f32_e32 v28, v28, v26
	ds_load_2addr_stride64_b32 v[26:27], v41 offset0:24 offset1:26
	v_add_f32_e32 v28, v29, v28
	s_wait_dscnt 0x1
	s_delay_alu instid0(VALU_DEP_1) | instskip(SKIP_3) | instid1(VALU_DEP_1)
	v_add_f32_e32 v30, v30, v28
	ds_load_2addr_stride64_b32 v[28:29], v41 offset0:28 offset1:30
	v_add_f32_e32 v30, v31, v30
	s_wait_dscnt 0x1
	v_add_f32_e32 v26, v26, v30
                                        ; implicit-def: $vgpr30
	s_delay_alu instid0(VALU_DEP_1) | instskip(SKIP_1) | instid1(VALU_DEP_1)
	v_add_f32_e32 v26, v27, v26
	s_wait_dscnt 0x0
	v_add_f32_e32 v26, v28, v26
	s_delay_alu instid0(VALU_DEP_1)
	v_add_f32_e32 v26, v29, v26
	ds_store_b32 v41, v26
	s_and_saveexec_b32 s46, s6
	s_cbranch_execz .LBB431_53
; %bb.50:                               ;   in Loop: Header=BB431_4 Depth=1
	v_mul_f32_e32 v26, v42, v26
	s_cmp_eq_f32 s45, 0
	s_cbranch_scc1 .LBB431_52
; %bb.51:                               ;   in Loop: Header=BB431_4 Depth=1
	v_lshlrev_b64_e32 v[27:28], 1, v[4:5]
	s_delay_alu instid0(VALU_DEP_1) | instskip(SKIP_1) | instid1(VALU_DEP_2)
	v_add_co_u32 v27, vcc_lo, v43, v27
	s_wait_alu 0xfffd
	v_add_co_ci_u32_e64 v28, null, v44, v28, vcc_lo
	flat_load_u16 v27, v[27:28]
	s_wait_loadcnt_dscnt 0x0
	v_fma_mix_f32 v26, s45, v27, v26 op_sel_hi:[0,1,0]
.LBB431_52:                             ;   in Loop: Header=BB431_4 Depth=1
	s_delay_alu instid0(VALU_DEP_1)
	v_cvt_f16_f32_e32 v30, v26
	s_or_b32 s47, s8, exec_lo
.LBB431_53:                             ;   in Loop: Header=BB431_4 Depth=1
	s_or_b32 exec_lo, exec_lo, s46
	s_delay_alu instid0(SALU_CYCLE_1)
	s_and_not1_b32 s8, s8, exec_lo
	s_and_b32 s45, s47, exec_lo
	s_wait_alu 0xfffe
	s_or_b32 s8, s8, s45
.LBB431_54:                             ;   in Loop: Header=BB431_4 Depth=1
	s_wait_alu 0xfffe
	s_or_b32 exec_lo, exec_lo, s7
	v_dual_mov_b32 v27, v5 :: v_dual_mov_b32 v26, v4
	s_and_saveexec_b32 s7, s8
	s_cbranch_execz .LBB431_2
.LBB431_55:                             ;   in Loop: Header=BB431_4 Depth=1
	s_delay_alu instid0(VALU_DEP_1) | instskip(NEXT) | instid1(VALU_DEP_1)
	v_lshlrev_b64_e32 v[26:27], 1, v[26:27]
	v_add_co_u32 v26, vcc_lo, v43, v26
	s_wait_alu 0xfffd
	s_delay_alu instid0(VALU_DEP_2)
	v_add_co_ci_u32_e64 v27, null, v44, v27, vcc_lo
	flat_store_b16 v[26:27], v30
	s_branch .LBB431_2
.LBB431_56:
	s_endpgm
	.section	.rodata,"a",@progbits
	.p2align	6, 0x0
	.amdhsa_kernel _ZL20rocblas_gemvn_kernelILi32ELi16ElPKDF16_PKfKPDF16_EviiT3_lPKT2_lT1_lS9_lSA_lS6_lPT4_lSA_li
		.amdhsa_group_segment_fixed_size 8192
		.amdhsa_private_segment_fixed_size 0
		.amdhsa_kernarg_size 400
		.amdhsa_user_sgpr_count 2
		.amdhsa_user_sgpr_dispatch_ptr 0
		.amdhsa_user_sgpr_queue_ptr 0
		.amdhsa_user_sgpr_kernarg_segment_ptr 1
		.amdhsa_user_sgpr_dispatch_id 0
		.amdhsa_user_sgpr_private_segment_size 0
		.amdhsa_wavefront_size32 1
		.amdhsa_uses_dynamic_stack 0
		.amdhsa_enable_private_segment 0
		.amdhsa_system_sgpr_workgroup_id_x 1
		.amdhsa_system_sgpr_workgroup_id_y 0
		.amdhsa_system_sgpr_workgroup_id_z 1
		.amdhsa_system_sgpr_workgroup_info 0
		.amdhsa_system_vgpr_workitem_id 1
		.amdhsa_next_free_vgpr 78
		.amdhsa_next_free_sgpr 51
		.amdhsa_reserve_vcc 1
		.amdhsa_float_round_mode_32 0
		.amdhsa_float_round_mode_16_64 0
		.amdhsa_float_denorm_mode_32 3
		.amdhsa_float_denorm_mode_16_64 3
		.amdhsa_fp16_overflow 0
		.amdhsa_workgroup_processor_mode 1
		.amdhsa_memory_ordered 1
		.amdhsa_forward_progress 1
		.amdhsa_inst_pref_size 31
		.amdhsa_round_robin_scheduling 0
		.amdhsa_exception_fp_ieee_invalid_op 0
		.amdhsa_exception_fp_denorm_src 0
		.amdhsa_exception_fp_ieee_div_zero 0
		.amdhsa_exception_fp_ieee_overflow 0
		.amdhsa_exception_fp_ieee_underflow 0
		.amdhsa_exception_fp_ieee_inexact 0
		.amdhsa_exception_int_div_zero 0
	.end_amdhsa_kernel
	.section	.text._ZL20rocblas_gemvn_kernelILi32ELi16ElPKDF16_PKfKPDF16_EviiT3_lPKT2_lT1_lS9_lSA_lS6_lPT4_lSA_li,"axG",@progbits,_ZL20rocblas_gemvn_kernelILi32ELi16ElPKDF16_PKfKPDF16_EviiT3_lPKT2_lT1_lS9_lSA_lS6_lPT4_lSA_li,comdat
.Lfunc_end431:
	.size	_ZL20rocblas_gemvn_kernelILi32ELi16ElPKDF16_PKfKPDF16_EviiT3_lPKT2_lT1_lS9_lSA_lS6_lPT4_lSA_li, .Lfunc_end431-_ZL20rocblas_gemvn_kernelILi32ELi16ElPKDF16_PKfKPDF16_EviiT3_lPKT2_lT1_lS9_lSA_lS6_lPT4_lSA_li
                                        ; -- End function
	.set _ZL20rocblas_gemvn_kernelILi32ELi16ElPKDF16_PKfKPDF16_EviiT3_lPKT2_lT1_lS9_lSA_lS6_lPT4_lSA_li.num_vgpr, 78
	.set _ZL20rocblas_gemvn_kernelILi32ELi16ElPKDF16_PKfKPDF16_EviiT3_lPKT2_lT1_lS9_lSA_lS6_lPT4_lSA_li.num_agpr, 0
	.set _ZL20rocblas_gemvn_kernelILi32ELi16ElPKDF16_PKfKPDF16_EviiT3_lPKT2_lT1_lS9_lSA_lS6_lPT4_lSA_li.numbered_sgpr, 51
	.set _ZL20rocblas_gemvn_kernelILi32ELi16ElPKDF16_PKfKPDF16_EviiT3_lPKT2_lT1_lS9_lSA_lS6_lPT4_lSA_li.num_named_barrier, 0
	.set _ZL20rocblas_gemvn_kernelILi32ELi16ElPKDF16_PKfKPDF16_EviiT3_lPKT2_lT1_lS9_lSA_lS6_lPT4_lSA_li.private_seg_size, 0
	.set _ZL20rocblas_gemvn_kernelILi32ELi16ElPKDF16_PKfKPDF16_EviiT3_lPKT2_lT1_lS9_lSA_lS6_lPT4_lSA_li.uses_vcc, 1
	.set _ZL20rocblas_gemvn_kernelILi32ELi16ElPKDF16_PKfKPDF16_EviiT3_lPKT2_lT1_lS9_lSA_lS6_lPT4_lSA_li.uses_flat_scratch, 1
	.set _ZL20rocblas_gemvn_kernelILi32ELi16ElPKDF16_PKfKPDF16_EviiT3_lPKT2_lT1_lS9_lSA_lS6_lPT4_lSA_li.has_dyn_sized_stack, 0
	.set _ZL20rocblas_gemvn_kernelILi32ELi16ElPKDF16_PKfKPDF16_EviiT3_lPKT2_lT1_lS9_lSA_lS6_lPT4_lSA_li.has_recursion, 0
	.set _ZL20rocblas_gemvn_kernelILi32ELi16ElPKDF16_PKfKPDF16_EviiT3_lPKT2_lT1_lS9_lSA_lS6_lPT4_lSA_li.has_indirect_call, 0
	.section	.AMDGPU.csdata,"",@progbits
; Kernel info:
; codeLenInByte = 3844
; TotalNumSgprs: 53
; NumVgprs: 78
; ScratchSize: 0
; MemoryBound: 0
; FloatMode: 240
; IeeeMode: 1
; LDSByteSize: 8192 bytes/workgroup (compile time only)
; SGPRBlocks: 0
; VGPRBlocks: 9
; NumSGPRsForWavesPerEU: 53
; NumVGPRsForWavesPerEU: 78
; Occupancy: 16
; WaveLimiterHint : 1
; COMPUTE_PGM_RSRC2:SCRATCH_EN: 0
; COMPUTE_PGM_RSRC2:USER_SGPR: 2
; COMPUTE_PGM_RSRC2:TRAP_HANDLER: 0
; COMPUTE_PGM_RSRC2:TGID_X_EN: 1
; COMPUTE_PGM_RSRC2:TGID_Y_EN: 0
; COMPUTE_PGM_RSRC2:TGID_Z_EN: 1
; COMPUTE_PGM_RSRC2:TIDIG_COMP_CNT: 1
	.section	.text._ZL20rocblas_gemvn_kernelILi32ELi16EiPKDF16_fKPDF16_EviiT3_lPKT2_lT1_lS7_lS8_lS4_lPT4_lS8_li,"axG",@progbits,_ZL20rocblas_gemvn_kernelILi32ELi16EiPKDF16_fKPDF16_EviiT3_lPKT2_lT1_lS7_lS8_lS4_lPT4_lS8_li,comdat
	.globl	_ZL20rocblas_gemvn_kernelILi32ELi16EiPKDF16_fKPDF16_EviiT3_lPKT2_lT1_lS7_lS8_lS4_lPT4_lS8_li ; -- Begin function _ZL20rocblas_gemvn_kernelILi32ELi16EiPKDF16_fKPDF16_EviiT3_lPKT2_lT1_lS7_lS8_lS4_lPT4_lS8_li
	.p2align	8
	.type	_ZL20rocblas_gemvn_kernelILi32ELi16EiPKDF16_fKPDF16_EviiT3_lPKT2_lT1_lS7_lS8_lS4_lPT4_lS8_li,@function
_ZL20rocblas_gemvn_kernelILi32ELi16EiPKDF16_fKPDF16_EviiT3_lPKT2_lT1_lS7_lS8_lS4_lPT4_lS8_li: ; @_ZL20rocblas_gemvn_kernelILi32ELi16EiPKDF16_fKPDF16_EviiT3_lPKT2_lT1_lS7_lS8_lS4_lPT4_lS8_li
; %bb.0:
	s_clause 0x1
	s_load_b64 s[2:3], s[0:1], 0x9c
	s_load_b32 s23, s[0:1], 0x88
	s_lshr_b32 s24, ttmp7, 16
	s_wait_kmcnt 0x0
	s_lshr_b32 s4, s2, 16
	s_and_b32 s2, s2, 0xffff
	s_and_b32 s3, s3, 0xffff
	s_mul_i32 s2, s4, s2
	s_delay_alu instid0(SALU_CYCLE_1) | instskip(NEXT) | instid1(SALU_CYCLE_1)
	s_mul_i32 s2, s2, s3
	s_cmp_lg_u32 s2, 0x200
	s_cselect_b32 s2, -1, 0
	s_cmp_ge_u32 s24, s23
	s_cselect_b32 s3, -1, 0
	s_delay_alu instid0(SALU_CYCLE_1) | instskip(NEXT) | instid1(SALU_CYCLE_1)
	s_or_b32 s2, s2, s3
	s_and_b32 vcc_lo, exec_lo, s2
	s_cbranch_vccnz .LBB432_59
; %bb.1:
	s_clause 0x7
	s_load_b32 s4, s[0:1], 0x78
	s_load_b96 s[20:22], s[0:1], 0x0
	s_load_b32 s27, s[0:1], 0x58
	s_load_b32 s28, s[0:1], 0x28
	s_load_b128 s[8:11], s[0:1], 0x38
	s_load_b32 s26, s[0:1], 0x48
	s_load_b128 s[12:15], s[0:1], 0x68
	s_load_b128 s[16:19], s[0:1], 0x18
	v_and_b32_e32 v9, 0x3ff, v0
	v_bfe_u32 v8, v0, 10, 10
	v_mov_b32_e32 v1, 0
	s_mov_b32 s25, 0
	s_delay_alu instid0(VALU_DEP_3) | instskip(NEXT) | instid1(VALU_DEP_3)
	v_lshlrev_b32_e32 v0, 2, v9
	v_lshl_add_u32 v2, v8, 5, v9
	v_lshlrev_b32_e32 v25, 2, v8
	s_delay_alu instid0(VALU_DEP_3)
	v_lshl_add_u32 v26, v8, 9, v0
	v_lshl_add_u32 v27, v8, 7, v0
	s_wait_kmcnt 0x0
	s_ashr_i32 s5, s4, 31
	s_cmp_eq_f32 s22, 0
	s_mov_b32 s2, s20
	v_cmp_gt_u32_e64 s0, 0x80, v2
	v_mul_lo_u32 v10, s28, v25
	s_cselect_b32 s29, -1, 0
	s_cmp_neq_f32 s27, 1.0
	v_or_b32_e32 v12, 3, v25
	v_mul_lo_u32 v13, v8, s26
	s_cselect_b32 s1, -1, 0
	s_cmp_neq_f32 s22, 0
	s_delay_alu instid0(VALU_DEP_2)
	v_mul_lo_u32 v32, s26, v12
	s_cselect_b32 s6, -1, 0
	s_lshl_b32 s30, ttmp9, 7
	s_ashr_i32 s3, s20, 31
	v_add_nc_u32_e32 v0, s30, v2
	v_or_b32_e32 v4, s30, v2
	v_add_nc_u32_e32 v29, s30, v9
	s_or_b32 s31, s6, s1
	s_cmp_neq_f32 s27, 0
	v_cmp_gt_i64_e32 vcc_lo, s[2:3], v[0:1]
	v_mad_co_u64_u32 v[2:3], null, s4, v0, 0
	v_cmp_gt_i32_e64 s2, s20, v4
	v_mul_lo_u32 v4, s4, v4
	v_add_nc_u32_e32 v6, 64, v29
	v_add_nc_u32_e32 v11, 0x60, v29
	;; [unrolled: 1-line block ×3, first 2 shown]
	s_cselect_b32 s33, -1, 0
	s_ashr_i32 s3, s21, 31
	v_cmp_gt_i32_e64 s4, s20, v6
	s_wait_alu 0xfffe
	s_lshr_b32 s3, s3, 26
	v_mad_co_u64_u32 v[6:7], null, s5, v0, v[3:4]
	v_cmp_gt_i32_e64 s5, s20, v11
	v_mul_lo_u32 v11, v8, s28
	v_add3_u32 v0, v10, s28, v9
	v_or_b32_e32 v10, 2, v25
	s_wait_alu 0xfffe
	s_add_co_i32 s34, s21, s3
	v_cmp_gt_i32_e64 s3, s20, v5
	v_ashrrev_i32_e32 v5, 31, v4
	v_mov_b32_e32 v3, v6
	v_mad_co_u64_u32 v[6:7], null, s28, v10, v[9:10]
	v_mad_co_u64_u32 v[7:8], null, s28, v12, v[9:10]
	s_and_not1_b32 s34, s34, 63
	v_lshl_add_u32 v30, v11, 2, v9
	v_mad_co_u64_u32 v[8:9], null, s26, v25, s[26:27]
	v_mul_lo_u32 v31, s26, v10
	s_sub_co_i32 s7, s21, s34
	v_lshlrev_b64_e32 v[9:10], 1, v[2:3]
	v_lshlrev_b64_e32 v[11:12], 1, v[4:5]
	v_cndmask_b32_e64 v28, 0, 1, s6
	v_cmp_gt_i32_e64 s1, s20, v29
	v_cmp_gt_i32_e64 s6, s34, v25
	v_lshlrev_b32_e32 v33, 2, v13
	s_cmp_gt_i32 s7, 0
	s_cselect_b32 s20, -1, 0
	s_and_b32 s35, s0, vcc_lo
	s_lshl_b32 s36, s28, 6
	s_lshl_b32 s37, s26, 6
	s_lshl_b64 s[18:19], s[18:19], 1
	s_lshl_b64 s[10:11], s[10:11], 1
	;; [unrolled: 1-line block ×3, first 2 shown]
	s_branch .LBB432_4
.LBB432_2:                              ;   in Loop: Header=BB432_4 Depth=1
	s_wait_alu 0xfffe
	s_or_b32 exec_lo, exec_lo, s7
.LBB432_3:                              ;   in Loop: Header=BB432_4 Depth=1
	s_add_co_i32 s24, s24, 0x10000
	s_delay_alu instid0(SALU_CYCLE_1)
	s_cmp_lt_u32 s24, s23
	s_cbranch_scc0 .LBB432_59
.LBB432_4:                              ; =>This Loop Header: Depth=1
                                        ;     Child Loop BB432_27 Depth 2
	s_and_not1_b32 vcc_lo, exec_lo, s31
	s_wait_alu 0xfffe
	s_cbranch_vccnz .LBB432_3
; %bb.5:                                ;   in Loop: Header=BB432_4 Depth=1
	s_and_not1_b32 vcc_lo, exec_lo, s29
	s_wait_alu 0xfffe
	s_cbranch_vccnz .LBB432_7
; %bb.6:                                ;   in Loop: Header=BB432_4 Depth=1
	s_mov_b32 s7, 0
	s_branch .LBB432_8
.LBB432_7:                              ;   in Loop: Header=BB432_4 Depth=1
	s_mov_b32 s7, -1
.LBB432_8:                              ;   in Loop: Header=BB432_4 Depth=1
	v_mov_b32_e32 v15, 0
	v_dual_mov_b32 v16, 0 :: v_dual_mov_b32 v13, 0
	v_mov_b32_e32 v14, 0
	s_wait_alu 0xfffe
	s_and_not1_b32 vcc_lo, exec_lo, s7
	s_wait_alu 0xfffe
	s_cbranch_vccnz .LBB432_10
; %bb.9:                                ;   in Loop: Header=BB432_4 Depth=1
	s_lshl_b64 s[38:39], s[24:25], 3
	s_delay_alu instid0(SALU_CYCLE_1)
	s_add_nc_u64 s[38:39], s[16:17], s[38:39]
	global_load_b64 v[13:14], v1, s[38:39]
	s_wait_loadcnt 0x0
	v_add_co_u32 v13, vcc_lo, v13, s18
	s_wait_alu 0xfffd
	v_add_co_ci_u32_e64 v14, null, s19, v14, vcc_lo
.LBB432_10:                             ;   in Loop: Header=BB432_4 Depth=1
	v_cmp_ne_u32_e32 vcc_lo, 1, v28
	s_cbranch_vccnz .LBB432_12
; %bb.11:                               ;   in Loop: Header=BB432_4 Depth=1
	s_lshl_b64 s[38:39], s[24:25], 3
	s_delay_alu instid0(SALU_CYCLE_1)
	s_add_nc_u64 s[38:39], s[8:9], s[38:39]
	global_load_b64 v[15:16], v1, s[38:39]
	s_wait_loadcnt 0x0
	v_add_co_u32 v15, vcc_lo, v15, s10
	s_wait_alu 0xfffd
	v_add_co_ci_u32_e64 v16, null, s11, v16, vcc_lo
.LBB432_12:                             ;   in Loop: Header=BB432_4 Depth=1
	s_lshl_b64 s[38:39], s[24:25], 3
	s_delay_alu instid0(SALU_CYCLE_1)
	s_add_nc_u64 s[38:39], s[12:13], s[38:39]
	global_load_b64 v[17:18], v1, s[38:39]
	s_wait_loadcnt 0x0
	v_add_co_u32 v34, vcc_lo, v17, s14
	s_wait_alu 0xfffd
	v_add_co_ci_u32_e64 v35, null, s15, v18, vcc_lo
	s_and_not1_b32 vcc_lo, exec_lo, s29
	s_wait_alu 0xfffe
	s_cbranch_vccnz .LBB432_16
; %bb.13:                               ;   in Loop: Header=BB432_4 Depth=1
	s_mov_b32 s7, 0
	s_mov_b32 s38, 0
                                        ; implicit-def: $vgpr17
	s_and_saveexec_b32 s39, s35
	s_cbranch_execz .LBB432_17
; %bb.14:                               ;   in Loop: Header=BB432_4 Depth=1
	s_and_not1_b32 vcc_lo, exec_lo, s33
	s_wait_alu 0xfffe
	s_cbranch_vccnz .LBB432_19
; %bb.15:                               ;   in Loop: Header=BB432_4 Depth=1
	v_add_co_u32 v17, vcc_lo, v34, v9
	s_wait_alu 0xfffd
	v_add_co_ci_u32_e64 v18, null, v35, v10, vcc_lo
	flat_load_u16 v17, v[17:18]
	s_wait_loadcnt_dscnt 0x0
	v_fma_mixlo_f16 v17, s27, v17, 0 op_sel_hi:[0,1,0]
	s_branch .LBB432_20
.LBB432_16:                             ;   in Loop: Header=BB432_4 Depth=1
	s_mov_b32 s38, 0
                                        ; implicit-def: $vgpr17
	s_cbranch_execz .LBB432_18
	s_branch .LBB432_21
.LBB432_17:                             ;   in Loop: Header=BB432_4 Depth=1
	s_or_b32 exec_lo, exec_lo, s39
	s_wait_alu 0xfffe
	s_and_b32 vcc_lo, exec_lo, s7
	s_wait_alu 0xfffe
	s_cbranch_vccnz .LBB432_21
.LBB432_18:                             ;   in Loop: Header=BB432_4 Depth=1
	v_dual_mov_b32 v14, v3 :: v_dual_mov_b32 v13, v2
	s_and_saveexec_b32 s7, s38
	s_cbranch_execz .LBB432_2
	s_branch .LBB432_58
.LBB432_19:                             ;   in Loop: Header=BB432_4 Depth=1
	v_mov_b32_e32 v17, 0
.LBB432_20:                             ;   in Loop: Header=BB432_4 Depth=1
	s_mov_b32 s38, exec_lo
	s_or_b32 exec_lo, exec_lo, s39
	s_delay_alu instid0(SALU_CYCLE_1)
	s_and_b32 vcc_lo, exec_lo, s7
	s_wait_alu 0xfffe
	s_cbranch_vccz .LBB432_18
.LBB432_21:                             ;   in Loop: Header=BB432_4 Depth=1
	v_dual_mov_b32 v36, 0 :: v_dual_mov_b32 v37, 0
	v_dual_mov_b32 v40, v25 :: v_dual_mov_b32 v39, 0
	v_mov_b32_e32 v38, 0
	s_and_saveexec_b32 s7, s6
	s_cbranch_execz .LBB432_33
; %bb.22:                               ;   in Loop: Header=BB432_4 Depth=1
	v_dual_mov_b32 v36, 0 :: v_dual_mov_b32 v41, v30
	v_dual_mov_b32 v42, v7 :: v_dual_mov_b32 v43, v6
	;; [unrolled: 1-line block ×4, first 2 shown]
	v_mov_b32_e32 v38, 0
	s_mov_b32 s39, 0
	s_mov_b32 s40, 0
	s_branch .LBB432_27
.LBB432_23:                             ;   in Loop: Header=BB432_27 Depth=2
	s_or_b32 exec_lo, exec_lo, s44
	s_wait_loadcnt_dscnt 0x303
	v_fma_mix_f32 v17, v57, v61, v38 op_sel_hi:[0,1,0]
	s_wait_loadcnt_dscnt 0x202
	s_delay_alu instid0(VALU_DEP_1) | instskip(SKIP_1) | instid1(VALU_DEP_1)
	v_fma_mix_f32 v17, v58, v62, v17 op_sel_hi:[0,1,0]
	s_wait_loadcnt_dscnt 0x101
	v_fma_mix_f32 v17, v59, v63, v17 op_sel_hi:[0,1,0]
	s_wait_loadcnt_dscnt 0x0
	s_delay_alu instid0(VALU_DEP_1)
	v_fma_mix_f32 v38, v60, v64, v17 op_sel_hi:[0,1,0]
.LBB432_24:                             ;   in Loop: Header=BB432_27 Depth=2
	s_or_b32 exec_lo, exec_lo, s43
	s_wait_loadcnt_dscnt 0x303
	v_fma_mix_f32 v17, v57, v53, v37 op_sel_hi:[0,1,0]
	s_wait_loadcnt_dscnt 0x202
	s_delay_alu instid0(VALU_DEP_1) | instskip(SKIP_1) | instid1(VALU_DEP_1)
	v_fma_mix_f32 v17, v58, v54, v17 op_sel_hi:[0,1,0]
	s_wait_loadcnt_dscnt 0x101
	v_fma_mix_f32 v17, v59, v55, v17 op_sel_hi:[0,1,0]
	s_wait_loadcnt_dscnt 0x0
	s_delay_alu instid0(VALU_DEP_1)
	v_fma_mix_f32 v37, v60, v56, v17 op_sel_hi:[0,1,0]
.LBB432_25:                             ;   in Loop: Header=BB432_27 Depth=2
	s_or_b32 exec_lo, exec_lo, s42
	s_wait_loadcnt_dscnt 0x303
	v_fma_mix_f32 v17, v45, v49, v36 op_sel_hi:[1,1,0]
	s_wait_loadcnt_dscnt 0x202
	s_delay_alu instid0(VALU_DEP_1) | instskip(SKIP_1) | instid1(VALU_DEP_1)
	v_fma_mix_f32 v17, v46, v50, v17 op_sel_hi:[1,1,0]
	s_wait_loadcnt_dscnt 0x101
	v_fma_mix_f32 v17, v47, v51, v17 op_sel_hi:[1,1,0]
	s_wait_loadcnt_dscnt 0x0
	s_delay_alu instid0(VALU_DEP_1)
	v_fma_mix_f32 v36, v48, v52, v17 op_sel_hi:[1,1,0]
.LBB432_26:                             ;   in Loop: Header=BB432_27 Depth=2
	s_wait_alu 0xfffe
	s_or_b32 exec_lo, exec_lo, s41
	v_add_nc_u32_e32 v40, 64, v40
	v_add_nc_u32_e32 v44, s36, v44
	;; [unrolled: 1-line block ×5, first 2 shown]
	v_cmp_le_i32_e32 vcc_lo, s34, v40
	s_add_co_i32 s40, s40, s37
	s_or_b32 s39, vcc_lo, s39
	s_delay_alu instid0(SALU_CYCLE_1)
	s_and_not1_b32 exec_lo, exec_lo, s39
	s_cbranch_execz .LBB432_32
.LBB432_27:                             ;   Parent Loop BB432_4 Depth=1
                                        ; =>  This Inner Loop Header: Depth=2
	s_and_saveexec_b32 s41, s1
	s_cbranch_execz .LBB432_26
; %bb.28:                               ;   in Loop: Header=BB432_27 Depth=2
	s_wait_alu 0xfffe
	v_add_nc_u32_e32 v17, s40, v33
	v_add_nc_u32_e32 v19, s40, v8
	;; [unrolled: 1-line block ×5, first 2 shown]
	v_ashrrev_i32_e32 v18, 31, v17
	v_ashrrev_i32_e32 v20, 31, v19
	;; [unrolled: 1-line block ×5, first 2 shown]
	v_lshlrev_b64_e32 v[17:18], 1, v[17:18]
	v_lshlrev_b64_e32 v[19:20], 1, v[19:20]
	;; [unrolled: 1-line block ×3, first 2 shown]
	s_delay_alu instid0(VALU_DEP_3) | instskip(SKIP_1) | instid1(VALU_DEP_4)
	v_add_co_u32 v47, vcc_lo, v15, v17
	s_wait_alu 0xfffd
	v_add_co_ci_u32_e64 v48, null, v16, v18, vcc_lo
	s_delay_alu instid0(VALU_DEP_4)
	v_add_co_u32 v49, vcc_lo, v15, v19
	v_add_nc_u32_e32 v19, s30, v44
	s_wait_alu 0xfffd
	v_add_co_ci_u32_e64 v50, null, v16, v20, vcc_lo
	v_lshlrev_b64_e32 v[17:18], 1, v[23:24]
	v_add_co_u32 v51, vcc_lo, v15, v21
	v_add_nc_u32_e32 v23, s30, v43
	s_wait_alu 0xfffd
	v_add_co_ci_u32_e64 v52, null, v16, v22, vcc_lo
	v_lshlrev_b64_e32 v[21:22], 1, v[45:46]
	v_add_nc_u32_e32 v45, s30, v42
	v_ashrrev_i32_e32 v20, 31, v19
	v_ashrrev_i32_e32 v24, 31, v23
	v_add_co_u32 v53, vcc_lo, v15, v17
	s_delay_alu instid0(VALU_DEP_4)
	v_ashrrev_i32_e32 v46, 31, v45
	s_wait_alu 0xfffd
	v_add_co_ci_u32_e64 v54, null, v16, v18, vcc_lo
	v_lshlrev_b64_e32 v[19:20], 1, v[19:20]
	v_add_co_u32 v17, vcc_lo, v13, v21
	s_wait_alu 0xfffd
	v_add_co_ci_u32_e64 v18, null, v14, v22, vcc_lo
	v_lshlrev_b64_e32 v[21:22], 1, v[23:24]
	v_lshlrev_b64_e32 v[23:24], 1, v[45:46]
	v_add_co_u32 v19, vcc_lo, v13, v19
	s_wait_alu 0xfffd
	v_add_co_ci_u32_e64 v20, null, v14, v20, vcc_lo
	s_delay_alu instid0(VALU_DEP_4)
	v_add_co_u32 v21, vcc_lo, v13, v21
	s_wait_alu 0xfffd
	v_add_co_ci_u32_e64 v22, null, v14, v22, vcc_lo
	v_add_co_u32 v23, vcc_lo, v13, v23
	s_wait_alu 0xfffd
	v_add_co_ci_u32_e64 v24, null, v14, v24, vcc_lo
	s_clause 0x3
	flat_load_u16 v45, v[47:48]
	flat_load_u16 v46, v[49:50]
	;; [unrolled: 1-line block ×4, first 2 shown]
	s_clause 0x3
	flat_load_u16 v49, v[17:18]
	flat_load_u16 v50, v[19:20]
	;; [unrolled: 1-line block ×4, first 2 shown]
	s_and_saveexec_b32 s42, s3
	s_cbranch_execz .LBB432_25
; %bb.29:                               ;   in Loop: Header=BB432_27 Depth=2
	s_clause 0x3
	flat_load_u16 v53, v[17:18] offset:64
	flat_load_u16 v54, v[19:20] offset:64
	;; [unrolled: 1-line block ×4, first 2 shown]
	s_wait_loadcnt_dscnt 0xb0b
	v_cvt_f32_f16_e32 v57, v45
	s_wait_loadcnt_dscnt 0xa0a
	v_cvt_f32_f16_e32 v58, v46
	;; [unrolled: 2-line block ×4, first 2 shown]
	s_and_saveexec_b32 s43, s4
	s_cbranch_execz .LBB432_24
; %bb.30:                               ;   in Loop: Header=BB432_27 Depth=2
	s_clause 0x3
	flat_load_u16 v61, v[17:18] offset:128
	flat_load_u16 v62, v[19:20] offset:128
	flat_load_u16 v63, v[21:22] offset:128
	flat_load_u16 v64, v[23:24] offset:128
	s_and_saveexec_b32 s44, s5
	s_cbranch_execz .LBB432_23
; %bb.31:                               ;   in Loop: Header=BB432_27 Depth=2
	s_clause 0x3
	flat_load_u16 v17, v[17:18] offset:192
	flat_load_u16 v18, v[19:20] offset:192
	;; [unrolled: 1-line block ×4, first 2 shown]
	s_wait_loadcnt_dscnt 0x303
	v_fma_mix_f32 v17, v57, v17, v39 op_sel_hi:[0,1,0]
	s_wait_loadcnt_dscnt 0x202
	s_delay_alu instid0(VALU_DEP_1) | instskip(SKIP_1) | instid1(VALU_DEP_1)
	v_fma_mix_f32 v17, v58, v18, v17 op_sel_hi:[0,1,0]
	s_wait_loadcnt_dscnt 0x101
	v_fma_mix_f32 v17, v59, v19, v17 op_sel_hi:[0,1,0]
	s_wait_loadcnt_dscnt 0x0
	s_delay_alu instid0(VALU_DEP_1)
	v_fma_mix_f32 v39, v60, v20, v17 op_sel_hi:[0,1,0]
	s_branch .LBB432_23
.LBB432_32:                             ;   in Loop: Header=BB432_4 Depth=1
	s_or_b32 exec_lo, exec_lo, s39
.LBB432_33:                             ;   in Loop: Header=BB432_4 Depth=1
	s_wait_alu 0xfffe
	s_or_b32 exec_lo, exec_lo, s7
	s_delay_alu instid0(SALU_CYCLE_1)
	s_and_not1_b32 vcc_lo, exec_lo, s20
	s_wait_alu 0xfffe
	s_cbranch_vccnz .LBB432_51
; %bb.34:                               ;   in Loop: Header=BB432_4 Depth=1
	v_cmp_gt_i32_e32 vcc_lo, s21, v40
	v_dual_mov_b32 v21, 0 :: v_dual_mov_b32 v22, 0
	v_or_b32_e32 v17, 1, v40
	v_dual_mov_b32 v23, 0 :: v_dual_mov_b32 v24, 0
	s_and_saveexec_b32 s39, vcc_lo
	s_cbranch_execz .LBB432_42
; %bb.35:                               ;   in Loop: Header=BB432_4 Depth=1
	v_mul_lo_u32 v18, v40, s26
	v_dual_mov_b32 v23, 0 :: v_dual_mov_b32 v22, 0
	v_mov_b32_e32 v21, 0
	s_mov_b32 s40, exec_lo
	s_delay_alu instid0(VALU_DEP_3) | instskip(NEXT) | instid1(VALU_DEP_1)
	v_ashrrev_i32_e32 v19, 31, v18
	v_lshlrev_b64_e32 v[18:19], 1, v[18:19]
	s_delay_alu instid0(VALU_DEP_1) | instskip(SKIP_1) | instid1(VALU_DEP_2)
	v_add_co_u32 v18, s7, v15, v18
	s_wait_alu 0xf1ff
	v_add_co_ci_u32_e64 v19, null, v16, v19, s7
	flat_load_u16 v18, v[18:19]
	v_cmpx_gt_i32_e64 s21, v17
	s_cbranch_execz .LBB432_41
; %bb.36:                               ;   in Loop: Header=BB432_4 Depth=1
	v_mul_lo_u32 v19, v17, s26
	v_dual_mov_b32 v22, 0 :: v_dual_mov_b32 v21, 0
	s_mov_b32 s41, exec_lo
	s_delay_alu instid0(VALU_DEP_2) | instskip(NEXT) | instid1(VALU_DEP_1)
	v_ashrrev_i32_e32 v20, 31, v19
	v_lshlrev_b64_e32 v[19:20], 1, v[19:20]
	s_delay_alu instid0(VALU_DEP_1) | instskip(SKIP_1) | instid1(VALU_DEP_2)
	v_add_co_u32 v19, s7, v15, v19
	s_wait_alu 0xf1ff
	v_add_co_ci_u32_e64 v20, null, v16, v20, s7
	flat_load_u16 v19, v[19:20]
	v_or_b32_e32 v20, 2, v40
	s_delay_alu instid0(VALU_DEP_1)
	v_cmpx_gt_i32_e64 s21, v20
	s_cbranch_execz .LBB432_40
; %bb.37:                               ;   in Loop: Header=BB432_4 Depth=1
	v_mul_lo_u32 v20, v20, s26
	v_or_b32_e32 v22, 3, v40
	s_mov_b32 s42, exec_lo
	s_delay_alu instid0(VALU_DEP_2) | instskip(NEXT) | instid1(VALU_DEP_1)
	v_ashrrev_i32_e32 v21, 31, v20
	v_lshlrev_b64_e32 v[20:21], 1, v[20:21]
	s_delay_alu instid0(VALU_DEP_1) | instskip(SKIP_1) | instid1(VALU_DEP_2)
	v_add_co_u32 v20, s7, v15, v20
	s_wait_alu 0xf1ff
	v_add_co_ci_u32_e64 v21, null, v16, v21, s7
	flat_load_u16 v20, v[20:21]
	v_mov_b32_e32 v21, 0
	v_cmpx_gt_i32_e64 s21, v22
	s_cbranch_execz .LBB432_39
; %bb.38:                               ;   in Loop: Header=BB432_4 Depth=1
	v_mul_lo_u32 v21, v22, s26
	s_delay_alu instid0(VALU_DEP_1) | instskip(NEXT) | instid1(VALU_DEP_1)
	v_ashrrev_i32_e32 v22, 31, v21
	v_lshlrev_b64_e32 v[21:22], 1, v[21:22]
	s_delay_alu instid0(VALU_DEP_1) | instskip(SKIP_1) | instid1(VALU_DEP_2)
	v_add_co_u32 v15, s7, v15, v21
	s_wait_alu 0xf1ff
	v_add_co_ci_u32_e64 v16, null, v16, v22, s7
	flat_load_u16 v15, v[15:16]
	s_wait_loadcnt_dscnt 0x0
	v_cvt_f32_f16_e32 v21, v15
.LBB432_39:                             ;   in Loop: Header=BB432_4 Depth=1
	s_or_b32 exec_lo, exec_lo, s42
	s_wait_loadcnt_dscnt 0x0
	v_cvt_f32_f16_e32 v22, v20
.LBB432_40:                             ;   in Loop: Header=BB432_4 Depth=1
	s_wait_alu 0xfffe
	s_or_b32 exec_lo, exec_lo, s41
	s_wait_loadcnt_dscnt 0x0
	v_cvt_f32_f16_e32 v23, v19
.LBB432_41:                             ;   in Loop: Header=BB432_4 Depth=1
	s_wait_alu 0xfffe
	s_or_b32 exec_lo, exec_lo, s40
	s_wait_loadcnt_dscnt 0x0
	v_cvt_f32_f16_e32 v24, v18
.LBB432_42:                             ;   in Loop: Header=BB432_4 Depth=1
	s_or_b32 exec_lo, exec_lo, s39
	s_and_saveexec_b32 s7, s1
	s_cbranch_execz .LBB432_50
; %bb.43:                               ;   in Loop: Header=BB432_4 Depth=1
	v_mul_lo_u32 v16, v40, s28
	v_or_b32_e32 v15, 2, v40
	v_mul_lo_u32 v19, v17, s28
	v_or_b32_e32 v18, 3, v40
	s_delay_alu instid0(VALU_DEP_3) | instskip(NEXT) | instid1(VALU_DEP_2)
	v_mul_lo_u32 v20, v15, s28
	v_mul_lo_u32 v40, v18, s28
	v_cndmask_b32_e32 v16, 0, v16, vcc_lo
	v_cmp_gt_i32_e32 vcc_lo, s21, v17
	s_wait_alu 0xfffd
	v_cndmask_b32_e32 v17, 0, v19, vcc_lo
	v_cmp_gt_i32_e32 vcc_lo, s21, v15
	v_add_nc_u32_e32 v15, v16, v29
	s_delay_alu instid0(VALU_DEP_3)
	v_add_nc_u32_e32 v17, v17, v29
	s_wait_alu 0xfffd
	v_cndmask_b32_e32 v19, 0, v20, vcc_lo
	v_cmp_gt_i32_e32 vcc_lo, s21, v18
	v_ashrrev_i32_e32 v16, 31, v15
	s_wait_alu 0xfffd
	v_cndmask_b32_e32 v18, 0, v40, vcc_lo
	s_delay_alu instid0(VALU_DEP_2) | instskip(NEXT) | instid1(VALU_DEP_2)
	v_lshlrev_b64_e32 v[15:16], 1, v[15:16]
	v_add_nc_u32_e32 v40, v18, v29
	v_add_nc_u32_e32 v19, v19, v29
	v_ashrrev_i32_e32 v18, 31, v17
	s_delay_alu instid0(VALU_DEP_4) | instskip(NEXT) | instid1(VALU_DEP_4)
	v_add_co_u32 v15, vcc_lo, v13, v15
	v_ashrrev_i32_e32 v41, 31, v40
	s_delay_alu instid0(VALU_DEP_4) | instskip(NEXT) | instid1(VALU_DEP_4)
	v_ashrrev_i32_e32 v20, 31, v19
	v_lshlrev_b64_e32 v[17:18], 1, v[17:18]
	s_wait_alu 0xfffd
	v_add_co_ci_u32_e64 v16, null, v14, v16, vcc_lo
	v_lshlrev_b64_e32 v[40:41], 1, v[40:41]
	v_lshlrev_b64_e32 v[19:20], 1, v[19:20]
	s_delay_alu instid0(VALU_DEP_4) | instskip(SKIP_2) | instid1(VALU_DEP_3)
	v_add_co_u32 v17, vcc_lo, v13, v17
	s_wait_alu 0xfffd
	v_add_co_ci_u32_e64 v18, null, v14, v18, vcc_lo
	v_add_co_u32 v19, vcc_lo, v13, v19
	s_wait_alu 0xfffd
	v_add_co_ci_u32_e64 v20, null, v14, v20, vcc_lo
	;; [unrolled: 3-line block ×3, first 2 shown]
	s_clause 0x3
	flat_load_u16 v40, v[15:16]
	flat_load_u16 v41, v[17:18]
	;; [unrolled: 1-line block ×4, first 2 shown]
	s_and_saveexec_b32 s39, s3
	s_cbranch_execz .LBB432_49
; %bb.44:                               ;   in Loop: Header=BB432_4 Depth=1
	s_clause 0x3
	flat_load_u16 v44, v[15:16] offset:64
	flat_load_u16 v45, v[17:18] offset:64
	flat_load_u16 v46, v[19:20] offset:64
	flat_load_u16 v47, v[13:14] offset:64
	s_and_saveexec_b32 s40, s4
	s_cbranch_execz .LBB432_48
; %bb.45:                               ;   in Loop: Header=BB432_4 Depth=1
	s_clause 0x3
	flat_load_u16 v48, v[15:16] offset:128
	flat_load_u16 v49, v[17:18] offset:128
	flat_load_u16 v50, v[19:20] offset:128
	flat_load_u16 v51, v[13:14] offset:128
	;; [unrolled: 8-line block ×3, first 2 shown]
	s_wait_loadcnt_dscnt 0x303
	v_fma_mix_f32 v14, v24, v15, v39 op_sel_hi:[0,1,0]
	s_wait_loadcnt_dscnt 0x202
	s_delay_alu instid0(VALU_DEP_1) | instskip(SKIP_1) | instid1(VALU_DEP_1)
	v_fma_mix_f32 v14, v23, v16, v14 op_sel_hi:[0,1,0]
	s_wait_loadcnt_dscnt 0x101
	v_fma_mix_f32 v14, v22, v17, v14 op_sel_hi:[0,1,0]
	s_wait_loadcnt_dscnt 0x0
	s_delay_alu instid0(VALU_DEP_1)
	v_fma_mix_f32 v39, v21, v13, v14 op_sel_hi:[0,1,0]
.LBB432_47:                             ;   in Loop: Header=BB432_4 Depth=1
	s_wait_alu 0xfffe
	s_or_b32 exec_lo, exec_lo, s41
	s_wait_loadcnt_dscnt 0x303
	v_fma_mix_f32 v13, v24, v48, v38 op_sel_hi:[0,1,0]
	s_wait_loadcnt_dscnt 0x202
	s_delay_alu instid0(VALU_DEP_1) | instskip(SKIP_1) | instid1(VALU_DEP_1)
	v_fma_mix_f32 v13, v23, v49, v13 op_sel_hi:[0,1,0]
	s_wait_loadcnt_dscnt 0x101
	v_fma_mix_f32 v13, v22, v50, v13 op_sel_hi:[0,1,0]
	s_wait_loadcnt_dscnt 0x0
	s_delay_alu instid0(VALU_DEP_1)
	v_fma_mix_f32 v38, v21, v51, v13 op_sel_hi:[0,1,0]
.LBB432_48:                             ;   in Loop: Header=BB432_4 Depth=1
	s_wait_alu 0xfffe
	s_or_b32 exec_lo, exec_lo, s40
	s_wait_loadcnt_dscnt 0x303
	v_fma_mix_f32 v13, v24, v44, v37 op_sel_hi:[0,1,0]
	s_wait_loadcnt_dscnt 0x202
	s_delay_alu instid0(VALU_DEP_1) | instskip(SKIP_1) | instid1(VALU_DEP_1)
	v_fma_mix_f32 v13, v23, v45, v13 op_sel_hi:[0,1,0]
	s_wait_loadcnt_dscnt 0x101
	v_fma_mix_f32 v13, v22, v46, v13 op_sel_hi:[0,1,0]
	s_wait_loadcnt_dscnt 0x0
	s_delay_alu instid0(VALU_DEP_1)
	v_fma_mix_f32 v37, v21, v47, v13 op_sel_hi:[0,1,0]
.LBB432_49:                             ;   in Loop: Header=BB432_4 Depth=1
	s_or_b32 exec_lo, exec_lo, s39
	s_wait_loadcnt_dscnt 0x303
	v_fma_mix_f32 v13, v24, v40, v36 op_sel_hi:[0,1,0]
	s_wait_loadcnt_dscnt 0x202
	s_delay_alu instid0(VALU_DEP_1) | instskip(SKIP_1) | instid1(VALU_DEP_1)
	v_fma_mix_f32 v13, v23, v41, v13 op_sel_hi:[0,1,0]
	s_wait_loadcnt_dscnt 0x101
	v_fma_mix_f32 v13, v22, v42, v13 op_sel_hi:[0,1,0]
	s_wait_loadcnt_dscnt 0x0
	s_delay_alu instid0(VALU_DEP_1)
	v_fma_mix_f32 v36, v21, v43, v13 op_sel_hi:[0,1,0]
.LBB432_50:                             ;   in Loop: Header=BB432_4 Depth=1
	s_wait_alu 0xfffe
	s_or_b32 exec_lo, exec_lo, s7
.LBB432_51:                             ;   in Loop: Header=BB432_4 Depth=1
	ds_store_2addr_b32 v26, v36, v37 offset1:32
	ds_store_2addr_b32 v26, v38, v39 offset0:64 offset1:96
	s_wait_dscnt 0x0
	s_barrier_signal -1
	s_barrier_wait -1
	global_inv scope:SCOPE_SE
                                        ; implicit-def: $vgpr17
	s_and_saveexec_b32 s7, s0
	s_cbranch_execz .LBB432_57
; %bb.52:                               ;   in Loop: Header=BB432_4 Depth=1
	ds_load_2addr_stride64_b32 v[13:14], v27 offset1:2
	ds_load_2addr_stride64_b32 v[15:16], v27 offset0:4 offset1:6
	ds_load_2addr_stride64_b32 v[17:18], v27 offset0:8 offset1:10
	s_mov_b32 s40, s38
	s_wait_dscnt 0x2
	v_add_f32_e32 v19, v13, v14
	ds_load_2addr_stride64_b32 v[13:14], v27 offset0:12 offset1:14
	s_wait_dscnt 0x2
	v_add_f32_e32 v15, v15, v19
	s_delay_alu instid0(VALU_DEP_1) | instskip(SKIP_3) | instid1(VALU_DEP_1)
	v_add_f32_e32 v19, v16, v15
	ds_load_2addr_stride64_b32 v[15:16], v27 offset0:16 offset1:18
	s_wait_dscnt 0x2
	v_add_f32_e32 v17, v17, v19
	v_add_f32_e32 v19, v18, v17
	ds_load_2addr_stride64_b32 v[17:18], v27 offset0:20 offset1:22
	s_wait_dscnt 0x2
	v_add_f32_e32 v13, v13, v19
	s_delay_alu instid0(VALU_DEP_1) | instskip(SKIP_1) | instid1(VALU_DEP_1)
	v_add_f32_e32 v13, v14, v13
	s_wait_dscnt 0x1
	v_add_f32_e32 v15, v15, v13
	ds_load_2addr_stride64_b32 v[13:14], v27 offset0:24 offset1:26
	v_add_f32_e32 v15, v16, v15
	s_wait_dscnt 0x1
	s_delay_alu instid0(VALU_DEP_1) | instskip(SKIP_3) | instid1(VALU_DEP_1)
	v_add_f32_e32 v17, v17, v15
	ds_load_2addr_stride64_b32 v[15:16], v27 offset0:28 offset1:30
	v_add_f32_e32 v17, v18, v17
	s_wait_dscnt 0x1
	v_add_f32_e32 v13, v13, v17
                                        ; implicit-def: $vgpr17
	s_delay_alu instid0(VALU_DEP_1) | instskip(SKIP_1) | instid1(VALU_DEP_1)
	v_add_f32_e32 v13, v14, v13
	s_wait_dscnt 0x0
	v_add_f32_e32 v13, v15, v13
	s_delay_alu instid0(VALU_DEP_1)
	v_add_f32_e32 v13, v16, v13
	ds_store_b32 v27, v13
	s_and_saveexec_b32 s39, s2
	s_cbranch_execz .LBB432_56
; %bb.53:                               ;   in Loop: Header=BB432_4 Depth=1
	v_mul_f32_e32 v13, s22, v13
	s_and_not1_b32 vcc_lo, exec_lo, s33
	s_wait_alu 0xfffe
	s_cbranch_vccnz .LBB432_55
; %bb.54:                               ;   in Loop: Header=BB432_4 Depth=1
	v_add_co_u32 v14, vcc_lo, v34, v11
	s_wait_alu 0xfffd
	v_add_co_ci_u32_e64 v15, null, v35, v12, vcc_lo
	flat_load_u16 v14, v[14:15]
	s_wait_loadcnt_dscnt 0x0
	v_fma_mix_f32 v13, s27, v14, v13 op_sel_hi:[0,1,0]
.LBB432_55:                             ;   in Loop: Header=BB432_4 Depth=1
	s_delay_alu instid0(VALU_DEP_1)
	v_cvt_f16_f32_e32 v17, v13
	s_or_b32 s40, s38, exec_lo
.LBB432_56:                             ;   in Loop: Header=BB432_4 Depth=1
	s_or_b32 exec_lo, exec_lo, s39
	s_delay_alu instid0(SALU_CYCLE_1) | instskip(SKIP_2) | instid1(SALU_CYCLE_1)
	s_and_not1_b32 s38, s38, exec_lo
	s_wait_alu 0xfffe
	s_and_b32 s39, s40, exec_lo
	s_or_b32 s38, s38, s39
.LBB432_57:                             ;   in Loop: Header=BB432_4 Depth=1
	s_wait_alu 0xfffe
	s_or_b32 exec_lo, exec_lo, s7
	v_dual_mov_b32 v14, v5 :: v_dual_mov_b32 v13, v4
	s_and_saveexec_b32 s7, s38
	s_cbranch_execz .LBB432_2
.LBB432_58:                             ;   in Loop: Header=BB432_4 Depth=1
	s_delay_alu instid0(VALU_DEP_1) | instskip(NEXT) | instid1(VALU_DEP_1)
	v_lshlrev_b64_e32 v[13:14], 1, v[13:14]
	v_add_co_u32 v13, vcc_lo, v34, v13
	s_wait_alu 0xfffd
	s_delay_alu instid0(VALU_DEP_2)
	v_add_co_ci_u32_e64 v14, null, v35, v14, vcc_lo
	flat_store_b16 v[13:14], v17
	s_branch .LBB432_2
.LBB432_59:
	s_endpgm
	.section	.rodata,"a",@progbits
	.p2align	6, 0x0
	.amdhsa_kernel _ZL20rocblas_gemvn_kernelILi32ELi16EiPKDF16_fKPDF16_EviiT3_lPKT2_lT1_lS7_lS8_lS4_lPT4_lS8_li
		.amdhsa_group_segment_fixed_size 8192
		.amdhsa_private_segment_fixed_size 0
		.amdhsa_kernarg_size 400
		.amdhsa_user_sgpr_count 2
		.amdhsa_user_sgpr_dispatch_ptr 0
		.amdhsa_user_sgpr_queue_ptr 0
		.amdhsa_user_sgpr_kernarg_segment_ptr 1
		.amdhsa_user_sgpr_dispatch_id 0
		.amdhsa_user_sgpr_private_segment_size 0
		.amdhsa_wavefront_size32 1
		.amdhsa_uses_dynamic_stack 0
		.amdhsa_enable_private_segment 0
		.amdhsa_system_sgpr_workgroup_id_x 1
		.amdhsa_system_sgpr_workgroup_id_y 0
		.amdhsa_system_sgpr_workgroup_id_z 1
		.amdhsa_system_sgpr_workgroup_info 0
		.amdhsa_system_vgpr_workitem_id 1
		.amdhsa_next_free_vgpr 65
		.amdhsa_next_free_sgpr 45
		.amdhsa_reserve_vcc 1
		.amdhsa_float_round_mode_32 0
		.amdhsa_float_round_mode_16_64 0
		.amdhsa_float_denorm_mode_32 3
		.amdhsa_float_denorm_mode_16_64 3
		.amdhsa_fp16_overflow 0
		.amdhsa_workgroup_processor_mode 1
		.amdhsa_memory_ordered 1
		.amdhsa_forward_progress 1
		.amdhsa_inst_pref_size 28
		.amdhsa_round_robin_scheduling 0
		.amdhsa_exception_fp_ieee_invalid_op 0
		.amdhsa_exception_fp_denorm_src 0
		.amdhsa_exception_fp_ieee_div_zero 0
		.amdhsa_exception_fp_ieee_overflow 0
		.amdhsa_exception_fp_ieee_underflow 0
		.amdhsa_exception_fp_ieee_inexact 0
		.amdhsa_exception_int_div_zero 0
	.end_amdhsa_kernel
	.section	.text._ZL20rocblas_gemvn_kernelILi32ELi16EiPKDF16_fKPDF16_EviiT3_lPKT2_lT1_lS7_lS8_lS4_lPT4_lS8_li,"axG",@progbits,_ZL20rocblas_gemvn_kernelILi32ELi16EiPKDF16_fKPDF16_EviiT3_lPKT2_lT1_lS7_lS8_lS4_lPT4_lS8_li,comdat
.Lfunc_end432:
	.size	_ZL20rocblas_gemvn_kernelILi32ELi16EiPKDF16_fKPDF16_EviiT3_lPKT2_lT1_lS7_lS8_lS4_lPT4_lS8_li, .Lfunc_end432-_ZL20rocblas_gemvn_kernelILi32ELi16EiPKDF16_fKPDF16_EviiT3_lPKT2_lT1_lS7_lS8_lS4_lPT4_lS8_li
                                        ; -- End function
	.set _ZL20rocblas_gemvn_kernelILi32ELi16EiPKDF16_fKPDF16_EviiT3_lPKT2_lT1_lS7_lS8_lS4_lPT4_lS8_li.num_vgpr, 65
	.set _ZL20rocblas_gemvn_kernelILi32ELi16EiPKDF16_fKPDF16_EviiT3_lPKT2_lT1_lS7_lS8_lS4_lPT4_lS8_li.num_agpr, 0
	.set _ZL20rocblas_gemvn_kernelILi32ELi16EiPKDF16_fKPDF16_EviiT3_lPKT2_lT1_lS7_lS8_lS4_lPT4_lS8_li.numbered_sgpr, 45
	.set _ZL20rocblas_gemvn_kernelILi32ELi16EiPKDF16_fKPDF16_EviiT3_lPKT2_lT1_lS7_lS8_lS4_lPT4_lS8_li.num_named_barrier, 0
	.set _ZL20rocblas_gemvn_kernelILi32ELi16EiPKDF16_fKPDF16_EviiT3_lPKT2_lT1_lS7_lS8_lS4_lPT4_lS8_li.private_seg_size, 0
	.set _ZL20rocblas_gemvn_kernelILi32ELi16EiPKDF16_fKPDF16_EviiT3_lPKT2_lT1_lS7_lS8_lS4_lPT4_lS8_li.uses_vcc, 1
	.set _ZL20rocblas_gemvn_kernelILi32ELi16EiPKDF16_fKPDF16_EviiT3_lPKT2_lT1_lS7_lS8_lS4_lPT4_lS8_li.uses_flat_scratch, 1
	.set _ZL20rocblas_gemvn_kernelILi32ELi16EiPKDF16_fKPDF16_EviiT3_lPKT2_lT1_lS7_lS8_lS4_lPT4_lS8_li.has_dyn_sized_stack, 0
	.set _ZL20rocblas_gemvn_kernelILi32ELi16EiPKDF16_fKPDF16_EviiT3_lPKT2_lT1_lS7_lS8_lS4_lPT4_lS8_li.has_recursion, 0
	.set _ZL20rocblas_gemvn_kernelILi32ELi16EiPKDF16_fKPDF16_EviiT3_lPKT2_lT1_lS7_lS8_lS4_lPT4_lS8_li.has_indirect_call, 0
	.section	.AMDGPU.csdata,"",@progbits
; Kernel info:
; codeLenInByte = 3532
; TotalNumSgprs: 47
; NumVgprs: 65
; ScratchSize: 0
; MemoryBound: 0
; FloatMode: 240
; IeeeMode: 1
; LDSByteSize: 8192 bytes/workgroup (compile time only)
; SGPRBlocks: 0
; VGPRBlocks: 8
; NumSGPRsForWavesPerEU: 47
; NumVGPRsForWavesPerEU: 65
; Occupancy: 16
; WaveLimiterHint : 1
; COMPUTE_PGM_RSRC2:SCRATCH_EN: 0
; COMPUTE_PGM_RSRC2:USER_SGPR: 2
; COMPUTE_PGM_RSRC2:TRAP_HANDLER: 0
; COMPUTE_PGM_RSRC2:TGID_X_EN: 1
; COMPUTE_PGM_RSRC2:TGID_Y_EN: 0
; COMPUTE_PGM_RSRC2:TGID_Z_EN: 1
; COMPUTE_PGM_RSRC2:TIDIG_COMP_CNT: 1
	.section	.text._ZL20rocblas_gemvn_kernelILi32ELi16ElPKDF16_fKPDF16_EviiT3_lPKT2_lT1_lS7_lS8_lS4_lPT4_lS8_li,"axG",@progbits,_ZL20rocblas_gemvn_kernelILi32ELi16ElPKDF16_fKPDF16_EviiT3_lPKT2_lT1_lS7_lS8_lS4_lPT4_lS8_li,comdat
	.globl	_ZL20rocblas_gemvn_kernelILi32ELi16ElPKDF16_fKPDF16_EviiT3_lPKT2_lT1_lS7_lS8_lS4_lPT4_lS8_li ; -- Begin function _ZL20rocblas_gemvn_kernelILi32ELi16ElPKDF16_fKPDF16_EviiT3_lPKT2_lT1_lS7_lS8_lS4_lPT4_lS8_li
	.p2align	8
	.type	_ZL20rocblas_gemvn_kernelILi32ELi16ElPKDF16_fKPDF16_EviiT3_lPKT2_lT1_lS7_lS8_lS4_lPT4_lS8_li,@function
_ZL20rocblas_gemvn_kernelILi32ELi16ElPKDF16_fKPDF16_EviiT3_lPKT2_lT1_lS7_lS8_lS4_lPT4_lS8_li: ; @_ZL20rocblas_gemvn_kernelILi32ELi16ElPKDF16_fKPDF16_EviiT3_lPKT2_lT1_lS7_lS8_lS4_lPT4_lS8_li
; %bb.0:
	s_clause 0x1
	s_load_b64 s[2:3], s[0:1], 0x9c
	s_load_b32 s23, s[0:1], 0x88
	s_lshr_b32 s24, ttmp7, 16
	s_wait_kmcnt 0x0
	s_lshr_b32 s4, s2, 16
	s_and_b32 s2, s2, 0xffff
	s_and_b32 s3, s3, 0xffff
	s_mul_i32 s2, s4, s2
	s_delay_alu instid0(SALU_CYCLE_1) | instskip(NEXT) | instid1(SALU_CYCLE_1)
	s_mul_i32 s2, s2, s3
	s_cmp_lg_u32 s2, 0x200
	s_cselect_b32 s2, -1, 0
	s_cmp_ge_u32 s24, s23
	s_cselect_b32 s3, -1, 0
	s_delay_alu instid0(SALU_CYCLE_1) | instskip(NEXT) | instid1(SALU_CYCLE_1)
	s_or_b32 s2, s2, s3
	s_and_b32 vcc_lo, exec_lo, s2
	s_cbranch_vccnz .LBB433_59
; %bb.1:
	s_clause 0x7
	s_load_b96 s[20:22], s[0:1], 0x0
	s_load_b32 s33, s[0:1], 0x58
	s_load_b64 s[26:27], s[0:1], 0x48
	s_load_b128 s[8:11], s[0:1], 0x18
	s_load_b64 s[28:29], s[0:1], 0x28
	s_load_b128 s[12:15], s[0:1], 0x38
	s_load_b64 s[6:7], s[0:1], 0x78
	s_load_b128 s[16:19], s[0:1], 0x68
	v_dual_mov_b32 v1, 0 :: v_dual_and_b32 v2, 0x3ff, v0
	v_bfe_u32 v26, v0, 10, 10
	s_mov_b32 s25, 0
	s_delay_alu instid0(VALU_DEP_2) | instskip(NEXT) | instid1(VALU_DEP_2)
	v_lshlrev_b32_e32 v16, 2, v2
	v_lshl_add_u32 v3, v26, 5, v2
	v_lshlrev_b32_e32 v40, 2, v26
	s_delay_alu instid0(VALU_DEP_2)
	v_cmp_gt_u32_e64 s0, 0x80, v3
	s_wait_kmcnt 0x0
	s_cmp_eq_f32 s22, 0
	v_mad_co_u64_u32 v[6:7], null, s26, v26, 0
	s_mov_b32 s2, s20
	s_cselect_b32 s36, -1, 0
	s_cmp_neq_f32 s33, 1.0
	v_or_b32_e32 v17, 3, v40
	s_cselect_b32 s1, -1, 0
	s_cmp_neq_f32 s22, 0
	s_delay_alu instid0(VALU_DEP_1)
	v_mad_co_u64_u32 v[12:13], null, s26, v17, 0
	s_cselect_b32 s4, -1, 0
	s_lshl_b32 s30, ttmp9, 7
	s_ashr_i32 s3, s20, 31
	v_add_nc_u32_e32 v0, s30, v3
	v_add_nc_u32_e32 v8, s30, v2
	s_or_b32 s37, s4, s1
	s_cmp_neq_f32 s33, 0
	v_or_b32_e32 v18, s30, v3
	v_mad_co_u64_u32 v[2:3], null, s6, v0, 0
	v_add_nc_u32_e32 v4, 32, v8
	v_cmp_gt_i64_e32 vcc_lo, s[2:3], v[0:1]
	s_cselect_b32 s38, -1, 0
	s_ashr_i32 s2, s21, 31
	v_add_nc_u32_e32 v5, 64, v8
	s_wait_alu 0xfffe
	s_lshr_b32 s2, s2, 26
	v_add_nc_u32_e32 v10, 0x60, v8
	s_wait_alu 0xfffe
	s_add_co_i32 s39, s21, s2
	v_cmp_gt_i32_e64 s2, s20, v4
	v_mad_co_u64_u32 v[3:4], null, s7, v0, v[3:4]
	v_mov_b32_e32 v0, v7
	v_cndmask_b32_e64 v42, 0, 1, s4
	v_cmp_gt_i32_e64 s4, s20, v10
	v_mad_co_u64_u32 v[10:11], null, s28, v17, 0
	s_delay_alu instid0(VALU_DEP_4)
	v_mad_co_u64_u32 v[14:15], null, s27, v26, v[0:1]
	s_and_not1_b32 s39, s39, 63
	v_mul_lo_u32 v19, s7, v18
	v_cmp_gt_i32_e64 s3, s20, v5
	s_sub_co_i32 s5, s21, s39
	v_mad_co_u64_u32 v[4:5], null, s6, v18, 0
	v_mov_b32_e32 v7, v14
	v_mad_co_u64_u32 v[14:15], null, s29, v17, v[11:12]
	s_wait_alu 0xfffe
	s_cmp_gt_i32 s5, 0
	v_lshl_add_u32 v41, v26, 9, v16
	s_cselect_b32 s40, -1, 0
	s_ashr_i32 s7, s30, 31
	v_lshl_add_u32 v0, v26, 7, v16
	s_wait_alu 0xfffe
	s_mul_i32 s7, s6, s7
	v_mov_b32_e32 v11, v14
	v_or_b32_e32 v29, 2, v40
	v_mad_co_u64_u32 v[15:16], null, s27, v17, v[13:14]
	v_cmp_gt_i32_e64 s6, s20, v18
	s_wait_alu 0xfffe
	v_add3_u32 v5, v5, s7, v19
	v_mad_co_u64_u32 v[16:17], null, s28, v26, 0
	v_mad_co_u64_u32 v[18:19], null, s28, v29, 0
	v_mov_b32_e32 v13, v15
	v_mad_co_u64_u32 v[20:21], null, s26, v29, 0
	v_mad_co_u64_u32 v[22:23], null, s26, v40, s[26:27]
	s_delay_alu instid0(VALU_DEP_4) | instskip(SKIP_3) | instid1(VALU_DEP_4)
	v_dual_mov_b32 v14, v17 :: v_dual_mov_b32 v15, v19
	v_mad_co_u64_u32 v[24:25], null, s28, v40, s[28:29]
	v_ashrrev_i32_e32 v9, 31, v8
	v_cmp_gt_i32_e64 s1, s20, v8
	v_mad_co_u64_u32 v[26:27], null, s29, v26, v[14:15]
	v_mad_co_u64_u32 v[27:28], null, s29, v29, v[15:16]
	v_dual_mov_b32 v14, v21 :: v_dual_mov_b32 v15, v23
	v_mov_b32_e32 v17, v25
	v_lshlrev_b64_e32 v[6:7], 3, v[6:7]
	v_lshlrev_b64_e32 v[8:9], 1, v[8:9]
	;; [unrolled: 1-line block ×3, first 2 shown]
	v_mov_b32_e32 v19, v27
	v_mad_co_u64_u32 v[28:29], null, s27, v29, v[14:15]
	v_mad_co_u64_u32 v[14:15], null, s27, v40, v[15:16]
	;; [unrolled: 1-line block ×3, first 2 shown]
	v_mov_b32_e32 v17, v26
	v_lshlrev_b64_e32 v[12:13], 1, v[12:13]
	v_mov_b32_e32 v21, v28
	v_cmp_gt_i32_e64 s5, s39, v40
	v_mov_b32_e32 v23, v14
	v_lshlrev_b64_e32 v[14:15], 3, v[16:17]
	v_mov_b32_e32 v25, v29
	v_lshlrev_b64_e32 v[16:17], 1, v[18:19]
	v_lshlrev_b64_e32 v[18:19], 1, v[20:21]
	;; [unrolled: 1-line block ×3, first 2 shown]
	s_and_b32 s20, s0, vcc_lo
	v_lshlrev_b64_e32 v[22:23], 1, v[24:25]
	v_lshlrev_b64_e32 v[24:25], 1, v[2:3]
	s_lshl_b64 s[30:31], s[26:27], 7
	s_lshl_b64 s[34:35], s[28:29], 7
	;; [unrolled: 1-line block ×5, first 2 shown]
	s_branch .LBB433_4
.LBB433_2:                              ;   in Loop: Header=BB433_4 Depth=1
	s_wait_alu 0xfffe
	s_or_b32 exec_lo, exec_lo, s7
.LBB433_3:                              ;   in Loop: Header=BB433_4 Depth=1
	s_add_co_i32 s24, s24, 0x10000
	s_delay_alu instid0(SALU_CYCLE_1)
	s_cmp_lt_u32 s24, s23
	s_cbranch_scc0 .LBB433_59
.LBB433_4:                              ; =>This Loop Header: Depth=1
                                        ;     Child Loop BB433_27 Depth 2
	s_and_not1_b32 vcc_lo, exec_lo, s37
	s_wait_alu 0xfffe
	s_cbranch_vccnz .LBB433_3
; %bb.5:                                ;   in Loop: Header=BB433_4 Depth=1
	s_and_not1_b32 vcc_lo, exec_lo, s36
	s_wait_alu 0xfffe
	s_cbranch_vccnz .LBB433_7
; %bb.6:                                ;   in Loop: Header=BB433_4 Depth=1
	s_mov_b32 s7, 0
	s_branch .LBB433_8
.LBB433_7:                              ;   in Loop: Header=BB433_4 Depth=1
	s_mov_b32 s7, -1
.LBB433_8:                              ;   in Loop: Header=BB433_4 Depth=1
	v_mov_b32_e32 v28, 0
	v_dual_mov_b32 v29, 0 :: v_dual_mov_b32 v26, 0
	v_mov_b32_e32 v27, 0
	s_wait_alu 0xfffe
	s_and_not1_b32 vcc_lo, exec_lo, s7
	s_wait_alu 0xfffe
	s_cbranch_vccnz .LBB433_10
; %bb.9:                                ;   in Loop: Header=BB433_4 Depth=1
	s_lshl_b64 s[42:43], s[24:25], 3
	s_delay_alu instid0(SALU_CYCLE_1)
	s_add_nc_u64 s[42:43], s[8:9], s[42:43]
	global_load_b64 v[26:27], v1, s[42:43]
	s_wait_loadcnt 0x0
	v_add_co_u32 v26, vcc_lo, v26, s10
	s_wait_alu 0xfffd
	v_add_co_ci_u32_e64 v27, null, s11, v27, vcc_lo
.LBB433_10:                             ;   in Loop: Header=BB433_4 Depth=1
	v_cmp_ne_u32_e32 vcc_lo, 1, v42
	s_cbranch_vccnz .LBB433_12
; %bb.11:                               ;   in Loop: Header=BB433_4 Depth=1
	s_lshl_b64 s[42:43], s[24:25], 3
	s_delay_alu instid0(SALU_CYCLE_1)
	s_add_nc_u64 s[42:43], s[12:13], s[42:43]
	global_load_b64 v[28:29], v1, s[42:43]
	s_wait_loadcnt 0x0
	v_add_co_u32 v28, vcc_lo, v28, s14
	s_wait_alu 0xfffd
	v_add_co_ci_u32_e64 v29, null, s15, v29, vcc_lo
.LBB433_12:                             ;   in Loop: Header=BB433_4 Depth=1
	s_lshl_b64 s[42:43], s[24:25], 3
	s_delay_alu instid0(SALU_CYCLE_1)
	s_add_nc_u64 s[42:43], s[16:17], s[42:43]
	global_load_b64 v[30:31], v1, s[42:43]
	s_wait_loadcnt 0x0
	v_add_co_u32 v43, vcc_lo, v30, s18
	s_wait_alu 0xfffd
	v_add_co_ci_u32_e64 v44, null, s19, v31, vcc_lo
	s_and_not1_b32 vcc_lo, exec_lo, s36
	s_wait_alu 0xfffe
	s_cbranch_vccnz .LBB433_16
; %bb.13:                               ;   in Loop: Header=BB433_4 Depth=1
	s_mov_b32 s7, 0
	s_mov_b32 s41, 0
                                        ; implicit-def: $vgpr30
	s_and_saveexec_b32 s42, s20
	s_cbranch_execz .LBB433_17
; %bb.14:                               ;   in Loop: Header=BB433_4 Depth=1
	s_and_not1_b32 vcc_lo, exec_lo, s38
	s_wait_alu 0xfffe
	s_cbranch_vccnz .LBB433_19
; %bb.15:                               ;   in Loop: Header=BB433_4 Depth=1
	v_add_co_u32 v30, vcc_lo, v43, v24
	s_wait_alu 0xfffd
	v_add_co_ci_u32_e64 v31, null, v44, v25, vcc_lo
	flat_load_u16 v30, v[30:31]
	s_wait_loadcnt_dscnt 0x0
	v_fma_mixlo_f16 v30, s33, v30, 0 op_sel_hi:[0,1,0]
	s_branch .LBB433_20
.LBB433_16:                             ;   in Loop: Header=BB433_4 Depth=1
	s_mov_b32 s41, 0
                                        ; implicit-def: $vgpr30
	s_cbranch_execz .LBB433_18
	s_branch .LBB433_21
.LBB433_17:                             ;   in Loop: Header=BB433_4 Depth=1
	s_or_b32 exec_lo, exec_lo, s42
	s_wait_alu 0xfffe
	s_and_b32 vcc_lo, exec_lo, s7
	s_wait_alu 0xfffe
	s_cbranch_vccnz .LBB433_21
.LBB433_18:                             ;   in Loop: Header=BB433_4 Depth=1
	v_dual_mov_b32 v27, v3 :: v_dual_mov_b32 v26, v2
	s_and_saveexec_b32 s7, s41
	s_cbranch_execz .LBB433_2
	s_branch .LBB433_58
.LBB433_19:                             ;   in Loop: Header=BB433_4 Depth=1
	v_mov_b32_e32 v30, 0
.LBB433_20:                             ;   in Loop: Header=BB433_4 Depth=1
	s_mov_b32 s41, exec_lo
	s_or_b32 exec_lo, exec_lo, s42
	s_delay_alu instid0(SALU_CYCLE_1)
	s_and_b32 vcc_lo, exec_lo, s7
	s_wait_alu 0xfffe
	s_cbranch_vccz .LBB433_18
.LBB433_21:                             ;   in Loop: Header=BB433_4 Depth=1
	v_dual_mov_b32 v45, 0 :: v_dual_mov_b32 v46, 0
	v_dual_mov_b32 v49, v40 :: v_dual_mov_b32 v48, 0
	v_mov_b32_e32 v47, 0
	s_and_saveexec_b32 s42, s5
	s_cbranch_execz .LBB433_33
; %bb.22:                               ;   in Loop: Header=BB433_4 Depth=1
	v_add_co_u32 v50, vcc_lo, v26, v10
	s_wait_alu 0xfffd
	v_add_co_ci_u32_e64 v51, null, v27, v11, vcc_lo
	v_add_co_u32 v52, vcc_lo, v26, v14
	s_wait_alu 0xfffd
	v_add_co_ci_u32_e64 v53, null, v27, v15, vcc_lo
	;; [unrolled: 3-line block ×3, first 2 shown]
	v_add_co_u32 v56, vcc_lo, v26, v22
	v_dual_mov_b32 v31, v29 :: v_dual_mov_b32 v46, 0
	s_wait_alu 0xfffd
	v_add_co_ci_u32_e64 v57, null, v27, v23, vcc_lo
	v_dual_mov_b32 v45, 0 :: v_dual_mov_b32 v30, v28
	v_dual_mov_b32 v49, v40 :: v_dual_mov_b32 v48, 0
	v_mov_b32_e32 v47, 0
	s_mov_b32 s43, 0
	s_branch .LBB433_27
.LBB433_23:                             ;   in Loop: Header=BB433_27 Depth=2
	s_or_b32 exec_lo, exec_lo, s46
	s_wait_loadcnt_dscnt 0x303
	v_fma_mix_f32 v32, v70, v74, v47 op_sel_hi:[0,1,0]
	s_wait_loadcnt_dscnt 0x202
	s_delay_alu instid0(VALU_DEP_1) | instskip(SKIP_1) | instid1(VALU_DEP_1)
	v_fma_mix_f32 v32, v71, v75, v32 op_sel_hi:[0,1,0]
	s_wait_loadcnt_dscnt 0x101
	v_fma_mix_f32 v32, v72, v76, v32 op_sel_hi:[0,1,0]
	s_wait_loadcnt_dscnt 0x0
	s_delay_alu instid0(VALU_DEP_1)
	v_fma_mix_f32 v47, v73, v77, v32 op_sel_hi:[0,1,0]
.LBB433_24:                             ;   in Loop: Header=BB433_27 Depth=2
	s_or_b32 exec_lo, exec_lo, s45
	s_wait_loadcnt_dscnt 0x303
	v_fma_mix_f32 v32, v70, v66, v46 op_sel_hi:[0,1,0]
	s_wait_loadcnt_dscnt 0x202
	s_delay_alu instid0(VALU_DEP_1) | instskip(SKIP_1) | instid1(VALU_DEP_1)
	v_fma_mix_f32 v32, v71, v67, v32 op_sel_hi:[0,1,0]
	s_wait_loadcnt_dscnt 0x101
	v_fma_mix_f32 v32, v72, v68, v32 op_sel_hi:[0,1,0]
	s_wait_loadcnt_dscnt 0x0
	s_delay_alu instid0(VALU_DEP_1)
	v_fma_mix_f32 v46, v73, v69, v32 op_sel_hi:[0,1,0]
.LBB433_25:                             ;   in Loop: Header=BB433_27 Depth=2
	s_or_b32 exec_lo, exec_lo, s44
	s_wait_loadcnt_dscnt 0x303
	v_fma_mix_f32 v32, v58, v62, v45 op_sel_hi:[1,1,0]
	s_wait_loadcnt_dscnt 0x202
	s_delay_alu instid0(VALU_DEP_1) | instskip(SKIP_1) | instid1(VALU_DEP_1)
	v_fma_mix_f32 v32, v59, v63, v32 op_sel_hi:[1,1,0]
	s_wait_loadcnt_dscnt 0x101
	v_fma_mix_f32 v32, v60, v64, v32 op_sel_hi:[1,1,0]
	s_wait_loadcnt_dscnt 0x0
	s_delay_alu instid0(VALU_DEP_1)
	v_fma_mix_f32 v45, v61, v65, v32 op_sel_hi:[1,1,0]
.LBB433_26:                             ;   in Loop: Header=BB433_27 Depth=2
	s_wait_alu 0xfffe
	s_or_b32 exec_lo, exec_lo, s7
	v_add_co_u32 v30, vcc_lo, v30, s30
	s_wait_alu 0xfffd
	v_add_co_ci_u32_e64 v31, null, s31, v31, vcc_lo
	v_add_co_u32 v50, vcc_lo, v50, s34
	v_add_nc_u32_e32 v49, 64, v49
	s_wait_alu 0xfffd
	v_add_co_ci_u32_e64 v51, null, s35, v51, vcc_lo
	v_add_co_u32 v52, vcc_lo, v52, s34
	s_wait_alu 0xfffd
	v_add_co_ci_u32_e64 v53, null, s35, v53, vcc_lo
	v_add_co_u32 v54, vcc_lo, v54, s34
	s_wait_alu 0xfffd
	v_add_co_ci_u32_e64 v55, null, s35, v55, vcc_lo
	v_cmp_le_i32_e32 vcc_lo, s39, v49
	v_add_co_u32 v56, s7, v56, s34
	s_wait_alu 0xf1ff
	v_add_co_ci_u32_e64 v57, null, s35, v57, s7
	s_or_b32 s43, vcc_lo, s43
	s_delay_alu instid0(SALU_CYCLE_1)
	s_and_not1_b32 exec_lo, exec_lo, s43
	s_cbranch_execz .LBB433_32
.LBB433_27:                             ;   Parent Loop BB433_4 Depth=1
                                        ; =>  This Inner Loop Header: Depth=2
	s_and_saveexec_b32 s7, s1
	s_cbranch_execz .LBB433_26
; %bb.28:                               ;   in Loop: Header=BB433_27 Depth=2
	v_add_co_u32 v58, vcc_lo, v30, v6
	s_wait_alu 0xfffd
	v_add_co_ci_u32_e64 v59, null, v31, v7, vcc_lo
	v_add_co_u32 v60, vcc_lo, v30, v20
	s_wait_alu 0xfffd
	v_add_co_ci_u32_e64 v61, null, v31, v21, vcc_lo
	;; [unrolled: 3-line block ×8, first 2 shown]
	s_clause 0x3
	flat_load_u16 v58, v[58:59]
	flat_load_u16 v59, v[60:61]
	flat_load_u16 v60, v[62:63]
	flat_load_u16 v61, v[64:65]
	flat_load_u16 v62, v[32:33]
	flat_load_u16 v63, v[34:35]
	flat_load_u16 v64, v[36:37]
	flat_load_u16 v65, v[38:39]
	s_and_saveexec_b32 s44, s2
	s_cbranch_execz .LBB433_25
; %bb.29:                               ;   in Loop: Header=BB433_27 Depth=2
	flat_load_u16 v66, v[32:33] offset:64
	flat_load_u16 v67, v[34:35] offset:64
	;; [unrolled: 1-line block ×4, first 2 shown]
	s_wait_loadcnt_dscnt 0xb0b
	v_cvt_f32_f16_e32 v70, v58
	s_wait_loadcnt_dscnt 0xa0a
	v_cvt_f32_f16_e32 v71, v59
	;; [unrolled: 2-line block ×4, first 2 shown]
	s_and_saveexec_b32 s45, s3
	s_cbranch_execz .LBB433_24
; %bb.30:                               ;   in Loop: Header=BB433_27 Depth=2
	flat_load_u16 v74, v[32:33] offset:128
	flat_load_u16 v75, v[34:35] offset:128
	;; [unrolled: 1-line block ×4, first 2 shown]
	s_and_saveexec_b32 s46, s4
	s_cbranch_execz .LBB433_23
; %bb.31:                               ;   in Loop: Header=BB433_27 Depth=2
	flat_load_u16 v32, v[32:33] offset:192
	flat_load_u16 v33, v[34:35] offset:192
	flat_load_u16 v34, v[36:37] offset:192
	flat_load_u16 v35, v[38:39] offset:192
	s_wait_loadcnt_dscnt 0x303
	v_fma_mix_f32 v32, v70, v32, v48 op_sel_hi:[0,1,0]
	s_wait_loadcnt_dscnt 0x202
	s_delay_alu instid0(VALU_DEP_1) | instskip(SKIP_1) | instid1(VALU_DEP_1)
	v_fma_mix_f32 v32, v71, v33, v32 op_sel_hi:[0,1,0]
	s_wait_loadcnt_dscnt 0x101
	v_fma_mix_f32 v32, v72, v34, v32 op_sel_hi:[0,1,0]
	s_wait_loadcnt_dscnt 0x0
	s_delay_alu instid0(VALU_DEP_1)
	v_fma_mix_f32 v48, v73, v35, v32 op_sel_hi:[0,1,0]
	s_branch .LBB433_23
.LBB433_32:                             ;   in Loop: Header=BB433_4 Depth=1
	s_or_b32 exec_lo, exec_lo, s43
.LBB433_33:                             ;   in Loop: Header=BB433_4 Depth=1
	s_delay_alu instid0(SALU_CYCLE_1) | instskip(NEXT) | instid1(SALU_CYCLE_1)
	s_or_b32 exec_lo, exec_lo, s42
	s_and_not1_b32 vcc_lo, exec_lo, s40
	s_wait_alu 0xfffe
	s_cbranch_vccnz .LBB433_51
; %bb.34:                               ;   in Loop: Header=BB433_4 Depth=1
	v_cmp_gt_i32_e32 vcc_lo, s21, v49
	v_dual_mov_b32 v34, 0 :: v_dual_mov_b32 v35, 0
	v_or_b32_e32 v30, 1, v49
	v_dual_mov_b32 v36, 0 :: v_dual_mov_b32 v37, 0
	s_and_saveexec_b32 s42, vcc_lo
	s_cbranch_execz .LBB433_42
; %bb.35:                               ;   in Loop: Header=BB433_4 Depth=1
	v_mad_co_u64_u32 v[31:32], null, s26, v49, 0
	v_dual_mov_b32 v36, 0 :: v_dual_mov_b32 v35, 0
	v_mov_b32_e32 v34, 0
	s_mov_b32 s43, exec_lo
	s_delay_alu instid0(VALU_DEP_3) | instskip(NEXT) | instid1(VALU_DEP_1)
	v_mad_co_u64_u32 v[32:33], null, s27, v49, v[32:33]
	v_lshlrev_b64_e32 v[31:32], 1, v[31:32]
	s_delay_alu instid0(VALU_DEP_1) | instskip(SKIP_1) | instid1(VALU_DEP_2)
	v_add_co_u32 v31, s7, v28, v31
	s_wait_alu 0xf1ff
	v_add_co_ci_u32_e64 v32, null, v29, v32, s7
	flat_load_u16 v31, v[31:32]
	v_cmpx_gt_i32_e64 s21, v30
	s_cbranch_execz .LBB433_41
; %bb.36:                               ;   in Loop: Header=BB433_4 Depth=1
	v_mad_co_u64_u32 v[32:33], null, s26, v30, 0
	v_mov_b32_e32 v35, 0
	s_mov_b32 s44, exec_lo
	s_delay_alu instid0(VALU_DEP_2) | instskip(SKIP_1) | instid1(VALU_DEP_2)
	v_mad_co_u64_u32 v[33:34], null, s27, v30, v[33:34]
	v_mov_b32_e32 v34, 0
	v_lshlrev_b64_e32 v[32:33], 1, v[32:33]
	s_delay_alu instid0(VALU_DEP_1) | instskip(SKIP_1) | instid1(VALU_DEP_2)
	v_add_co_u32 v32, s7, v28, v32
	s_wait_alu 0xf1ff
	v_add_co_ci_u32_e64 v33, null, v29, v33, s7
	flat_load_u16 v32, v[32:33]
	v_or_b32_e32 v33, 2, v49
	s_delay_alu instid0(VALU_DEP_1)
	v_cmpx_gt_i32_e64 s21, v33
	s_cbranch_execz .LBB433_40
; %bb.37:                               ;   in Loop: Header=BB433_4 Depth=1
	v_mad_co_u64_u32 v[34:35], null, s26, v33, 0
	s_mov_b32 s45, exec_lo
	v_mad_co_u64_u32 v[35:36], null, s27, v33, v[35:36]
	s_delay_alu instid0(VALU_DEP_1) | instskip(SKIP_1) | instid1(VALU_DEP_2)
	v_lshlrev_b64_e32 v[33:34], 1, v[34:35]
	v_or_b32_e32 v35, 3, v49
	v_add_co_u32 v33, s7, v28, v33
	s_wait_alu 0xf1ff
	s_delay_alu instid0(VALU_DEP_3)
	v_add_co_ci_u32_e64 v34, null, v29, v34, s7
	flat_load_u16 v33, v[33:34]
	v_mov_b32_e32 v34, 0
	v_cmpx_gt_i32_e64 s21, v35
	s_cbranch_execz .LBB433_39
; %bb.38:                               ;   in Loop: Header=BB433_4 Depth=1
	v_mad_co_u64_u32 v[36:37], null, s26, v35, 0
	s_delay_alu instid0(VALU_DEP_1) | instskip(NEXT) | instid1(VALU_DEP_1)
	v_mov_b32_e32 v34, v37
	v_mad_co_u64_u32 v[34:35], null, s27, v35, v[34:35]
	s_delay_alu instid0(VALU_DEP_1) | instskip(NEXT) | instid1(VALU_DEP_1)
	v_mov_b32_e32 v37, v34
	v_lshlrev_b64_e32 v[34:35], 1, v[36:37]
	s_delay_alu instid0(VALU_DEP_1) | instskip(SKIP_1) | instid1(VALU_DEP_2)
	v_add_co_u32 v28, s7, v28, v34
	s_wait_alu 0xf1ff
	v_add_co_ci_u32_e64 v29, null, v29, v35, s7
	flat_load_u16 v28, v[28:29]
	s_wait_loadcnt_dscnt 0x0
	v_cvt_f32_f16_e32 v34, v28
.LBB433_39:                             ;   in Loop: Header=BB433_4 Depth=1
	s_or_b32 exec_lo, exec_lo, s45
	s_wait_loadcnt_dscnt 0x0
	v_cvt_f32_f16_e32 v35, v33
.LBB433_40:                             ;   in Loop: Header=BB433_4 Depth=1
	s_or_b32 exec_lo, exec_lo, s44
	s_wait_loadcnt_dscnt 0x0
	v_cvt_f32_f16_e32 v36, v32
.LBB433_41:                             ;   in Loop: Header=BB433_4 Depth=1
	s_or_b32 exec_lo, exec_lo, s43
	s_wait_loadcnt_dscnt 0x0
	v_cvt_f32_f16_e32 v37, v31
.LBB433_42:                             ;   in Loop: Header=BB433_4 Depth=1
	s_or_b32 exec_lo, exec_lo, s42
	s_and_saveexec_b32 s42, s1
	s_cbranch_execz .LBB433_50
; %bb.43:                               ;   in Loop: Header=BB433_4 Depth=1
	v_mad_co_u64_u32 v[28:29], null, s28, v49, 0
	v_or_b32_e32 v52, 2, v49
	v_mad_co_u64_u32 v[31:32], null, s28, v30, 0
	v_or_b32_e32 v53, 3, v49
	v_cmp_gt_i32_e64 s7, s21, v30
	s_delay_alu instid0(VALU_DEP_4) | instskip(SKIP_3) | instid1(VALU_DEP_4)
	v_mad_co_u64_u32 v[38:39], null, s28, v52, 0
	v_mad_co_u64_u32 v[49:50], null, s29, v49, v[29:30]
	v_mad_co_u64_u32 v[29:30], null, s29, v30, v[32:33]
	v_mad_co_u64_u32 v[32:33], null, s28, v53, 0
	v_mov_b32_e32 v30, v39
	s_delay_alu instid0(VALU_DEP_4)
	v_dual_cndmask_b32 v50, 0, v28 :: v_dual_cndmask_b32 v51, 0, v49
	s_wait_alu 0xf1ff
	v_cndmask_b32_e64 v28, 0, v31, s7
	v_cndmask_b32_e64 v29, 0, v29, s7
	v_mad_co_u64_u32 v[30:31], null, s29, v52, v[30:31]
	v_mov_b32_e32 v31, v33
	v_lshlrev_b64_e32 v[49:50], 1, v[50:51]
	v_cmp_gt_i32_e32 vcc_lo, s21, v52
	v_lshlrev_b64_e32 v[51:52], 1, v[28:29]
	s_wait_alu 0xfffd
	v_cndmask_b32_e32 v39, 0, v30, vcc_lo
	s_delay_alu instid0(VALU_DEP_4)
	v_add_co_u32 v28, s7, v26, v49
	s_wait_alu 0xf1ff
	v_add_co_ci_u32_e64 v29, null, v27, v50, s7
	v_mad_co_u64_u32 v[30:31], null, s29, v53, v[31:32]
	v_cndmask_b32_e32 v38, 0, v38, vcc_lo
	v_add_co_u32 v28, vcc_lo, v28, v8
	s_wait_alu 0xfffd
	v_add_co_ci_u32_e64 v29, null, v29, v9, vcc_lo
	v_cmp_gt_i32_e32 vcc_lo, s21, v53
	v_add_co_u32 v31, s7, v26, v51
	s_wait_alu 0xf1ff
	v_add_co_ci_u32_e64 v49, null, v27, v52, s7
	s_wait_alu 0xfffd
	v_dual_cndmask_b32 v32, 0, v32 :: v_dual_cndmask_b32 v33, 0, v30
	v_lshlrev_b64_e32 v[38:39], 1, v[38:39]
	v_add_co_u32 v30, vcc_lo, v31, v8
	s_wait_alu 0xfffd
	v_add_co_ci_u32_e64 v31, null, v49, v9, vcc_lo
	v_lshlrev_b64_e32 v[32:33], 1, v[32:33]
	s_delay_alu instid0(VALU_DEP_4) | instskip(SKIP_2) | instid1(VALU_DEP_3)
	v_add_co_u32 v38, vcc_lo, v26, v38
	s_wait_alu 0xfffd
	v_add_co_ci_u32_e64 v39, null, v27, v39, vcc_lo
	v_add_co_u32 v32, vcc_lo, v26, v32
	s_wait_alu 0xfffd
	v_add_co_ci_u32_e64 v33, null, v27, v33, vcc_lo
	v_add_co_u32 v26, vcc_lo, v38, v8
	s_wait_alu 0xfffd
	v_add_co_ci_u32_e64 v27, null, v39, v9, vcc_lo
	v_add_co_u32 v32, vcc_lo, v32, v8
	s_wait_alu 0xfffd
	v_add_co_ci_u32_e64 v33, null, v33, v9, vcc_lo
	s_clause 0x3
	flat_load_u16 v38, v[28:29]
	flat_load_u16 v39, v[30:31]
	flat_load_u16 v49, v[26:27]
	flat_load_u16 v50, v[32:33]
	s_and_saveexec_b32 s7, s2
	s_cbranch_execz .LBB433_49
; %bb.44:                               ;   in Loop: Header=BB433_4 Depth=1
	s_clause 0x3
	flat_load_u16 v51, v[28:29] offset:64
	flat_load_u16 v52, v[30:31] offset:64
	flat_load_u16 v53, v[26:27] offset:64
	flat_load_u16 v54, v[32:33] offset:64
	s_and_saveexec_b32 s43, s3
	s_cbranch_execz .LBB433_48
; %bb.45:                               ;   in Loop: Header=BB433_4 Depth=1
	s_clause 0x3
	flat_load_u16 v55, v[28:29] offset:128
	flat_load_u16 v56, v[30:31] offset:128
	flat_load_u16 v57, v[26:27] offset:128
	flat_load_u16 v58, v[32:33] offset:128
	;; [unrolled: 8-line block ×3, first 2 shown]
	s_wait_loadcnt_dscnt 0x303
	v_fma_mix_f32 v28, v37, v28, v48 op_sel_hi:[0,1,0]
	s_wait_loadcnt_dscnt 0x202
	s_delay_alu instid0(VALU_DEP_1) | instskip(SKIP_1) | instid1(VALU_DEP_1)
	v_fma_mix_f32 v28, v36, v29, v28 op_sel_hi:[0,1,0]
	s_wait_loadcnt_dscnt 0x101
	v_fma_mix_f32 v26, v35, v26, v28 op_sel_hi:[0,1,0]
	s_wait_loadcnt_dscnt 0x0
	s_delay_alu instid0(VALU_DEP_1)
	v_fma_mix_f32 v48, v34, v27, v26 op_sel_hi:[0,1,0]
.LBB433_47:                             ;   in Loop: Header=BB433_4 Depth=1
	s_or_b32 exec_lo, exec_lo, s44
	s_wait_loadcnt_dscnt 0x303
	v_fma_mix_f32 v26, v37, v55, v47 op_sel_hi:[0,1,0]
	s_wait_loadcnt_dscnt 0x202
	s_delay_alu instid0(VALU_DEP_1) | instskip(SKIP_1) | instid1(VALU_DEP_1)
	v_fma_mix_f32 v26, v36, v56, v26 op_sel_hi:[0,1,0]
	s_wait_loadcnt_dscnt 0x101
	v_fma_mix_f32 v26, v35, v57, v26 op_sel_hi:[0,1,0]
	s_wait_loadcnt_dscnt 0x0
	s_delay_alu instid0(VALU_DEP_1)
	v_fma_mix_f32 v47, v34, v58, v26 op_sel_hi:[0,1,0]
.LBB433_48:                             ;   in Loop: Header=BB433_4 Depth=1
	s_or_b32 exec_lo, exec_lo, s43
	s_wait_loadcnt_dscnt 0x303
	v_fma_mix_f32 v26, v37, v51, v46 op_sel_hi:[0,1,0]
	s_wait_loadcnt_dscnt 0x202
	s_delay_alu instid0(VALU_DEP_1) | instskip(SKIP_1) | instid1(VALU_DEP_1)
	v_fma_mix_f32 v26, v36, v52, v26 op_sel_hi:[0,1,0]
	s_wait_loadcnt_dscnt 0x101
	v_fma_mix_f32 v26, v35, v53, v26 op_sel_hi:[0,1,0]
	s_wait_loadcnt_dscnt 0x0
	s_delay_alu instid0(VALU_DEP_1)
	v_fma_mix_f32 v46, v34, v54, v26 op_sel_hi:[0,1,0]
.LBB433_49:                             ;   in Loop: Header=BB433_4 Depth=1
	s_wait_alu 0xfffe
	s_or_b32 exec_lo, exec_lo, s7
	s_wait_loadcnt_dscnt 0x303
	v_fma_mix_f32 v26, v37, v38, v45 op_sel_hi:[0,1,0]
	s_wait_loadcnt_dscnt 0x202
	s_delay_alu instid0(VALU_DEP_1) | instskip(SKIP_1) | instid1(VALU_DEP_1)
	v_fma_mix_f32 v26, v36, v39, v26 op_sel_hi:[0,1,0]
	s_wait_loadcnt_dscnt 0x101
	v_fma_mix_f32 v26, v35, v49, v26 op_sel_hi:[0,1,0]
	s_wait_loadcnt_dscnt 0x0
	s_delay_alu instid0(VALU_DEP_1)
	v_fma_mix_f32 v45, v34, v50, v26 op_sel_hi:[0,1,0]
.LBB433_50:                             ;   in Loop: Header=BB433_4 Depth=1
	s_or_b32 exec_lo, exec_lo, s42
.LBB433_51:                             ;   in Loop: Header=BB433_4 Depth=1
	ds_store_2addr_b32 v41, v45, v46 offset1:32
	ds_store_2addr_b32 v41, v47, v48 offset0:64 offset1:96
	s_wait_dscnt 0x0
	s_barrier_signal -1
	s_barrier_wait -1
	global_inv scope:SCOPE_SE
                                        ; implicit-def: $vgpr30
	s_and_saveexec_b32 s7, s0
	s_cbranch_execz .LBB433_57
; %bb.52:                               ;   in Loop: Header=BB433_4 Depth=1
	ds_load_2addr_stride64_b32 v[26:27], v0 offset1:2
	ds_load_2addr_stride64_b32 v[28:29], v0 offset0:4 offset1:6
	ds_load_2addr_stride64_b32 v[30:31], v0 offset0:8 offset1:10
	s_mov_b32 s43, s41
	s_wait_dscnt 0x2
	v_add_f32_e32 v32, v26, v27
	ds_load_2addr_stride64_b32 v[26:27], v0 offset0:12 offset1:14
	s_wait_dscnt 0x2
	v_add_f32_e32 v28, v28, v32
	s_delay_alu instid0(VALU_DEP_1) | instskip(SKIP_3) | instid1(VALU_DEP_1)
	v_add_f32_e32 v32, v29, v28
	ds_load_2addr_stride64_b32 v[28:29], v0 offset0:16 offset1:18
	s_wait_dscnt 0x2
	v_add_f32_e32 v30, v30, v32
	v_add_f32_e32 v32, v31, v30
	ds_load_2addr_stride64_b32 v[30:31], v0 offset0:20 offset1:22
	s_wait_dscnt 0x2
	v_add_f32_e32 v26, v26, v32
	s_delay_alu instid0(VALU_DEP_1) | instskip(SKIP_1) | instid1(VALU_DEP_1)
	v_add_f32_e32 v26, v27, v26
	s_wait_dscnt 0x1
	v_add_f32_e32 v28, v28, v26
	ds_load_2addr_stride64_b32 v[26:27], v0 offset0:24 offset1:26
	v_add_f32_e32 v28, v29, v28
	s_wait_dscnt 0x1
	s_delay_alu instid0(VALU_DEP_1) | instskip(SKIP_3) | instid1(VALU_DEP_1)
	v_add_f32_e32 v30, v30, v28
	ds_load_2addr_stride64_b32 v[28:29], v0 offset0:28 offset1:30
	v_add_f32_e32 v30, v31, v30
	s_wait_dscnt 0x1
	v_add_f32_e32 v26, v26, v30
                                        ; implicit-def: $vgpr30
	s_delay_alu instid0(VALU_DEP_1) | instskip(SKIP_1) | instid1(VALU_DEP_1)
	v_add_f32_e32 v26, v27, v26
	s_wait_dscnt 0x0
	v_add_f32_e32 v26, v28, v26
	s_delay_alu instid0(VALU_DEP_1)
	v_add_f32_e32 v26, v29, v26
	ds_store_b32 v0, v26
	s_and_saveexec_b32 s42, s6
	s_cbranch_execz .LBB433_56
; %bb.53:                               ;   in Loop: Header=BB433_4 Depth=1
	v_mul_f32_e32 v26, s22, v26
	s_and_not1_b32 vcc_lo, exec_lo, s38
	s_wait_alu 0xfffe
	s_cbranch_vccnz .LBB433_55
; %bb.54:                               ;   in Loop: Header=BB433_4 Depth=1
	v_lshlrev_b64_e32 v[27:28], 1, v[4:5]
	s_delay_alu instid0(VALU_DEP_1) | instskip(SKIP_1) | instid1(VALU_DEP_2)
	v_add_co_u32 v27, vcc_lo, v43, v27
	s_wait_alu 0xfffd
	v_add_co_ci_u32_e64 v28, null, v44, v28, vcc_lo
	flat_load_u16 v27, v[27:28]
	s_wait_loadcnt_dscnt 0x0
	v_fma_mix_f32 v26, s33, v27, v26 op_sel_hi:[0,1,0]
.LBB433_55:                             ;   in Loop: Header=BB433_4 Depth=1
	s_delay_alu instid0(VALU_DEP_1)
	v_cvt_f16_f32_e32 v30, v26
	s_or_b32 s43, s41, exec_lo
.LBB433_56:                             ;   in Loop: Header=BB433_4 Depth=1
	s_or_b32 exec_lo, exec_lo, s42
	s_delay_alu instid0(SALU_CYCLE_1) | instskip(SKIP_1) | instid1(SALU_CYCLE_1)
	s_and_not1_b32 s41, s41, exec_lo
	s_and_b32 s42, s43, exec_lo
	s_or_b32 s41, s41, s42
.LBB433_57:                             ;   in Loop: Header=BB433_4 Depth=1
	s_wait_alu 0xfffe
	s_or_b32 exec_lo, exec_lo, s7
	v_dual_mov_b32 v27, v5 :: v_dual_mov_b32 v26, v4
	s_and_saveexec_b32 s7, s41
	s_cbranch_execz .LBB433_2
.LBB433_58:                             ;   in Loop: Header=BB433_4 Depth=1
	s_delay_alu instid0(VALU_DEP_1) | instskip(NEXT) | instid1(VALU_DEP_1)
	v_lshlrev_b64_e32 v[26:27], 1, v[26:27]
	v_add_co_u32 v26, vcc_lo, v43, v26
	s_wait_alu 0xfffd
	s_delay_alu instid0(VALU_DEP_2)
	v_add_co_ci_u32_e64 v27, null, v44, v27, vcc_lo
	flat_store_b16 v[26:27], v30
	s_branch .LBB433_2
.LBB433_59:
	s_endpgm
	.section	.rodata,"a",@progbits
	.p2align	6, 0x0
	.amdhsa_kernel _ZL20rocblas_gemvn_kernelILi32ELi16ElPKDF16_fKPDF16_EviiT3_lPKT2_lT1_lS7_lS8_lS4_lPT4_lS8_li
		.amdhsa_group_segment_fixed_size 8192
		.amdhsa_private_segment_fixed_size 0
		.amdhsa_kernarg_size 400
		.amdhsa_user_sgpr_count 2
		.amdhsa_user_sgpr_dispatch_ptr 0
		.amdhsa_user_sgpr_queue_ptr 0
		.amdhsa_user_sgpr_kernarg_segment_ptr 1
		.amdhsa_user_sgpr_dispatch_id 0
		.amdhsa_user_sgpr_private_segment_size 0
		.amdhsa_wavefront_size32 1
		.amdhsa_uses_dynamic_stack 0
		.amdhsa_enable_private_segment 0
		.amdhsa_system_sgpr_workgroup_id_x 1
		.amdhsa_system_sgpr_workgroup_id_y 0
		.amdhsa_system_sgpr_workgroup_id_z 1
		.amdhsa_system_sgpr_workgroup_info 0
		.amdhsa_system_vgpr_workitem_id 1
		.amdhsa_next_free_vgpr 78
		.amdhsa_next_free_sgpr 47
		.amdhsa_reserve_vcc 1
		.amdhsa_float_round_mode_32 0
		.amdhsa_float_round_mode_16_64 0
		.amdhsa_float_denorm_mode_32 3
		.amdhsa_float_denorm_mode_16_64 3
		.amdhsa_fp16_overflow 0
		.amdhsa_workgroup_processor_mode 1
		.amdhsa_memory_ordered 1
		.amdhsa_forward_progress 1
		.amdhsa_inst_pref_size 30
		.amdhsa_round_robin_scheduling 0
		.amdhsa_exception_fp_ieee_invalid_op 0
		.amdhsa_exception_fp_denorm_src 0
		.amdhsa_exception_fp_ieee_div_zero 0
		.amdhsa_exception_fp_ieee_overflow 0
		.amdhsa_exception_fp_ieee_underflow 0
		.amdhsa_exception_fp_ieee_inexact 0
		.amdhsa_exception_int_div_zero 0
	.end_amdhsa_kernel
	.section	.text._ZL20rocblas_gemvn_kernelILi32ELi16ElPKDF16_fKPDF16_EviiT3_lPKT2_lT1_lS7_lS8_lS4_lPT4_lS8_li,"axG",@progbits,_ZL20rocblas_gemvn_kernelILi32ELi16ElPKDF16_fKPDF16_EviiT3_lPKT2_lT1_lS7_lS8_lS4_lPT4_lS8_li,comdat
.Lfunc_end433:
	.size	_ZL20rocblas_gemvn_kernelILi32ELi16ElPKDF16_fKPDF16_EviiT3_lPKT2_lT1_lS7_lS8_lS4_lPT4_lS8_li, .Lfunc_end433-_ZL20rocblas_gemvn_kernelILi32ELi16ElPKDF16_fKPDF16_EviiT3_lPKT2_lT1_lS7_lS8_lS4_lPT4_lS8_li
                                        ; -- End function
	.set _ZL20rocblas_gemvn_kernelILi32ELi16ElPKDF16_fKPDF16_EviiT3_lPKT2_lT1_lS7_lS8_lS4_lPT4_lS8_li.num_vgpr, 78
	.set _ZL20rocblas_gemvn_kernelILi32ELi16ElPKDF16_fKPDF16_EviiT3_lPKT2_lT1_lS7_lS8_lS4_lPT4_lS8_li.num_agpr, 0
	.set _ZL20rocblas_gemvn_kernelILi32ELi16ElPKDF16_fKPDF16_EviiT3_lPKT2_lT1_lS7_lS8_lS4_lPT4_lS8_li.numbered_sgpr, 47
	.set _ZL20rocblas_gemvn_kernelILi32ELi16ElPKDF16_fKPDF16_EviiT3_lPKT2_lT1_lS7_lS8_lS4_lPT4_lS8_li.num_named_barrier, 0
	.set _ZL20rocblas_gemvn_kernelILi32ELi16ElPKDF16_fKPDF16_EviiT3_lPKT2_lT1_lS7_lS8_lS4_lPT4_lS8_li.private_seg_size, 0
	.set _ZL20rocblas_gemvn_kernelILi32ELi16ElPKDF16_fKPDF16_EviiT3_lPKT2_lT1_lS7_lS8_lS4_lPT4_lS8_li.uses_vcc, 1
	.set _ZL20rocblas_gemvn_kernelILi32ELi16ElPKDF16_fKPDF16_EviiT3_lPKT2_lT1_lS7_lS8_lS4_lPT4_lS8_li.uses_flat_scratch, 1
	.set _ZL20rocblas_gemvn_kernelILi32ELi16ElPKDF16_fKPDF16_EviiT3_lPKT2_lT1_lS7_lS8_lS4_lPT4_lS8_li.has_dyn_sized_stack, 0
	.set _ZL20rocblas_gemvn_kernelILi32ELi16ElPKDF16_fKPDF16_EviiT3_lPKT2_lT1_lS7_lS8_lS4_lPT4_lS8_li.has_recursion, 0
	.set _ZL20rocblas_gemvn_kernelILi32ELi16ElPKDF16_fKPDF16_EviiT3_lPKT2_lT1_lS7_lS8_lS4_lPT4_lS8_li.has_indirect_call, 0
	.section	.AMDGPU.csdata,"",@progbits
; Kernel info:
; codeLenInByte = 3836
; TotalNumSgprs: 49
; NumVgprs: 78
; ScratchSize: 0
; MemoryBound: 0
; FloatMode: 240
; IeeeMode: 1
; LDSByteSize: 8192 bytes/workgroup (compile time only)
; SGPRBlocks: 0
; VGPRBlocks: 9
; NumSGPRsForWavesPerEU: 49
; NumVGPRsForWavesPerEU: 78
; Occupancy: 16
; WaveLimiterHint : 1
; COMPUTE_PGM_RSRC2:SCRATCH_EN: 0
; COMPUTE_PGM_RSRC2:USER_SGPR: 2
; COMPUTE_PGM_RSRC2:TRAP_HANDLER: 0
; COMPUTE_PGM_RSRC2:TGID_X_EN: 1
; COMPUTE_PGM_RSRC2:TGID_Y_EN: 0
; COMPUTE_PGM_RSRC2:TGID_Z_EN: 1
; COMPUTE_PGM_RSRC2:TIDIG_COMP_CNT: 1
	.section	.text._ZL20rocblas_gemvn_kernelILi64ELi16EiPKDF16_PKfKPDF16_EviiT3_lPKT2_lT1_lS9_lSA_lS6_lPT4_lSA_li,"axG",@progbits,_ZL20rocblas_gemvn_kernelILi64ELi16EiPKDF16_PKfKPDF16_EviiT3_lPKT2_lT1_lS9_lSA_lS6_lPT4_lSA_li,comdat
	.globl	_ZL20rocblas_gemvn_kernelILi64ELi16EiPKDF16_PKfKPDF16_EviiT3_lPKT2_lT1_lS9_lSA_lS6_lPT4_lSA_li ; -- Begin function _ZL20rocblas_gemvn_kernelILi64ELi16EiPKDF16_PKfKPDF16_EviiT3_lPKT2_lT1_lS9_lSA_lS6_lPT4_lSA_li
	.p2align	8
	.type	_ZL20rocblas_gemvn_kernelILi64ELi16EiPKDF16_PKfKPDF16_EviiT3_lPKT2_lT1_lS9_lSA_lS6_lPT4_lSA_li,@function
_ZL20rocblas_gemvn_kernelILi64ELi16EiPKDF16_PKfKPDF16_EviiT3_lPKT2_lT1_lS9_lSA_lS6_lPT4_lSA_li: ; @_ZL20rocblas_gemvn_kernelILi64ELi16EiPKDF16_PKfKPDF16_EviiT3_lPKT2_lT1_lS9_lSA_lS6_lPT4_lSA_li
; %bb.0:
	s_clause 0x1
	s_load_b64 s[2:3], s[0:1], 0x9c
	s_load_b32 s33, s[0:1], 0x88
	s_lshr_b32 s10, ttmp7, 16
	s_wait_kmcnt 0x0
	s_lshr_b32 s4, s2, 16
	s_and_b32 s2, s2, 0xffff
	s_and_b32 s3, s3, 0xffff
	s_mul_i32 s2, s4, s2
	s_delay_alu instid0(SALU_CYCLE_1) | instskip(NEXT) | instid1(SALU_CYCLE_1)
	s_mul_i32 s2, s2, s3
	s_cmp_lg_u32 s2, 0x400
	s_cselect_b32 s2, -1, 0
	s_cmp_ge_u32 s10, s33
	s_cselect_b32 s3, -1, 0
	s_delay_alu instid0(SALU_CYCLE_1) | instskip(NEXT) | instid1(SALU_CYCLE_1)
	s_or_b32 s2, s2, s3
	s_and_b32 vcc_lo, exec_lo, s2
	s_cbranch_vccnz .LBB434_56
; %bb.1:
	s_clause 0x2
	s_load_b32 s6, s[0:1], 0x78
	s_load_b64 s[8:9], s[0:1], 0x0
	s_load_b256 s[12:19], s[0:1], 0x8
	v_and_b32_e32 v9, 0x3ff, v0
	v_bfe_u32 v8, v0, 10, 10
	s_clause 0x3
	s_load_b32 s35, s[0:1], 0x28
	s_load_b128 s[28:31], s[0:1], 0x38
	s_load_b32 s34, s[0:1], 0x48
	s_load_b256 s[20:27], s[0:1], 0x58
	s_lshl_b32 s36, ttmp9, 8
	v_mov_b32_e32 v1, 0
	v_add_nc_u32_e32 v23, s36, v9
	v_lshl_add_u32 v5, v8, 6, v9
	v_lshlrev_b32_e32 v24, 2, v8
	v_lshlrev_b32_e32 v6, 2, v9
	s_mov_b32 s11, 0
	v_add_nc_u32_e32 v7, 0x80, v23
	v_add_nc_u32_e32 v0, s36, v5
	;; [unrolled: 1-line block ×3, first 2 shown]
	v_or_b32_e32 v11, s36, v5
	v_add_nc_u32_e32 v10, 0xc0, v23
	v_or_b32_e32 v12, 3, v24
	v_lshl_add_u32 v25, v8, 8, v6
	s_wait_kmcnt 0x0
	v_mad_co_u64_u32 v[2:3], null, s6, v0, 0
	s_ashr_i32 s3, s6, 31
	v_cmp_gt_i32_e64 s2, s8, v7
	v_mul_lo_u32 v7, s35, v24
	s_ashr_i32 s7, s9, 31
	v_cmp_gt_i32_e64 s1, s8, v4
	s_wait_alu 0xfffe
	s_lshr_b32 s7, s7, 26
	v_mad_co_u64_u32 v[3:4], null, s3, v0, v[3:4]
	v_mul_lo_u32 v4, s6, v11
	v_cmp_gt_i32_e64 s6, s8, v11
	v_mul_lo_u32 v11, v8, s35
	v_cmp_gt_i32_e64 s3, s8, v10
	v_or_b32_e32 v10, 2, v24
	s_wait_alu 0xfffe
	s_add_co_i32 s37, s9, s7
	v_mul_lo_u32 v13, v8, s34
	s_ashr_i32 s5, s8, 31
	s_mov_b32 s4, s8
	s_wait_alu 0xfffe
	s_and_not1_b32 s37, s37, 63
	v_cmp_gt_i64_e32 vcc_lo, s[4:5], v[0:1]
	v_lshl_add_u32 v0, v8, 10, v6
	v_add3_u32 v26, v7, s35, v9
	v_mad_co_u64_u32 v[6:7], null, s35, v10, v[9:10]
	s_wait_alu 0xfffe
	s_sub_co_i32 s5, s9, s37
	v_mad_co_u64_u32 v[7:8], null, s35, v12, v[9:10]
	v_lshl_add_u32 v27, v11, 2, v9
	v_mad_co_u64_u32 v[8:9], null, s34, v24, s[34:35]
	v_mul_lo_u32 v28, s34, v10
	v_mul_lo_u32 v29, s34, v12
	s_wait_alu 0xfffe
	s_cmp_gt_i32 s5, 0
	v_cmp_gt_u32_e64 s5, 0x100, v5
	v_lshlrev_b64_e32 v[9:10], 1, v[2:3]
	v_cmp_gt_i32_e64 s0, s8, v23
	v_cmp_gt_i32_e64 s4, s37, v24
	v_ashrrev_i32_e32 v5, 31, v4
	v_lshlrev_b32_e32 v30, 2, v13
	s_cselect_b32 s38, -1, 0
	s_and_b32 s39, s5, vcc_lo
	s_lshl_b32 s40, s35, 6
	s_lshl_b32 s41, s34, 6
	s_lshl_b64 s[18:19], s[18:19], 1
	s_lshl_b64 s[30:31], s[30:31], 1
	;; [unrolled: 1-line block ×3, first 2 shown]
	s_branch .LBB434_4
.LBB434_2:                              ;   in Loop: Header=BB434_4 Depth=1
	s_wait_alu 0xfffe
	s_or_b32 exec_lo, exec_lo, s7
.LBB434_3:                              ;   in Loop: Header=BB434_4 Depth=1
	s_add_co_i32 s10, s10, 0x10000
	s_delay_alu instid0(SALU_CYCLE_1)
	s_cmp_lt_u32 s10, s33
	s_cbranch_scc0 .LBB434_56
.LBB434_4:                              ; =>This Loop Header: Depth=1
                                        ;     Child Loop BB434_24 Depth 2
	s_mul_u64 s[42:43], s[14:15], s[10:11]
	s_mul_u64 s[44:45], s[22:23], s[10:11]
	s_wait_alu 0xfffe
	s_lshl_b64 s[42:43], s[42:43], 2
	s_lshl_b64 s[44:45], s[44:45], 2
	s_wait_alu 0xfffe
	s_add_nc_u64 s[42:43], s[12:13], s[42:43]
	s_add_nc_u64 s[44:45], s[20:21], s[44:45]
	s_clause 0x1
	global_load_b32 v31, v1, s[42:43]
	global_load_b32 v11, v1, s[44:45]
	s_wait_loadcnt 0x1
	v_cmp_eq_f32_e64 s7, 0, v31
	s_wait_loadcnt 0x0
	v_cmp_eq_f32_e32 vcc_lo, 1.0, v11
	v_readfirstlane_b32 s42, v11
	s_and_b32 s8, s7, vcc_lo
	s_wait_alu 0xfffe
	s_and_b32 vcc_lo, exec_lo, s8
	s_wait_alu 0xfffe
	s_cbranch_vccnz .LBB434_3
; %bb.5:                                ;   in Loop: Header=BB434_4 Depth=1
	v_mov_b32_e32 v13, 0
	v_dual_mov_b32 v14, 0 :: v_dual_mov_b32 v11, 0
	v_cmp_neq_f32_e64 s8, 0, v31
	v_mov_b32_e32 v12, 0
	s_and_b32 vcc_lo, exec_lo, s7
	s_wait_alu 0xfffe
	s_cbranch_vccnz .LBB434_7
; %bb.6:                                ;   in Loop: Header=BB434_4 Depth=1
	s_lshl_b64 s[44:45], s[10:11], 3
	s_wait_alu 0xfffe
	s_add_nc_u64 s[44:45], s[16:17], s[44:45]
	global_load_b64 v[11:12], v1, s[44:45]
	s_wait_loadcnt 0x0
	v_add_co_u32 v11, vcc_lo, v11, s18
	s_wait_alu 0xfffd
	v_add_co_ci_u32_e64 v12, null, s19, v12, vcc_lo
.LBB434_7:                              ;   in Loop: Header=BB434_4 Depth=1
	s_and_not1_b32 vcc_lo, exec_lo, s8
	s_wait_alu 0xfffe
	s_cbranch_vccnz .LBB434_9
; %bb.8:                                ;   in Loop: Header=BB434_4 Depth=1
	s_lshl_b64 s[44:45], s[10:11], 3
	s_wait_alu 0xfffe
	s_add_nc_u64 s[44:45], s[28:29], s[44:45]
	global_load_b64 v[13:14], v1, s[44:45]
	s_wait_loadcnt 0x0
	v_add_co_u32 v13, vcc_lo, v13, s30
	s_wait_alu 0xfffd
	v_add_co_ci_u32_e64 v14, null, s31, v14, vcc_lo
.LBB434_9:                              ;   in Loop: Header=BB434_4 Depth=1
	s_lshl_b64 s[44:45], s[10:11], 3
	s_wait_alu 0xfffe
	s_add_nc_u64 s[44:45], s[24:25], s[44:45]
	global_load_b64 v[15:16], v1, s[44:45]
	s_wait_loadcnt 0x0
	v_add_co_u32 v32, vcc_lo, v15, s26
	s_wait_alu 0xfffd
	v_add_co_ci_u32_e64 v33, null, s27, v16, vcc_lo
	s_and_not1_b32 vcc_lo, exec_lo, s7
	s_wait_alu 0xfffe
	s_cbranch_vccnz .LBB434_13
; %bb.10:                               ;   in Loop: Header=BB434_4 Depth=1
	s_mov_b32 s7, 0
	s_mov_b32 s8, 0
                                        ; implicit-def: $vgpr15
	s_and_saveexec_b32 s43, s39
	s_cbranch_execz .LBB434_14
; %bb.11:                               ;   in Loop: Header=BB434_4 Depth=1
	s_cmp_eq_f32 s42, 0
	s_cbranch_scc1 .LBB434_16
; %bb.12:                               ;   in Loop: Header=BB434_4 Depth=1
	v_add_co_u32 v15, vcc_lo, v32, v9
	s_wait_alu 0xfffd
	v_add_co_ci_u32_e64 v16, null, v33, v10, vcc_lo
	flat_load_u16 v15, v[15:16]
	s_wait_loadcnt_dscnt 0x0
	v_fma_mixlo_f16 v15, s42, v15, 0 op_sel_hi:[0,1,0]
	s_branch .LBB434_17
.LBB434_13:                             ;   in Loop: Header=BB434_4 Depth=1
	s_mov_b32 s8, 0
                                        ; implicit-def: $vgpr15
	s_cbranch_execz .LBB434_15
	s_branch .LBB434_18
.LBB434_14:                             ;   in Loop: Header=BB434_4 Depth=1
	s_wait_alu 0xfffe
	s_or_b32 exec_lo, exec_lo, s43
	s_delay_alu instid0(SALU_CYCLE_1)
	s_and_b32 vcc_lo, exec_lo, s7
	s_wait_alu 0xfffe
	s_cbranch_vccnz .LBB434_18
.LBB434_15:                             ;   in Loop: Header=BB434_4 Depth=1
	v_dual_mov_b32 v12, v3 :: v_dual_mov_b32 v11, v2
	s_wait_alu 0xfffe
	s_and_saveexec_b32 s7, s8
	s_cbranch_execz .LBB434_2
	s_branch .LBB434_55
.LBB434_16:                             ;   in Loop: Header=BB434_4 Depth=1
	v_mov_b32_e32 v15, 0
.LBB434_17:                             ;   in Loop: Header=BB434_4 Depth=1
	s_mov_b32 s8, exec_lo
	s_wait_alu 0xfffe
	s_or_b32 exec_lo, exec_lo, s43
	s_delay_alu instid0(SALU_CYCLE_1)
	s_and_b32 vcc_lo, exec_lo, s7
	s_wait_alu 0xfffe
	s_cbranch_vccz .LBB434_15
.LBB434_18:                             ;   in Loop: Header=BB434_4 Depth=1
	v_dual_mov_b32 v34, 0 :: v_dual_mov_b32 v35, 0
	v_dual_mov_b32 v38, v24 :: v_dual_mov_b32 v37, 0
	v_mov_b32_e32 v36, 0
	s_and_saveexec_b32 s7, s4
	s_cbranch_execz .LBB434_30
; %bb.19:                               ;   in Loop: Header=BB434_4 Depth=1
	v_dual_mov_b32 v34, 0 :: v_dual_mov_b32 v39, v27
	v_dual_mov_b32 v40, v7 :: v_dual_mov_b32 v41, v6
	;; [unrolled: 1-line block ×4, first 2 shown]
	v_mov_b32_e32 v36, 0
	s_mov_b32 s43, 0
	s_mov_b32 s44, 0
	s_branch .LBB434_24
.LBB434_20:                             ;   in Loop: Header=BB434_24 Depth=2
	s_or_b32 exec_lo, exec_lo, s48
	s_wait_loadcnt_dscnt 0x303
	v_fma_mix_f32 v15, v55, v59, v36 op_sel_hi:[0,1,0]
	s_wait_loadcnt_dscnt 0x202
	s_delay_alu instid0(VALU_DEP_1) | instskip(SKIP_1) | instid1(VALU_DEP_1)
	v_fma_mix_f32 v15, v56, v60, v15 op_sel_hi:[0,1,0]
	s_wait_loadcnt_dscnt 0x101
	v_fma_mix_f32 v15, v57, v61, v15 op_sel_hi:[0,1,0]
	s_wait_loadcnt_dscnt 0x0
	s_delay_alu instid0(VALU_DEP_1)
	v_fma_mix_f32 v36, v58, v62, v15 op_sel_hi:[0,1,0]
.LBB434_21:                             ;   in Loop: Header=BB434_24 Depth=2
	s_or_b32 exec_lo, exec_lo, s47
	s_wait_loadcnt_dscnt 0x303
	v_fma_mix_f32 v15, v55, v51, v35 op_sel_hi:[0,1,0]
	s_wait_loadcnt_dscnt 0x202
	s_delay_alu instid0(VALU_DEP_1) | instskip(SKIP_1) | instid1(VALU_DEP_1)
	v_fma_mix_f32 v15, v56, v52, v15 op_sel_hi:[0,1,0]
	s_wait_loadcnt_dscnt 0x101
	v_fma_mix_f32 v15, v57, v53, v15 op_sel_hi:[0,1,0]
	s_wait_loadcnt_dscnt 0x0
	s_delay_alu instid0(VALU_DEP_1)
	v_fma_mix_f32 v35, v58, v54, v15 op_sel_hi:[0,1,0]
.LBB434_22:                             ;   in Loop: Header=BB434_24 Depth=2
	s_or_b32 exec_lo, exec_lo, s46
	s_wait_loadcnt_dscnt 0x303
	v_fma_mix_f32 v15, v43, v47, v34 op_sel_hi:[1,1,0]
	s_wait_loadcnt_dscnt 0x202
	s_delay_alu instid0(VALU_DEP_1) | instskip(SKIP_1) | instid1(VALU_DEP_1)
	v_fma_mix_f32 v15, v44, v48, v15 op_sel_hi:[1,1,0]
	s_wait_loadcnt_dscnt 0x101
	v_fma_mix_f32 v15, v45, v49, v15 op_sel_hi:[1,1,0]
	s_wait_loadcnt_dscnt 0x0
	s_delay_alu instid0(VALU_DEP_1)
	v_fma_mix_f32 v34, v46, v50, v15 op_sel_hi:[1,1,0]
.LBB434_23:                             ;   in Loop: Header=BB434_24 Depth=2
	s_wait_alu 0xfffe
	s_or_b32 exec_lo, exec_lo, s45
	v_add_nc_u32_e32 v38, 64, v38
	v_add_nc_u32_e32 v42, s40, v42
	;; [unrolled: 1-line block ×5, first 2 shown]
	v_cmp_le_i32_e32 vcc_lo, s37, v38
	s_add_co_i32 s44, s44, s41
	s_or_b32 s43, vcc_lo, s43
	s_wait_alu 0xfffe
	s_and_not1_b32 exec_lo, exec_lo, s43
	s_cbranch_execz .LBB434_29
.LBB434_24:                             ;   Parent Loop BB434_4 Depth=1
                                        ; =>  This Inner Loop Header: Depth=2
	s_and_saveexec_b32 s45, s0
	s_cbranch_execz .LBB434_23
; %bb.25:                               ;   in Loop: Header=BB434_24 Depth=2
	s_wait_alu 0xfffe
	v_add_nc_u32_e32 v15, s44, v30
	v_add_nc_u32_e32 v17, s44, v8
	;; [unrolled: 1-line block ×5, first 2 shown]
	v_ashrrev_i32_e32 v16, 31, v15
	v_ashrrev_i32_e32 v18, 31, v17
	;; [unrolled: 1-line block ×5, first 2 shown]
	v_lshlrev_b64_e32 v[15:16], 1, v[15:16]
	v_lshlrev_b64_e32 v[17:18], 1, v[17:18]
	;; [unrolled: 1-line block ×3, first 2 shown]
	s_delay_alu instid0(VALU_DEP_3) | instskip(SKIP_1) | instid1(VALU_DEP_4)
	v_add_co_u32 v45, vcc_lo, v13, v15
	s_wait_alu 0xfffd
	v_add_co_ci_u32_e64 v46, null, v14, v16, vcc_lo
	s_delay_alu instid0(VALU_DEP_4)
	v_add_co_u32 v47, vcc_lo, v13, v17
	v_add_nc_u32_e32 v17, s36, v42
	s_wait_alu 0xfffd
	v_add_co_ci_u32_e64 v48, null, v14, v18, vcc_lo
	v_lshlrev_b64_e32 v[15:16], 1, v[21:22]
	v_add_co_u32 v49, vcc_lo, v13, v19
	v_add_nc_u32_e32 v21, s36, v41
	s_wait_alu 0xfffd
	v_add_co_ci_u32_e64 v50, null, v14, v20, vcc_lo
	v_lshlrev_b64_e32 v[19:20], 1, v[43:44]
	v_add_nc_u32_e32 v43, s36, v40
	v_ashrrev_i32_e32 v18, 31, v17
	v_ashrrev_i32_e32 v22, 31, v21
	v_add_co_u32 v51, vcc_lo, v13, v15
	s_delay_alu instid0(VALU_DEP_4)
	v_ashrrev_i32_e32 v44, 31, v43
	s_wait_alu 0xfffd
	v_add_co_ci_u32_e64 v52, null, v14, v16, vcc_lo
	v_lshlrev_b64_e32 v[17:18], 1, v[17:18]
	v_add_co_u32 v15, vcc_lo, v11, v19
	s_wait_alu 0xfffd
	v_add_co_ci_u32_e64 v16, null, v12, v20, vcc_lo
	v_lshlrev_b64_e32 v[19:20], 1, v[21:22]
	v_lshlrev_b64_e32 v[21:22], 1, v[43:44]
	v_add_co_u32 v17, vcc_lo, v11, v17
	s_wait_alu 0xfffd
	v_add_co_ci_u32_e64 v18, null, v12, v18, vcc_lo
	s_delay_alu instid0(VALU_DEP_4)
	v_add_co_u32 v19, vcc_lo, v11, v19
	s_wait_alu 0xfffd
	v_add_co_ci_u32_e64 v20, null, v12, v20, vcc_lo
	v_add_co_u32 v21, vcc_lo, v11, v21
	s_wait_alu 0xfffd
	v_add_co_ci_u32_e64 v22, null, v12, v22, vcc_lo
	s_clause 0x3
	flat_load_u16 v43, v[45:46]
	flat_load_u16 v44, v[47:48]
	;; [unrolled: 1-line block ×4, first 2 shown]
	s_clause 0x3
	flat_load_u16 v47, v[15:16]
	flat_load_u16 v48, v[17:18]
	;; [unrolled: 1-line block ×4, first 2 shown]
	s_and_saveexec_b32 s46, s1
	s_cbranch_execz .LBB434_22
; %bb.26:                               ;   in Loop: Header=BB434_24 Depth=2
	s_clause 0x3
	flat_load_u16 v51, v[15:16] offset:128
	flat_load_u16 v52, v[17:18] offset:128
	;; [unrolled: 1-line block ×4, first 2 shown]
	s_wait_loadcnt_dscnt 0xb0b
	v_cvt_f32_f16_e32 v55, v43
	s_wait_loadcnt_dscnt 0xa0a
	v_cvt_f32_f16_e32 v56, v44
	;; [unrolled: 2-line block ×4, first 2 shown]
	s_and_saveexec_b32 s47, s2
	s_cbranch_execz .LBB434_21
; %bb.27:                               ;   in Loop: Header=BB434_24 Depth=2
	s_clause 0x3
	flat_load_u16 v59, v[15:16] offset:256
	flat_load_u16 v60, v[17:18] offset:256
	flat_load_u16 v61, v[19:20] offset:256
	flat_load_u16 v62, v[21:22] offset:256
	s_and_saveexec_b32 s48, s3
	s_cbranch_execz .LBB434_20
; %bb.28:                               ;   in Loop: Header=BB434_24 Depth=2
	s_clause 0x3
	flat_load_u16 v15, v[15:16] offset:384
	flat_load_u16 v16, v[17:18] offset:384
	;; [unrolled: 1-line block ×4, first 2 shown]
	s_wait_loadcnt_dscnt 0x303
	v_fma_mix_f32 v15, v55, v15, v37 op_sel_hi:[0,1,0]
	s_wait_loadcnt_dscnt 0x202
	s_delay_alu instid0(VALU_DEP_1) | instskip(SKIP_1) | instid1(VALU_DEP_1)
	v_fma_mix_f32 v15, v56, v16, v15 op_sel_hi:[0,1,0]
	s_wait_loadcnt_dscnt 0x101
	v_fma_mix_f32 v15, v57, v17, v15 op_sel_hi:[0,1,0]
	s_wait_loadcnt_dscnt 0x0
	s_delay_alu instid0(VALU_DEP_1)
	v_fma_mix_f32 v37, v58, v18, v15 op_sel_hi:[0,1,0]
	s_branch .LBB434_20
.LBB434_29:                             ;   in Loop: Header=BB434_4 Depth=1
	s_or_b32 exec_lo, exec_lo, s43
.LBB434_30:                             ;   in Loop: Header=BB434_4 Depth=1
	s_wait_alu 0xfffe
	s_or_b32 exec_lo, exec_lo, s7
	s_delay_alu instid0(SALU_CYCLE_1)
	s_and_not1_b32 vcc_lo, exec_lo, s38
	s_wait_alu 0xfffe
	s_cbranch_vccnz .LBB434_48
; %bb.31:                               ;   in Loop: Header=BB434_4 Depth=1
	v_cmp_gt_i32_e32 vcc_lo, s9, v38
	v_dual_mov_b32 v19, 0 :: v_dual_mov_b32 v20, 0
	v_or_b32_e32 v15, 1, v38
	v_dual_mov_b32 v21, 0 :: v_dual_mov_b32 v22, 0
	s_and_saveexec_b32 s43, vcc_lo
	s_cbranch_execz .LBB434_39
; %bb.32:                               ;   in Loop: Header=BB434_4 Depth=1
	v_mul_lo_u32 v16, v38, s34
	v_dual_mov_b32 v21, 0 :: v_dual_mov_b32 v20, 0
	v_mov_b32_e32 v19, 0
	s_mov_b32 s44, exec_lo
	s_delay_alu instid0(VALU_DEP_3) | instskip(NEXT) | instid1(VALU_DEP_1)
	v_ashrrev_i32_e32 v17, 31, v16
	v_lshlrev_b64_e32 v[16:17], 1, v[16:17]
	s_delay_alu instid0(VALU_DEP_1) | instskip(SKIP_1) | instid1(VALU_DEP_2)
	v_add_co_u32 v16, s7, v13, v16
	s_wait_alu 0xf1ff
	v_add_co_ci_u32_e64 v17, null, v14, v17, s7
	flat_load_u16 v16, v[16:17]
	v_cmpx_gt_i32_e64 s9, v15
	s_cbranch_execz .LBB434_38
; %bb.33:                               ;   in Loop: Header=BB434_4 Depth=1
	v_mul_lo_u32 v17, v15, s34
	v_dual_mov_b32 v20, 0 :: v_dual_mov_b32 v19, 0
	s_mov_b32 s45, exec_lo
	s_delay_alu instid0(VALU_DEP_2) | instskip(NEXT) | instid1(VALU_DEP_1)
	v_ashrrev_i32_e32 v18, 31, v17
	v_lshlrev_b64_e32 v[17:18], 1, v[17:18]
	s_delay_alu instid0(VALU_DEP_1) | instskip(SKIP_1) | instid1(VALU_DEP_2)
	v_add_co_u32 v17, s7, v13, v17
	s_wait_alu 0xf1ff
	v_add_co_ci_u32_e64 v18, null, v14, v18, s7
	flat_load_u16 v17, v[17:18]
	v_or_b32_e32 v18, 2, v38
	s_delay_alu instid0(VALU_DEP_1)
	v_cmpx_gt_i32_e64 s9, v18
	s_cbranch_execz .LBB434_37
; %bb.34:                               ;   in Loop: Header=BB434_4 Depth=1
	v_mul_lo_u32 v18, v18, s34
	v_or_b32_e32 v20, 3, v38
	s_mov_b32 s46, exec_lo
	s_delay_alu instid0(VALU_DEP_2) | instskip(NEXT) | instid1(VALU_DEP_1)
	v_ashrrev_i32_e32 v19, 31, v18
	v_lshlrev_b64_e32 v[18:19], 1, v[18:19]
	s_delay_alu instid0(VALU_DEP_1) | instskip(SKIP_1) | instid1(VALU_DEP_2)
	v_add_co_u32 v18, s7, v13, v18
	s_wait_alu 0xf1ff
	v_add_co_ci_u32_e64 v19, null, v14, v19, s7
	flat_load_u16 v18, v[18:19]
	v_mov_b32_e32 v19, 0
	v_cmpx_gt_i32_e64 s9, v20
	s_cbranch_execz .LBB434_36
; %bb.35:                               ;   in Loop: Header=BB434_4 Depth=1
	v_mul_lo_u32 v19, v20, s34
	s_delay_alu instid0(VALU_DEP_1) | instskip(NEXT) | instid1(VALU_DEP_1)
	v_ashrrev_i32_e32 v20, 31, v19
	v_lshlrev_b64_e32 v[19:20], 1, v[19:20]
	s_delay_alu instid0(VALU_DEP_1) | instskip(SKIP_1) | instid1(VALU_DEP_2)
	v_add_co_u32 v13, s7, v13, v19
	s_wait_alu 0xf1ff
	v_add_co_ci_u32_e64 v14, null, v14, v20, s7
	flat_load_u16 v13, v[13:14]
	s_wait_loadcnt_dscnt 0x0
	v_cvt_f32_f16_e32 v19, v13
.LBB434_36:                             ;   in Loop: Header=BB434_4 Depth=1
	s_or_b32 exec_lo, exec_lo, s46
	s_wait_loadcnt_dscnt 0x0
	v_cvt_f32_f16_e32 v20, v18
.LBB434_37:                             ;   in Loop: Header=BB434_4 Depth=1
	s_wait_alu 0xfffe
	s_or_b32 exec_lo, exec_lo, s45
	s_wait_loadcnt_dscnt 0x0
	v_cvt_f32_f16_e32 v21, v17
.LBB434_38:                             ;   in Loop: Header=BB434_4 Depth=1
	s_wait_alu 0xfffe
	s_or_b32 exec_lo, exec_lo, s44
	s_wait_loadcnt_dscnt 0x0
	v_cvt_f32_f16_e32 v22, v16
.LBB434_39:                             ;   in Loop: Header=BB434_4 Depth=1
	s_wait_alu 0xfffe
	s_or_b32 exec_lo, exec_lo, s43
	s_and_saveexec_b32 s7, s0
	s_cbranch_execz .LBB434_47
; %bb.40:                               ;   in Loop: Header=BB434_4 Depth=1
	v_mul_lo_u32 v14, v38, s35
	v_or_b32_e32 v13, 2, v38
	v_mul_lo_u32 v17, v15, s35
	v_or_b32_e32 v16, 3, v38
	s_delay_alu instid0(VALU_DEP_3) | instskip(NEXT) | instid1(VALU_DEP_2)
	v_mul_lo_u32 v18, v13, s35
	v_mul_lo_u32 v38, v16, s35
	v_cndmask_b32_e32 v14, 0, v14, vcc_lo
	v_cmp_gt_i32_e32 vcc_lo, s9, v15
	s_wait_alu 0xfffd
	v_cndmask_b32_e32 v15, 0, v17, vcc_lo
	v_cmp_gt_i32_e32 vcc_lo, s9, v13
	v_add_nc_u32_e32 v13, v14, v23
	s_delay_alu instid0(VALU_DEP_3)
	v_add_nc_u32_e32 v15, v15, v23
	s_wait_alu 0xfffd
	v_cndmask_b32_e32 v17, 0, v18, vcc_lo
	v_cmp_gt_i32_e32 vcc_lo, s9, v16
	v_ashrrev_i32_e32 v14, 31, v13
	s_wait_alu 0xfffd
	v_cndmask_b32_e32 v16, 0, v38, vcc_lo
	s_delay_alu instid0(VALU_DEP_2) | instskip(NEXT) | instid1(VALU_DEP_2)
	v_lshlrev_b64_e32 v[13:14], 1, v[13:14]
	v_add_nc_u32_e32 v38, v16, v23
	v_add_nc_u32_e32 v17, v17, v23
	v_ashrrev_i32_e32 v16, 31, v15
	s_delay_alu instid0(VALU_DEP_4) | instskip(NEXT) | instid1(VALU_DEP_4)
	v_add_co_u32 v13, vcc_lo, v11, v13
	v_ashrrev_i32_e32 v39, 31, v38
	s_delay_alu instid0(VALU_DEP_4) | instskip(NEXT) | instid1(VALU_DEP_4)
	v_ashrrev_i32_e32 v18, 31, v17
	v_lshlrev_b64_e32 v[15:16], 1, v[15:16]
	s_wait_alu 0xfffd
	v_add_co_ci_u32_e64 v14, null, v12, v14, vcc_lo
	v_lshlrev_b64_e32 v[38:39], 1, v[38:39]
	v_lshlrev_b64_e32 v[17:18], 1, v[17:18]
	s_delay_alu instid0(VALU_DEP_4) | instskip(SKIP_2) | instid1(VALU_DEP_3)
	v_add_co_u32 v15, vcc_lo, v11, v15
	s_wait_alu 0xfffd
	v_add_co_ci_u32_e64 v16, null, v12, v16, vcc_lo
	v_add_co_u32 v17, vcc_lo, v11, v17
	s_wait_alu 0xfffd
	v_add_co_ci_u32_e64 v18, null, v12, v18, vcc_lo
	v_add_co_u32 v11, vcc_lo, v11, v38
	s_wait_alu 0xfffd
	v_add_co_ci_u32_e64 v12, null, v12, v39, vcc_lo
	s_clause 0x3
	flat_load_u16 v38, v[13:14]
	flat_load_u16 v39, v[15:16]
	;; [unrolled: 1-line block ×4, first 2 shown]
	s_and_saveexec_b32 s43, s1
	s_cbranch_execz .LBB434_46
; %bb.41:                               ;   in Loop: Header=BB434_4 Depth=1
	s_clause 0x3
	flat_load_u16 v42, v[13:14] offset:128
	flat_load_u16 v43, v[15:16] offset:128
	flat_load_u16 v44, v[17:18] offset:128
	flat_load_u16 v45, v[11:12] offset:128
	s_and_saveexec_b32 s44, s2
	s_cbranch_execz .LBB434_45
; %bb.42:                               ;   in Loop: Header=BB434_4 Depth=1
	s_clause 0x3
	flat_load_u16 v46, v[13:14] offset:256
	flat_load_u16 v47, v[15:16] offset:256
	flat_load_u16 v48, v[17:18] offset:256
	flat_load_u16 v49, v[11:12] offset:256
	;; [unrolled: 8-line block ×3, first 2 shown]
	s_wait_loadcnt_dscnt 0x303
	v_fma_mix_f32 v12, v22, v13, v37 op_sel_hi:[0,1,0]
	s_wait_loadcnt_dscnt 0x202
	s_delay_alu instid0(VALU_DEP_1) | instskip(SKIP_1) | instid1(VALU_DEP_1)
	v_fma_mix_f32 v12, v21, v14, v12 op_sel_hi:[0,1,0]
	s_wait_loadcnt_dscnt 0x101
	v_fma_mix_f32 v12, v20, v15, v12 op_sel_hi:[0,1,0]
	s_wait_loadcnt_dscnt 0x0
	s_delay_alu instid0(VALU_DEP_1)
	v_fma_mix_f32 v37, v19, v11, v12 op_sel_hi:[0,1,0]
.LBB434_44:                             ;   in Loop: Header=BB434_4 Depth=1
	s_wait_alu 0xfffe
	s_or_b32 exec_lo, exec_lo, s45
	s_wait_loadcnt_dscnt 0x303
	v_fma_mix_f32 v11, v22, v46, v36 op_sel_hi:[0,1,0]
	s_wait_loadcnt_dscnt 0x202
	s_delay_alu instid0(VALU_DEP_1) | instskip(SKIP_1) | instid1(VALU_DEP_1)
	v_fma_mix_f32 v11, v21, v47, v11 op_sel_hi:[0,1,0]
	s_wait_loadcnt_dscnt 0x101
	v_fma_mix_f32 v11, v20, v48, v11 op_sel_hi:[0,1,0]
	s_wait_loadcnt_dscnt 0x0
	s_delay_alu instid0(VALU_DEP_1)
	v_fma_mix_f32 v36, v19, v49, v11 op_sel_hi:[0,1,0]
.LBB434_45:                             ;   in Loop: Header=BB434_4 Depth=1
	s_wait_alu 0xfffe
	s_or_b32 exec_lo, exec_lo, s44
	s_wait_loadcnt_dscnt 0x303
	v_fma_mix_f32 v11, v22, v42, v35 op_sel_hi:[0,1,0]
	s_wait_loadcnt_dscnt 0x202
	s_delay_alu instid0(VALU_DEP_1) | instskip(SKIP_1) | instid1(VALU_DEP_1)
	v_fma_mix_f32 v11, v21, v43, v11 op_sel_hi:[0,1,0]
	s_wait_loadcnt_dscnt 0x101
	v_fma_mix_f32 v11, v20, v44, v11 op_sel_hi:[0,1,0]
	s_wait_loadcnt_dscnt 0x0
	s_delay_alu instid0(VALU_DEP_1)
	v_fma_mix_f32 v35, v19, v45, v11 op_sel_hi:[0,1,0]
.LBB434_46:                             ;   in Loop: Header=BB434_4 Depth=1
	s_wait_alu 0xfffe
	s_or_b32 exec_lo, exec_lo, s43
	s_wait_loadcnt_dscnt 0x303
	v_fma_mix_f32 v11, v22, v38, v34 op_sel_hi:[0,1,0]
	s_wait_loadcnt_dscnt 0x202
	s_delay_alu instid0(VALU_DEP_1) | instskip(SKIP_1) | instid1(VALU_DEP_1)
	v_fma_mix_f32 v11, v21, v39, v11 op_sel_hi:[0,1,0]
	s_wait_loadcnt_dscnt 0x101
	v_fma_mix_f32 v11, v20, v40, v11 op_sel_hi:[0,1,0]
	s_wait_loadcnt_dscnt 0x0
	s_delay_alu instid0(VALU_DEP_1)
	v_fma_mix_f32 v34, v19, v41, v11 op_sel_hi:[0,1,0]
.LBB434_47:                             ;   in Loop: Header=BB434_4 Depth=1
	s_wait_alu 0xfffe
	s_or_b32 exec_lo, exec_lo, s7
.LBB434_48:                             ;   in Loop: Header=BB434_4 Depth=1
	ds_store_2addr_stride64_b32 v0, v34, v35 offset1:1
	ds_store_2addr_stride64_b32 v0, v36, v37 offset0:2 offset1:3
	s_wait_dscnt 0x0
	s_barrier_signal -1
	s_barrier_wait -1
	global_inv scope:SCOPE_SE
                                        ; implicit-def: $vgpr15
	s_and_saveexec_b32 s7, s5
	s_cbranch_execz .LBB434_54
; %bb.49:                               ;   in Loop: Header=BB434_4 Depth=1
	ds_load_2addr_stride64_b32 v[11:12], v25 offset1:4
	ds_load_2addr_stride64_b32 v[13:14], v25 offset0:8 offset1:12
	ds_load_2addr_stride64_b32 v[15:16], v25 offset0:16 offset1:20
	s_mov_b32 s44, s8
	s_wait_dscnt 0x2
	v_add_f32_e32 v17, v11, v12
	ds_load_2addr_stride64_b32 v[11:12], v25 offset0:24 offset1:28
	s_wait_dscnt 0x2
	v_add_f32_e32 v13, v13, v17
	s_delay_alu instid0(VALU_DEP_1) | instskip(SKIP_3) | instid1(VALU_DEP_1)
	v_add_f32_e32 v17, v14, v13
	ds_load_2addr_stride64_b32 v[13:14], v25 offset0:32 offset1:36
	s_wait_dscnt 0x2
	v_add_f32_e32 v15, v15, v17
	v_add_f32_e32 v17, v16, v15
	ds_load_2addr_stride64_b32 v[15:16], v25 offset0:40 offset1:44
	s_wait_dscnt 0x2
	v_add_f32_e32 v11, v11, v17
	s_delay_alu instid0(VALU_DEP_1) | instskip(SKIP_1) | instid1(VALU_DEP_1)
	v_add_f32_e32 v11, v12, v11
	s_wait_dscnt 0x1
	v_add_f32_e32 v13, v13, v11
	ds_load_2addr_stride64_b32 v[11:12], v25 offset0:48 offset1:52
	v_add_f32_e32 v13, v14, v13
	s_wait_dscnt 0x1
	s_delay_alu instid0(VALU_DEP_1) | instskip(SKIP_3) | instid1(VALU_DEP_1)
	v_add_f32_e32 v15, v15, v13
	ds_load_2addr_stride64_b32 v[13:14], v25 offset0:56 offset1:60
	v_add_f32_e32 v15, v16, v15
	s_wait_dscnt 0x1
	v_add_f32_e32 v11, v11, v15
                                        ; implicit-def: $vgpr15
	s_delay_alu instid0(VALU_DEP_1) | instskip(SKIP_1) | instid1(VALU_DEP_1)
	v_add_f32_e32 v11, v12, v11
	s_wait_dscnt 0x0
	v_add_f32_e32 v11, v13, v11
	s_delay_alu instid0(VALU_DEP_1)
	v_add_f32_e32 v11, v14, v11
	ds_store_b32 v25, v11
	s_and_saveexec_b32 s43, s6
	s_cbranch_execz .LBB434_53
; %bb.50:                               ;   in Loop: Header=BB434_4 Depth=1
	v_mul_f32_e32 v11, v31, v11
	s_cmp_eq_f32 s42, 0
	s_cbranch_scc1 .LBB434_52
; %bb.51:                               ;   in Loop: Header=BB434_4 Depth=1
	v_lshlrev_b64_e32 v[12:13], 1, v[4:5]
	s_delay_alu instid0(VALU_DEP_1) | instskip(SKIP_1) | instid1(VALU_DEP_2)
	v_add_co_u32 v12, vcc_lo, v32, v12
	s_wait_alu 0xfffd
	v_add_co_ci_u32_e64 v13, null, v33, v13, vcc_lo
	flat_load_u16 v12, v[12:13]
	s_wait_loadcnt_dscnt 0x0
	v_fma_mix_f32 v11, s42, v12, v11 op_sel_hi:[0,1,0]
.LBB434_52:                             ;   in Loop: Header=BB434_4 Depth=1
	s_delay_alu instid0(VALU_DEP_1)
	v_cvt_f16_f32_e32 v15, v11
	s_or_b32 s44, s8, exec_lo
.LBB434_53:                             ;   in Loop: Header=BB434_4 Depth=1
	s_wait_alu 0xfffe
	s_or_b32 exec_lo, exec_lo, s43
	s_delay_alu instid0(SALU_CYCLE_1)
	s_and_not1_b32 s8, s8, exec_lo
	s_and_b32 s42, s44, exec_lo
	s_wait_alu 0xfffe
	s_or_b32 s8, s8, s42
.LBB434_54:                             ;   in Loop: Header=BB434_4 Depth=1
	s_wait_alu 0xfffe
	s_or_b32 exec_lo, exec_lo, s7
	v_dual_mov_b32 v12, v5 :: v_dual_mov_b32 v11, v4
	s_and_saveexec_b32 s7, s8
	s_cbranch_execz .LBB434_2
.LBB434_55:                             ;   in Loop: Header=BB434_4 Depth=1
	s_delay_alu instid0(VALU_DEP_1) | instskip(NEXT) | instid1(VALU_DEP_1)
	v_lshlrev_b64_e32 v[11:12], 1, v[11:12]
	v_add_co_u32 v11, vcc_lo, v32, v11
	s_wait_alu 0xfffd
	s_delay_alu instid0(VALU_DEP_2)
	v_add_co_ci_u32_e64 v12, null, v33, v12, vcc_lo
	flat_store_b16 v[11:12], v15
	s_branch .LBB434_2
.LBB434_56:
	s_endpgm
	.section	.rodata,"a",@progbits
	.p2align	6, 0x0
	.amdhsa_kernel _ZL20rocblas_gemvn_kernelILi64ELi16EiPKDF16_PKfKPDF16_EviiT3_lPKT2_lT1_lS9_lSA_lS6_lPT4_lSA_li
		.amdhsa_group_segment_fixed_size 16384
		.amdhsa_private_segment_fixed_size 0
		.amdhsa_kernarg_size 400
		.amdhsa_user_sgpr_count 2
		.amdhsa_user_sgpr_dispatch_ptr 0
		.amdhsa_user_sgpr_queue_ptr 0
		.amdhsa_user_sgpr_kernarg_segment_ptr 1
		.amdhsa_user_sgpr_dispatch_id 0
		.amdhsa_user_sgpr_private_segment_size 0
		.amdhsa_wavefront_size32 1
		.amdhsa_uses_dynamic_stack 0
		.amdhsa_enable_private_segment 0
		.amdhsa_system_sgpr_workgroup_id_x 1
		.amdhsa_system_sgpr_workgroup_id_y 0
		.amdhsa_system_sgpr_workgroup_id_z 1
		.amdhsa_system_sgpr_workgroup_info 0
		.amdhsa_system_vgpr_workitem_id 1
		.amdhsa_next_free_vgpr 63
		.amdhsa_next_free_sgpr 49
		.amdhsa_reserve_vcc 1
		.amdhsa_float_round_mode_32 0
		.amdhsa_float_round_mode_16_64 0
		.amdhsa_float_denorm_mode_32 3
		.amdhsa_float_denorm_mode_16_64 3
		.amdhsa_fp16_overflow 0
		.amdhsa_workgroup_processor_mode 1
		.amdhsa_memory_ordered 1
		.amdhsa_forward_progress 1
		.amdhsa_inst_pref_size 28
		.amdhsa_round_robin_scheduling 0
		.amdhsa_exception_fp_ieee_invalid_op 0
		.amdhsa_exception_fp_denorm_src 0
		.amdhsa_exception_fp_ieee_div_zero 0
		.amdhsa_exception_fp_ieee_overflow 0
		.amdhsa_exception_fp_ieee_underflow 0
		.amdhsa_exception_fp_ieee_inexact 0
		.amdhsa_exception_int_div_zero 0
	.end_amdhsa_kernel
	.section	.text._ZL20rocblas_gemvn_kernelILi64ELi16EiPKDF16_PKfKPDF16_EviiT3_lPKT2_lT1_lS9_lSA_lS6_lPT4_lSA_li,"axG",@progbits,_ZL20rocblas_gemvn_kernelILi64ELi16EiPKDF16_PKfKPDF16_EviiT3_lPKT2_lT1_lS9_lSA_lS6_lPT4_lSA_li,comdat
.Lfunc_end434:
	.size	_ZL20rocblas_gemvn_kernelILi64ELi16EiPKDF16_PKfKPDF16_EviiT3_lPKT2_lT1_lS9_lSA_lS6_lPT4_lSA_li, .Lfunc_end434-_ZL20rocblas_gemvn_kernelILi64ELi16EiPKDF16_PKfKPDF16_EviiT3_lPKT2_lT1_lS9_lSA_lS6_lPT4_lSA_li
                                        ; -- End function
	.set _ZL20rocblas_gemvn_kernelILi64ELi16EiPKDF16_PKfKPDF16_EviiT3_lPKT2_lT1_lS9_lSA_lS6_lPT4_lSA_li.num_vgpr, 63
	.set _ZL20rocblas_gemvn_kernelILi64ELi16EiPKDF16_PKfKPDF16_EviiT3_lPKT2_lT1_lS9_lSA_lS6_lPT4_lSA_li.num_agpr, 0
	.set _ZL20rocblas_gemvn_kernelILi64ELi16EiPKDF16_PKfKPDF16_EviiT3_lPKT2_lT1_lS9_lSA_lS6_lPT4_lSA_li.numbered_sgpr, 49
	.set _ZL20rocblas_gemvn_kernelILi64ELi16EiPKDF16_PKfKPDF16_EviiT3_lPKT2_lT1_lS9_lSA_lS6_lPT4_lSA_li.num_named_barrier, 0
	.set _ZL20rocblas_gemvn_kernelILi64ELi16EiPKDF16_PKfKPDF16_EviiT3_lPKT2_lT1_lS9_lSA_lS6_lPT4_lSA_li.private_seg_size, 0
	.set _ZL20rocblas_gemvn_kernelILi64ELi16EiPKDF16_PKfKPDF16_EviiT3_lPKT2_lT1_lS9_lSA_lS6_lPT4_lSA_li.uses_vcc, 1
	.set _ZL20rocblas_gemvn_kernelILi64ELi16EiPKDF16_PKfKPDF16_EviiT3_lPKT2_lT1_lS9_lSA_lS6_lPT4_lSA_li.uses_flat_scratch, 1
	.set _ZL20rocblas_gemvn_kernelILi64ELi16EiPKDF16_PKfKPDF16_EviiT3_lPKT2_lT1_lS9_lSA_lS6_lPT4_lSA_li.has_dyn_sized_stack, 0
	.set _ZL20rocblas_gemvn_kernelILi64ELi16EiPKDF16_PKfKPDF16_EviiT3_lPKT2_lT1_lS9_lSA_lS6_lPT4_lSA_li.has_recursion, 0
	.set _ZL20rocblas_gemvn_kernelILi64ELi16EiPKDF16_PKfKPDF16_EviiT3_lPKT2_lT1_lS9_lSA_lS6_lPT4_lSA_li.has_indirect_call, 0
	.section	.AMDGPU.csdata,"",@progbits
; Kernel info:
; codeLenInByte = 3580
; TotalNumSgprs: 51
; NumVgprs: 63
; ScratchSize: 0
; MemoryBound: 0
; FloatMode: 240
; IeeeMode: 1
; LDSByteSize: 16384 bytes/workgroup (compile time only)
; SGPRBlocks: 0
; VGPRBlocks: 7
; NumSGPRsForWavesPerEU: 51
; NumVGPRsForWavesPerEU: 63
; Occupancy: 16
; WaveLimiterHint : 1
; COMPUTE_PGM_RSRC2:SCRATCH_EN: 0
; COMPUTE_PGM_RSRC2:USER_SGPR: 2
; COMPUTE_PGM_RSRC2:TRAP_HANDLER: 0
; COMPUTE_PGM_RSRC2:TGID_X_EN: 1
; COMPUTE_PGM_RSRC2:TGID_Y_EN: 0
; COMPUTE_PGM_RSRC2:TGID_Z_EN: 1
; COMPUTE_PGM_RSRC2:TIDIG_COMP_CNT: 1
	.section	.text._ZL20rocblas_gemvn_kernelILi64ELi16ElPKDF16_PKfKPDF16_EviiT3_lPKT2_lT1_lS9_lSA_lS6_lPT4_lSA_li,"axG",@progbits,_ZL20rocblas_gemvn_kernelILi64ELi16ElPKDF16_PKfKPDF16_EviiT3_lPKT2_lT1_lS9_lSA_lS6_lPT4_lSA_li,comdat
	.globl	_ZL20rocblas_gemvn_kernelILi64ELi16ElPKDF16_PKfKPDF16_EviiT3_lPKT2_lT1_lS9_lSA_lS6_lPT4_lSA_li ; -- Begin function _ZL20rocblas_gemvn_kernelILi64ELi16ElPKDF16_PKfKPDF16_EviiT3_lPKT2_lT1_lS9_lSA_lS6_lPT4_lSA_li
	.p2align	8
	.type	_ZL20rocblas_gemvn_kernelILi64ELi16ElPKDF16_PKfKPDF16_EviiT3_lPKT2_lT1_lS9_lSA_lS6_lPT4_lSA_li,@function
_ZL20rocblas_gemvn_kernelILi64ELi16ElPKDF16_PKfKPDF16_EviiT3_lPKT2_lT1_lS9_lSA_lS6_lPT4_lSA_li: ; @_ZL20rocblas_gemvn_kernelILi64ELi16ElPKDF16_PKfKPDF16_EviiT3_lPKT2_lT1_lS9_lSA_lS6_lPT4_lSA_li
; %bb.0:
	s_clause 0x1
	s_load_b64 s[2:3], s[0:1], 0x9c
	s_load_b32 s33, s[0:1], 0x88
	s_lshr_b32 s10, ttmp7, 16
	s_wait_kmcnt 0x0
	s_lshr_b32 s4, s2, 16
	s_and_b32 s2, s2, 0xffff
	s_and_b32 s3, s3, 0xffff
	s_mul_i32 s2, s4, s2
	s_delay_alu instid0(SALU_CYCLE_1) | instskip(NEXT) | instid1(SALU_CYCLE_1)
	s_mul_i32 s2, s2, s3
	s_cmp_lg_u32 s2, 0x400
	s_cselect_b32 s2, -1, 0
	s_cmp_ge_u32 s10, s33
	s_cselect_b32 s3, -1, 0
	s_delay_alu instid0(SALU_CYCLE_1) | instskip(NEXT) | instid1(SALU_CYCLE_1)
	s_or_b32 s2, s2, s3
	s_and_b32 vcc_lo, exec_lo, s2
	s_cbranch_vccnz .LBB435_56
; %bb.1:
	s_clause 0x6
	s_load_b64 s[38:39], s[0:1], 0x78
	s_load_b64 s[8:9], s[0:1], 0x0
	s_load_b256 s[12:19], s[0:1], 0x8
	s_load_b64 s[34:35], s[0:1], 0x28
	s_load_b128 s[28:31], s[0:1], 0x38
	s_load_b64 s[36:37], s[0:1], 0x48
	s_load_b256 s[20:27], s[0:1], 0x58
	v_dual_mov_b32 v1, 0 :: v_dual_and_b32 v2, 0x3ff, v0
	s_lshl_b32 s6, ttmp9, 8
	v_bfe_u32 v26, v0, 10, 10
	s_mov_b32 s11, 0
	s_delay_alu instid0(VALU_DEP_2) | instskip(SKIP_1) | instid1(VALU_DEP_3)
	v_add_nc_u32_e32 v8, s6, v2
	v_lshlrev_b32_e32 v16, 2, v2
	v_lshlrev_b32_e32 v40, 2, v26
	v_lshl_add_u32 v5, v26, 6, v2
	s_delay_alu instid0(VALU_DEP_4)
	v_add_nc_u32_e32 v6, 0x80, v8
	v_add_nc_u32_e32 v7, 0xc0, v8
	v_lshl_add_u32 v41, v26, 8, v16
	v_or_b32_e32 v19, 3, v40
	v_add_nc_u32_e32 v0, s6, v5
	v_or_b32_e32 v17, s6, v5
	s_wait_kmcnt 0x0
	s_ashr_i32 s3, s9, 31
	v_cmp_gt_i32_e64 s2, s8, v6
	s_lshr_b32 s3, s3, 26
	v_mad_co_u64_u32 v[10:11], null, s34, v19, 0
	s_add_co_i32 s42, s9, s3
	v_cmp_gt_i32_e64 s3, s8, v7
	v_mad_co_u64_u32 v[6:7], null, s36, v26, 0
	v_mad_co_u64_u32 v[12:13], null, s36, v19, 0
	v_mad_co_u64_u32 v[2:3], null, s38, v0, 0
	s_ashr_i32 s5, s8, 31
	s_mov_b32 s4, s8
	v_mad_co_u64_u32 v[14:15], null, s37, v26, v[7:8]
	s_and_not1_b32 s42, s42, 63
	v_cmp_gt_i64_e32 vcc_lo, s[4:5], v[0:1]
	s_sub_co_i32 s5, s9, s42
	v_mul_lo_u32 v18, s39, v17
	s_wait_alu 0xfffe
	s_cmp_gt_i32 s5, 0
	v_cmp_gt_u32_e64 s5, 0x100, v5
	v_mov_b32_e32 v7, v14
	v_mad_co_u64_u32 v[14:15], null, s35, v19, v[11:12]
	s_cselect_b32 s43, -1, 0
	s_ashr_i32 s7, s6, 31
	v_cmp_gt_i32_e64 s6, s8, v17
	s_wait_alu 0xfffe
	s_mul_i32 s7, s38, s7
	v_ashrrev_i32_e32 v9, 31, v8
	v_cmp_gt_i32_e64 s0, s8, v8
	v_mov_b32_e32 v11, v14
	v_mad_co_u64_u32 v[22:23], null, s36, v40, s[36:37]
	v_add_nc_u32_e32 v4, 64, v8
	v_or_b32_e32 v29, 2, v40
	v_mad_co_u64_u32 v[24:25], null, s34, v40, s[34:35]
	v_lshlrev_b64_e32 v[6:7], 3, v[6:7]
	s_delay_alu instid0(VALU_DEP_4)
	v_cmp_gt_i32_e64 s1, s8, v4
	v_mad_co_u64_u32 v[3:4], null, s39, v0, v[3:4]
	v_mad_co_u64_u32 v[4:5], null, s38, v17, 0
	v_lshl_add_u32 v0, v26, 10, v16
	v_mad_co_u64_u32 v[15:16], null, s37, v19, v[13:14]
	v_mad_co_u64_u32 v[16:17], null, s34, v26, 0
	;; [unrolled: 1-line block ×3, first 2 shown]
	s_wait_alu 0xfffe
	v_add3_u32 v5, v5, s7, v18
	v_mad_co_u64_u32 v[18:19], null, s34, v29, 0
	s_delay_alu instid0(VALU_DEP_4) | instskip(SKIP_3) | instid1(VALU_DEP_4)
	v_dual_mov_b32 v13, v15 :: v_dual_mov_b32 v14, v17
	v_mov_b32_e32 v17, v25
	v_lshlrev_b64_e32 v[8:9], 1, v[8:9]
	v_lshlrev_b64_e32 v[10:11], 1, v[10:11]
	v_lshlrev_b64_e32 v[12:13], 1, v[12:13]
	v_mov_b32_e32 v15, v19
	v_cmp_gt_i32_e64 s4, s42, v40
	s_and_b32 s44, s5, vcc_lo
	s_lshl_b64 s[38:39], s[36:37], 7
	s_lshl_b64 s[40:41], s[34:35], 7
	v_mad_co_u64_u32 v[26:27], null, s35, v26, v[14:15]
	v_mov_b32_e32 v14, v21
	v_mad_co_u64_u32 v[27:28], null, s35, v29, v[15:16]
	v_mov_b32_e32 v15, v23
	s_lshl_b64 s[18:19], s[18:19], 1
	s_lshl_b64 s[30:31], s[30:31], 1
	s_lshl_b64 s[26:27], s[26:27], 1
	s_delay_alu instid0(VALU_DEP_1)
	v_mad_co_u64_u32 v[28:29], null, s37, v29, v[14:15]
	v_mad_co_u64_u32 v[14:15], null, s37, v40, v[15:16]
	;; [unrolled: 1-line block ×3, first 2 shown]
	v_mov_b32_e32 v17, v26
	v_mov_b32_e32 v19, v27
	;; [unrolled: 1-line block ×4, first 2 shown]
	s_delay_alu instid0(VALU_DEP_4) | instskip(SKIP_4) | instid1(VALU_DEP_4)
	v_lshlrev_b64_e32 v[14:15], 3, v[16:17]
	v_mov_b32_e32 v25, v29
	v_lshlrev_b64_e32 v[16:17], 1, v[18:19]
	v_lshlrev_b64_e32 v[18:19], 1, v[20:21]
	;; [unrolled: 1-line block ×5, first 2 shown]
	s_branch .LBB435_4
.LBB435_2:                              ;   in Loop: Header=BB435_4 Depth=1
	s_wait_alu 0xfffe
	s_or_b32 exec_lo, exec_lo, s7
.LBB435_3:                              ;   in Loop: Header=BB435_4 Depth=1
	s_add_co_i32 s10, s10, 0x10000
	s_delay_alu instid0(SALU_CYCLE_1)
	s_cmp_lt_u32 s10, s33
	s_cbranch_scc0 .LBB435_56
.LBB435_4:                              ; =>This Loop Header: Depth=1
                                        ;     Child Loop BB435_24 Depth 2
	s_mul_u64 s[46:47], s[14:15], s[10:11]
	s_mul_u64 s[48:49], s[22:23], s[10:11]
	s_lshl_b64 s[46:47], s[46:47], 2
	s_lshl_b64 s[48:49], s[48:49], 2
	s_add_nc_u64 s[46:47], s[12:13], s[46:47]
	s_add_nc_u64 s[48:49], s[20:21], s[48:49]
	s_clause 0x1
	global_load_b32 v42, v1, s[46:47]
	global_load_b32 v26, v1, s[48:49]
	s_wait_loadcnt 0x1
	v_cmp_eq_f32_e64 s7, 0, v42
	s_wait_loadcnt 0x0
	v_cmp_eq_f32_e32 vcc_lo, 1.0, v26
	v_readfirstlane_b32 s45, v26
	s_and_b32 s8, s7, vcc_lo
	s_wait_alu 0xfffe
	s_and_b32 vcc_lo, exec_lo, s8
	s_wait_alu 0xfffe
	s_cbranch_vccnz .LBB435_3
; %bb.5:                                ;   in Loop: Header=BB435_4 Depth=1
	v_mov_b32_e32 v28, 0
	v_dual_mov_b32 v29, 0 :: v_dual_mov_b32 v26, 0
	v_cmp_neq_f32_e64 s8, 0, v42
	v_mov_b32_e32 v27, 0
	s_and_b32 vcc_lo, exec_lo, s7
	s_wait_alu 0xfffe
	s_cbranch_vccnz .LBB435_7
; %bb.6:                                ;   in Loop: Header=BB435_4 Depth=1
	s_lshl_b64 s[46:47], s[10:11], 3
	s_delay_alu instid0(SALU_CYCLE_1)
	s_add_nc_u64 s[46:47], s[16:17], s[46:47]
	global_load_b64 v[26:27], v1, s[46:47]
	s_wait_loadcnt 0x0
	v_add_co_u32 v26, vcc_lo, v26, s18
	s_wait_alu 0xfffd
	v_add_co_ci_u32_e64 v27, null, s19, v27, vcc_lo
.LBB435_7:                              ;   in Loop: Header=BB435_4 Depth=1
	s_and_not1_b32 vcc_lo, exec_lo, s8
	s_wait_alu 0xfffe
	s_cbranch_vccnz .LBB435_9
; %bb.8:                                ;   in Loop: Header=BB435_4 Depth=1
	s_lshl_b64 s[46:47], s[10:11], 3
	s_delay_alu instid0(SALU_CYCLE_1)
	s_add_nc_u64 s[46:47], s[28:29], s[46:47]
	global_load_b64 v[28:29], v1, s[46:47]
	s_wait_loadcnt 0x0
	v_add_co_u32 v28, vcc_lo, v28, s30
	s_wait_alu 0xfffd
	v_add_co_ci_u32_e64 v29, null, s31, v29, vcc_lo
.LBB435_9:                              ;   in Loop: Header=BB435_4 Depth=1
	s_lshl_b64 s[46:47], s[10:11], 3
	s_delay_alu instid0(SALU_CYCLE_1)
	s_add_nc_u64 s[46:47], s[24:25], s[46:47]
	global_load_b64 v[30:31], v1, s[46:47]
	s_wait_loadcnt 0x0
	v_add_co_u32 v43, vcc_lo, v30, s26
	s_wait_alu 0xfffd
	v_add_co_ci_u32_e64 v44, null, s27, v31, vcc_lo
	s_and_not1_b32 vcc_lo, exec_lo, s7
	s_wait_alu 0xfffe
	s_cbranch_vccnz .LBB435_13
; %bb.10:                               ;   in Loop: Header=BB435_4 Depth=1
	s_mov_b32 s7, 0
	s_mov_b32 s8, 0
                                        ; implicit-def: $vgpr30
	s_and_saveexec_b32 s46, s44
	s_cbranch_execz .LBB435_14
; %bb.11:                               ;   in Loop: Header=BB435_4 Depth=1
	s_cmp_eq_f32 s45, 0
	s_cbranch_scc1 .LBB435_16
; %bb.12:                               ;   in Loop: Header=BB435_4 Depth=1
	v_add_co_u32 v30, vcc_lo, v43, v24
	s_wait_alu 0xfffd
	v_add_co_ci_u32_e64 v31, null, v44, v25, vcc_lo
	flat_load_u16 v30, v[30:31]
	s_wait_loadcnt_dscnt 0x0
	v_fma_mixlo_f16 v30, s45, v30, 0 op_sel_hi:[0,1,0]
	s_branch .LBB435_17
.LBB435_13:                             ;   in Loop: Header=BB435_4 Depth=1
	s_mov_b32 s8, 0
                                        ; implicit-def: $vgpr30
	s_cbranch_execz .LBB435_15
	s_branch .LBB435_18
.LBB435_14:                             ;   in Loop: Header=BB435_4 Depth=1
	s_or_b32 exec_lo, exec_lo, s46
	s_wait_alu 0xfffe
	s_and_b32 vcc_lo, exec_lo, s7
	s_wait_alu 0xfffe
	s_cbranch_vccnz .LBB435_18
.LBB435_15:                             ;   in Loop: Header=BB435_4 Depth=1
	v_dual_mov_b32 v27, v3 :: v_dual_mov_b32 v26, v2
	s_wait_alu 0xfffe
	s_and_saveexec_b32 s7, s8
	s_cbranch_execz .LBB435_2
	s_branch .LBB435_55
.LBB435_16:                             ;   in Loop: Header=BB435_4 Depth=1
	v_mov_b32_e32 v30, 0
.LBB435_17:                             ;   in Loop: Header=BB435_4 Depth=1
	s_mov_b32 s8, exec_lo
	s_or_b32 exec_lo, exec_lo, s46
	s_wait_alu 0xfffe
	s_and_b32 vcc_lo, exec_lo, s7
	s_wait_alu 0xfffe
	s_cbranch_vccz .LBB435_15
.LBB435_18:                             ;   in Loop: Header=BB435_4 Depth=1
	v_dual_mov_b32 v45, 0 :: v_dual_mov_b32 v46, 0
	v_dual_mov_b32 v49, v40 :: v_dual_mov_b32 v48, 0
	v_mov_b32_e32 v47, 0
	s_and_saveexec_b32 s46, s4
	s_cbranch_execz .LBB435_30
; %bb.19:                               ;   in Loop: Header=BB435_4 Depth=1
	v_add_co_u32 v50, vcc_lo, v26, v10
	s_wait_alu 0xfffd
	v_add_co_ci_u32_e64 v51, null, v27, v11, vcc_lo
	v_add_co_u32 v52, vcc_lo, v26, v14
	s_wait_alu 0xfffd
	v_add_co_ci_u32_e64 v53, null, v27, v15, vcc_lo
	v_add_co_u32 v54, vcc_lo, v26, v16
	s_wait_alu 0xfffd
	v_add_co_ci_u32_e64 v55, null, v27, v17, vcc_lo
	v_add_co_u32 v56, vcc_lo, v26, v22
	v_dual_mov_b32 v31, v29 :: v_dual_mov_b32 v46, 0
	s_wait_alu 0xfffd
	v_add_co_ci_u32_e64 v57, null, v27, v23, vcc_lo
	v_dual_mov_b32 v45, 0 :: v_dual_mov_b32 v30, v28
	v_dual_mov_b32 v49, v40 :: v_dual_mov_b32 v48, 0
	v_mov_b32_e32 v47, 0
	s_mov_b32 s47, 0
	s_branch .LBB435_24
.LBB435_20:                             ;   in Loop: Header=BB435_24 Depth=2
	s_or_b32 exec_lo, exec_lo, s50
	s_wait_loadcnt_dscnt 0x303
	v_fma_mix_f32 v32, v70, v74, v47 op_sel_hi:[0,1,0]
	s_wait_loadcnt_dscnt 0x202
	s_delay_alu instid0(VALU_DEP_1) | instskip(SKIP_1) | instid1(VALU_DEP_1)
	v_fma_mix_f32 v32, v71, v75, v32 op_sel_hi:[0,1,0]
	s_wait_loadcnt_dscnt 0x101
	v_fma_mix_f32 v32, v72, v76, v32 op_sel_hi:[0,1,0]
	s_wait_loadcnt_dscnt 0x0
	s_delay_alu instid0(VALU_DEP_1)
	v_fma_mix_f32 v47, v73, v77, v32 op_sel_hi:[0,1,0]
.LBB435_21:                             ;   in Loop: Header=BB435_24 Depth=2
	s_or_b32 exec_lo, exec_lo, s49
	s_wait_loadcnt_dscnt 0x303
	v_fma_mix_f32 v32, v70, v66, v46 op_sel_hi:[0,1,0]
	s_wait_loadcnt_dscnt 0x202
	s_delay_alu instid0(VALU_DEP_1) | instskip(SKIP_1) | instid1(VALU_DEP_1)
	v_fma_mix_f32 v32, v71, v67, v32 op_sel_hi:[0,1,0]
	s_wait_loadcnt_dscnt 0x101
	v_fma_mix_f32 v32, v72, v68, v32 op_sel_hi:[0,1,0]
	s_wait_loadcnt_dscnt 0x0
	s_delay_alu instid0(VALU_DEP_1)
	v_fma_mix_f32 v46, v73, v69, v32 op_sel_hi:[0,1,0]
.LBB435_22:                             ;   in Loop: Header=BB435_24 Depth=2
	s_or_b32 exec_lo, exec_lo, s48
	s_wait_loadcnt_dscnt 0x303
	v_fma_mix_f32 v32, v58, v62, v45 op_sel_hi:[1,1,0]
	s_wait_loadcnt_dscnt 0x202
	s_delay_alu instid0(VALU_DEP_1) | instskip(SKIP_1) | instid1(VALU_DEP_1)
	v_fma_mix_f32 v32, v59, v63, v32 op_sel_hi:[1,1,0]
	s_wait_loadcnt_dscnt 0x101
	v_fma_mix_f32 v32, v60, v64, v32 op_sel_hi:[1,1,0]
	s_wait_loadcnt_dscnt 0x0
	s_delay_alu instid0(VALU_DEP_1)
	v_fma_mix_f32 v45, v61, v65, v32 op_sel_hi:[1,1,0]
.LBB435_23:                             ;   in Loop: Header=BB435_24 Depth=2
	s_wait_alu 0xfffe
	s_or_b32 exec_lo, exec_lo, s7
	v_add_co_u32 v30, vcc_lo, v30, s38
	s_wait_alu 0xfffd
	v_add_co_ci_u32_e64 v31, null, s39, v31, vcc_lo
	v_add_co_u32 v50, vcc_lo, v50, s40
	v_add_nc_u32_e32 v49, 64, v49
	s_wait_alu 0xfffd
	v_add_co_ci_u32_e64 v51, null, s41, v51, vcc_lo
	v_add_co_u32 v52, vcc_lo, v52, s40
	s_wait_alu 0xfffd
	v_add_co_ci_u32_e64 v53, null, s41, v53, vcc_lo
	v_add_co_u32 v54, vcc_lo, v54, s40
	s_wait_alu 0xfffd
	v_add_co_ci_u32_e64 v55, null, s41, v55, vcc_lo
	v_cmp_le_i32_e32 vcc_lo, s42, v49
	v_add_co_u32 v56, s7, v56, s40
	s_wait_alu 0xf1ff
	v_add_co_ci_u32_e64 v57, null, s41, v57, s7
	s_or_b32 s47, vcc_lo, s47
	s_delay_alu instid0(SALU_CYCLE_1)
	s_and_not1_b32 exec_lo, exec_lo, s47
	s_cbranch_execz .LBB435_29
.LBB435_24:                             ;   Parent Loop BB435_4 Depth=1
                                        ; =>  This Inner Loop Header: Depth=2
	s_and_saveexec_b32 s7, s0
	s_cbranch_execz .LBB435_23
; %bb.25:                               ;   in Loop: Header=BB435_24 Depth=2
	v_add_co_u32 v58, vcc_lo, v30, v6
	s_wait_alu 0xfffd
	v_add_co_ci_u32_e64 v59, null, v31, v7, vcc_lo
	v_add_co_u32 v60, vcc_lo, v30, v20
	s_wait_alu 0xfffd
	v_add_co_ci_u32_e64 v61, null, v31, v21, vcc_lo
	;; [unrolled: 3-line block ×8, first 2 shown]
	s_clause 0x3
	flat_load_u16 v58, v[58:59]
	flat_load_u16 v59, v[60:61]
	;; [unrolled: 1-line block ×8, first 2 shown]
	s_and_saveexec_b32 s48, s1
	s_cbranch_execz .LBB435_22
; %bb.26:                               ;   in Loop: Header=BB435_24 Depth=2
	flat_load_u16 v66, v[32:33] offset:128
	flat_load_u16 v67, v[34:35] offset:128
	;; [unrolled: 1-line block ×4, first 2 shown]
	s_wait_loadcnt_dscnt 0xb0b
	v_cvt_f32_f16_e32 v70, v58
	s_wait_loadcnt_dscnt 0xa0a
	v_cvt_f32_f16_e32 v71, v59
	;; [unrolled: 2-line block ×4, first 2 shown]
	s_and_saveexec_b32 s49, s2
	s_cbranch_execz .LBB435_21
; %bb.27:                               ;   in Loop: Header=BB435_24 Depth=2
	flat_load_u16 v74, v[32:33] offset:256
	flat_load_u16 v75, v[34:35] offset:256
	;; [unrolled: 1-line block ×4, first 2 shown]
	s_and_saveexec_b32 s50, s3
	s_cbranch_execz .LBB435_20
; %bb.28:                               ;   in Loop: Header=BB435_24 Depth=2
	flat_load_u16 v32, v[32:33] offset:384
	flat_load_u16 v33, v[34:35] offset:384
	flat_load_u16 v34, v[36:37] offset:384
	flat_load_u16 v35, v[38:39] offset:384
	s_wait_loadcnt_dscnt 0x303
	v_fma_mix_f32 v32, v70, v32, v48 op_sel_hi:[0,1,0]
	s_wait_loadcnt_dscnt 0x202
	s_delay_alu instid0(VALU_DEP_1) | instskip(SKIP_1) | instid1(VALU_DEP_1)
	v_fma_mix_f32 v32, v71, v33, v32 op_sel_hi:[0,1,0]
	s_wait_loadcnt_dscnt 0x101
	v_fma_mix_f32 v32, v72, v34, v32 op_sel_hi:[0,1,0]
	s_wait_loadcnt_dscnt 0x0
	s_delay_alu instid0(VALU_DEP_1)
	v_fma_mix_f32 v48, v73, v35, v32 op_sel_hi:[0,1,0]
	s_branch .LBB435_20
.LBB435_29:                             ;   in Loop: Header=BB435_4 Depth=1
	s_or_b32 exec_lo, exec_lo, s47
.LBB435_30:                             ;   in Loop: Header=BB435_4 Depth=1
	s_delay_alu instid0(SALU_CYCLE_1) | instskip(NEXT) | instid1(SALU_CYCLE_1)
	s_or_b32 exec_lo, exec_lo, s46
	s_and_not1_b32 vcc_lo, exec_lo, s43
	s_wait_alu 0xfffe
	s_cbranch_vccnz .LBB435_48
; %bb.31:                               ;   in Loop: Header=BB435_4 Depth=1
	v_cmp_gt_i32_e32 vcc_lo, s9, v49
	v_dual_mov_b32 v34, 0 :: v_dual_mov_b32 v35, 0
	v_or_b32_e32 v30, 1, v49
	v_dual_mov_b32 v36, 0 :: v_dual_mov_b32 v37, 0
	s_and_saveexec_b32 s46, vcc_lo
	s_cbranch_execz .LBB435_39
; %bb.32:                               ;   in Loop: Header=BB435_4 Depth=1
	v_mad_co_u64_u32 v[31:32], null, s36, v49, 0
	v_dual_mov_b32 v36, 0 :: v_dual_mov_b32 v35, 0
	v_mov_b32_e32 v34, 0
	s_mov_b32 s47, exec_lo
	s_delay_alu instid0(VALU_DEP_3) | instskip(NEXT) | instid1(VALU_DEP_1)
	v_mad_co_u64_u32 v[32:33], null, s37, v49, v[32:33]
	v_lshlrev_b64_e32 v[31:32], 1, v[31:32]
	s_delay_alu instid0(VALU_DEP_1) | instskip(SKIP_1) | instid1(VALU_DEP_2)
	v_add_co_u32 v31, s7, v28, v31
	s_wait_alu 0xf1ff
	v_add_co_ci_u32_e64 v32, null, v29, v32, s7
	flat_load_u16 v31, v[31:32]
	v_cmpx_gt_i32_e64 s9, v30
	s_cbranch_execz .LBB435_38
; %bb.33:                               ;   in Loop: Header=BB435_4 Depth=1
	v_mad_co_u64_u32 v[32:33], null, s36, v30, 0
	v_mov_b32_e32 v35, 0
	s_mov_b32 s48, exec_lo
	s_delay_alu instid0(VALU_DEP_2) | instskip(SKIP_1) | instid1(VALU_DEP_2)
	v_mad_co_u64_u32 v[33:34], null, s37, v30, v[33:34]
	v_mov_b32_e32 v34, 0
	v_lshlrev_b64_e32 v[32:33], 1, v[32:33]
	s_delay_alu instid0(VALU_DEP_1) | instskip(SKIP_1) | instid1(VALU_DEP_2)
	v_add_co_u32 v32, s7, v28, v32
	s_wait_alu 0xf1ff
	v_add_co_ci_u32_e64 v33, null, v29, v33, s7
	flat_load_u16 v32, v[32:33]
	v_or_b32_e32 v33, 2, v49
	s_delay_alu instid0(VALU_DEP_1)
	v_cmpx_gt_i32_e64 s9, v33
	s_cbranch_execz .LBB435_37
; %bb.34:                               ;   in Loop: Header=BB435_4 Depth=1
	v_mad_co_u64_u32 v[34:35], null, s36, v33, 0
	s_mov_b32 s49, exec_lo
	v_mad_co_u64_u32 v[35:36], null, s37, v33, v[35:36]
	s_delay_alu instid0(VALU_DEP_1) | instskip(SKIP_1) | instid1(VALU_DEP_2)
	v_lshlrev_b64_e32 v[33:34], 1, v[34:35]
	v_or_b32_e32 v35, 3, v49
	v_add_co_u32 v33, s7, v28, v33
	s_wait_alu 0xf1ff
	s_delay_alu instid0(VALU_DEP_3)
	v_add_co_ci_u32_e64 v34, null, v29, v34, s7
	flat_load_u16 v33, v[33:34]
	v_mov_b32_e32 v34, 0
	v_cmpx_gt_i32_e64 s9, v35
	s_cbranch_execz .LBB435_36
; %bb.35:                               ;   in Loop: Header=BB435_4 Depth=1
	v_mad_co_u64_u32 v[36:37], null, s36, v35, 0
	s_delay_alu instid0(VALU_DEP_1) | instskip(NEXT) | instid1(VALU_DEP_1)
	v_mov_b32_e32 v34, v37
	v_mad_co_u64_u32 v[34:35], null, s37, v35, v[34:35]
	s_delay_alu instid0(VALU_DEP_1) | instskip(NEXT) | instid1(VALU_DEP_1)
	v_mov_b32_e32 v37, v34
	v_lshlrev_b64_e32 v[34:35], 1, v[36:37]
	s_delay_alu instid0(VALU_DEP_1) | instskip(SKIP_1) | instid1(VALU_DEP_2)
	v_add_co_u32 v28, s7, v28, v34
	s_wait_alu 0xf1ff
	v_add_co_ci_u32_e64 v29, null, v29, v35, s7
	flat_load_u16 v28, v[28:29]
	s_wait_loadcnt_dscnt 0x0
	v_cvt_f32_f16_e32 v34, v28
.LBB435_36:                             ;   in Loop: Header=BB435_4 Depth=1
	s_or_b32 exec_lo, exec_lo, s49
	s_wait_loadcnt_dscnt 0x0
	v_cvt_f32_f16_e32 v35, v33
.LBB435_37:                             ;   in Loop: Header=BB435_4 Depth=1
	s_or_b32 exec_lo, exec_lo, s48
	s_wait_loadcnt_dscnt 0x0
	v_cvt_f32_f16_e32 v36, v32
.LBB435_38:                             ;   in Loop: Header=BB435_4 Depth=1
	s_or_b32 exec_lo, exec_lo, s47
	s_wait_loadcnt_dscnt 0x0
	v_cvt_f32_f16_e32 v37, v31
.LBB435_39:                             ;   in Loop: Header=BB435_4 Depth=1
	s_or_b32 exec_lo, exec_lo, s46
	s_and_saveexec_b32 s46, s0
	s_cbranch_execz .LBB435_47
; %bb.40:                               ;   in Loop: Header=BB435_4 Depth=1
	v_mad_co_u64_u32 v[28:29], null, s34, v49, 0
	v_or_b32_e32 v52, 2, v49
	v_mad_co_u64_u32 v[31:32], null, s34, v30, 0
	v_or_b32_e32 v53, 3, v49
	v_cmp_gt_i32_e64 s7, s9, v30
	s_delay_alu instid0(VALU_DEP_4) | instskip(SKIP_3) | instid1(VALU_DEP_4)
	v_mad_co_u64_u32 v[38:39], null, s34, v52, 0
	v_mad_co_u64_u32 v[49:50], null, s35, v49, v[29:30]
	;; [unrolled: 1-line block ×4, first 2 shown]
	v_mov_b32_e32 v30, v39
	s_delay_alu instid0(VALU_DEP_4)
	v_dual_cndmask_b32 v50, 0, v28 :: v_dual_cndmask_b32 v51, 0, v49
	s_wait_alu 0xf1ff
	v_cndmask_b32_e64 v28, 0, v31, s7
	v_cndmask_b32_e64 v29, 0, v29, s7
	v_mad_co_u64_u32 v[30:31], null, s35, v52, v[30:31]
	v_mov_b32_e32 v31, v33
	v_lshlrev_b64_e32 v[49:50], 1, v[50:51]
	v_cmp_gt_i32_e32 vcc_lo, s9, v52
	v_lshlrev_b64_e32 v[51:52], 1, v[28:29]
	s_wait_alu 0xfffd
	v_cndmask_b32_e32 v39, 0, v30, vcc_lo
	s_delay_alu instid0(VALU_DEP_4)
	v_add_co_u32 v28, s7, v26, v49
	s_wait_alu 0xf1ff
	v_add_co_ci_u32_e64 v29, null, v27, v50, s7
	v_mad_co_u64_u32 v[30:31], null, s35, v53, v[31:32]
	v_cndmask_b32_e32 v38, 0, v38, vcc_lo
	v_add_co_u32 v28, vcc_lo, v28, v8
	s_wait_alu 0xfffd
	v_add_co_ci_u32_e64 v29, null, v29, v9, vcc_lo
	v_cmp_gt_i32_e32 vcc_lo, s9, v53
	v_add_co_u32 v31, s7, v26, v51
	s_wait_alu 0xf1ff
	v_add_co_ci_u32_e64 v49, null, v27, v52, s7
	s_wait_alu 0xfffd
	v_dual_cndmask_b32 v32, 0, v32 :: v_dual_cndmask_b32 v33, 0, v30
	v_lshlrev_b64_e32 v[38:39], 1, v[38:39]
	v_add_co_u32 v30, vcc_lo, v31, v8
	s_wait_alu 0xfffd
	v_add_co_ci_u32_e64 v31, null, v49, v9, vcc_lo
	v_lshlrev_b64_e32 v[32:33], 1, v[32:33]
	s_delay_alu instid0(VALU_DEP_4) | instskip(SKIP_2) | instid1(VALU_DEP_3)
	v_add_co_u32 v38, vcc_lo, v26, v38
	s_wait_alu 0xfffd
	v_add_co_ci_u32_e64 v39, null, v27, v39, vcc_lo
	v_add_co_u32 v32, vcc_lo, v26, v32
	s_wait_alu 0xfffd
	v_add_co_ci_u32_e64 v33, null, v27, v33, vcc_lo
	;; [unrolled: 3-line block ×4, first 2 shown]
	s_clause 0x3
	flat_load_u16 v38, v[28:29]
	flat_load_u16 v39, v[30:31]
	flat_load_u16 v49, v[26:27]
	flat_load_u16 v50, v[32:33]
	s_and_saveexec_b32 s7, s1
	s_cbranch_execz .LBB435_46
; %bb.41:                               ;   in Loop: Header=BB435_4 Depth=1
	s_clause 0x3
	flat_load_u16 v51, v[28:29] offset:128
	flat_load_u16 v52, v[30:31] offset:128
	flat_load_u16 v53, v[26:27] offset:128
	flat_load_u16 v54, v[32:33] offset:128
	s_and_saveexec_b32 s47, s2
	s_cbranch_execz .LBB435_45
; %bb.42:                               ;   in Loop: Header=BB435_4 Depth=1
	s_clause 0x3
	flat_load_u16 v55, v[28:29] offset:256
	flat_load_u16 v56, v[30:31] offset:256
	flat_load_u16 v57, v[26:27] offset:256
	flat_load_u16 v58, v[32:33] offset:256
	;; [unrolled: 8-line block ×3, first 2 shown]
	s_wait_loadcnt_dscnt 0x303
	v_fma_mix_f32 v28, v37, v28, v48 op_sel_hi:[0,1,0]
	s_wait_loadcnt_dscnt 0x202
	s_delay_alu instid0(VALU_DEP_1) | instskip(SKIP_1) | instid1(VALU_DEP_1)
	v_fma_mix_f32 v28, v36, v29, v28 op_sel_hi:[0,1,0]
	s_wait_loadcnt_dscnt 0x101
	v_fma_mix_f32 v26, v35, v26, v28 op_sel_hi:[0,1,0]
	s_wait_loadcnt_dscnt 0x0
	s_delay_alu instid0(VALU_DEP_1)
	v_fma_mix_f32 v48, v34, v27, v26 op_sel_hi:[0,1,0]
.LBB435_44:                             ;   in Loop: Header=BB435_4 Depth=1
	s_or_b32 exec_lo, exec_lo, s48
	s_wait_loadcnt_dscnt 0x303
	v_fma_mix_f32 v26, v37, v55, v47 op_sel_hi:[0,1,0]
	s_wait_loadcnt_dscnt 0x202
	s_delay_alu instid0(VALU_DEP_1) | instskip(SKIP_1) | instid1(VALU_DEP_1)
	v_fma_mix_f32 v26, v36, v56, v26 op_sel_hi:[0,1,0]
	s_wait_loadcnt_dscnt 0x101
	v_fma_mix_f32 v26, v35, v57, v26 op_sel_hi:[0,1,0]
	s_wait_loadcnt_dscnt 0x0
	s_delay_alu instid0(VALU_DEP_1)
	v_fma_mix_f32 v47, v34, v58, v26 op_sel_hi:[0,1,0]
.LBB435_45:                             ;   in Loop: Header=BB435_4 Depth=1
	s_or_b32 exec_lo, exec_lo, s47
	s_wait_loadcnt_dscnt 0x303
	v_fma_mix_f32 v26, v37, v51, v46 op_sel_hi:[0,1,0]
	s_wait_loadcnt_dscnt 0x202
	s_delay_alu instid0(VALU_DEP_1) | instskip(SKIP_1) | instid1(VALU_DEP_1)
	v_fma_mix_f32 v26, v36, v52, v26 op_sel_hi:[0,1,0]
	s_wait_loadcnt_dscnt 0x101
	v_fma_mix_f32 v26, v35, v53, v26 op_sel_hi:[0,1,0]
	s_wait_loadcnt_dscnt 0x0
	s_delay_alu instid0(VALU_DEP_1)
	v_fma_mix_f32 v46, v34, v54, v26 op_sel_hi:[0,1,0]
.LBB435_46:                             ;   in Loop: Header=BB435_4 Depth=1
	s_wait_alu 0xfffe
	s_or_b32 exec_lo, exec_lo, s7
	s_wait_loadcnt_dscnt 0x303
	v_fma_mix_f32 v26, v37, v38, v45 op_sel_hi:[0,1,0]
	s_wait_loadcnt_dscnt 0x202
	s_delay_alu instid0(VALU_DEP_1) | instskip(SKIP_1) | instid1(VALU_DEP_1)
	v_fma_mix_f32 v26, v36, v39, v26 op_sel_hi:[0,1,0]
	s_wait_loadcnt_dscnt 0x101
	v_fma_mix_f32 v26, v35, v49, v26 op_sel_hi:[0,1,0]
	s_wait_loadcnt_dscnt 0x0
	s_delay_alu instid0(VALU_DEP_1)
	v_fma_mix_f32 v45, v34, v50, v26 op_sel_hi:[0,1,0]
.LBB435_47:                             ;   in Loop: Header=BB435_4 Depth=1
	s_or_b32 exec_lo, exec_lo, s46
.LBB435_48:                             ;   in Loop: Header=BB435_4 Depth=1
	ds_store_2addr_stride64_b32 v0, v45, v46 offset1:1
	ds_store_2addr_stride64_b32 v0, v47, v48 offset0:2 offset1:3
	s_wait_dscnt 0x0
	s_barrier_signal -1
	s_barrier_wait -1
	global_inv scope:SCOPE_SE
                                        ; implicit-def: $vgpr30
	s_and_saveexec_b32 s7, s5
	s_cbranch_execz .LBB435_54
; %bb.49:                               ;   in Loop: Header=BB435_4 Depth=1
	ds_load_2addr_stride64_b32 v[26:27], v41 offset1:4
	ds_load_2addr_stride64_b32 v[28:29], v41 offset0:8 offset1:12
	ds_load_2addr_stride64_b32 v[30:31], v41 offset0:16 offset1:20
	s_mov_b32 s47, s8
	s_wait_dscnt 0x2
	v_add_f32_e32 v32, v26, v27
	ds_load_2addr_stride64_b32 v[26:27], v41 offset0:24 offset1:28
	s_wait_dscnt 0x2
	v_add_f32_e32 v28, v28, v32
	s_delay_alu instid0(VALU_DEP_1) | instskip(SKIP_3) | instid1(VALU_DEP_1)
	v_add_f32_e32 v32, v29, v28
	ds_load_2addr_stride64_b32 v[28:29], v41 offset0:32 offset1:36
	s_wait_dscnt 0x2
	v_add_f32_e32 v30, v30, v32
	v_add_f32_e32 v32, v31, v30
	ds_load_2addr_stride64_b32 v[30:31], v41 offset0:40 offset1:44
	s_wait_dscnt 0x2
	v_add_f32_e32 v26, v26, v32
	s_delay_alu instid0(VALU_DEP_1) | instskip(SKIP_1) | instid1(VALU_DEP_1)
	v_add_f32_e32 v26, v27, v26
	s_wait_dscnt 0x1
	v_add_f32_e32 v28, v28, v26
	ds_load_2addr_stride64_b32 v[26:27], v41 offset0:48 offset1:52
	v_add_f32_e32 v28, v29, v28
	s_wait_dscnt 0x1
	s_delay_alu instid0(VALU_DEP_1) | instskip(SKIP_3) | instid1(VALU_DEP_1)
	v_add_f32_e32 v30, v30, v28
	ds_load_2addr_stride64_b32 v[28:29], v41 offset0:56 offset1:60
	v_add_f32_e32 v30, v31, v30
	s_wait_dscnt 0x1
	v_add_f32_e32 v26, v26, v30
                                        ; implicit-def: $vgpr30
	s_delay_alu instid0(VALU_DEP_1) | instskip(SKIP_1) | instid1(VALU_DEP_1)
	v_add_f32_e32 v26, v27, v26
	s_wait_dscnt 0x0
	v_add_f32_e32 v26, v28, v26
	s_delay_alu instid0(VALU_DEP_1)
	v_add_f32_e32 v26, v29, v26
	ds_store_b32 v41, v26
	s_and_saveexec_b32 s46, s6
	s_cbranch_execz .LBB435_53
; %bb.50:                               ;   in Loop: Header=BB435_4 Depth=1
	v_mul_f32_e32 v26, v42, v26
	s_cmp_eq_f32 s45, 0
	s_cbranch_scc1 .LBB435_52
; %bb.51:                               ;   in Loop: Header=BB435_4 Depth=1
	v_lshlrev_b64_e32 v[27:28], 1, v[4:5]
	s_delay_alu instid0(VALU_DEP_1) | instskip(SKIP_1) | instid1(VALU_DEP_2)
	v_add_co_u32 v27, vcc_lo, v43, v27
	s_wait_alu 0xfffd
	v_add_co_ci_u32_e64 v28, null, v44, v28, vcc_lo
	flat_load_u16 v27, v[27:28]
	s_wait_loadcnt_dscnt 0x0
	v_fma_mix_f32 v26, s45, v27, v26 op_sel_hi:[0,1,0]
.LBB435_52:                             ;   in Loop: Header=BB435_4 Depth=1
	s_delay_alu instid0(VALU_DEP_1)
	v_cvt_f16_f32_e32 v30, v26
	s_or_b32 s47, s8, exec_lo
.LBB435_53:                             ;   in Loop: Header=BB435_4 Depth=1
	s_or_b32 exec_lo, exec_lo, s46
	s_delay_alu instid0(SALU_CYCLE_1)
	s_and_not1_b32 s8, s8, exec_lo
	s_and_b32 s45, s47, exec_lo
	s_wait_alu 0xfffe
	s_or_b32 s8, s8, s45
.LBB435_54:                             ;   in Loop: Header=BB435_4 Depth=1
	s_wait_alu 0xfffe
	s_or_b32 exec_lo, exec_lo, s7
	v_dual_mov_b32 v27, v5 :: v_dual_mov_b32 v26, v4
	s_and_saveexec_b32 s7, s8
	s_cbranch_execz .LBB435_2
.LBB435_55:                             ;   in Loop: Header=BB435_4 Depth=1
	s_delay_alu instid0(VALU_DEP_1) | instskip(NEXT) | instid1(VALU_DEP_1)
	v_lshlrev_b64_e32 v[26:27], 1, v[26:27]
	v_add_co_u32 v26, vcc_lo, v43, v26
	s_wait_alu 0xfffd
	s_delay_alu instid0(VALU_DEP_2)
	v_add_co_ci_u32_e64 v27, null, v44, v27, vcc_lo
	flat_store_b16 v[26:27], v30
	s_branch .LBB435_2
.LBB435_56:
	s_endpgm
	.section	.rodata,"a",@progbits
	.p2align	6, 0x0
	.amdhsa_kernel _ZL20rocblas_gemvn_kernelILi64ELi16ElPKDF16_PKfKPDF16_EviiT3_lPKT2_lT1_lS9_lSA_lS6_lPT4_lSA_li
		.amdhsa_group_segment_fixed_size 16384
		.amdhsa_private_segment_fixed_size 0
		.amdhsa_kernarg_size 400
		.amdhsa_user_sgpr_count 2
		.amdhsa_user_sgpr_dispatch_ptr 0
		.amdhsa_user_sgpr_queue_ptr 0
		.amdhsa_user_sgpr_kernarg_segment_ptr 1
		.amdhsa_user_sgpr_dispatch_id 0
		.amdhsa_user_sgpr_private_segment_size 0
		.amdhsa_wavefront_size32 1
		.amdhsa_uses_dynamic_stack 0
		.amdhsa_enable_private_segment 0
		.amdhsa_system_sgpr_workgroup_id_x 1
		.amdhsa_system_sgpr_workgroup_id_y 0
		.amdhsa_system_sgpr_workgroup_id_z 1
		.amdhsa_system_sgpr_workgroup_info 0
		.amdhsa_system_vgpr_workitem_id 1
		.amdhsa_next_free_vgpr 78
		.amdhsa_next_free_sgpr 51
		.amdhsa_reserve_vcc 1
		.amdhsa_float_round_mode_32 0
		.amdhsa_float_round_mode_16_64 0
		.amdhsa_float_denorm_mode_32 3
		.amdhsa_float_denorm_mode_16_64 3
		.amdhsa_fp16_overflow 0
		.amdhsa_workgroup_processor_mode 1
		.amdhsa_memory_ordered 1
		.amdhsa_forward_progress 1
		.amdhsa_inst_pref_size 31
		.amdhsa_round_robin_scheduling 0
		.amdhsa_exception_fp_ieee_invalid_op 0
		.amdhsa_exception_fp_denorm_src 0
		.amdhsa_exception_fp_ieee_div_zero 0
		.amdhsa_exception_fp_ieee_overflow 0
		.amdhsa_exception_fp_ieee_underflow 0
		.amdhsa_exception_fp_ieee_inexact 0
		.amdhsa_exception_int_div_zero 0
	.end_amdhsa_kernel
	.section	.text._ZL20rocblas_gemvn_kernelILi64ELi16ElPKDF16_PKfKPDF16_EviiT3_lPKT2_lT1_lS9_lSA_lS6_lPT4_lSA_li,"axG",@progbits,_ZL20rocblas_gemvn_kernelILi64ELi16ElPKDF16_PKfKPDF16_EviiT3_lPKT2_lT1_lS9_lSA_lS6_lPT4_lSA_li,comdat
.Lfunc_end435:
	.size	_ZL20rocblas_gemvn_kernelILi64ELi16ElPKDF16_PKfKPDF16_EviiT3_lPKT2_lT1_lS9_lSA_lS6_lPT4_lSA_li, .Lfunc_end435-_ZL20rocblas_gemvn_kernelILi64ELi16ElPKDF16_PKfKPDF16_EviiT3_lPKT2_lT1_lS9_lSA_lS6_lPT4_lSA_li
                                        ; -- End function
	.set _ZL20rocblas_gemvn_kernelILi64ELi16ElPKDF16_PKfKPDF16_EviiT3_lPKT2_lT1_lS9_lSA_lS6_lPT4_lSA_li.num_vgpr, 78
	.set _ZL20rocblas_gemvn_kernelILi64ELi16ElPKDF16_PKfKPDF16_EviiT3_lPKT2_lT1_lS9_lSA_lS6_lPT4_lSA_li.num_agpr, 0
	.set _ZL20rocblas_gemvn_kernelILi64ELi16ElPKDF16_PKfKPDF16_EviiT3_lPKT2_lT1_lS9_lSA_lS6_lPT4_lSA_li.numbered_sgpr, 51
	.set _ZL20rocblas_gemvn_kernelILi64ELi16ElPKDF16_PKfKPDF16_EviiT3_lPKT2_lT1_lS9_lSA_lS6_lPT4_lSA_li.num_named_barrier, 0
	.set _ZL20rocblas_gemvn_kernelILi64ELi16ElPKDF16_PKfKPDF16_EviiT3_lPKT2_lT1_lS9_lSA_lS6_lPT4_lSA_li.private_seg_size, 0
	.set _ZL20rocblas_gemvn_kernelILi64ELi16ElPKDF16_PKfKPDF16_EviiT3_lPKT2_lT1_lS9_lSA_lS6_lPT4_lSA_li.uses_vcc, 1
	.set _ZL20rocblas_gemvn_kernelILi64ELi16ElPKDF16_PKfKPDF16_EviiT3_lPKT2_lT1_lS9_lSA_lS6_lPT4_lSA_li.uses_flat_scratch, 1
	.set _ZL20rocblas_gemvn_kernelILi64ELi16ElPKDF16_PKfKPDF16_EviiT3_lPKT2_lT1_lS9_lSA_lS6_lPT4_lSA_li.has_dyn_sized_stack, 0
	.set _ZL20rocblas_gemvn_kernelILi64ELi16ElPKDF16_PKfKPDF16_EviiT3_lPKT2_lT1_lS9_lSA_lS6_lPT4_lSA_li.has_recursion, 0
	.set _ZL20rocblas_gemvn_kernelILi64ELi16ElPKDF16_PKfKPDF16_EviiT3_lPKT2_lT1_lS9_lSA_lS6_lPT4_lSA_li.has_indirect_call, 0
	.section	.AMDGPU.csdata,"",@progbits
; Kernel info:
; codeLenInByte = 3848
; TotalNumSgprs: 53
; NumVgprs: 78
; ScratchSize: 0
; MemoryBound: 0
; FloatMode: 240
; IeeeMode: 1
; LDSByteSize: 16384 bytes/workgroup (compile time only)
; SGPRBlocks: 0
; VGPRBlocks: 9
; NumSGPRsForWavesPerEU: 53
; NumVGPRsForWavesPerEU: 78
; Occupancy: 16
; WaveLimiterHint : 1
; COMPUTE_PGM_RSRC2:SCRATCH_EN: 0
; COMPUTE_PGM_RSRC2:USER_SGPR: 2
; COMPUTE_PGM_RSRC2:TRAP_HANDLER: 0
; COMPUTE_PGM_RSRC2:TGID_X_EN: 1
; COMPUTE_PGM_RSRC2:TGID_Y_EN: 0
; COMPUTE_PGM_RSRC2:TGID_Z_EN: 1
; COMPUTE_PGM_RSRC2:TIDIG_COMP_CNT: 1
	.section	.text._ZL20rocblas_gemvn_kernelILi64ELi16EiPKDF16_fKPDF16_EviiT3_lPKT2_lT1_lS7_lS8_lS4_lPT4_lS8_li,"axG",@progbits,_ZL20rocblas_gemvn_kernelILi64ELi16EiPKDF16_fKPDF16_EviiT3_lPKT2_lT1_lS7_lS8_lS4_lPT4_lS8_li,comdat
	.globl	_ZL20rocblas_gemvn_kernelILi64ELi16EiPKDF16_fKPDF16_EviiT3_lPKT2_lT1_lS7_lS8_lS4_lPT4_lS8_li ; -- Begin function _ZL20rocblas_gemvn_kernelILi64ELi16EiPKDF16_fKPDF16_EviiT3_lPKT2_lT1_lS7_lS8_lS4_lPT4_lS8_li
	.p2align	8
	.type	_ZL20rocblas_gemvn_kernelILi64ELi16EiPKDF16_fKPDF16_EviiT3_lPKT2_lT1_lS7_lS8_lS4_lPT4_lS8_li,@function
_ZL20rocblas_gemvn_kernelILi64ELi16EiPKDF16_fKPDF16_EviiT3_lPKT2_lT1_lS7_lS8_lS4_lPT4_lS8_li: ; @_ZL20rocblas_gemvn_kernelILi64ELi16EiPKDF16_fKPDF16_EviiT3_lPKT2_lT1_lS7_lS8_lS4_lPT4_lS8_li
; %bb.0:
	s_clause 0x1
	s_load_b64 s[2:3], s[0:1], 0x9c
	s_load_b32 s23, s[0:1], 0x88
	s_lshr_b32 s24, ttmp7, 16
	s_wait_kmcnt 0x0
	s_lshr_b32 s4, s2, 16
	s_and_b32 s2, s2, 0xffff
	s_and_b32 s3, s3, 0xffff
	s_mul_i32 s2, s4, s2
	s_delay_alu instid0(SALU_CYCLE_1) | instskip(NEXT) | instid1(SALU_CYCLE_1)
	s_mul_i32 s2, s2, s3
	s_cmp_lg_u32 s2, 0x400
	s_cselect_b32 s2, -1, 0
	s_cmp_ge_u32 s24, s23
	s_cselect_b32 s3, -1, 0
	s_delay_alu instid0(SALU_CYCLE_1) | instskip(NEXT) | instid1(SALU_CYCLE_1)
	s_or_b32 s2, s2, s3
	s_and_b32 vcc_lo, exec_lo, s2
	s_cbranch_vccnz .LBB436_59
; %bb.1:
	s_clause 0x7
	s_load_b32 s4, s[0:1], 0x78
	s_load_b96 s[20:22], s[0:1], 0x0
	s_load_b32 s27, s[0:1], 0x58
	s_load_b32 s28, s[0:1], 0x28
	s_load_b128 s[8:11], s[0:1], 0x38
	s_load_b32 s26, s[0:1], 0x48
	s_load_b128 s[12:15], s[0:1], 0x68
	s_load_b128 s[16:19], s[0:1], 0x18
	v_and_b32_e32 v9, 0x3ff, v0
	v_bfe_u32 v8, v0, 10, 10
	v_mov_b32_e32 v1, 0
	s_mov_b32 s25, 0
	s_delay_alu instid0(VALU_DEP_3) | instskip(NEXT) | instid1(VALU_DEP_3)
	v_lshlrev_b32_e32 v0, 2, v9
	v_lshl_add_u32 v2, v8, 6, v9
	v_lshlrev_b32_e32 v23, 2, v8
	s_delay_alu instid0(VALU_DEP_3)
	v_lshl_add_u32 v24, v8, 10, v0
	v_lshl_add_u32 v25, v8, 8, v0
	s_wait_kmcnt 0x0
	s_ashr_i32 s5, s4, 31
	s_cmp_eq_f32 s22, 0
	s_mov_b32 s2, s20
	v_cmp_gt_u32_e64 s0, 0x100, v2
	v_mul_lo_u32 v10, s28, v23
	s_cselect_b32 s29, -1, 0
	s_cmp_neq_f32 s27, 1.0
	v_or_b32_e32 v12, 3, v23
	v_mul_lo_u32 v13, v8, s26
	s_cselect_b32 s1, -1, 0
	s_cmp_neq_f32 s22, 0
	s_delay_alu instid0(VALU_DEP_2)
	v_mul_lo_u32 v30, s26, v12
	s_cselect_b32 s6, -1, 0
	s_lshl_b32 s30, ttmp9, 8
	s_ashr_i32 s3, s20, 31
	v_add_nc_u32_e32 v0, s30, v2
	v_or_b32_e32 v4, s30, v2
	v_add_nc_u32_e32 v27, s30, v9
	s_or_b32 s31, s6, s1
	s_cmp_neq_f32 s27, 0
	v_cmp_gt_i64_e32 vcc_lo, s[2:3], v[0:1]
	v_mad_co_u64_u32 v[2:3], null, s4, v0, 0
	v_cmp_gt_i32_e64 s2, s20, v4
	v_mul_lo_u32 v4, s4, v4
	v_add_nc_u32_e32 v6, 0x80, v27
	v_add_nc_u32_e32 v11, 0xc0, v27
	s_cselect_b32 s33, -1, 0
	s_ashr_i32 s3, s21, 31
	v_add_nc_u32_e32 v5, 64, v27
	v_cmp_gt_i32_e64 s4, s20, v6
	s_wait_alu 0xfffe
	s_lshr_b32 s3, s3, 26
	v_mad_co_u64_u32 v[6:7], null, s5, v0, v[3:4]
	v_cmp_gt_i32_e64 s5, s20, v11
	v_mul_lo_u32 v11, v8, s28
	v_add3_u32 v0, v10, s28, v9
	v_or_b32_e32 v10, 2, v23
	s_wait_alu 0xfffe
	s_add_co_i32 s34, s21, s3
	v_cndmask_b32_e64 v26, 0, 1, s6
	v_mov_b32_e32 v3, v6
	s_and_not1_b32 s34, s34, 63
	v_mad_co_u64_u32 v[6:7], null, s28, v10, v[9:10]
	v_mad_co_u64_u32 v[7:8], null, s28, v12, v[9:10]
	v_lshl_add_u32 v28, v11, 2, v9
	v_mad_co_u64_u32 v[8:9], null, s26, v23, s[26:27]
	v_mul_lo_u32 v29, s26, v10
	s_sub_co_i32 s7, s21, s34
	v_lshlrev_b64_e32 v[9:10], 1, v[2:3]
	v_cmp_gt_i32_e64 s1, s20, v27
	v_cmp_gt_i32_e64 s3, s20, v5
	;; [unrolled: 1-line block ×3, first 2 shown]
	v_ashrrev_i32_e32 v5, 31, v4
	v_lshlrev_b32_e32 v31, 2, v13
	s_wait_alu 0xfffe
	s_cmp_gt_i32 s7, 0
	s_cselect_b32 s20, -1, 0
	s_and_b32 s35, s0, vcc_lo
	s_lshl_b32 s36, s28, 6
	s_lshl_b32 s37, s26, 6
	s_lshl_b64 s[18:19], s[18:19], 1
	s_lshl_b64 s[10:11], s[10:11], 1
	s_lshl_b64 s[14:15], s[14:15], 1
	s_branch .LBB436_4
.LBB436_2:                              ;   in Loop: Header=BB436_4 Depth=1
	s_wait_alu 0xfffe
	s_or_b32 exec_lo, exec_lo, s7
.LBB436_3:                              ;   in Loop: Header=BB436_4 Depth=1
	s_add_co_i32 s24, s24, 0x10000
	s_delay_alu instid0(SALU_CYCLE_1)
	s_cmp_lt_u32 s24, s23
	s_cbranch_scc0 .LBB436_59
.LBB436_4:                              ; =>This Loop Header: Depth=1
                                        ;     Child Loop BB436_27 Depth 2
	s_and_not1_b32 vcc_lo, exec_lo, s31
	s_wait_alu 0xfffe
	s_cbranch_vccnz .LBB436_3
; %bb.5:                                ;   in Loop: Header=BB436_4 Depth=1
	s_and_not1_b32 vcc_lo, exec_lo, s29
	s_wait_alu 0xfffe
	s_cbranch_vccnz .LBB436_7
; %bb.6:                                ;   in Loop: Header=BB436_4 Depth=1
	s_mov_b32 s7, 0
	s_branch .LBB436_8
.LBB436_7:                              ;   in Loop: Header=BB436_4 Depth=1
	s_mov_b32 s7, -1
.LBB436_8:                              ;   in Loop: Header=BB436_4 Depth=1
	v_mov_b32_e32 v13, 0
	v_dual_mov_b32 v14, 0 :: v_dual_mov_b32 v11, 0
	v_mov_b32_e32 v12, 0
	s_wait_alu 0xfffe
	s_and_not1_b32 vcc_lo, exec_lo, s7
	s_wait_alu 0xfffe
	s_cbranch_vccnz .LBB436_10
; %bb.9:                                ;   in Loop: Header=BB436_4 Depth=1
	s_lshl_b64 s[38:39], s[24:25], 3
	s_delay_alu instid0(SALU_CYCLE_1)
	s_add_nc_u64 s[38:39], s[16:17], s[38:39]
	global_load_b64 v[11:12], v1, s[38:39]
	s_wait_loadcnt 0x0
	v_add_co_u32 v11, vcc_lo, v11, s18
	s_wait_alu 0xfffd
	v_add_co_ci_u32_e64 v12, null, s19, v12, vcc_lo
.LBB436_10:                             ;   in Loop: Header=BB436_4 Depth=1
	v_cmp_ne_u32_e32 vcc_lo, 1, v26
	s_cbranch_vccnz .LBB436_12
; %bb.11:                               ;   in Loop: Header=BB436_4 Depth=1
	s_lshl_b64 s[38:39], s[24:25], 3
	s_delay_alu instid0(SALU_CYCLE_1)
	s_add_nc_u64 s[38:39], s[8:9], s[38:39]
	global_load_b64 v[13:14], v1, s[38:39]
	s_wait_loadcnt 0x0
	v_add_co_u32 v13, vcc_lo, v13, s10
	s_wait_alu 0xfffd
	v_add_co_ci_u32_e64 v14, null, s11, v14, vcc_lo
.LBB436_12:                             ;   in Loop: Header=BB436_4 Depth=1
	s_lshl_b64 s[38:39], s[24:25], 3
	s_delay_alu instid0(SALU_CYCLE_1)
	s_add_nc_u64 s[38:39], s[12:13], s[38:39]
	global_load_b64 v[15:16], v1, s[38:39]
	s_wait_loadcnt 0x0
	v_add_co_u32 v32, vcc_lo, v15, s14
	s_wait_alu 0xfffd
	v_add_co_ci_u32_e64 v33, null, s15, v16, vcc_lo
	s_and_not1_b32 vcc_lo, exec_lo, s29
	s_wait_alu 0xfffe
	s_cbranch_vccnz .LBB436_16
; %bb.13:                               ;   in Loop: Header=BB436_4 Depth=1
	s_mov_b32 s7, 0
	s_mov_b32 s38, 0
                                        ; implicit-def: $vgpr15
	s_and_saveexec_b32 s39, s35
	s_cbranch_execz .LBB436_17
; %bb.14:                               ;   in Loop: Header=BB436_4 Depth=1
	s_and_not1_b32 vcc_lo, exec_lo, s33
	s_wait_alu 0xfffe
	s_cbranch_vccnz .LBB436_19
; %bb.15:                               ;   in Loop: Header=BB436_4 Depth=1
	v_add_co_u32 v15, vcc_lo, v32, v9
	s_wait_alu 0xfffd
	v_add_co_ci_u32_e64 v16, null, v33, v10, vcc_lo
	flat_load_u16 v15, v[15:16]
	s_wait_loadcnt_dscnt 0x0
	v_fma_mixlo_f16 v15, s27, v15, 0 op_sel_hi:[0,1,0]
	s_branch .LBB436_20
.LBB436_16:                             ;   in Loop: Header=BB436_4 Depth=1
	s_mov_b32 s38, 0
                                        ; implicit-def: $vgpr15
	s_cbranch_execz .LBB436_18
	s_branch .LBB436_21
.LBB436_17:                             ;   in Loop: Header=BB436_4 Depth=1
	s_or_b32 exec_lo, exec_lo, s39
	s_wait_alu 0xfffe
	s_and_b32 vcc_lo, exec_lo, s7
	s_wait_alu 0xfffe
	s_cbranch_vccnz .LBB436_21
.LBB436_18:                             ;   in Loop: Header=BB436_4 Depth=1
	v_dual_mov_b32 v12, v3 :: v_dual_mov_b32 v11, v2
	s_and_saveexec_b32 s7, s38
	s_cbranch_execz .LBB436_2
	s_branch .LBB436_58
.LBB436_19:                             ;   in Loop: Header=BB436_4 Depth=1
	v_mov_b32_e32 v15, 0
.LBB436_20:                             ;   in Loop: Header=BB436_4 Depth=1
	s_mov_b32 s38, exec_lo
	s_or_b32 exec_lo, exec_lo, s39
	s_delay_alu instid0(SALU_CYCLE_1)
	s_and_b32 vcc_lo, exec_lo, s7
	s_wait_alu 0xfffe
	s_cbranch_vccz .LBB436_18
.LBB436_21:                             ;   in Loop: Header=BB436_4 Depth=1
	v_dual_mov_b32 v34, 0 :: v_dual_mov_b32 v35, 0
	v_dual_mov_b32 v38, v23 :: v_dual_mov_b32 v37, 0
	v_mov_b32_e32 v36, 0
	s_and_saveexec_b32 s7, s6
	s_cbranch_execz .LBB436_33
; %bb.22:                               ;   in Loop: Header=BB436_4 Depth=1
	v_dual_mov_b32 v34, 0 :: v_dual_mov_b32 v39, v28
	v_dual_mov_b32 v40, v7 :: v_dual_mov_b32 v41, v6
	;; [unrolled: 1-line block ×4, first 2 shown]
	v_mov_b32_e32 v36, 0
	s_mov_b32 s39, 0
	s_mov_b32 s40, 0
	s_branch .LBB436_27
.LBB436_23:                             ;   in Loop: Header=BB436_27 Depth=2
	s_or_b32 exec_lo, exec_lo, s44
	s_wait_loadcnt_dscnt 0x303
	v_fma_mix_f32 v15, v55, v59, v36 op_sel_hi:[0,1,0]
	s_wait_loadcnt_dscnt 0x202
	s_delay_alu instid0(VALU_DEP_1) | instskip(SKIP_1) | instid1(VALU_DEP_1)
	v_fma_mix_f32 v15, v56, v60, v15 op_sel_hi:[0,1,0]
	s_wait_loadcnt_dscnt 0x101
	v_fma_mix_f32 v15, v57, v61, v15 op_sel_hi:[0,1,0]
	s_wait_loadcnt_dscnt 0x0
	s_delay_alu instid0(VALU_DEP_1)
	v_fma_mix_f32 v36, v58, v62, v15 op_sel_hi:[0,1,0]
.LBB436_24:                             ;   in Loop: Header=BB436_27 Depth=2
	s_or_b32 exec_lo, exec_lo, s43
	s_wait_loadcnt_dscnt 0x303
	v_fma_mix_f32 v15, v55, v51, v35 op_sel_hi:[0,1,0]
	s_wait_loadcnt_dscnt 0x202
	s_delay_alu instid0(VALU_DEP_1) | instskip(SKIP_1) | instid1(VALU_DEP_1)
	v_fma_mix_f32 v15, v56, v52, v15 op_sel_hi:[0,1,0]
	s_wait_loadcnt_dscnt 0x101
	v_fma_mix_f32 v15, v57, v53, v15 op_sel_hi:[0,1,0]
	s_wait_loadcnt_dscnt 0x0
	s_delay_alu instid0(VALU_DEP_1)
	v_fma_mix_f32 v35, v58, v54, v15 op_sel_hi:[0,1,0]
.LBB436_25:                             ;   in Loop: Header=BB436_27 Depth=2
	s_or_b32 exec_lo, exec_lo, s42
	s_wait_loadcnt_dscnt 0x303
	v_fma_mix_f32 v15, v43, v47, v34 op_sel_hi:[1,1,0]
	s_wait_loadcnt_dscnt 0x202
	s_delay_alu instid0(VALU_DEP_1) | instskip(SKIP_1) | instid1(VALU_DEP_1)
	v_fma_mix_f32 v15, v44, v48, v15 op_sel_hi:[1,1,0]
	s_wait_loadcnt_dscnt 0x101
	v_fma_mix_f32 v15, v45, v49, v15 op_sel_hi:[1,1,0]
	s_wait_loadcnt_dscnt 0x0
	s_delay_alu instid0(VALU_DEP_1)
	v_fma_mix_f32 v34, v46, v50, v15 op_sel_hi:[1,1,0]
.LBB436_26:                             ;   in Loop: Header=BB436_27 Depth=2
	s_wait_alu 0xfffe
	s_or_b32 exec_lo, exec_lo, s41
	v_add_nc_u32_e32 v38, 64, v38
	v_add_nc_u32_e32 v42, s36, v42
	;; [unrolled: 1-line block ×5, first 2 shown]
	v_cmp_le_i32_e32 vcc_lo, s34, v38
	s_add_co_i32 s40, s40, s37
	s_or_b32 s39, vcc_lo, s39
	s_delay_alu instid0(SALU_CYCLE_1)
	s_and_not1_b32 exec_lo, exec_lo, s39
	s_cbranch_execz .LBB436_32
.LBB436_27:                             ;   Parent Loop BB436_4 Depth=1
                                        ; =>  This Inner Loop Header: Depth=2
	s_and_saveexec_b32 s41, s1
	s_cbranch_execz .LBB436_26
; %bb.28:                               ;   in Loop: Header=BB436_27 Depth=2
	s_wait_alu 0xfffe
	v_add_nc_u32_e32 v15, s40, v31
	v_add_nc_u32_e32 v17, s40, v8
	;; [unrolled: 1-line block ×5, first 2 shown]
	v_ashrrev_i32_e32 v16, 31, v15
	v_ashrrev_i32_e32 v18, 31, v17
	;; [unrolled: 1-line block ×5, first 2 shown]
	v_lshlrev_b64_e32 v[15:16], 1, v[15:16]
	v_lshlrev_b64_e32 v[17:18], 1, v[17:18]
	;; [unrolled: 1-line block ×3, first 2 shown]
	s_delay_alu instid0(VALU_DEP_3) | instskip(SKIP_1) | instid1(VALU_DEP_4)
	v_add_co_u32 v45, vcc_lo, v13, v15
	s_wait_alu 0xfffd
	v_add_co_ci_u32_e64 v46, null, v14, v16, vcc_lo
	s_delay_alu instid0(VALU_DEP_4)
	v_add_co_u32 v47, vcc_lo, v13, v17
	v_add_nc_u32_e32 v17, s30, v42
	s_wait_alu 0xfffd
	v_add_co_ci_u32_e64 v48, null, v14, v18, vcc_lo
	v_lshlrev_b64_e32 v[15:16], 1, v[21:22]
	v_add_co_u32 v49, vcc_lo, v13, v19
	v_add_nc_u32_e32 v21, s30, v41
	s_wait_alu 0xfffd
	v_add_co_ci_u32_e64 v50, null, v14, v20, vcc_lo
	v_lshlrev_b64_e32 v[19:20], 1, v[43:44]
	v_add_nc_u32_e32 v43, s30, v40
	v_ashrrev_i32_e32 v18, 31, v17
	v_ashrrev_i32_e32 v22, 31, v21
	v_add_co_u32 v51, vcc_lo, v13, v15
	s_delay_alu instid0(VALU_DEP_4)
	v_ashrrev_i32_e32 v44, 31, v43
	s_wait_alu 0xfffd
	v_add_co_ci_u32_e64 v52, null, v14, v16, vcc_lo
	v_lshlrev_b64_e32 v[17:18], 1, v[17:18]
	v_add_co_u32 v15, vcc_lo, v11, v19
	s_wait_alu 0xfffd
	v_add_co_ci_u32_e64 v16, null, v12, v20, vcc_lo
	v_lshlrev_b64_e32 v[19:20], 1, v[21:22]
	v_lshlrev_b64_e32 v[21:22], 1, v[43:44]
	v_add_co_u32 v17, vcc_lo, v11, v17
	s_wait_alu 0xfffd
	v_add_co_ci_u32_e64 v18, null, v12, v18, vcc_lo
	s_delay_alu instid0(VALU_DEP_4)
	v_add_co_u32 v19, vcc_lo, v11, v19
	s_wait_alu 0xfffd
	v_add_co_ci_u32_e64 v20, null, v12, v20, vcc_lo
	v_add_co_u32 v21, vcc_lo, v11, v21
	s_wait_alu 0xfffd
	v_add_co_ci_u32_e64 v22, null, v12, v22, vcc_lo
	s_clause 0x3
	flat_load_u16 v43, v[45:46]
	flat_load_u16 v44, v[47:48]
	;; [unrolled: 1-line block ×4, first 2 shown]
	s_clause 0x3
	flat_load_u16 v47, v[15:16]
	flat_load_u16 v48, v[17:18]
	;; [unrolled: 1-line block ×4, first 2 shown]
	s_and_saveexec_b32 s42, s3
	s_cbranch_execz .LBB436_25
; %bb.29:                               ;   in Loop: Header=BB436_27 Depth=2
	s_clause 0x3
	flat_load_u16 v51, v[15:16] offset:128
	flat_load_u16 v52, v[17:18] offset:128
	;; [unrolled: 1-line block ×4, first 2 shown]
	s_wait_loadcnt_dscnt 0xb0b
	v_cvt_f32_f16_e32 v55, v43
	s_wait_loadcnt_dscnt 0xa0a
	v_cvt_f32_f16_e32 v56, v44
	;; [unrolled: 2-line block ×4, first 2 shown]
	s_and_saveexec_b32 s43, s4
	s_cbranch_execz .LBB436_24
; %bb.30:                               ;   in Loop: Header=BB436_27 Depth=2
	s_clause 0x3
	flat_load_u16 v59, v[15:16] offset:256
	flat_load_u16 v60, v[17:18] offset:256
	;; [unrolled: 1-line block ×4, first 2 shown]
	s_and_saveexec_b32 s44, s5
	s_cbranch_execz .LBB436_23
; %bb.31:                               ;   in Loop: Header=BB436_27 Depth=2
	s_clause 0x3
	flat_load_u16 v15, v[15:16] offset:384
	flat_load_u16 v16, v[17:18] offset:384
	;; [unrolled: 1-line block ×4, first 2 shown]
	s_wait_loadcnt_dscnt 0x303
	v_fma_mix_f32 v15, v55, v15, v37 op_sel_hi:[0,1,0]
	s_wait_loadcnt_dscnt 0x202
	s_delay_alu instid0(VALU_DEP_1) | instskip(SKIP_1) | instid1(VALU_DEP_1)
	v_fma_mix_f32 v15, v56, v16, v15 op_sel_hi:[0,1,0]
	s_wait_loadcnt_dscnt 0x101
	v_fma_mix_f32 v15, v57, v17, v15 op_sel_hi:[0,1,0]
	s_wait_loadcnt_dscnt 0x0
	s_delay_alu instid0(VALU_DEP_1)
	v_fma_mix_f32 v37, v58, v18, v15 op_sel_hi:[0,1,0]
	s_branch .LBB436_23
.LBB436_32:                             ;   in Loop: Header=BB436_4 Depth=1
	s_or_b32 exec_lo, exec_lo, s39
.LBB436_33:                             ;   in Loop: Header=BB436_4 Depth=1
	s_wait_alu 0xfffe
	s_or_b32 exec_lo, exec_lo, s7
	s_delay_alu instid0(SALU_CYCLE_1)
	s_and_not1_b32 vcc_lo, exec_lo, s20
	s_wait_alu 0xfffe
	s_cbranch_vccnz .LBB436_51
; %bb.34:                               ;   in Loop: Header=BB436_4 Depth=1
	v_cmp_gt_i32_e32 vcc_lo, s21, v38
	v_dual_mov_b32 v19, 0 :: v_dual_mov_b32 v20, 0
	v_or_b32_e32 v15, 1, v38
	v_dual_mov_b32 v21, 0 :: v_dual_mov_b32 v22, 0
	s_and_saveexec_b32 s39, vcc_lo
	s_cbranch_execz .LBB436_42
; %bb.35:                               ;   in Loop: Header=BB436_4 Depth=1
	v_mul_lo_u32 v16, v38, s26
	v_dual_mov_b32 v21, 0 :: v_dual_mov_b32 v20, 0
	v_mov_b32_e32 v19, 0
	s_mov_b32 s40, exec_lo
	s_delay_alu instid0(VALU_DEP_3) | instskip(NEXT) | instid1(VALU_DEP_1)
	v_ashrrev_i32_e32 v17, 31, v16
	v_lshlrev_b64_e32 v[16:17], 1, v[16:17]
	s_delay_alu instid0(VALU_DEP_1) | instskip(SKIP_1) | instid1(VALU_DEP_2)
	v_add_co_u32 v16, s7, v13, v16
	s_wait_alu 0xf1ff
	v_add_co_ci_u32_e64 v17, null, v14, v17, s7
	flat_load_u16 v16, v[16:17]
	v_cmpx_gt_i32_e64 s21, v15
	s_cbranch_execz .LBB436_41
; %bb.36:                               ;   in Loop: Header=BB436_4 Depth=1
	v_mul_lo_u32 v17, v15, s26
	v_dual_mov_b32 v20, 0 :: v_dual_mov_b32 v19, 0
	s_mov_b32 s41, exec_lo
	s_delay_alu instid0(VALU_DEP_2) | instskip(NEXT) | instid1(VALU_DEP_1)
	v_ashrrev_i32_e32 v18, 31, v17
	v_lshlrev_b64_e32 v[17:18], 1, v[17:18]
	s_delay_alu instid0(VALU_DEP_1) | instskip(SKIP_1) | instid1(VALU_DEP_2)
	v_add_co_u32 v17, s7, v13, v17
	s_wait_alu 0xf1ff
	v_add_co_ci_u32_e64 v18, null, v14, v18, s7
	flat_load_u16 v17, v[17:18]
	v_or_b32_e32 v18, 2, v38
	s_delay_alu instid0(VALU_DEP_1)
	v_cmpx_gt_i32_e64 s21, v18
	s_cbranch_execz .LBB436_40
; %bb.37:                               ;   in Loop: Header=BB436_4 Depth=1
	v_mul_lo_u32 v18, v18, s26
	v_or_b32_e32 v20, 3, v38
	s_mov_b32 s42, exec_lo
	s_delay_alu instid0(VALU_DEP_2) | instskip(NEXT) | instid1(VALU_DEP_1)
	v_ashrrev_i32_e32 v19, 31, v18
	v_lshlrev_b64_e32 v[18:19], 1, v[18:19]
	s_delay_alu instid0(VALU_DEP_1) | instskip(SKIP_1) | instid1(VALU_DEP_2)
	v_add_co_u32 v18, s7, v13, v18
	s_wait_alu 0xf1ff
	v_add_co_ci_u32_e64 v19, null, v14, v19, s7
	flat_load_u16 v18, v[18:19]
	v_mov_b32_e32 v19, 0
	v_cmpx_gt_i32_e64 s21, v20
	s_cbranch_execz .LBB436_39
; %bb.38:                               ;   in Loop: Header=BB436_4 Depth=1
	v_mul_lo_u32 v19, v20, s26
	s_delay_alu instid0(VALU_DEP_1) | instskip(NEXT) | instid1(VALU_DEP_1)
	v_ashrrev_i32_e32 v20, 31, v19
	v_lshlrev_b64_e32 v[19:20], 1, v[19:20]
	s_delay_alu instid0(VALU_DEP_1) | instskip(SKIP_1) | instid1(VALU_DEP_2)
	v_add_co_u32 v13, s7, v13, v19
	s_wait_alu 0xf1ff
	v_add_co_ci_u32_e64 v14, null, v14, v20, s7
	flat_load_u16 v13, v[13:14]
	s_wait_loadcnt_dscnt 0x0
	v_cvt_f32_f16_e32 v19, v13
.LBB436_39:                             ;   in Loop: Header=BB436_4 Depth=1
	s_or_b32 exec_lo, exec_lo, s42
	s_wait_loadcnt_dscnt 0x0
	v_cvt_f32_f16_e32 v20, v18
.LBB436_40:                             ;   in Loop: Header=BB436_4 Depth=1
	s_wait_alu 0xfffe
	s_or_b32 exec_lo, exec_lo, s41
	s_wait_loadcnt_dscnt 0x0
	v_cvt_f32_f16_e32 v21, v17
.LBB436_41:                             ;   in Loop: Header=BB436_4 Depth=1
	s_wait_alu 0xfffe
	s_or_b32 exec_lo, exec_lo, s40
	s_wait_loadcnt_dscnt 0x0
	v_cvt_f32_f16_e32 v22, v16
.LBB436_42:                             ;   in Loop: Header=BB436_4 Depth=1
	s_or_b32 exec_lo, exec_lo, s39
	s_and_saveexec_b32 s7, s1
	s_cbranch_execz .LBB436_50
; %bb.43:                               ;   in Loop: Header=BB436_4 Depth=1
	v_mul_lo_u32 v14, v38, s28
	v_or_b32_e32 v13, 2, v38
	v_mul_lo_u32 v17, v15, s28
	v_or_b32_e32 v16, 3, v38
	s_delay_alu instid0(VALU_DEP_3) | instskip(NEXT) | instid1(VALU_DEP_2)
	v_mul_lo_u32 v18, v13, s28
	v_mul_lo_u32 v38, v16, s28
	v_cndmask_b32_e32 v14, 0, v14, vcc_lo
	v_cmp_gt_i32_e32 vcc_lo, s21, v15
	s_wait_alu 0xfffd
	v_cndmask_b32_e32 v15, 0, v17, vcc_lo
	v_cmp_gt_i32_e32 vcc_lo, s21, v13
	v_add_nc_u32_e32 v13, v14, v27
	s_delay_alu instid0(VALU_DEP_3)
	v_add_nc_u32_e32 v15, v15, v27
	s_wait_alu 0xfffd
	v_cndmask_b32_e32 v17, 0, v18, vcc_lo
	v_cmp_gt_i32_e32 vcc_lo, s21, v16
	v_ashrrev_i32_e32 v14, 31, v13
	s_wait_alu 0xfffd
	v_cndmask_b32_e32 v16, 0, v38, vcc_lo
	s_delay_alu instid0(VALU_DEP_2) | instskip(NEXT) | instid1(VALU_DEP_2)
	v_lshlrev_b64_e32 v[13:14], 1, v[13:14]
	v_add_nc_u32_e32 v38, v16, v27
	v_add_nc_u32_e32 v17, v17, v27
	v_ashrrev_i32_e32 v16, 31, v15
	s_delay_alu instid0(VALU_DEP_4) | instskip(NEXT) | instid1(VALU_DEP_4)
	v_add_co_u32 v13, vcc_lo, v11, v13
	v_ashrrev_i32_e32 v39, 31, v38
	s_delay_alu instid0(VALU_DEP_4) | instskip(NEXT) | instid1(VALU_DEP_4)
	v_ashrrev_i32_e32 v18, 31, v17
	v_lshlrev_b64_e32 v[15:16], 1, v[15:16]
	s_wait_alu 0xfffd
	v_add_co_ci_u32_e64 v14, null, v12, v14, vcc_lo
	v_lshlrev_b64_e32 v[38:39], 1, v[38:39]
	v_lshlrev_b64_e32 v[17:18], 1, v[17:18]
	s_delay_alu instid0(VALU_DEP_4) | instskip(SKIP_2) | instid1(VALU_DEP_3)
	v_add_co_u32 v15, vcc_lo, v11, v15
	s_wait_alu 0xfffd
	v_add_co_ci_u32_e64 v16, null, v12, v16, vcc_lo
	v_add_co_u32 v17, vcc_lo, v11, v17
	s_wait_alu 0xfffd
	v_add_co_ci_u32_e64 v18, null, v12, v18, vcc_lo
	;; [unrolled: 3-line block ×3, first 2 shown]
	s_clause 0x3
	flat_load_u16 v38, v[13:14]
	flat_load_u16 v39, v[15:16]
	;; [unrolled: 1-line block ×4, first 2 shown]
	s_and_saveexec_b32 s39, s3
	s_cbranch_execz .LBB436_49
; %bb.44:                               ;   in Loop: Header=BB436_4 Depth=1
	s_clause 0x3
	flat_load_u16 v42, v[13:14] offset:128
	flat_load_u16 v43, v[15:16] offset:128
	flat_load_u16 v44, v[17:18] offset:128
	flat_load_u16 v45, v[11:12] offset:128
	s_and_saveexec_b32 s40, s4
	s_cbranch_execz .LBB436_48
; %bb.45:                               ;   in Loop: Header=BB436_4 Depth=1
	s_clause 0x3
	flat_load_u16 v46, v[13:14] offset:256
	flat_load_u16 v47, v[15:16] offset:256
	flat_load_u16 v48, v[17:18] offset:256
	flat_load_u16 v49, v[11:12] offset:256
	;; [unrolled: 8-line block ×3, first 2 shown]
	s_wait_loadcnt_dscnt 0x303
	v_fma_mix_f32 v12, v22, v13, v37 op_sel_hi:[0,1,0]
	s_wait_loadcnt_dscnt 0x202
	s_delay_alu instid0(VALU_DEP_1) | instskip(SKIP_1) | instid1(VALU_DEP_1)
	v_fma_mix_f32 v12, v21, v14, v12 op_sel_hi:[0,1,0]
	s_wait_loadcnt_dscnt 0x101
	v_fma_mix_f32 v12, v20, v15, v12 op_sel_hi:[0,1,0]
	s_wait_loadcnt_dscnt 0x0
	s_delay_alu instid0(VALU_DEP_1)
	v_fma_mix_f32 v37, v19, v11, v12 op_sel_hi:[0,1,0]
.LBB436_47:                             ;   in Loop: Header=BB436_4 Depth=1
	s_wait_alu 0xfffe
	s_or_b32 exec_lo, exec_lo, s41
	s_wait_loadcnt_dscnt 0x303
	v_fma_mix_f32 v11, v22, v46, v36 op_sel_hi:[0,1,0]
	s_wait_loadcnt_dscnt 0x202
	s_delay_alu instid0(VALU_DEP_1) | instskip(SKIP_1) | instid1(VALU_DEP_1)
	v_fma_mix_f32 v11, v21, v47, v11 op_sel_hi:[0,1,0]
	s_wait_loadcnt_dscnt 0x101
	v_fma_mix_f32 v11, v20, v48, v11 op_sel_hi:[0,1,0]
	s_wait_loadcnt_dscnt 0x0
	s_delay_alu instid0(VALU_DEP_1)
	v_fma_mix_f32 v36, v19, v49, v11 op_sel_hi:[0,1,0]
.LBB436_48:                             ;   in Loop: Header=BB436_4 Depth=1
	s_wait_alu 0xfffe
	s_or_b32 exec_lo, exec_lo, s40
	s_wait_loadcnt_dscnt 0x303
	v_fma_mix_f32 v11, v22, v42, v35 op_sel_hi:[0,1,0]
	s_wait_loadcnt_dscnt 0x202
	s_delay_alu instid0(VALU_DEP_1) | instskip(SKIP_1) | instid1(VALU_DEP_1)
	v_fma_mix_f32 v11, v21, v43, v11 op_sel_hi:[0,1,0]
	s_wait_loadcnt_dscnt 0x101
	v_fma_mix_f32 v11, v20, v44, v11 op_sel_hi:[0,1,0]
	s_wait_loadcnt_dscnt 0x0
	s_delay_alu instid0(VALU_DEP_1)
	v_fma_mix_f32 v35, v19, v45, v11 op_sel_hi:[0,1,0]
.LBB436_49:                             ;   in Loop: Header=BB436_4 Depth=1
	s_or_b32 exec_lo, exec_lo, s39
	s_wait_loadcnt_dscnt 0x303
	v_fma_mix_f32 v11, v22, v38, v34 op_sel_hi:[0,1,0]
	s_wait_loadcnt_dscnt 0x202
	s_delay_alu instid0(VALU_DEP_1) | instskip(SKIP_1) | instid1(VALU_DEP_1)
	v_fma_mix_f32 v11, v21, v39, v11 op_sel_hi:[0,1,0]
	s_wait_loadcnt_dscnt 0x101
	v_fma_mix_f32 v11, v20, v40, v11 op_sel_hi:[0,1,0]
	s_wait_loadcnt_dscnt 0x0
	s_delay_alu instid0(VALU_DEP_1)
	v_fma_mix_f32 v34, v19, v41, v11 op_sel_hi:[0,1,0]
.LBB436_50:                             ;   in Loop: Header=BB436_4 Depth=1
	s_wait_alu 0xfffe
	s_or_b32 exec_lo, exec_lo, s7
.LBB436_51:                             ;   in Loop: Header=BB436_4 Depth=1
	ds_store_2addr_stride64_b32 v24, v34, v35 offset1:1
	ds_store_2addr_stride64_b32 v24, v36, v37 offset0:2 offset1:3
	s_wait_dscnt 0x0
	s_barrier_signal -1
	s_barrier_wait -1
	global_inv scope:SCOPE_SE
                                        ; implicit-def: $vgpr15
	s_and_saveexec_b32 s7, s0
	s_cbranch_execz .LBB436_57
; %bb.52:                               ;   in Loop: Header=BB436_4 Depth=1
	ds_load_2addr_stride64_b32 v[11:12], v25 offset1:4
	ds_load_2addr_stride64_b32 v[13:14], v25 offset0:8 offset1:12
	ds_load_2addr_stride64_b32 v[15:16], v25 offset0:16 offset1:20
	s_mov_b32 s40, s38
	s_wait_dscnt 0x2
	v_add_f32_e32 v17, v11, v12
	ds_load_2addr_stride64_b32 v[11:12], v25 offset0:24 offset1:28
	s_wait_dscnt 0x2
	v_add_f32_e32 v13, v13, v17
	s_delay_alu instid0(VALU_DEP_1) | instskip(SKIP_3) | instid1(VALU_DEP_1)
	v_add_f32_e32 v17, v14, v13
	ds_load_2addr_stride64_b32 v[13:14], v25 offset0:32 offset1:36
	s_wait_dscnt 0x2
	v_add_f32_e32 v15, v15, v17
	v_add_f32_e32 v17, v16, v15
	ds_load_2addr_stride64_b32 v[15:16], v25 offset0:40 offset1:44
	s_wait_dscnt 0x2
	v_add_f32_e32 v11, v11, v17
	s_delay_alu instid0(VALU_DEP_1) | instskip(SKIP_1) | instid1(VALU_DEP_1)
	v_add_f32_e32 v11, v12, v11
	s_wait_dscnt 0x1
	v_add_f32_e32 v13, v13, v11
	ds_load_2addr_stride64_b32 v[11:12], v25 offset0:48 offset1:52
	v_add_f32_e32 v13, v14, v13
	s_wait_dscnt 0x1
	s_delay_alu instid0(VALU_DEP_1) | instskip(SKIP_3) | instid1(VALU_DEP_1)
	v_add_f32_e32 v15, v15, v13
	ds_load_2addr_stride64_b32 v[13:14], v25 offset0:56 offset1:60
	v_add_f32_e32 v15, v16, v15
	s_wait_dscnt 0x1
	v_add_f32_e32 v11, v11, v15
                                        ; implicit-def: $vgpr15
	s_delay_alu instid0(VALU_DEP_1) | instskip(SKIP_1) | instid1(VALU_DEP_1)
	v_add_f32_e32 v11, v12, v11
	s_wait_dscnt 0x0
	v_add_f32_e32 v11, v13, v11
	s_delay_alu instid0(VALU_DEP_1)
	v_add_f32_e32 v11, v14, v11
	ds_store_b32 v25, v11
	s_and_saveexec_b32 s39, s2
	s_cbranch_execz .LBB436_56
; %bb.53:                               ;   in Loop: Header=BB436_4 Depth=1
	v_mul_f32_e32 v11, s22, v11
	s_and_not1_b32 vcc_lo, exec_lo, s33
	s_wait_alu 0xfffe
	s_cbranch_vccnz .LBB436_55
; %bb.54:                               ;   in Loop: Header=BB436_4 Depth=1
	v_lshlrev_b64_e32 v[12:13], 1, v[4:5]
	s_delay_alu instid0(VALU_DEP_1) | instskip(SKIP_1) | instid1(VALU_DEP_2)
	v_add_co_u32 v12, vcc_lo, v32, v12
	s_wait_alu 0xfffd
	v_add_co_ci_u32_e64 v13, null, v33, v13, vcc_lo
	flat_load_u16 v12, v[12:13]
	s_wait_loadcnt_dscnt 0x0
	v_fma_mix_f32 v11, s27, v12, v11 op_sel_hi:[0,1,0]
.LBB436_55:                             ;   in Loop: Header=BB436_4 Depth=1
	s_delay_alu instid0(VALU_DEP_1)
	v_cvt_f16_f32_e32 v15, v11
	s_or_b32 s40, s38, exec_lo
.LBB436_56:                             ;   in Loop: Header=BB436_4 Depth=1
	s_or_b32 exec_lo, exec_lo, s39
	s_delay_alu instid0(SALU_CYCLE_1) | instskip(SKIP_2) | instid1(SALU_CYCLE_1)
	s_and_not1_b32 s38, s38, exec_lo
	s_wait_alu 0xfffe
	s_and_b32 s39, s40, exec_lo
	s_or_b32 s38, s38, s39
.LBB436_57:                             ;   in Loop: Header=BB436_4 Depth=1
	s_wait_alu 0xfffe
	s_or_b32 exec_lo, exec_lo, s7
	v_dual_mov_b32 v12, v5 :: v_dual_mov_b32 v11, v4
	s_and_saveexec_b32 s7, s38
	s_cbranch_execz .LBB436_2
.LBB436_58:                             ;   in Loop: Header=BB436_4 Depth=1
	s_delay_alu instid0(VALU_DEP_1) | instskip(NEXT) | instid1(VALU_DEP_1)
	v_lshlrev_b64_e32 v[11:12], 1, v[11:12]
	v_add_co_u32 v11, vcc_lo, v32, v11
	s_wait_alu 0xfffd
	s_delay_alu instid0(VALU_DEP_2)
	v_add_co_ci_u32_e64 v12, null, v33, v12, vcc_lo
	flat_store_b16 v[11:12], v15
	s_branch .LBB436_2
.LBB436_59:
	s_endpgm
	.section	.rodata,"a",@progbits
	.p2align	6, 0x0
	.amdhsa_kernel _ZL20rocblas_gemvn_kernelILi64ELi16EiPKDF16_fKPDF16_EviiT3_lPKT2_lT1_lS7_lS8_lS4_lPT4_lS8_li
		.amdhsa_group_segment_fixed_size 16384
		.amdhsa_private_segment_fixed_size 0
		.amdhsa_kernarg_size 400
		.amdhsa_user_sgpr_count 2
		.amdhsa_user_sgpr_dispatch_ptr 0
		.amdhsa_user_sgpr_queue_ptr 0
		.amdhsa_user_sgpr_kernarg_segment_ptr 1
		.amdhsa_user_sgpr_dispatch_id 0
		.amdhsa_user_sgpr_private_segment_size 0
		.amdhsa_wavefront_size32 1
		.amdhsa_uses_dynamic_stack 0
		.amdhsa_enable_private_segment 0
		.amdhsa_system_sgpr_workgroup_id_x 1
		.amdhsa_system_sgpr_workgroup_id_y 0
		.amdhsa_system_sgpr_workgroup_id_z 1
		.amdhsa_system_sgpr_workgroup_info 0
		.amdhsa_system_vgpr_workitem_id 1
		.amdhsa_next_free_vgpr 63
		.amdhsa_next_free_sgpr 45
		.amdhsa_reserve_vcc 1
		.amdhsa_float_round_mode_32 0
		.amdhsa_float_round_mode_16_64 0
		.amdhsa_float_denorm_mode_32 3
		.amdhsa_float_denorm_mode_16_64 3
		.amdhsa_fp16_overflow 0
		.amdhsa_workgroup_processor_mode 1
		.amdhsa_memory_ordered 1
		.amdhsa_forward_progress 1
		.amdhsa_inst_pref_size 28
		.amdhsa_round_robin_scheduling 0
		.amdhsa_exception_fp_ieee_invalid_op 0
		.amdhsa_exception_fp_denorm_src 0
		.amdhsa_exception_fp_ieee_div_zero 0
		.amdhsa_exception_fp_ieee_overflow 0
		.amdhsa_exception_fp_ieee_underflow 0
		.amdhsa_exception_fp_ieee_inexact 0
		.amdhsa_exception_int_div_zero 0
	.end_amdhsa_kernel
	.section	.text._ZL20rocblas_gemvn_kernelILi64ELi16EiPKDF16_fKPDF16_EviiT3_lPKT2_lT1_lS7_lS8_lS4_lPT4_lS8_li,"axG",@progbits,_ZL20rocblas_gemvn_kernelILi64ELi16EiPKDF16_fKPDF16_EviiT3_lPKT2_lT1_lS7_lS8_lS4_lPT4_lS8_li,comdat
.Lfunc_end436:
	.size	_ZL20rocblas_gemvn_kernelILi64ELi16EiPKDF16_fKPDF16_EviiT3_lPKT2_lT1_lS7_lS8_lS4_lPT4_lS8_li, .Lfunc_end436-_ZL20rocblas_gemvn_kernelILi64ELi16EiPKDF16_fKPDF16_EviiT3_lPKT2_lT1_lS7_lS8_lS4_lPT4_lS8_li
                                        ; -- End function
	.set _ZL20rocblas_gemvn_kernelILi64ELi16EiPKDF16_fKPDF16_EviiT3_lPKT2_lT1_lS7_lS8_lS4_lPT4_lS8_li.num_vgpr, 63
	.set _ZL20rocblas_gemvn_kernelILi64ELi16EiPKDF16_fKPDF16_EviiT3_lPKT2_lT1_lS7_lS8_lS4_lPT4_lS8_li.num_agpr, 0
	.set _ZL20rocblas_gemvn_kernelILi64ELi16EiPKDF16_fKPDF16_EviiT3_lPKT2_lT1_lS7_lS8_lS4_lPT4_lS8_li.numbered_sgpr, 45
	.set _ZL20rocblas_gemvn_kernelILi64ELi16EiPKDF16_fKPDF16_EviiT3_lPKT2_lT1_lS7_lS8_lS4_lPT4_lS8_li.num_named_barrier, 0
	.set _ZL20rocblas_gemvn_kernelILi64ELi16EiPKDF16_fKPDF16_EviiT3_lPKT2_lT1_lS7_lS8_lS4_lPT4_lS8_li.private_seg_size, 0
	.set _ZL20rocblas_gemvn_kernelILi64ELi16EiPKDF16_fKPDF16_EviiT3_lPKT2_lT1_lS7_lS8_lS4_lPT4_lS8_li.uses_vcc, 1
	.set _ZL20rocblas_gemvn_kernelILi64ELi16EiPKDF16_fKPDF16_EviiT3_lPKT2_lT1_lS7_lS8_lS4_lPT4_lS8_li.uses_flat_scratch, 1
	.set _ZL20rocblas_gemvn_kernelILi64ELi16EiPKDF16_fKPDF16_EviiT3_lPKT2_lT1_lS7_lS8_lS4_lPT4_lS8_li.has_dyn_sized_stack, 0
	.set _ZL20rocblas_gemvn_kernelILi64ELi16EiPKDF16_fKPDF16_EviiT3_lPKT2_lT1_lS7_lS8_lS4_lPT4_lS8_li.has_recursion, 0
	.set _ZL20rocblas_gemvn_kernelILi64ELi16EiPKDF16_fKPDF16_EviiT3_lPKT2_lT1_lS7_lS8_lS4_lPT4_lS8_li.has_indirect_call, 0
	.section	.AMDGPU.csdata,"",@progbits
; Kernel info:
; codeLenInByte = 3544
; TotalNumSgprs: 47
; NumVgprs: 63
; ScratchSize: 0
; MemoryBound: 0
; FloatMode: 240
; IeeeMode: 1
; LDSByteSize: 16384 bytes/workgroup (compile time only)
; SGPRBlocks: 0
; VGPRBlocks: 7
; NumSGPRsForWavesPerEU: 47
; NumVGPRsForWavesPerEU: 63
; Occupancy: 16
; WaveLimiterHint : 1
; COMPUTE_PGM_RSRC2:SCRATCH_EN: 0
; COMPUTE_PGM_RSRC2:USER_SGPR: 2
; COMPUTE_PGM_RSRC2:TRAP_HANDLER: 0
; COMPUTE_PGM_RSRC2:TGID_X_EN: 1
; COMPUTE_PGM_RSRC2:TGID_Y_EN: 0
; COMPUTE_PGM_RSRC2:TGID_Z_EN: 1
; COMPUTE_PGM_RSRC2:TIDIG_COMP_CNT: 1
	.section	.text._ZL20rocblas_gemvn_kernelILi64ELi16ElPKDF16_fKPDF16_EviiT3_lPKT2_lT1_lS7_lS8_lS4_lPT4_lS8_li,"axG",@progbits,_ZL20rocblas_gemvn_kernelILi64ELi16ElPKDF16_fKPDF16_EviiT3_lPKT2_lT1_lS7_lS8_lS4_lPT4_lS8_li,comdat
	.globl	_ZL20rocblas_gemvn_kernelILi64ELi16ElPKDF16_fKPDF16_EviiT3_lPKT2_lT1_lS7_lS8_lS4_lPT4_lS8_li ; -- Begin function _ZL20rocblas_gemvn_kernelILi64ELi16ElPKDF16_fKPDF16_EviiT3_lPKT2_lT1_lS7_lS8_lS4_lPT4_lS8_li
	.p2align	8
	.type	_ZL20rocblas_gemvn_kernelILi64ELi16ElPKDF16_fKPDF16_EviiT3_lPKT2_lT1_lS7_lS8_lS4_lPT4_lS8_li,@function
_ZL20rocblas_gemvn_kernelILi64ELi16ElPKDF16_fKPDF16_EviiT3_lPKT2_lT1_lS7_lS8_lS4_lPT4_lS8_li: ; @_ZL20rocblas_gemvn_kernelILi64ELi16ElPKDF16_fKPDF16_EviiT3_lPKT2_lT1_lS7_lS8_lS4_lPT4_lS8_li
; %bb.0:
	s_clause 0x1
	s_load_b64 s[2:3], s[0:1], 0x9c
	s_load_b32 s23, s[0:1], 0x88
	s_lshr_b32 s24, ttmp7, 16
	s_wait_kmcnt 0x0
	s_lshr_b32 s4, s2, 16
	s_and_b32 s2, s2, 0xffff
	s_and_b32 s3, s3, 0xffff
	s_mul_i32 s2, s4, s2
	s_delay_alu instid0(SALU_CYCLE_1) | instskip(NEXT) | instid1(SALU_CYCLE_1)
	s_mul_i32 s2, s2, s3
	s_cmp_lg_u32 s2, 0x400
	s_cselect_b32 s2, -1, 0
	s_cmp_ge_u32 s24, s23
	s_cselect_b32 s3, -1, 0
	s_delay_alu instid0(SALU_CYCLE_1) | instskip(NEXT) | instid1(SALU_CYCLE_1)
	s_or_b32 s2, s2, s3
	s_and_b32 vcc_lo, exec_lo, s2
	s_cbranch_vccnz .LBB437_59
; %bb.1:
	s_clause 0x7
	s_load_b96 s[20:22], s[0:1], 0x0
	s_load_b32 s33, s[0:1], 0x58
	s_load_b64 s[26:27], s[0:1], 0x48
	s_load_b128 s[8:11], s[0:1], 0x18
	s_load_b64 s[28:29], s[0:1], 0x28
	s_load_b128 s[12:15], s[0:1], 0x38
	;; [unrolled: 2-line block ×3, first 2 shown]
	v_dual_mov_b32 v1, 0 :: v_dual_and_b32 v2, 0x3ff, v0
	v_bfe_u32 v26, v0, 10, 10
	s_mov_b32 s25, 0
	s_delay_alu instid0(VALU_DEP_2) | instskip(NEXT) | instid1(VALU_DEP_2)
	v_lshlrev_b32_e32 v16, 2, v2
	v_lshl_add_u32 v3, v26, 6, v2
	v_lshlrev_b32_e32 v40, 2, v26
	s_delay_alu instid0(VALU_DEP_2)
	v_cmp_gt_u32_e64 s0, 0x100, v3
	s_wait_kmcnt 0x0
	s_cmp_eq_f32 s22, 0
	v_mad_co_u64_u32 v[6:7], null, s26, v26, 0
	s_mov_b32 s2, s20
	s_cselect_b32 s36, -1, 0
	s_cmp_neq_f32 s33, 1.0
	v_or_b32_e32 v17, 3, v40
	s_cselect_b32 s1, -1, 0
	s_cmp_neq_f32 s22, 0
	s_delay_alu instid0(VALU_DEP_1)
	v_mad_co_u64_u32 v[12:13], null, s26, v17, 0
	s_cselect_b32 s4, -1, 0
	s_lshl_b32 s30, ttmp9, 8
	s_ashr_i32 s3, s20, 31
	v_add_nc_u32_e32 v0, s30, v3
	v_add_nc_u32_e32 v8, s30, v2
	s_or_b32 s37, s4, s1
	s_cmp_neq_f32 s33, 0
	v_or_b32_e32 v18, s30, v3
	v_mad_co_u64_u32 v[2:3], null, s6, v0, 0
	v_add_nc_u32_e32 v4, 64, v8
	v_cmp_gt_i64_e32 vcc_lo, s[2:3], v[0:1]
	s_cselect_b32 s38, -1, 0
	s_ashr_i32 s2, s21, 31
	v_add_nc_u32_e32 v5, 0x80, v8
	s_wait_alu 0xfffe
	s_lshr_b32 s2, s2, 26
	v_add_nc_u32_e32 v10, 0xc0, v8
	s_wait_alu 0xfffe
	s_add_co_i32 s39, s21, s2
	v_cmp_gt_i32_e64 s2, s20, v4
	v_mad_co_u64_u32 v[3:4], null, s7, v0, v[3:4]
	v_mov_b32_e32 v0, v7
	v_cndmask_b32_e64 v42, 0, 1, s4
	v_cmp_gt_i32_e64 s4, s20, v10
	v_mad_co_u64_u32 v[10:11], null, s28, v17, 0
	s_delay_alu instid0(VALU_DEP_4)
	v_mad_co_u64_u32 v[14:15], null, s27, v26, v[0:1]
	s_and_not1_b32 s39, s39, 63
	v_mul_lo_u32 v19, s7, v18
	v_cmp_gt_i32_e64 s3, s20, v5
	s_sub_co_i32 s5, s21, s39
	v_mad_co_u64_u32 v[4:5], null, s6, v18, 0
	v_mov_b32_e32 v7, v14
	v_mad_co_u64_u32 v[14:15], null, s29, v17, v[11:12]
	s_wait_alu 0xfffe
	s_cmp_gt_i32 s5, 0
	v_lshl_add_u32 v41, v26, 10, v16
	s_cselect_b32 s40, -1, 0
	s_ashr_i32 s7, s30, 31
	v_lshl_add_u32 v0, v26, 8, v16
	s_wait_alu 0xfffe
	s_mul_i32 s7, s6, s7
	v_mov_b32_e32 v11, v14
	v_or_b32_e32 v29, 2, v40
	v_mad_co_u64_u32 v[15:16], null, s27, v17, v[13:14]
	v_cmp_gt_i32_e64 s6, s20, v18
	s_wait_alu 0xfffe
	v_add3_u32 v5, v5, s7, v19
	v_mad_co_u64_u32 v[16:17], null, s28, v26, 0
	v_mad_co_u64_u32 v[18:19], null, s28, v29, 0
	v_mov_b32_e32 v13, v15
	v_mad_co_u64_u32 v[20:21], null, s26, v29, 0
	v_mad_co_u64_u32 v[22:23], null, s26, v40, s[26:27]
	s_delay_alu instid0(VALU_DEP_4) | instskip(SKIP_3) | instid1(VALU_DEP_4)
	v_dual_mov_b32 v14, v17 :: v_dual_mov_b32 v15, v19
	v_mad_co_u64_u32 v[24:25], null, s28, v40, s[28:29]
	v_ashrrev_i32_e32 v9, 31, v8
	v_cmp_gt_i32_e64 s1, s20, v8
	v_mad_co_u64_u32 v[26:27], null, s29, v26, v[14:15]
	v_mad_co_u64_u32 v[27:28], null, s29, v29, v[15:16]
	v_dual_mov_b32 v14, v21 :: v_dual_mov_b32 v15, v23
	v_mov_b32_e32 v17, v25
	v_lshlrev_b64_e32 v[6:7], 3, v[6:7]
	v_lshlrev_b64_e32 v[8:9], 1, v[8:9]
	;; [unrolled: 1-line block ×3, first 2 shown]
	v_mov_b32_e32 v19, v27
	v_mad_co_u64_u32 v[28:29], null, s27, v29, v[14:15]
	v_mad_co_u64_u32 v[14:15], null, s27, v40, v[15:16]
	v_mad_co_u64_u32 v[29:30], null, s29, v40, v[17:18]
	v_mov_b32_e32 v17, v26
	v_lshlrev_b64_e32 v[12:13], 1, v[12:13]
	v_mov_b32_e32 v21, v28
	v_cmp_gt_i32_e64 s5, s39, v40
	v_mov_b32_e32 v23, v14
	v_lshlrev_b64_e32 v[14:15], 3, v[16:17]
	v_mov_b32_e32 v25, v29
	v_lshlrev_b64_e32 v[16:17], 1, v[18:19]
	v_lshlrev_b64_e32 v[18:19], 1, v[20:21]
	;; [unrolled: 1-line block ×3, first 2 shown]
	s_and_b32 s20, s0, vcc_lo
	v_lshlrev_b64_e32 v[22:23], 1, v[24:25]
	v_lshlrev_b64_e32 v[24:25], 1, v[2:3]
	s_lshl_b64 s[30:31], s[26:27], 7
	s_lshl_b64 s[34:35], s[28:29], 7
	;; [unrolled: 1-line block ×5, first 2 shown]
	s_branch .LBB437_4
.LBB437_2:                              ;   in Loop: Header=BB437_4 Depth=1
	s_wait_alu 0xfffe
	s_or_b32 exec_lo, exec_lo, s7
.LBB437_3:                              ;   in Loop: Header=BB437_4 Depth=1
	s_add_co_i32 s24, s24, 0x10000
	s_delay_alu instid0(SALU_CYCLE_1)
	s_cmp_lt_u32 s24, s23
	s_cbranch_scc0 .LBB437_59
.LBB437_4:                              ; =>This Loop Header: Depth=1
                                        ;     Child Loop BB437_27 Depth 2
	s_and_not1_b32 vcc_lo, exec_lo, s37
	s_wait_alu 0xfffe
	s_cbranch_vccnz .LBB437_3
; %bb.5:                                ;   in Loop: Header=BB437_4 Depth=1
	s_and_not1_b32 vcc_lo, exec_lo, s36
	s_wait_alu 0xfffe
	s_cbranch_vccnz .LBB437_7
; %bb.6:                                ;   in Loop: Header=BB437_4 Depth=1
	s_mov_b32 s7, 0
	s_branch .LBB437_8
.LBB437_7:                              ;   in Loop: Header=BB437_4 Depth=1
	s_mov_b32 s7, -1
.LBB437_8:                              ;   in Loop: Header=BB437_4 Depth=1
	v_mov_b32_e32 v28, 0
	v_dual_mov_b32 v29, 0 :: v_dual_mov_b32 v26, 0
	v_mov_b32_e32 v27, 0
	s_wait_alu 0xfffe
	s_and_not1_b32 vcc_lo, exec_lo, s7
	s_wait_alu 0xfffe
	s_cbranch_vccnz .LBB437_10
; %bb.9:                                ;   in Loop: Header=BB437_4 Depth=1
	s_lshl_b64 s[42:43], s[24:25], 3
	s_delay_alu instid0(SALU_CYCLE_1)
	s_add_nc_u64 s[42:43], s[8:9], s[42:43]
	global_load_b64 v[26:27], v1, s[42:43]
	s_wait_loadcnt 0x0
	v_add_co_u32 v26, vcc_lo, v26, s10
	s_wait_alu 0xfffd
	v_add_co_ci_u32_e64 v27, null, s11, v27, vcc_lo
.LBB437_10:                             ;   in Loop: Header=BB437_4 Depth=1
	v_cmp_ne_u32_e32 vcc_lo, 1, v42
	s_cbranch_vccnz .LBB437_12
; %bb.11:                               ;   in Loop: Header=BB437_4 Depth=1
	s_lshl_b64 s[42:43], s[24:25], 3
	s_delay_alu instid0(SALU_CYCLE_1)
	s_add_nc_u64 s[42:43], s[12:13], s[42:43]
	global_load_b64 v[28:29], v1, s[42:43]
	s_wait_loadcnt 0x0
	v_add_co_u32 v28, vcc_lo, v28, s14
	s_wait_alu 0xfffd
	v_add_co_ci_u32_e64 v29, null, s15, v29, vcc_lo
.LBB437_12:                             ;   in Loop: Header=BB437_4 Depth=1
	s_lshl_b64 s[42:43], s[24:25], 3
	s_delay_alu instid0(SALU_CYCLE_1)
	s_add_nc_u64 s[42:43], s[16:17], s[42:43]
	global_load_b64 v[30:31], v1, s[42:43]
	s_wait_loadcnt 0x0
	v_add_co_u32 v43, vcc_lo, v30, s18
	s_wait_alu 0xfffd
	v_add_co_ci_u32_e64 v44, null, s19, v31, vcc_lo
	s_and_not1_b32 vcc_lo, exec_lo, s36
	s_wait_alu 0xfffe
	s_cbranch_vccnz .LBB437_16
; %bb.13:                               ;   in Loop: Header=BB437_4 Depth=1
	s_mov_b32 s7, 0
	s_mov_b32 s41, 0
                                        ; implicit-def: $vgpr30
	s_and_saveexec_b32 s42, s20
	s_cbranch_execz .LBB437_17
; %bb.14:                               ;   in Loop: Header=BB437_4 Depth=1
	s_and_not1_b32 vcc_lo, exec_lo, s38
	s_wait_alu 0xfffe
	s_cbranch_vccnz .LBB437_19
; %bb.15:                               ;   in Loop: Header=BB437_4 Depth=1
	v_add_co_u32 v30, vcc_lo, v43, v24
	s_wait_alu 0xfffd
	v_add_co_ci_u32_e64 v31, null, v44, v25, vcc_lo
	flat_load_u16 v30, v[30:31]
	s_wait_loadcnt_dscnt 0x0
	v_fma_mixlo_f16 v30, s33, v30, 0 op_sel_hi:[0,1,0]
	s_branch .LBB437_20
.LBB437_16:                             ;   in Loop: Header=BB437_4 Depth=1
	s_mov_b32 s41, 0
                                        ; implicit-def: $vgpr30
	s_cbranch_execz .LBB437_18
	s_branch .LBB437_21
.LBB437_17:                             ;   in Loop: Header=BB437_4 Depth=1
	s_or_b32 exec_lo, exec_lo, s42
	s_wait_alu 0xfffe
	s_and_b32 vcc_lo, exec_lo, s7
	s_wait_alu 0xfffe
	s_cbranch_vccnz .LBB437_21
.LBB437_18:                             ;   in Loop: Header=BB437_4 Depth=1
	v_dual_mov_b32 v27, v3 :: v_dual_mov_b32 v26, v2
	s_and_saveexec_b32 s7, s41
	s_cbranch_execz .LBB437_2
	s_branch .LBB437_58
.LBB437_19:                             ;   in Loop: Header=BB437_4 Depth=1
	v_mov_b32_e32 v30, 0
.LBB437_20:                             ;   in Loop: Header=BB437_4 Depth=1
	s_mov_b32 s41, exec_lo
	s_or_b32 exec_lo, exec_lo, s42
	s_delay_alu instid0(SALU_CYCLE_1)
	s_and_b32 vcc_lo, exec_lo, s7
	s_wait_alu 0xfffe
	s_cbranch_vccz .LBB437_18
.LBB437_21:                             ;   in Loop: Header=BB437_4 Depth=1
	v_dual_mov_b32 v45, 0 :: v_dual_mov_b32 v46, 0
	v_dual_mov_b32 v49, v40 :: v_dual_mov_b32 v48, 0
	v_mov_b32_e32 v47, 0
	s_and_saveexec_b32 s42, s5
	s_cbranch_execz .LBB437_33
; %bb.22:                               ;   in Loop: Header=BB437_4 Depth=1
	v_add_co_u32 v50, vcc_lo, v26, v10
	s_wait_alu 0xfffd
	v_add_co_ci_u32_e64 v51, null, v27, v11, vcc_lo
	v_add_co_u32 v52, vcc_lo, v26, v14
	s_wait_alu 0xfffd
	v_add_co_ci_u32_e64 v53, null, v27, v15, vcc_lo
	;; [unrolled: 3-line block ×3, first 2 shown]
	v_add_co_u32 v56, vcc_lo, v26, v22
	v_dual_mov_b32 v31, v29 :: v_dual_mov_b32 v46, 0
	s_wait_alu 0xfffd
	v_add_co_ci_u32_e64 v57, null, v27, v23, vcc_lo
	v_dual_mov_b32 v45, 0 :: v_dual_mov_b32 v30, v28
	v_dual_mov_b32 v49, v40 :: v_dual_mov_b32 v48, 0
	v_mov_b32_e32 v47, 0
	s_mov_b32 s43, 0
	s_branch .LBB437_27
.LBB437_23:                             ;   in Loop: Header=BB437_27 Depth=2
	s_or_b32 exec_lo, exec_lo, s46
	s_wait_loadcnt_dscnt 0x303
	v_fma_mix_f32 v32, v70, v74, v47 op_sel_hi:[0,1,0]
	s_wait_loadcnt_dscnt 0x202
	s_delay_alu instid0(VALU_DEP_1) | instskip(SKIP_1) | instid1(VALU_DEP_1)
	v_fma_mix_f32 v32, v71, v75, v32 op_sel_hi:[0,1,0]
	s_wait_loadcnt_dscnt 0x101
	v_fma_mix_f32 v32, v72, v76, v32 op_sel_hi:[0,1,0]
	s_wait_loadcnt_dscnt 0x0
	s_delay_alu instid0(VALU_DEP_1)
	v_fma_mix_f32 v47, v73, v77, v32 op_sel_hi:[0,1,0]
.LBB437_24:                             ;   in Loop: Header=BB437_27 Depth=2
	s_or_b32 exec_lo, exec_lo, s45
	s_wait_loadcnt_dscnt 0x303
	v_fma_mix_f32 v32, v70, v66, v46 op_sel_hi:[0,1,0]
	s_wait_loadcnt_dscnt 0x202
	s_delay_alu instid0(VALU_DEP_1) | instskip(SKIP_1) | instid1(VALU_DEP_1)
	v_fma_mix_f32 v32, v71, v67, v32 op_sel_hi:[0,1,0]
	s_wait_loadcnt_dscnt 0x101
	v_fma_mix_f32 v32, v72, v68, v32 op_sel_hi:[0,1,0]
	s_wait_loadcnt_dscnt 0x0
	s_delay_alu instid0(VALU_DEP_1)
	v_fma_mix_f32 v46, v73, v69, v32 op_sel_hi:[0,1,0]
.LBB437_25:                             ;   in Loop: Header=BB437_27 Depth=2
	s_or_b32 exec_lo, exec_lo, s44
	s_wait_loadcnt_dscnt 0x303
	v_fma_mix_f32 v32, v58, v62, v45 op_sel_hi:[1,1,0]
	s_wait_loadcnt_dscnt 0x202
	s_delay_alu instid0(VALU_DEP_1) | instskip(SKIP_1) | instid1(VALU_DEP_1)
	v_fma_mix_f32 v32, v59, v63, v32 op_sel_hi:[1,1,0]
	s_wait_loadcnt_dscnt 0x101
	v_fma_mix_f32 v32, v60, v64, v32 op_sel_hi:[1,1,0]
	s_wait_loadcnt_dscnt 0x0
	s_delay_alu instid0(VALU_DEP_1)
	v_fma_mix_f32 v45, v61, v65, v32 op_sel_hi:[1,1,0]
.LBB437_26:                             ;   in Loop: Header=BB437_27 Depth=2
	s_wait_alu 0xfffe
	s_or_b32 exec_lo, exec_lo, s7
	v_add_co_u32 v30, vcc_lo, v30, s30
	s_wait_alu 0xfffd
	v_add_co_ci_u32_e64 v31, null, s31, v31, vcc_lo
	v_add_co_u32 v50, vcc_lo, v50, s34
	v_add_nc_u32_e32 v49, 64, v49
	s_wait_alu 0xfffd
	v_add_co_ci_u32_e64 v51, null, s35, v51, vcc_lo
	v_add_co_u32 v52, vcc_lo, v52, s34
	s_wait_alu 0xfffd
	v_add_co_ci_u32_e64 v53, null, s35, v53, vcc_lo
	v_add_co_u32 v54, vcc_lo, v54, s34
	s_wait_alu 0xfffd
	v_add_co_ci_u32_e64 v55, null, s35, v55, vcc_lo
	v_cmp_le_i32_e32 vcc_lo, s39, v49
	v_add_co_u32 v56, s7, v56, s34
	s_wait_alu 0xf1ff
	v_add_co_ci_u32_e64 v57, null, s35, v57, s7
	s_or_b32 s43, vcc_lo, s43
	s_delay_alu instid0(SALU_CYCLE_1)
	s_and_not1_b32 exec_lo, exec_lo, s43
	s_cbranch_execz .LBB437_32
.LBB437_27:                             ;   Parent Loop BB437_4 Depth=1
                                        ; =>  This Inner Loop Header: Depth=2
	s_and_saveexec_b32 s7, s1
	s_cbranch_execz .LBB437_26
; %bb.28:                               ;   in Loop: Header=BB437_27 Depth=2
	v_add_co_u32 v58, vcc_lo, v30, v6
	s_wait_alu 0xfffd
	v_add_co_ci_u32_e64 v59, null, v31, v7, vcc_lo
	v_add_co_u32 v60, vcc_lo, v30, v20
	s_wait_alu 0xfffd
	v_add_co_ci_u32_e64 v61, null, v31, v21, vcc_lo
	;; [unrolled: 3-line block ×8, first 2 shown]
	s_clause 0x3
	flat_load_u16 v58, v[58:59]
	flat_load_u16 v59, v[60:61]
	;; [unrolled: 1-line block ×8, first 2 shown]
	s_and_saveexec_b32 s44, s2
	s_cbranch_execz .LBB437_25
; %bb.29:                               ;   in Loop: Header=BB437_27 Depth=2
	flat_load_u16 v66, v[32:33] offset:128
	flat_load_u16 v67, v[34:35] offset:128
	flat_load_u16 v68, v[36:37] offset:128
	flat_load_u16 v69, v[38:39] offset:128
	s_wait_loadcnt_dscnt 0xb0b
	v_cvt_f32_f16_e32 v70, v58
	s_wait_loadcnt_dscnt 0xa0a
	v_cvt_f32_f16_e32 v71, v59
	;; [unrolled: 2-line block ×4, first 2 shown]
	s_and_saveexec_b32 s45, s3
	s_cbranch_execz .LBB437_24
; %bb.30:                               ;   in Loop: Header=BB437_27 Depth=2
	flat_load_u16 v74, v[32:33] offset:256
	flat_load_u16 v75, v[34:35] offset:256
	;; [unrolled: 1-line block ×4, first 2 shown]
	s_and_saveexec_b32 s46, s4
	s_cbranch_execz .LBB437_23
; %bb.31:                               ;   in Loop: Header=BB437_27 Depth=2
	flat_load_u16 v32, v[32:33] offset:384
	flat_load_u16 v33, v[34:35] offset:384
	;; [unrolled: 1-line block ×4, first 2 shown]
	s_wait_loadcnt_dscnt 0x303
	v_fma_mix_f32 v32, v70, v32, v48 op_sel_hi:[0,1,0]
	s_wait_loadcnt_dscnt 0x202
	s_delay_alu instid0(VALU_DEP_1) | instskip(SKIP_1) | instid1(VALU_DEP_1)
	v_fma_mix_f32 v32, v71, v33, v32 op_sel_hi:[0,1,0]
	s_wait_loadcnt_dscnt 0x101
	v_fma_mix_f32 v32, v72, v34, v32 op_sel_hi:[0,1,0]
	s_wait_loadcnt_dscnt 0x0
	s_delay_alu instid0(VALU_DEP_1)
	v_fma_mix_f32 v48, v73, v35, v32 op_sel_hi:[0,1,0]
	s_branch .LBB437_23
.LBB437_32:                             ;   in Loop: Header=BB437_4 Depth=1
	s_or_b32 exec_lo, exec_lo, s43
.LBB437_33:                             ;   in Loop: Header=BB437_4 Depth=1
	s_delay_alu instid0(SALU_CYCLE_1) | instskip(NEXT) | instid1(SALU_CYCLE_1)
	s_or_b32 exec_lo, exec_lo, s42
	s_and_not1_b32 vcc_lo, exec_lo, s40
	s_wait_alu 0xfffe
	s_cbranch_vccnz .LBB437_51
; %bb.34:                               ;   in Loop: Header=BB437_4 Depth=1
	v_cmp_gt_i32_e32 vcc_lo, s21, v49
	v_dual_mov_b32 v34, 0 :: v_dual_mov_b32 v35, 0
	v_or_b32_e32 v30, 1, v49
	v_dual_mov_b32 v36, 0 :: v_dual_mov_b32 v37, 0
	s_and_saveexec_b32 s42, vcc_lo
	s_cbranch_execz .LBB437_42
; %bb.35:                               ;   in Loop: Header=BB437_4 Depth=1
	v_mad_co_u64_u32 v[31:32], null, s26, v49, 0
	v_dual_mov_b32 v36, 0 :: v_dual_mov_b32 v35, 0
	v_mov_b32_e32 v34, 0
	s_mov_b32 s43, exec_lo
	s_delay_alu instid0(VALU_DEP_3) | instskip(NEXT) | instid1(VALU_DEP_1)
	v_mad_co_u64_u32 v[32:33], null, s27, v49, v[32:33]
	v_lshlrev_b64_e32 v[31:32], 1, v[31:32]
	s_delay_alu instid0(VALU_DEP_1) | instskip(SKIP_1) | instid1(VALU_DEP_2)
	v_add_co_u32 v31, s7, v28, v31
	s_wait_alu 0xf1ff
	v_add_co_ci_u32_e64 v32, null, v29, v32, s7
	flat_load_u16 v31, v[31:32]
	v_cmpx_gt_i32_e64 s21, v30
	s_cbranch_execz .LBB437_41
; %bb.36:                               ;   in Loop: Header=BB437_4 Depth=1
	v_mad_co_u64_u32 v[32:33], null, s26, v30, 0
	v_mov_b32_e32 v35, 0
	s_mov_b32 s44, exec_lo
	s_delay_alu instid0(VALU_DEP_2) | instskip(SKIP_1) | instid1(VALU_DEP_2)
	v_mad_co_u64_u32 v[33:34], null, s27, v30, v[33:34]
	v_mov_b32_e32 v34, 0
	v_lshlrev_b64_e32 v[32:33], 1, v[32:33]
	s_delay_alu instid0(VALU_DEP_1) | instskip(SKIP_1) | instid1(VALU_DEP_2)
	v_add_co_u32 v32, s7, v28, v32
	s_wait_alu 0xf1ff
	v_add_co_ci_u32_e64 v33, null, v29, v33, s7
	flat_load_u16 v32, v[32:33]
	v_or_b32_e32 v33, 2, v49
	s_delay_alu instid0(VALU_DEP_1)
	v_cmpx_gt_i32_e64 s21, v33
	s_cbranch_execz .LBB437_40
; %bb.37:                               ;   in Loop: Header=BB437_4 Depth=1
	v_mad_co_u64_u32 v[34:35], null, s26, v33, 0
	s_mov_b32 s45, exec_lo
	v_mad_co_u64_u32 v[35:36], null, s27, v33, v[35:36]
	s_delay_alu instid0(VALU_DEP_1) | instskip(SKIP_1) | instid1(VALU_DEP_2)
	v_lshlrev_b64_e32 v[33:34], 1, v[34:35]
	v_or_b32_e32 v35, 3, v49
	v_add_co_u32 v33, s7, v28, v33
	s_wait_alu 0xf1ff
	s_delay_alu instid0(VALU_DEP_3)
	v_add_co_ci_u32_e64 v34, null, v29, v34, s7
	flat_load_u16 v33, v[33:34]
	v_mov_b32_e32 v34, 0
	v_cmpx_gt_i32_e64 s21, v35
	s_cbranch_execz .LBB437_39
; %bb.38:                               ;   in Loop: Header=BB437_4 Depth=1
	v_mad_co_u64_u32 v[36:37], null, s26, v35, 0
	s_delay_alu instid0(VALU_DEP_1) | instskip(NEXT) | instid1(VALU_DEP_1)
	v_mov_b32_e32 v34, v37
	v_mad_co_u64_u32 v[34:35], null, s27, v35, v[34:35]
	s_delay_alu instid0(VALU_DEP_1) | instskip(NEXT) | instid1(VALU_DEP_1)
	v_mov_b32_e32 v37, v34
	v_lshlrev_b64_e32 v[34:35], 1, v[36:37]
	s_delay_alu instid0(VALU_DEP_1) | instskip(SKIP_1) | instid1(VALU_DEP_2)
	v_add_co_u32 v28, s7, v28, v34
	s_wait_alu 0xf1ff
	v_add_co_ci_u32_e64 v29, null, v29, v35, s7
	flat_load_u16 v28, v[28:29]
	s_wait_loadcnt_dscnt 0x0
	v_cvt_f32_f16_e32 v34, v28
.LBB437_39:                             ;   in Loop: Header=BB437_4 Depth=1
	s_or_b32 exec_lo, exec_lo, s45
	s_wait_loadcnt_dscnt 0x0
	v_cvt_f32_f16_e32 v35, v33
.LBB437_40:                             ;   in Loop: Header=BB437_4 Depth=1
	s_or_b32 exec_lo, exec_lo, s44
	s_wait_loadcnt_dscnt 0x0
	v_cvt_f32_f16_e32 v36, v32
.LBB437_41:                             ;   in Loop: Header=BB437_4 Depth=1
	s_or_b32 exec_lo, exec_lo, s43
	s_wait_loadcnt_dscnt 0x0
	v_cvt_f32_f16_e32 v37, v31
.LBB437_42:                             ;   in Loop: Header=BB437_4 Depth=1
	s_or_b32 exec_lo, exec_lo, s42
	s_and_saveexec_b32 s42, s1
	s_cbranch_execz .LBB437_50
; %bb.43:                               ;   in Loop: Header=BB437_4 Depth=1
	v_mad_co_u64_u32 v[28:29], null, s28, v49, 0
	v_or_b32_e32 v52, 2, v49
	v_mad_co_u64_u32 v[31:32], null, s28, v30, 0
	v_or_b32_e32 v53, 3, v49
	v_cmp_gt_i32_e64 s7, s21, v30
	s_delay_alu instid0(VALU_DEP_4) | instskip(SKIP_3) | instid1(VALU_DEP_4)
	v_mad_co_u64_u32 v[38:39], null, s28, v52, 0
	v_mad_co_u64_u32 v[49:50], null, s29, v49, v[29:30]
	;; [unrolled: 1-line block ×4, first 2 shown]
	v_mov_b32_e32 v30, v39
	s_delay_alu instid0(VALU_DEP_4)
	v_dual_cndmask_b32 v50, 0, v28 :: v_dual_cndmask_b32 v51, 0, v49
	s_wait_alu 0xf1ff
	v_cndmask_b32_e64 v28, 0, v31, s7
	v_cndmask_b32_e64 v29, 0, v29, s7
	v_mad_co_u64_u32 v[30:31], null, s29, v52, v[30:31]
	v_mov_b32_e32 v31, v33
	v_lshlrev_b64_e32 v[49:50], 1, v[50:51]
	v_cmp_gt_i32_e32 vcc_lo, s21, v52
	v_lshlrev_b64_e32 v[51:52], 1, v[28:29]
	s_wait_alu 0xfffd
	v_cndmask_b32_e32 v39, 0, v30, vcc_lo
	s_delay_alu instid0(VALU_DEP_4)
	v_add_co_u32 v28, s7, v26, v49
	s_wait_alu 0xf1ff
	v_add_co_ci_u32_e64 v29, null, v27, v50, s7
	v_mad_co_u64_u32 v[30:31], null, s29, v53, v[31:32]
	v_cndmask_b32_e32 v38, 0, v38, vcc_lo
	v_add_co_u32 v28, vcc_lo, v28, v8
	s_wait_alu 0xfffd
	v_add_co_ci_u32_e64 v29, null, v29, v9, vcc_lo
	v_cmp_gt_i32_e32 vcc_lo, s21, v53
	v_add_co_u32 v31, s7, v26, v51
	s_wait_alu 0xf1ff
	v_add_co_ci_u32_e64 v49, null, v27, v52, s7
	s_wait_alu 0xfffd
	v_dual_cndmask_b32 v32, 0, v32 :: v_dual_cndmask_b32 v33, 0, v30
	v_lshlrev_b64_e32 v[38:39], 1, v[38:39]
	v_add_co_u32 v30, vcc_lo, v31, v8
	s_wait_alu 0xfffd
	v_add_co_ci_u32_e64 v31, null, v49, v9, vcc_lo
	v_lshlrev_b64_e32 v[32:33], 1, v[32:33]
	s_delay_alu instid0(VALU_DEP_4) | instskip(SKIP_2) | instid1(VALU_DEP_3)
	v_add_co_u32 v38, vcc_lo, v26, v38
	s_wait_alu 0xfffd
	v_add_co_ci_u32_e64 v39, null, v27, v39, vcc_lo
	v_add_co_u32 v32, vcc_lo, v26, v32
	s_wait_alu 0xfffd
	v_add_co_ci_u32_e64 v33, null, v27, v33, vcc_lo
	;; [unrolled: 3-line block ×4, first 2 shown]
	s_clause 0x3
	flat_load_u16 v38, v[28:29]
	flat_load_u16 v39, v[30:31]
	;; [unrolled: 1-line block ×4, first 2 shown]
	s_and_saveexec_b32 s7, s2
	s_cbranch_execz .LBB437_49
; %bb.44:                               ;   in Loop: Header=BB437_4 Depth=1
	s_clause 0x3
	flat_load_u16 v51, v[28:29] offset:128
	flat_load_u16 v52, v[30:31] offset:128
	flat_load_u16 v53, v[26:27] offset:128
	flat_load_u16 v54, v[32:33] offset:128
	s_and_saveexec_b32 s43, s3
	s_cbranch_execz .LBB437_48
; %bb.45:                               ;   in Loop: Header=BB437_4 Depth=1
	s_clause 0x3
	flat_load_u16 v55, v[28:29] offset:256
	flat_load_u16 v56, v[30:31] offset:256
	flat_load_u16 v57, v[26:27] offset:256
	flat_load_u16 v58, v[32:33] offset:256
	;; [unrolled: 8-line block ×3, first 2 shown]
	s_wait_loadcnt_dscnt 0x303
	v_fma_mix_f32 v28, v37, v28, v48 op_sel_hi:[0,1,0]
	s_wait_loadcnt_dscnt 0x202
	s_delay_alu instid0(VALU_DEP_1) | instskip(SKIP_1) | instid1(VALU_DEP_1)
	v_fma_mix_f32 v28, v36, v29, v28 op_sel_hi:[0,1,0]
	s_wait_loadcnt_dscnt 0x101
	v_fma_mix_f32 v26, v35, v26, v28 op_sel_hi:[0,1,0]
	s_wait_loadcnt_dscnt 0x0
	s_delay_alu instid0(VALU_DEP_1)
	v_fma_mix_f32 v48, v34, v27, v26 op_sel_hi:[0,1,0]
.LBB437_47:                             ;   in Loop: Header=BB437_4 Depth=1
	s_or_b32 exec_lo, exec_lo, s44
	s_wait_loadcnt_dscnt 0x303
	v_fma_mix_f32 v26, v37, v55, v47 op_sel_hi:[0,1,0]
	s_wait_loadcnt_dscnt 0x202
	s_delay_alu instid0(VALU_DEP_1) | instskip(SKIP_1) | instid1(VALU_DEP_1)
	v_fma_mix_f32 v26, v36, v56, v26 op_sel_hi:[0,1,0]
	s_wait_loadcnt_dscnt 0x101
	v_fma_mix_f32 v26, v35, v57, v26 op_sel_hi:[0,1,0]
	s_wait_loadcnt_dscnt 0x0
	s_delay_alu instid0(VALU_DEP_1)
	v_fma_mix_f32 v47, v34, v58, v26 op_sel_hi:[0,1,0]
.LBB437_48:                             ;   in Loop: Header=BB437_4 Depth=1
	s_or_b32 exec_lo, exec_lo, s43
	s_wait_loadcnt_dscnt 0x303
	v_fma_mix_f32 v26, v37, v51, v46 op_sel_hi:[0,1,0]
	s_wait_loadcnt_dscnt 0x202
	s_delay_alu instid0(VALU_DEP_1) | instskip(SKIP_1) | instid1(VALU_DEP_1)
	v_fma_mix_f32 v26, v36, v52, v26 op_sel_hi:[0,1,0]
	s_wait_loadcnt_dscnt 0x101
	v_fma_mix_f32 v26, v35, v53, v26 op_sel_hi:[0,1,0]
	s_wait_loadcnt_dscnt 0x0
	s_delay_alu instid0(VALU_DEP_1)
	v_fma_mix_f32 v46, v34, v54, v26 op_sel_hi:[0,1,0]
.LBB437_49:                             ;   in Loop: Header=BB437_4 Depth=1
	s_wait_alu 0xfffe
	s_or_b32 exec_lo, exec_lo, s7
	s_wait_loadcnt_dscnt 0x303
	v_fma_mix_f32 v26, v37, v38, v45 op_sel_hi:[0,1,0]
	s_wait_loadcnt_dscnt 0x202
	s_delay_alu instid0(VALU_DEP_1) | instskip(SKIP_1) | instid1(VALU_DEP_1)
	v_fma_mix_f32 v26, v36, v39, v26 op_sel_hi:[0,1,0]
	s_wait_loadcnt_dscnt 0x101
	v_fma_mix_f32 v26, v35, v49, v26 op_sel_hi:[0,1,0]
	s_wait_loadcnt_dscnt 0x0
	s_delay_alu instid0(VALU_DEP_1)
	v_fma_mix_f32 v45, v34, v50, v26 op_sel_hi:[0,1,0]
.LBB437_50:                             ;   in Loop: Header=BB437_4 Depth=1
	s_or_b32 exec_lo, exec_lo, s42
.LBB437_51:                             ;   in Loop: Header=BB437_4 Depth=1
	ds_store_2addr_stride64_b32 v41, v45, v46 offset1:1
	ds_store_2addr_stride64_b32 v41, v47, v48 offset0:2 offset1:3
	s_wait_dscnt 0x0
	s_barrier_signal -1
	s_barrier_wait -1
	global_inv scope:SCOPE_SE
                                        ; implicit-def: $vgpr30
	s_and_saveexec_b32 s7, s0
	s_cbranch_execz .LBB437_57
; %bb.52:                               ;   in Loop: Header=BB437_4 Depth=1
	ds_load_2addr_stride64_b32 v[26:27], v0 offset1:4
	ds_load_2addr_stride64_b32 v[28:29], v0 offset0:8 offset1:12
	ds_load_2addr_stride64_b32 v[30:31], v0 offset0:16 offset1:20
	s_mov_b32 s43, s41
	s_wait_dscnt 0x2
	v_add_f32_e32 v32, v26, v27
	ds_load_2addr_stride64_b32 v[26:27], v0 offset0:24 offset1:28
	s_wait_dscnt 0x2
	v_add_f32_e32 v28, v28, v32
	s_delay_alu instid0(VALU_DEP_1) | instskip(SKIP_3) | instid1(VALU_DEP_1)
	v_add_f32_e32 v32, v29, v28
	ds_load_2addr_stride64_b32 v[28:29], v0 offset0:32 offset1:36
	s_wait_dscnt 0x2
	v_add_f32_e32 v30, v30, v32
	v_add_f32_e32 v32, v31, v30
	ds_load_2addr_stride64_b32 v[30:31], v0 offset0:40 offset1:44
	s_wait_dscnt 0x2
	v_add_f32_e32 v26, v26, v32
	s_delay_alu instid0(VALU_DEP_1) | instskip(SKIP_1) | instid1(VALU_DEP_1)
	v_add_f32_e32 v26, v27, v26
	s_wait_dscnt 0x1
	v_add_f32_e32 v28, v28, v26
	ds_load_2addr_stride64_b32 v[26:27], v0 offset0:48 offset1:52
	v_add_f32_e32 v28, v29, v28
	s_wait_dscnt 0x1
	s_delay_alu instid0(VALU_DEP_1) | instskip(SKIP_3) | instid1(VALU_DEP_1)
	v_add_f32_e32 v30, v30, v28
	ds_load_2addr_stride64_b32 v[28:29], v0 offset0:56 offset1:60
	v_add_f32_e32 v30, v31, v30
	s_wait_dscnt 0x1
	v_add_f32_e32 v26, v26, v30
                                        ; implicit-def: $vgpr30
	s_delay_alu instid0(VALU_DEP_1) | instskip(SKIP_1) | instid1(VALU_DEP_1)
	v_add_f32_e32 v26, v27, v26
	s_wait_dscnt 0x0
	v_add_f32_e32 v26, v28, v26
	s_delay_alu instid0(VALU_DEP_1)
	v_add_f32_e32 v26, v29, v26
	ds_store_b32 v0, v26
	s_and_saveexec_b32 s42, s6
	s_cbranch_execz .LBB437_56
; %bb.53:                               ;   in Loop: Header=BB437_4 Depth=1
	v_mul_f32_e32 v26, s22, v26
	s_and_not1_b32 vcc_lo, exec_lo, s38
	s_wait_alu 0xfffe
	s_cbranch_vccnz .LBB437_55
; %bb.54:                               ;   in Loop: Header=BB437_4 Depth=1
	v_lshlrev_b64_e32 v[27:28], 1, v[4:5]
	s_delay_alu instid0(VALU_DEP_1) | instskip(SKIP_1) | instid1(VALU_DEP_2)
	v_add_co_u32 v27, vcc_lo, v43, v27
	s_wait_alu 0xfffd
	v_add_co_ci_u32_e64 v28, null, v44, v28, vcc_lo
	flat_load_u16 v27, v[27:28]
	s_wait_loadcnt_dscnt 0x0
	v_fma_mix_f32 v26, s33, v27, v26 op_sel_hi:[0,1,0]
.LBB437_55:                             ;   in Loop: Header=BB437_4 Depth=1
	s_delay_alu instid0(VALU_DEP_1)
	v_cvt_f16_f32_e32 v30, v26
	s_or_b32 s43, s41, exec_lo
.LBB437_56:                             ;   in Loop: Header=BB437_4 Depth=1
	s_or_b32 exec_lo, exec_lo, s42
	s_delay_alu instid0(SALU_CYCLE_1) | instskip(SKIP_1) | instid1(SALU_CYCLE_1)
	s_and_not1_b32 s41, s41, exec_lo
	s_and_b32 s42, s43, exec_lo
	s_or_b32 s41, s41, s42
.LBB437_57:                             ;   in Loop: Header=BB437_4 Depth=1
	s_wait_alu 0xfffe
	s_or_b32 exec_lo, exec_lo, s7
	v_dual_mov_b32 v27, v5 :: v_dual_mov_b32 v26, v4
	s_and_saveexec_b32 s7, s41
	s_cbranch_execz .LBB437_2
.LBB437_58:                             ;   in Loop: Header=BB437_4 Depth=1
	s_delay_alu instid0(VALU_DEP_1) | instskip(NEXT) | instid1(VALU_DEP_1)
	v_lshlrev_b64_e32 v[26:27], 1, v[26:27]
	v_add_co_u32 v26, vcc_lo, v43, v26
	s_wait_alu 0xfffd
	s_delay_alu instid0(VALU_DEP_2)
	v_add_co_ci_u32_e64 v27, null, v44, v27, vcc_lo
	flat_store_b16 v[26:27], v30
	s_branch .LBB437_2
.LBB437_59:
	s_endpgm
	.section	.rodata,"a",@progbits
	.p2align	6, 0x0
	.amdhsa_kernel _ZL20rocblas_gemvn_kernelILi64ELi16ElPKDF16_fKPDF16_EviiT3_lPKT2_lT1_lS7_lS8_lS4_lPT4_lS8_li
		.amdhsa_group_segment_fixed_size 16384
		.amdhsa_private_segment_fixed_size 0
		.amdhsa_kernarg_size 400
		.amdhsa_user_sgpr_count 2
		.amdhsa_user_sgpr_dispatch_ptr 0
		.amdhsa_user_sgpr_queue_ptr 0
		.amdhsa_user_sgpr_kernarg_segment_ptr 1
		.amdhsa_user_sgpr_dispatch_id 0
		.amdhsa_user_sgpr_private_segment_size 0
		.amdhsa_wavefront_size32 1
		.amdhsa_uses_dynamic_stack 0
		.amdhsa_enable_private_segment 0
		.amdhsa_system_sgpr_workgroup_id_x 1
		.amdhsa_system_sgpr_workgroup_id_y 0
		.amdhsa_system_sgpr_workgroup_id_z 1
		.amdhsa_system_sgpr_workgroup_info 0
		.amdhsa_system_vgpr_workitem_id 1
		.amdhsa_next_free_vgpr 78
		.amdhsa_next_free_sgpr 47
		.amdhsa_reserve_vcc 1
		.amdhsa_float_round_mode_32 0
		.amdhsa_float_round_mode_16_64 0
		.amdhsa_float_denorm_mode_32 3
		.amdhsa_float_denorm_mode_16_64 3
		.amdhsa_fp16_overflow 0
		.amdhsa_workgroup_processor_mode 1
		.amdhsa_memory_ordered 1
		.amdhsa_forward_progress 1
		.amdhsa_inst_pref_size 30
		.amdhsa_round_robin_scheduling 0
		.amdhsa_exception_fp_ieee_invalid_op 0
		.amdhsa_exception_fp_denorm_src 0
		.amdhsa_exception_fp_ieee_div_zero 0
		.amdhsa_exception_fp_ieee_overflow 0
		.amdhsa_exception_fp_ieee_underflow 0
		.amdhsa_exception_fp_ieee_inexact 0
		.amdhsa_exception_int_div_zero 0
	.end_amdhsa_kernel
	.section	.text._ZL20rocblas_gemvn_kernelILi64ELi16ElPKDF16_fKPDF16_EviiT3_lPKT2_lT1_lS7_lS8_lS4_lPT4_lS8_li,"axG",@progbits,_ZL20rocblas_gemvn_kernelILi64ELi16ElPKDF16_fKPDF16_EviiT3_lPKT2_lT1_lS7_lS8_lS4_lPT4_lS8_li,comdat
.Lfunc_end437:
	.size	_ZL20rocblas_gemvn_kernelILi64ELi16ElPKDF16_fKPDF16_EviiT3_lPKT2_lT1_lS7_lS8_lS4_lPT4_lS8_li, .Lfunc_end437-_ZL20rocblas_gemvn_kernelILi64ELi16ElPKDF16_fKPDF16_EviiT3_lPKT2_lT1_lS7_lS8_lS4_lPT4_lS8_li
                                        ; -- End function
	.set _ZL20rocblas_gemvn_kernelILi64ELi16ElPKDF16_fKPDF16_EviiT3_lPKT2_lT1_lS7_lS8_lS4_lPT4_lS8_li.num_vgpr, 78
	.set _ZL20rocblas_gemvn_kernelILi64ELi16ElPKDF16_fKPDF16_EviiT3_lPKT2_lT1_lS7_lS8_lS4_lPT4_lS8_li.num_agpr, 0
	.set _ZL20rocblas_gemvn_kernelILi64ELi16ElPKDF16_fKPDF16_EviiT3_lPKT2_lT1_lS7_lS8_lS4_lPT4_lS8_li.numbered_sgpr, 47
	.set _ZL20rocblas_gemvn_kernelILi64ELi16ElPKDF16_fKPDF16_EviiT3_lPKT2_lT1_lS7_lS8_lS4_lPT4_lS8_li.num_named_barrier, 0
	.set _ZL20rocblas_gemvn_kernelILi64ELi16ElPKDF16_fKPDF16_EviiT3_lPKT2_lT1_lS7_lS8_lS4_lPT4_lS8_li.private_seg_size, 0
	.set _ZL20rocblas_gemvn_kernelILi64ELi16ElPKDF16_fKPDF16_EviiT3_lPKT2_lT1_lS7_lS8_lS4_lPT4_lS8_li.uses_vcc, 1
	.set _ZL20rocblas_gemvn_kernelILi64ELi16ElPKDF16_fKPDF16_EviiT3_lPKT2_lT1_lS7_lS8_lS4_lPT4_lS8_li.uses_flat_scratch, 1
	.set _ZL20rocblas_gemvn_kernelILi64ELi16ElPKDF16_fKPDF16_EviiT3_lPKT2_lT1_lS7_lS8_lS4_lPT4_lS8_li.has_dyn_sized_stack, 0
	.set _ZL20rocblas_gemvn_kernelILi64ELi16ElPKDF16_fKPDF16_EviiT3_lPKT2_lT1_lS7_lS8_lS4_lPT4_lS8_li.has_recursion, 0
	.set _ZL20rocblas_gemvn_kernelILi64ELi16ElPKDF16_fKPDF16_EviiT3_lPKT2_lT1_lS7_lS8_lS4_lPT4_lS8_li.has_indirect_call, 0
	.section	.AMDGPU.csdata,"",@progbits
; Kernel info:
; codeLenInByte = 3840
; TotalNumSgprs: 49
; NumVgprs: 78
; ScratchSize: 0
; MemoryBound: 0
; FloatMode: 240
; IeeeMode: 1
; LDSByteSize: 16384 bytes/workgroup (compile time only)
; SGPRBlocks: 0
; VGPRBlocks: 9
; NumSGPRsForWavesPerEU: 49
; NumVGPRsForWavesPerEU: 78
; Occupancy: 16
; WaveLimiterHint : 1
; COMPUTE_PGM_RSRC2:SCRATCH_EN: 0
; COMPUTE_PGM_RSRC2:USER_SGPR: 2
; COMPUTE_PGM_RSRC2:TRAP_HANDLER: 0
; COMPUTE_PGM_RSRC2:TGID_X_EN: 1
; COMPUTE_PGM_RSRC2:TGID_Y_EN: 0
; COMPUTE_PGM_RSRC2:TGID_Z_EN: 1
; COMPUTE_PGM_RSRC2:TIDIG_COMP_CNT: 1
	.section	.text._ZL22rocblas_gemvtsm_kernelILb0ELi256EPKDF16_PKfKPDF16_EviiT2_lPKT1_lilS9_lilS6_lPT3_lil,"axG",@progbits,_ZL22rocblas_gemvtsm_kernelILb0ELi256EPKDF16_PKfKPDF16_EviiT2_lPKT1_lilS9_lilS6_lPT3_lil,comdat
	.globl	_ZL22rocblas_gemvtsm_kernelILb0ELi256EPKDF16_PKfKPDF16_EviiT2_lPKT1_lilS9_lilS6_lPT3_lil ; -- Begin function _ZL22rocblas_gemvtsm_kernelILb0ELi256EPKDF16_PKfKPDF16_EviiT2_lPKT1_lilS9_lilS6_lPT3_lil
	.p2align	8
	.type	_ZL22rocblas_gemvtsm_kernelILb0ELi256EPKDF16_PKfKPDF16_EviiT2_lPKT1_lilS9_lilS6_lPT3_lil,@function
_ZL22rocblas_gemvtsm_kernelILb0ELi256EPKDF16_PKfKPDF16_EviiT2_lPKT1_lilS9_lilS6_lPT3_lil: ; @_ZL22rocblas_gemvtsm_kernelILb0ELi256EPKDF16_PKfKPDF16_EviiT2_lPKT1_lilS9_lilS6_lPT3_lil
; %bb.0:
	s_clause 0x1
	s_load_b256 s[12:19], s[0:1], 0x8
	s_load_b256 s[4:11], s[0:1], 0x58
	s_mov_b32 s2, ttmp9
	s_mov_b32 s3, 0
	s_wait_kmcnt 0x0
	s_mul_u64 s[14:15], s[14:15], s[2:3]
	s_mul_u64 s[6:7], s[6:7], s[2:3]
	s_lshl_b64 s[14:15], s[14:15], 2
	s_lshl_b64 s[6:7], s[6:7], 2
	s_add_nc_u64 s[12:13], s[12:13], s[14:15]
	s_add_nc_u64 s[4:5], s[4:5], s[6:7]
	s_load_b32 s21, s[12:13], 0x0
	s_load_b32 s20, s[4:5], 0x0
	s_wait_kmcnt 0x0
	s_cmp_eq_f32 s21, 0
	s_cselect_b32 s4, -1, 0
	s_cmp_eq_f32 s20, 1.0
	s_cselect_b32 s5, -1, 0
	s_delay_alu instid0(SALU_CYCLE_1) | instskip(NEXT) | instid1(SALU_CYCLE_1)
	s_and_b32 s4, s4, s5
	s_and_b32 vcc_lo, exec_lo, s4
	s_cbranch_vccnz .LBB438_38
; %bb.1:
	s_cmp_neq_f32 s21, 0
	s_mov_b64 s[12:13], 0
	s_mov_b64 s[6:7], 0
	s_cselect_b32 s4, -1, 0
	s_cmp_eq_f32 s21, 0
	s_cselect_b32 s5, -1, 0
	s_delay_alu instid0(SALU_CYCLE_1)
	s_and_b32 vcc_lo, exec_lo, s5
	s_cbranch_vccnz .LBB438_3
; %bb.2:
	s_lshl_b64 s[6:7], s[2:3], 3
	s_lshl_b64 s[14:15], s[18:19], 1
	s_add_nc_u64 s[6:7], s[16:17], s[6:7]
	s_load_b64 s[6:7], s[6:7], 0x0
	s_wait_kmcnt 0x0
	s_add_nc_u64 s[6:7], s[6:7], s[14:15]
.LBB438_3:
	s_and_not1_b32 vcc_lo, exec_lo, s4
	s_cbranch_vccnz .LBB438_5
; %bb.4:
	s_load_b128 s[12:15], s[0:1], 0x38
	s_lshl_b64 s[16:17], s[2:3], 3
	s_wait_kmcnt 0x0
	s_add_nc_u64 s[12:13], s[12:13], s[16:17]
	s_lshl_b64 s[14:15], s[14:15], 1
	s_load_b64 s[12:13], s[12:13], 0x0
	s_wait_kmcnt 0x0
	s_add_nc_u64 s[12:13], s[12:13], s[14:15]
.LBB438_5:
	s_lshl_b64 s[2:3], s[2:3], 3
	s_and_not1_b32 vcc_lo, exec_lo, s5
	s_add_nc_u64 s[8:9], s[8:9], s[2:3]
	s_clause 0x1
	s_load_b64 s[2:3], s[0:1], 0x0
	s_load_b32 s4, s[0:1], 0x78
	s_load_b64 s[8:9], s[8:9], 0x0
	s_mov_b32 s5, -1
	s_cbranch_vccnz .LBB438_20
; %bb.6:
	s_wait_kmcnt 0x0
	s_cmp_gt_i32 s3, 0
	s_cselect_b32 s16, -1, 0
	s_cmp_neq_f32 s20, 0
	v_cndmask_b32_e64 v1, 0, 1, s16
	s_delay_alu instid0(VALU_DEP_1)
	v_cmp_ne_u32_e32 vcc_lo, 1, v1
	s_cbranch_scc1 .LBB438_13
; %bb.7:
	s_and_b32 vcc_lo, exec_lo, vcc_lo
	s_cbranch_vccnz .LBB438_12
; %bb.8:
	v_mad_co_i64_i32 v[1:2], null, s4, v0, 0
	s_lshl_b64 s[14:15], s[10:11], 1
	v_mov_b32_e32 v3, 0
	s_add_nc_u64 s[14:15], s[8:9], s[14:15]
	s_ashr_i32 s5, s4, 31
	v_lshlrev_b64_e32 v[1:2], 1, v[1:2]
	s_delay_alu instid0(VALU_DEP_1) | instskip(NEXT) | instid1(VALU_DEP_1)
	v_add_co_u32 v1, vcc_lo, s14, v1
	v_add_co_ci_u32_e64 v2, null, s15, v2, vcc_lo
	s_wait_alu 0xfffe
	s_lshl_b64 s[14:15], s[4:5], 9
	s_mov_b32 s5, 0
	s_branch .LBB438_10
.LBB438_9:                              ;   in Loop: Header=BB438_10 Depth=1
	s_wait_alu 0xfffe
	s_or_b32 exec_lo, exec_lo, s17
	v_add_co_u32 v1, vcc_lo, v1, s14
	s_wait_alu 0xfffd
	v_add_co_ci_u32_e64 v2, null, s15, v2, vcc_lo
	s_addk_co_i32 s5, 0x100
	s_wait_alu 0xfffe
	s_cmp_ge_i32 s5, s3
	s_cbranch_scc1 .LBB438_12
.LBB438_10:                             ; =>This Inner Loop Header: Depth=1
	s_wait_alu 0xfffe
	v_add_nc_u32_e32 v4, s5, v0
	s_mov_b32 s17, exec_lo
	s_delay_alu instid0(VALU_DEP_1)
	v_cmpx_gt_i32_e64 s3, v4
	s_cbranch_execz .LBB438_9
; %bb.11:                               ;   in Loop: Header=BB438_10 Depth=1
	flat_store_b16 v[1:2], v3
	s_branch .LBB438_9
.LBB438_12:
	s_mov_b32 s5, 0
.LBB438_13:
	s_wait_alu 0xfffe
	s_and_not1_b32 vcc_lo, exec_lo, s5
	s_wait_alu 0xfffe
	s_cbranch_vccnz .LBB438_19
; %bb.14:
	s_and_not1_b32 vcc_lo, exec_lo, s16
	s_wait_alu 0xfffe
	s_cbranch_vccnz .LBB438_19
; %bb.15:
	v_mad_co_i64_i32 v[1:2], null, s4, v0, 0
	s_lshl_b64 s[14:15], s[10:11], 1
	s_ashr_i32 s5, s4, 31
	s_wait_alu 0xfffe
	s_add_nc_u64 s[14:15], s[8:9], s[14:15]
	v_lshlrev_b64_e32 v[1:2], 1, v[1:2]
	s_wait_alu 0xfffe
	s_delay_alu instid0(VALU_DEP_1) | instskip(SKIP_1) | instid1(VALU_DEP_2)
	v_add_co_u32 v1, vcc_lo, s14, v1
	s_wait_alu 0xfffd
	v_add_co_ci_u32_e64 v2, null, s15, v2, vcc_lo
	s_lshl_b64 s[14:15], s[4:5], 9
	s_mov_b32 s5, 0
	s_branch .LBB438_17
.LBB438_16:                             ;   in Loop: Header=BB438_17 Depth=1
	s_wait_alu 0xfffe
	s_or_b32 exec_lo, exec_lo, s16
	v_add_co_u32 v1, vcc_lo, v1, s14
	s_wait_alu 0xfffd
	v_add_co_ci_u32_e64 v2, null, s15, v2, vcc_lo
	s_addk_co_i32 s5, 0x100
	s_wait_alu 0xfffe
	s_cmp_ge_i32 s5, s3
	s_cbranch_scc1 .LBB438_19
.LBB438_17:                             ; =>This Inner Loop Header: Depth=1
	s_wait_alu 0xfffe
	v_add_nc_u32_e32 v3, s5, v0
	s_mov_b32 s16, exec_lo
	s_delay_alu instid0(VALU_DEP_1)
	v_cmpx_gt_i32_e64 s3, v3
	s_cbranch_execz .LBB438_16
; %bb.18:                               ;   in Loop: Header=BB438_17 Depth=1
	flat_load_u16 v3, v[1:2]
	s_wait_loadcnt_dscnt 0x0
	v_fma_mixlo_f16 v3, s20, v3, 0 op_sel_hi:[0,1,0]
	flat_store_b16 v[1:2], v3
	s_branch .LBB438_16
.LBB438_19:
	s_mov_b32 s5, 0
.LBB438_20:
	s_wait_alu 0xfffe
	s_and_not1_b32 vcc_lo, exec_lo, s5
	s_wait_alu 0xfffe
	s_cbranch_vccnz .LBB438_38
; %bb.21:
	s_mov_b32 s5, exec_lo
	s_wait_kmcnt 0x0
	v_cmpx_gt_i32_e64 s2, v0
	s_cbranch_execz .LBB438_23
; %bb.22:
	s_load_b32 s14, s[0:1], 0x48
	s_wait_kmcnt 0x0
	v_mad_co_i64_i32 v[1:2], null, s14, v0, 0
	s_delay_alu instid0(VALU_DEP_1) | instskip(NEXT) | instid1(VALU_DEP_1)
	v_lshlrev_b64_e32 v[1:2], 1, v[1:2]
	v_add_co_u32 v1, vcc_lo, s12, v1
	s_wait_alu 0xfffd
	s_delay_alu instid0(VALU_DEP_2) | instskip(SKIP_4) | instid1(VALU_DEP_1)
	v_add_co_ci_u32_e64 v2, null, s13, v2, vcc_lo
	flat_load_u16 v1, v[1:2]
	v_lshlrev_b32_e32 v2, 2, v0
	s_wait_loadcnt_dscnt 0x0
	v_cvt_f32_f16_e32 v1, v1
	v_mul_f32_e32 v1, s21, v1
	ds_store_b32 v2, v1
.LBB438_23:
	s_wait_alu 0xfffe
	s_or_b32 exec_lo, exec_lo, s5
	s_cmp_lt_i32 s3, 1
	s_wait_storecnt_dscnt 0x0
	s_barrier_signal -1
	s_barrier_wait -1
	global_inv scope:SCOPE_SE
	s_cbranch_scc1 .LBB438_38
; %bb.24:
	s_load_b32 s16, s[0:1], 0x28
	s_lshl_b64 s[0:1], s[10:11], 1
	s_ashr_i32 s5, s4, 31
	s_add_nc_u64 s[0:1], s[8:9], s[0:1]
	s_mov_b32 s8, 0
	s_wait_kmcnt 0x0
	v_mad_co_i64_i32 v[1:2], null, s16, v0, 0
	s_ashr_i32 s17, s16, 31
	s_cmp_neq_f32 s20, 0
	s_cselect_b32 s10, -1, 0
	v_lshlrev_b64_e32 v[1:2], 1, v[1:2]
	s_cmp_gt_i32 s2, 0
	s_cselect_b32 s11, -1, 0
	s_and_b32 s12, s2, 7
	s_cmp_gt_u32 s2, 7
	s_delay_alu instid0(VALU_DEP_1)
	v_add_co_u32 v7, vcc_lo, s6, v1
	s_wait_alu 0xfffd
	v_add_co_ci_u32_e64 v8, null, s7, v2, vcc_lo
	s_cselect_b32 s13, -1, 0
	v_add_co_u32 v1, vcc_lo, v7, 14
	s_and_b32 s2, s2, 0x7ffffff8
	s_wait_alu 0xfffd
	v_add_co_ci_u32_e64 v2, null, 0, v8, vcc_lo
	s_wait_alu 0xfffe
	s_cmp_lg_u32 s12, 0
	s_cselect_b32 s14, -1, 0
	s_lshl_b64 s[6:7], s[16:17], 9
	s_branch .LBB438_27
.LBB438_25:                             ;   in Loop: Header=BB438_27 Depth=1
	v_add_co_u32 v3, vcc_lo, s0, v3
	s_delay_alu instid0(VALU_DEP_2)
	v_cvt_f16_f32_e32 v5, v9
	s_wait_alu 0xfffd
	v_add_co_ci_u32_e64 v4, null, s1, v4, vcc_lo
	flat_store_b16 v[3:4], v5
.LBB438_26:                             ;   in Loop: Header=BB438_27 Depth=1
	s_wait_alu 0xfffe
	s_or_b32 exec_lo, exec_lo, s9
	v_add_co_u32 v1, vcc_lo, v1, s6
	s_wait_alu 0xfffd
	v_add_co_ci_u32_e64 v2, null, s7, v2, vcc_lo
	v_add_co_u32 v7, vcc_lo, v7, s6
	s_wait_alu 0xfffd
	v_add_co_ci_u32_e64 v8, null, s7, v8, vcc_lo
	s_addk_co_i32 s8, 0x100
	s_wait_alu 0xfffe
	s_cmp_ge_i32 s8, s3
	s_cbranch_scc1 .LBB438_38
.LBB438_27:                             ; =>This Loop Header: Depth=1
                                        ;     Child Loop BB438_33 Depth 2
                                        ;     Child Loop BB438_37 Depth 2
	v_add_nc_u32_e32 v3, s8, v0
	s_mov_b32 s9, exec_lo
	s_delay_alu instid0(VALU_DEP_1)
	v_cmpx_gt_i32_e64 s3, v3
	s_cbranch_execz .LBB438_26
; %bb.28:                               ;   in Loop: Header=BB438_27 Depth=1
	v_mad_co_u64_u32 v[4:5], null, v3, s4, 0
	s_and_not1_b32 vcc_lo, exec_lo, s10
	v_mad_co_u64_u32 v[5:6], null, v3, s5, v[5:6]
	s_delay_alu instid0(VALU_DEP_1)
	v_lshlrev_b64_e32 v[3:4], 1, v[4:5]
	s_wait_alu 0xfffe
	s_cbranch_vccnz .LBB438_30
; %bb.29:                               ;   in Loop: Header=BB438_27 Depth=1
	s_delay_alu instid0(VALU_DEP_1) | instskip(SKIP_1) | instid1(VALU_DEP_2)
	v_add_co_u32 v5, vcc_lo, s0, v3
	s_wait_alu 0xfffd
	v_add_co_ci_u32_e64 v6, null, s1, v4, vcc_lo
	flat_load_u16 v5, v[5:6]
	s_wait_loadcnt_dscnt 0x0
	v_cvt_f32_f16_e32 v5, v5
	s_delay_alu instid0(VALU_DEP_1)
	v_mul_f32_e32 v9, s20, v5
	s_and_not1_b32 vcc_lo, exec_lo, s11
	s_wait_alu 0xfffe
	s_cbranch_vccz .LBB438_31
	s_branch .LBB438_25
.LBB438_30:                             ;   in Loop: Header=BB438_27 Depth=1
	v_mov_b32_e32 v9, 0
	s_and_not1_b32 vcc_lo, exec_lo, s11
	s_wait_alu 0xfffe
	s_cbranch_vccnz .LBB438_25
.LBB438_31:                             ;   in Loop: Header=BB438_27 Depth=1
	s_and_not1_b32 vcc_lo, exec_lo, s13
	s_mov_b32 s15, 0
	s_wait_alu 0xfffe
	s_cbranch_vccnz .LBB438_35
; %bb.32:                               ;   in Loop: Header=BB438_27 Depth=1
	v_dual_mov_b32 v6, v2 :: v_dual_mov_b32 v5, v1
	s_mov_b32 s16, 0
.LBB438_33:                             ;   Parent Loop BB438_27 Depth=1
                                        ; =>  This Inner Loop Header: Depth=2
	flat_load_b128 v[10:13], v[5:6] offset:-14
	v_mov_b32_e32 v18, s15
	v_add_co_u32 v5, vcc_lo, v5, 16
	s_wait_alu 0xfffd
	v_add_co_ci_u32_e64 v6, null, 0, v6, vcc_lo
	ds_load_b128 v[14:17], v18
	ds_load_b128 v[18:21], v18 offset:16
	s_wait_alu 0xfffe
	s_add_co_i32 s16, s16, 8
	s_add_co_i32 s15, s15, 32
	s_wait_alu 0xfffe
	s_cmp_eq_u32 s2, s16
	s_wait_loadcnt_dscnt 0x1
	v_fma_mix_f32 v9, v14, v10, v9 op_sel_hi:[0,1,0]
	s_delay_alu instid0(VALU_DEP_1) | instskip(NEXT) | instid1(VALU_DEP_1)
	v_fma_mix_f32 v9, v15, v10, v9 op_sel:[0,1,0] op_sel_hi:[0,1,0]
	v_fma_mix_f32 v9, v16, v11, v9 op_sel_hi:[0,1,0]
	s_delay_alu instid0(VALU_DEP_1) | instskip(SKIP_1) | instid1(VALU_DEP_1)
	v_fma_mix_f32 v9, v17, v11, v9 op_sel:[0,1,0] op_sel_hi:[0,1,0]
	s_wait_dscnt 0x0
	v_fma_mix_f32 v9, v18, v12, v9 op_sel_hi:[0,1,0]
	s_delay_alu instid0(VALU_DEP_1) | instskip(NEXT) | instid1(VALU_DEP_1)
	v_fma_mix_f32 v9, v19, v12, v9 op_sel:[0,1,0] op_sel_hi:[0,1,0]
	v_fma_mix_f32 v9, v20, v13, v9 op_sel_hi:[0,1,0]
	s_delay_alu instid0(VALU_DEP_1)
	v_fma_mix_f32 v9, v21, v13, v9 op_sel:[0,1,0] op_sel_hi:[0,1,0]
	s_cbranch_scc0 .LBB438_33
; %bb.34:                               ;   in Loop: Header=BB438_27 Depth=1
	s_mov_b32 s15, s2
.LBB438_35:                             ;   in Loop: Header=BB438_27 Depth=1
	s_and_not1_b32 vcc_lo, exec_lo, s14
	s_wait_alu 0xfffe
	s_cbranch_vccnz .LBB438_25
; %bb.36:                               ;   in Loop: Header=BB438_27 Depth=1
	s_lshl_b32 s16, s15, 1
	s_lshl_b32 s15, s15, 2
	s_wait_alu 0xfffe
	v_add_co_u32 v5, vcc_lo, v7, s16
	s_wait_alu 0xfffd
	v_add_co_ci_u32_e64 v6, null, 0, v8, vcc_lo
	s_mov_b32 s16, s12
.LBB438_37:                             ;   Parent Loop BB438_27 Depth=1
                                        ; =>  This Inner Loop Header: Depth=2
	flat_load_u16 v10, v[5:6]
	v_mov_b32_e32 v11, s15
	v_add_co_u32 v5, vcc_lo, v5, 2
	s_wait_alu 0xfffd
	v_add_co_ci_u32_e64 v6, null, 0, v6, vcc_lo
	ds_load_b32 v11, v11
	s_wait_alu 0xfffe
	s_add_co_i32 s16, s16, -1
	s_add_co_i32 s15, s15, 4
	s_wait_alu 0xfffe
	s_cmp_lg_u32 s16, 0
	s_wait_loadcnt_dscnt 0x0
	v_fma_mix_f32 v9, v11, v10, v9 op_sel_hi:[0,1,0]
	s_cbranch_scc1 .LBB438_37
	s_branch .LBB438_25
.LBB438_38:
	s_endpgm
	.section	.rodata,"a",@progbits
	.p2align	6, 0x0
	.amdhsa_kernel _ZL22rocblas_gemvtsm_kernelILb0ELi256EPKDF16_PKfKPDF16_EviiT2_lPKT1_lilS9_lilS6_lPT3_lil
		.amdhsa_group_segment_fixed_size 256
		.amdhsa_private_segment_fixed_size 0
		.amdhsa_kernarg_size 136
		.amdhsa_user_sgpr_count 2
		.amdhsa_user_sgpr_dispatch_ptr 0
		.amdhsa_user_sgpr_queue_ptr 0
		.amdhsa_user_sgpr_kernarg_segment_ptr 1
		.amdhsa_user_sgpr_dispatch_id 0
		.amdhsa_user_sgpr_private_segment_size 0
		.amdhsa_wavefront_size32 1
		.amdhsa_uses_dynamic_stack 0
		.amdhsa_enable_private_segment 0
		.amdhsa_system_sgpr_workgroup_id_x 1
		.amdhsa_system_sgpr_workgroup_id_y 0
		.amdhsa_system_sgpr_workgroup_id_z 0
		.amdhsa_system_sgpr_workgroup_info 0
		.amdhsa_system_vgpr_workitem_id 0
		.amdhsa_next_free_vgpr 22
		.amdhsa_next_free_sgpr 22
		.amdhsa_reserve_vcc 1
		.amdhsa_float_round_mode_32 0
		.amdhsa_float_round_mode_16_64 0
		.amdhsa_float_denorm_mode_32 3
		.amdhsa_float_denorm_mode_16_64 3
		.amdhsa_fp16_overflow 0
		.amdhsa_workgroup_processor_mode 1
		.amdhsa_memory_ordered 1
		.amdhsa_forward_progress 1
		.amdhsa_inst_pref_size 13
		.amdhsa_round_robin_scheduling 0
		.amdhsa_exception_fp_ieee_invalid_op 0
		.amdhsa_exception_fp_denorm_src 0
		.amdhsa_exception_fp_ieee_div_zero 0
		.amdhsa_exception_fp_ieee_overflow 0
		.amdhsa_exception_fp_ieee_underflow 0
		.amdhsa_exception_fp_ieee_inexact 0
		.amdhsa_exception_int_div_zero 0
	.end_amdhsa_kernel
	.section	.text._ZL22rocblas_gemvtsm_kernelILb0ELi256EPKDF16_PKfKPDF16_EviiT2_lPKT1_lilS9_lilS6_lPT3_lil,"axG",@progbits,_ZL22rocblas_gemvtsm_kernelILb0ELi256EPKDF16_PKfKPDF16_EviiT2_lPKT1_lilS9_lilS6_lPT3_lil,comdat
.Lfunc_end438:
	.size	_ZL22rocblas_gemvtsm_kernelILb0ELi256EPKDF16_PKfKPDF16_EviiT2_lPKT1_lilS9_lilS6_lPT3_lil, .Lfunc_end438-_ZL22rocblas_gemvtsm_kernelILb0ELi256EPKDF16_PKfKPDF16_EviiT2_lPKT1_lilS9_lilS6_lPT3_lil
                                        ; -- End function
	.set _ZL22rocblas_gemvtsm_kernelILb0ELi256EPKDF16_PKfKPDF16_EviiT2_lPKT1_lilS9_lilS6_lPT3_lil.num_vgpr, 22
	.set _ZL22rocblas_gemvtsm_kernelILb0ELi256EPKDF16_PKfKPDF16_EviiT2_lPKT1_lilS9_lilS6_lPT3_lil.num_agpr, 0
	.set _ZL22rocblas_gemvtsm_kernelILb0ELi256EPKDF16_PKfKPDF16_EviiT2_lPKT1_lilS9_lilS6_lPT3_lil.numbered_sgpr, 22
	.set _ZL22rocblas_gemvtsm_kernelILb0ELi256EPKDF16_PKfKPDF16_EviiT2_lPKT1_lilS9_lilS6_lPT3_lil.num_named_barrier, 0
	.set _ZL22rocblas_gemvtsm_kernelILb0ELi256EPKDF16_PKfKPDF16_EviiT2_lPKT1_lilS9_lilS6_lPT3_lil.private_seg_size, 0
	.set _ZL22rocblas_gemvtsm_kernelILb0ELi256EPKDF16_PKfKPDF16_EviiT2_lPKT1_lilS9_lilS6_lPT3_lil.uses_vcc, 1
	.set _ZL22rocblas_gemvtsm_kernelILb0ELi256EPKDF16_PKfKPDF16_EviiT2_lPKT1_lilS9_lilS6_lPT3_lil.uses_flat_scratch, 0
	.set _ZL22rocblas_gemvtsm_kernelILb0ELi256EPKDF16_PKfKPDF16_EviiT2_lPKT1_lilS9_lilS6_lPT3_lil.has_dyn_sized_stack, 0
	.set _ZL22rocblas_gemvtsm_kernelILb0ELi256EPKDF16_PKfKPDF16_EviiT2_lPKT1_lilS9_lilS6_lPT3_lil.has_recursion, 0
	.set _ZL22rocblas_gemvtsm_kernelILb0ELi256EPKDF16_PKfKPDF16_EviiT2_lPKT1_lilS9_lilS6_lPT3_lil.has_indirect_call, 0
	.section	.AMDGPU.csdata,"",@progbits
; Kernel info:
; codeLenInByte = 1568
; TotalNumSgprs: 24
; NumVgprs: 22
; ScratchSize: 0
; MemoryBound: 0
; FloatMode: 240
; IeeeMode: 1
; LDSByteSize: 256 bytes/workgroup (compile time only)
; SGPRBlocks: 0
; VGPRBlocks: 2
; NumSGPRsForWavesPerEU: 24
; NumVGPRsForWavesPerEU: 22
; Occupancy: 16
; WaveLimiterHint : 1
; COMPUTE_PGM_RSRC2:SCRATCH_EN: 0
; COMPUTE_PGM_RSRC2:USER_SGPR: 2
; COMPUTE_PGM_RSRC2:TRAP_HANDLER: 0
; COMPUTE_PGM_RSRC2:TGID_X_EN: 1
; COMPUTE_PGM_RSRC2:TGID_Y_EN: 0
; COMPUTE_PGM_RSRC2:TGID_Z_EN: 0
; COMPUTE_PGM_RSRC2:TIDIG_COMP_CNT: 0
	.section	.text._ZL22rocblas_gemvtsm_kernelILb0ELi256EPKDF16_fKPDF16_EviiT2_lPKT1_lilS7_lilS4_lPT3_lil,"axG",@progbits,_ZL22rocblas_gemvtsm_kernelILb0ELi256EPKDF16_fKPDF16_EviiT2_lPKT1_lilS7_lilS4_lPT3_lil,comdat
	.globl	_ZL22rocblas_gemvtsm_kernelILb0ELi256EPKDF16_fKPDF16_EviiT2_lPKT1_lilS7_lilS4_lPT3_lil ; -- Begin function _ZL22rocblas_gemvtsm_kernelILb0ELi256EPKDF16_fKPDF16_EviiT2_lPKT1_lilS7_lilS4_lPT3_lil
	.p2align	8
	.type	_ZL22rocblas_gemvtsm_kernelILb0ELi256EPKDF16_fKPDF16_EviiT2_lPKT1_lilS7_lilS4_lPT3_lil,@function
_ZL22rocblas_gemvtsm_kernelILb0ELi256EPKDF16_fKPDF16_EviiT2_lPKT1_lilS7_lilS4_lPT3_lil: ; @_ZL22rocblas_gemvtsm_kernelILb0ELi256EPKDF16_fKPDF16_EviiT2_lPKT1_lilS7_lilS4_lPT3_lil
; %bb.0:
	s_clause 0x1
	s_load_b96 s[8:10], s[0:1], 0x0
	s_load_b32 s11, s[0:1], 0x58
	s_mov_b32 s5, 0
	s_wait_kmcnt 0x0
	s_cmp_eq_f32 s10, 0
	s_cselect_b32 s2, -1, 0
	s_cmp_eq_f32 s11, 1.0
	s_cselect_b32 s3, -1, 0
	s_delay_alu instid0(SALU_CYCLE_1) | instskip(NEXT) | instid1(SALU_CYCLE_1)
	s_and_b32 s2, s2, s3
	s_and_b32 vcc_lo, exec_lo, s2
	s_cbranch_vccnz .LBB439_40
; %bb.1:
	s_cmp_neq_f32 s10, 0
	s_mov_b32 s4, ttmp9
	s_cselect_b32 s6, -1, 0
	s_cmp_eq_f32 s10, 0
	s_cselect_b32 s16, -1, 0
	s_and_b32 vcc_lo, exec_lo, s6
	s_cbranch_vccnz .LBB439_3
; %bb.2:
	s_mov_b32 s3, 0
	s_mov_b32 s2, ttmp9
	s_mov_b32 s7, s3
	s_mov_b64 s[14:15], 0
	s_and_not1_b32 vcc_lo, exec_lo, s7
	s_mov_b64 s[12:13], 0
	s_cbranch_vccz .LBB439_4
	s_branch .LBB439_5
.LBB439_3:
	s_mov_b64 s[2:3], s[4:5]
	s_mov_b64 s[14:15], 0
	s_mov_b64 s[12:13], 0
.LBB439_4:
	s_load_b128 s[20:23], s[0:1], 0x18
	s_lshl_b64 s[4:5], s[4:5], 3
	s_wait_kmcnt 0x0
	s_add_nc_u64 s[4:5], s[20:21], s[4:5]
	s_lshl_b64 s[12:13], s[22:23], 1
	s_load_b64 s[4:5], s[4:5], 0x0
	s_wait_kmcnt 0x0
	s_add_nc_u64 s[12:13], s[4:5], s[12:13]
.LBB439_5:
	s_and_not1_b32 vcc_lo, exec_lo, s6
	s_cbranch_vccnz .LBB439_7
; %bb.6:
	s_load_b128 s[4:7], s[0:1], 0x38
	s_lshl_b64 s[14:15], s[2:3], 3
	s_wait_kmcnt 0x0
	s_add_nc_u64 s[4:5], s[4:5], s[14:15]
	s_lshl_b64 s[6:7], s[6:7], 1
	s_load_b64 s[4:5], s[4:5], 0x0
	s_wait_kmcnt 0x0
	s_add_nc_u64 s[14:15], s[4:5], s[6:7]
.LBB439_7:
	s_load_b128 s[4:7], s[0:1], 0x68
	s_lshl_b64 s[18:19], s[2:3], 3
	s_load_b32 s2, s[0:1], 0x78
	s_and_not1_b32 vcc_lo, exec_lo, s16
	s_mov_b32 s3, -1
	s_wait_kmcnt 0x0
	s_add_nc_u64 s[4:5], s[4:5], s[18:19]
	s_load_b64 s[4:5], s[4:5], 0x0
	s_cbranch_vccnz .LBB439_22
; %bb.8:
	s_cmp_gt_i32 s9, 0
	s_cselect_b32 s18, -1, 0
	s_cmp_neq_f32 s11, 0
	v_cndmask_b32_e64 v1, 0, 1, s18
	s_delay_alu instid0(VALU_DEP_1)
	v_cmp_ne_u32_e32 vcc_lo, 1, v1
	s_cbranch_scc1 .LBB439_15
; %bb.9:
	s_and_b32 vcc_lo, exec_lo, vcc_lo
	s_cbranch_vccnz .LBB439_14
; %bb.10:
	v_mad_co_i64_i32 v[1:2], null, s2, v0, 0
	s_lshl_b64 s[16:17], s[6:7], 1
	v_mov_b32_e32 v3, 0
	s_wait_kmcnt 0x0
	s_add_nc_u64 s[16:17], s[4:5], s[16:17]
	s_ashr_i32 s3, s2, 31
	v_lshlrev_b64_e32 v[1:2], 1, v[1:2]
	s_delay_alu instid0(VALU_DEP_1) | instskip(NEXT) | instid1(VALU_DEP_1)
	v_add_co_u32 v1, vcc_lo, s16, v1
	v_add_co_ci_u32_e64 v2, null, s17, v2, vcc_lo
	s_wait_alu 0xfffe
	s_lshl_b64 s[16:17], s[2:3], 9
	s_mov_b32 s3, 0
	s_branch .LBB439_12
.LBB439_11:                             ;   in Loop: Header=BB439_12 Depth=1
	s_wait_alu 0xfffe
	s_or_b32 exec_lo, exec_lo, s19
	v_add_co_u32 v1, vcc_lo, v1, s16
	s_wait_alu 0xfffd
	v_add_co_ci_u32_e64 v2, null, s17, v2, vcc_lo
	s_addk_co_i32 s3, 0x100
	s_wait_alu 0xfffe
	s_cmp_ge_i32 s3, s9
	s_cbranch_scc1 .LBB439_14
.LBB439_12:                             ; =>This Inner Loop Header: Depth=1
	s_wait_alu 0xfffe
	v_add_nc_u32_e32 v4, s3, v0
	s_mov_b32 s19, exec_lo
	s_delay_alu instid0(VALU_DEP_1)
	v_cmpx_gt_i32_e64 s9, v4
	s_cbranch_execz .LBB439_11
; %bb.13:                               ;   in Loop: Header=BB439_12 Depth=1
	flat_store_b16 v[1:2], v3
	s_branch .LBB439_11
.LBB439_14:
	s_mov_b32 s3, 0
.LBB439_15:
	s_wait_alu 0xfffe
	s_and_not1_b32 vcc_lo, exec_lo, s3
	s_wait_alu 0xfffe
	s_cbranch_vccnz .LBB439_21
; %bb.16:
	s_and_not1_b32 vcc_lo, exec_lo, s18
	s_wait_alu 0xfffe
	s_cbranch_vccnz .LBB439_21
; %bb.17:
	v_mad_co_i64_i32 v[1:2], null, s2, v0, 0
	s_lshl_b64 s[16:17], s[6:7], 1
	s_ashr_i32 s3, s2, 31
	s_wait_kmcnt 0x0
	s_wait_alu 0xfffe
	s_add_nc_u64 s[16:17], s[4:5], s[16:17]
	v_lshlrev_b64_e32 v[1:2], 1, v[1:2]
	s_wait_alu 0xfffe
	s_delay_alu instid0(VALU_DEP_1) | instskip(SKIP_1) | instid1(VALU_DEP_2)
	v_add_co_u32 v1, vcc_lo, s16, v1
	s_wait_alu 0xfffd
	v_add_co_ci_u32_e64 v2, null, s17, v2, vcc_lo
	s_lshl_b64 s[16:17], s[2:3], 9
	s_mov_b32 s3, 0
	s_branch .LBB439_19
.LBB439_18:                             ;   in Loop: Header=BB439_19 Depth=1
	s_wait_alu 0xfffe
	s_or_b32 exec_lo, exec_lo, s18
	v_add_co_u32 v1, vcc_lo, v1, s16
	s_wait_alu 0xfffd
	v_add_co_ci_u32_e64 v2, null, s17, v2, vcc_lo
	s_addk_co_i32 s3, 0x100
	s_wait_alu 0xfffe
	s_cmp_ge_i32 s3, s9
	s_cbranch_scc1 .LBB439_21
.LBB439_19:                             ; =>This Inner Loop Header: Depth=1
	s_wait_alu 0xfffe
	v_add_nc_u32_e32 v3, s3, v0
	s_mov_b32 s18, exec_lo
	s_delay_alu instid0(VALU_DEP_1)
	v_cmpx_gt_i32_e64 s9, v3
	s_cbranch_execz .LBB439_18
; %bb.20:                               ;   in Loop: Header=BB439_19 Depth=1
	flat_load_u16 v3, v[1:2]
	s_wait_loadcnt_dscnt 0x0
	v_fma_mixlo_f16 v3, s11, v3, 0 op_sel_hi:[0,1,0]
	flat_store_b16 v[1:2], v3
	s_branch .LBB439_18
.LBB439_21:
	s_mov_b32 s3, 0
.LBB439_22:
	s_wait_alu 0xfffe
	s_and_not1_b32 vcc_lo, exec_lo, s3
	s_wait_alu 0xfffe
	s_cbranch_vccnz .LBB439_40
; %bb.23:
	s_mov_b32 s3, exec_lo
	v_cmpx_gt_i32_e64 s8, v0
	s_cbranch_execz .LBB439_25
; %bb.24:
	s_load_b32 s16, s[0:1], 0x48
	s_wait_kmcnt 0x0
	v_mad_co_i64_i32 v[1:2], null, s16, v0, 0
	s_delay_alu instid0(VALU_DEP_1) | instskip(NEXT) | instid1(VALU_DEP_1)
	v_lshlrev_b64_e32 v[1:2], 1, v[1:2]
	v_add_co_u32 v1, vcc_lo, s14, v1
	s_wait_alu 0xfffd
	s_delay_alu instid0(VALU_DEP_2) | instskip(SKIP_4) | instid1(VALU_DEP_1)
	v_add_co_ci_u32_e64 v2, null, s15, v2, vcc_lo
	flat_load_u16 v1, v[1:2]
	v_lshlrev_b32_e32 v2, 2, v0
	s_wait_loadcnt_dscnt 0x0
	v_cvt_f32_f16_e32 v1, v1
	v_mul_f32_e32 v1, s10, v1
	ds_store_b32 v2, v1
.LBB439_25:
	s_wait_alu 0xfffe
	s_or_b32 exec_lo, exec_lo, s3
	s_cmp_lt_i32 s9, 1
	s_wait_storecnt_dscnt 0x0
	s_barrier_signal -1
	s_barrier_wait -1
	global_inv scope:SCOPE_SE
	s_cbranch_scc1 .LBB439_40
; %bb.26:
	s_load_b32 s16, s[0:1], 0x28
	s_lshl_b64 s[0:1], s[6:7], 1
	s_ashr_i32 s3, s2, 31
	s_wait_kmcnt 0x0
	s_add_nc_u64 s[0:1], s[4:5], s[0:1]
	v_mad_co_i64_i32 v[1:2], null, s16, v0, 0
	s_ashr_i32 s17, s16, 31
	s_cmp_neq_f32 s11, 0
	s_cselect_b32 s6, -1, 0
	v_lshlrev_b64_e32 v[1:2], 1, v[1:2]
	s_cmp_gt_i32 s8, 0
	s_cselect_b32 s7, -1, 0
	s_and_b32 s10, s8, 7
	s_cmp_gt_u32 s8, 7
	s_delay_alu instid0(VALU_DEP_1)
	v_add_co_u32 v7, vcc_lo, s12, v1
	s_wait_alu 0xfffd
	v_add_co_ci_u32_e64 v8, null, s13, v2, vcc_lo
	s_cselect_b32 s14, -1, 0
	v_add_co_u32 v1, vcc_lo, v7, 14
	s_and_b32 s8, s8, 0x7ffffff8
	s_wait_alu 0xfffd
	v_add_co_ci_u32_e64 v2, null, 0, v8, vcc_lo
	s_wait_alu 0xfffe
	s_cmp_lg_u32 s10, 0
	s_mov_b32 s13, 0
	s_cselect_b32 s12, -1, 0
	s_lshl_b64 s[4:5], s[16:17], 9
	s_branch .LBB439_29
.LBB439_27:                             ;   in Loop: Header=BB439_29 Depth=1
	v_add_co_u32 v3, vcc_lo, s0, v3
	s_delay_alu instid0(VALU_DEP_2)
	v_cvt_f16_f32_e32 v5, v9
	s_wait_alu 0xfffd
	v_add_co_ci_u32_e64 v4, null, s1, v4, vcc_lo
	flat_store_b16 v[3:4], v5
.LBB439_28:                             ;   in Loop: Header=BB439_29 Depth=1
	s_wait_alu 0xfffe
	s_or_b32 exec_lo, exec_lo, s15
	v_add_co_u32 v1, vcc_lo, v1, s4
	s_wait_alu 0xfffd
	v_add_co_ci_u32_e64 v2, null, s5, v2, vcc_lo
	v_add_co_u32 v7, vcc_lo, v7, s4
	s_wait_alu 0xfffd
	v_add_co_ci_u32_e64 v8, null, s5, v8, vcc_lo
	s_addk_co_i32 s13, 0x100
	s_wait_alu 0xfffe
	s_cmp_ge_i32 s13, s9
	s_cbranch_scc1 .LBB439_40
.LBB439_29:                             ; =>This Loop Header: Depth=1
                                        ;     Child Loop BB439_35 Depth 2
                                        ;     Child Loop BB439_39 Depth 2
	s_wait_alu 0xfffe
	v_add_nc_u32_e32 v3, s13, v0
	s_mov_b32 s15, exec_lo
	s_delay_alu instid0(VALU_DEP_1)
	v_cmpx_gt_i32_e64 s9, v3
	s_cbranch_execz .LBB439_28
; %bb.30:                               ;   in Loop: Header=BB439_29 Depth=1
	v_mad_co_u64_u32 v[4:5], null, v3, s2, 0
	s_and_not1_b32 vcc_lo, exec_lo, s6
	v_mad_co_u64_u32 v[5:6], null, v3, s3, v[5:6]
	s_delay_alu instid0(VALU_DEP_1)
	v_lshlrev_b64_e32 v[3:4], 1, v[4:5]
	s_wait_alu 0xfffe
	s_cbranch_vccnz .LBB439_32
; %bb.31:                               ;   in Loop: Header=BB439_29 Depth=1
	s_delay_alu instid0(VALU_DEP_1) | instskip(SKIP_1) | instid1(VALU_DEP_2)
	v_add_co_u32 v5, vcc_lo, s0, v3
	s_wait_alu 0xfffd
	v_add_co_ci_u32_e64 v6, null, s1, v4, vcc_lo
	flat_load_u16 v5, v[5:6]
	s_wait_loadcnt_dscnt 0x0
	v_cvt_f32_f16_e32 v5, v5
	s_delay_alu instid0(VALU_DEP_1)
	v_mul_f32_e32 v9, s11, v5
	s_and_not1_b32 vcc_lo, exec_lo, s7
	s_wait_alu 0xfffe
	s_cbranch_vccz .LBB439_33
	s_branch .LBB439_27
.LBB439_32:                             ;   in Loop: Header=BB439_29 Depth=1
	v_mov_b32_e32 v9, 0
	s_and_not1_b32 vcc_lo, exec_lo, s7
	s_wait_alu 0xfffe
	s_cbranch_vccnz .LBB439_27
.LBB439_33:                             ;   in Loop: Header=BB439_29 Depth=1
	s_and_not1_b32 vcc_lo, exec_lo, s14
	s_mov_b32 s16, 0
	s_wait_alu 0xfffe
	s_cbranch_vccnz .LBB439_37
; %bb.34:                               ;   in Loop: Header=BB439_29 Depth=1
	v_dual_mov_b32 v6, v2 :: v_dual_mov_b32 v5, v1
	s_mov_b32 s17, 0
.LBB439_35:                             ;   Parent Loop BB439_29 Depth=1
                                        ; =>  This Inner Loop Header: Depth=2
	flat_load_b128 v[10:13], v[5:6] offset:-14
	v_mov_b32_e32 v18, s16
	v_add_co_u32 v5, vcc_lo, v5, 16
	s_wait_alu 0xfffd
	v_add_co_ci_u32_e64 v6, null, 0, v6, vcc_lo
	ds_load_b128 v[14:17], v18
	ds_load_b128 v[18:21], v18 offset:16
	s_wait_alu 0xfffe
	s_add_co_i32 s17, s17, 8
	s_add_co_i32 s16, s16, 32
	s_wait_alu 0xfffe
	s_cmp_eq_u32 s8, s17
	s_wait_loadcnt_dscnt 0x1
	v_fma_mix_f32 v9, v14, v10, v9 op_sel_hi:[0,1,0]
	s_delay_alu instid0(VALU_DEP_1) | instskip(NEXT) | instid1(VALU_DEP_1)
	v_fma_mix_f32 v9, v15, v10, v9 op_sel:[0,1,0] op_sel_hi:[0,1,0]
	v_fma_mix_f32 v9, v16, v11, v9 op_sel_hi:[0,1,0]
	s_delay_alu instid0(VALU_DEP_1) | instskip(SKIP_1) | instid1(VALU_DEP_1)
	v_fma_mix_f32 v9, v17, v11, v9 op_sel:[0,1,0] op_sel_hi:[0,1,0]
	s_wait_dscnt 0x0
	v_fma_mix_f32 v9, v18, v12, v9 op_sel_hi:[0,1,0]
	s_delay_alu instid0(VALU_DEP_1) | instskip(NEXT) | instid1(VALU_DEP_1)
	v_fma_mix_f32 v9, v19, v12, v9 op_sel:[0,1,0] op_sel_hi:[0,1,0]
	v_fma_mix_f32 v9, v20, v13, v9 op_sel_hi:[0,1,0]
	s_delay_alu instid0(VALU_DEP_1)
	v_fma_mix_f32 v9, v21, v13, v9 op_sel:[0,1,0] op_sel_hi:[0,1,0]
	s_cbranch_scc0 .LBB439_35
; %bb.36:                               ;   in Loop: Header=BB439_29 Depth=1
	s_mov_b32 s16, s8
.LBB439_37:                             ;   in Loop: Header=BB439_29 Depth=1
	s_and_not1_b32 vcc_lo, exec_lo, s12
	s_wait_alu 0xfffe
	s_cbranch_vccnz .LBB439_27
; %bb.38:                               ;   in Loop: Header=BB439_29 Depth=1
	s_lshl_b32 s17, s16, 1
	s_lshl_b32 s16, s16, 2
	s_wait_alu 0xfffe
	v_add_co_u32 v5, vcc_lo, v7, s17
	s_wait_alu 0xfffd
	v_add_co_ci_u32_e64 v6, null, 0, v8, vcc_lo
	s_mov_b32 s17, s10
.LBB439_39:                             ;   Parent Loop BB439_29 Depth=1
                                        ; =>  This Inner Loop Header: Depth=2
	flat_load_u16 v10, v[5:6]
	v_mov_b32_e32 v11, s16
	v_add_co_u32 v5, vcc_lo, v5, 2
	s_wait_alu 0xfffd
	v_add_co_ci_u32_e64 v6, null, 0, v6, vcc_lo
	ds_load_b32 v11, v11
	s_wait_alu 0xfffe
	s_add_co_i32 s17, s17, -1
	s_add_co_i32 s16, s16, 4
	s_wait_alu 0xfffe
	s_cmp_lg_u32 s17, 0
	s_wait_loadcnt_dscnt 0x0
	v_fma_mix_f32 v9, v11, v10, v9 op_sel_hi:[0,1,0]
	s_cbranch_scc1 .LBB439_39
	s_branch .LBB439_27
.LBB439_40:
	s_endpgm
	.section	.rodata,"a",@progbits
	.p2align	6, 0x0
	.amdhsa_kernel _ZL22rocblas_gemvtsm_kernelILb0ELi256EPKDF16_fKPDF16_EviiT2_lPKT1_lilS7_lilS4_lPT3_lil
		.amdhsa_group_segment_fixed_size 256
		.amdhsa_private_segment_fixed_size 0
		.amdhsa_kernarg_size 136
		.amdhsa_user_sgpr_count 2
		.amdhsa_user_sgpr_dispatch_ptr 0
		.amdhsa_user_sgpr_queue_ptr 0
		.amdhsa_user_sgpr_kernarg_segment_ptr 1
		.amdhsa_user_sgpr_dispatch_id 0
		.amdhsa_user_sgpr_private_segment_size 0
		.amdhsa_wavefront_size32 1
		.amdhsa_uses_dynamic_stack 0
		.amdhsa_enable_private_segment 0
		.amdhsa_system_sgpr_workgroup_id_x 1
		.amdhsa_system_sgpr_workgroup_id_y 0
		.amdhsa_system_sgpr_workgroup_id_z 0
		.amdhsa_system_sgpr_workgroup_info 0
		.amdhsa_system_vgpr_workitem_id 0
		.amdhsa_next_free_vgpr 22
		.amdhsa_next_free_sgpr 24
		.amdhsa_reserve_vcc 1
		.amdhsa_float_round_mode_32 0
		.amdhsa_float_round_mode_16_64 0
		.amdhsa_float_denorm_mode_32 3
		.amdhsa_float_denorm_mode_16_64 3
		.amdhsa_fp16_overflow 0
		.amdhsa_workgroup_processor_mode 1
		.amdhsa_memory_ordered 1
		.amdhsa_forward_progress 1
		.amdhsa_inst_pref_size 13
		.amdhsa_round_robin_scheduling 0
		.amdhsa_exception_fp_ieee_invalid_op 0
		.amdhsa_exception_fp_denorm_src 0
		.amdhsa_exception_fp_ieee_div_zero 0
		.amdhsa_exception_fp_ieee_overflow 0
		.amdhsa_exception_fp_ieee_underflow 0
		.amdhsa_exception_fp_ieee_inexact 0
		.amdhsa_exception_int_div_zero 0
	.end_amdhsa_kernel
	.section	.text._ZL22rocblas_gemvtsm_kernelILb0ELi256EPKDF16_fKPDF16_EviiT2_lPKT1_lilS7_lilS4_lPT3_lil,"axG",@progbits,_ZL22rocblas_gemvtsm_kernelILb0ELi256EPKDF16_fKPDF16_EviiT2_lPKT1_lilS7_lilS4_lPT3_lil,comdat
.Lfunc_end439:
	.size	_ZL22rocblas_gemvtsm_kernelILb0ELi256EPKDF16_fKPDF16_EviiT2_lPKT1_lilS7_lilS4_lPT3_lil, .Lfunc_end439-_ZL22rocblas_gemvtsm_kernelILb0ELi256EPKDF16_fKPDF16_EviiT2_lPKT1_lilS7_lilS4_lPT3_lil
                                        ; -- End function
	.set _ZL22rocblas_gemvtsm_kernelILb0ELi256EPKDF16_fKPDF16_EviiT2_lPKT1_lilS7_lilS4_lPT3_lil.num_vgpr, 22
	.set _ZL22rocblas_gemvtsm_kernelILb0ELi256EPKDF16_fKPDF16_EviiT2_lPKT1_lilS7_lilS4_lPT3_lil.num_agpr, 0
	.set _ZL22rocblas_gemvtsm_kernelILb0ELi256EPKDF16_fKPDF16_EviiT2_lPKT1_lilS7_lilS4_lPT3_lil.numbered_sgpr, 24
	.set _ZL22rocblas_gemvtsm_kernelILb0ELi256EPKDF16_fKPDF16_EviiT2_lPKT1_lilS7_lilS4_lPT3_lil.num_named_barrier, 0
	.set _ZL22rocblas_gemvtsm_kernelILb0ELi256EPKDF16_fKPDF16_EviiT2_lPKT1_lilS7_lilS4_lPT3_lil.private_seg_size, 0
	.set _ZL22rocblas_gemvtsm_kernelILb0ELi256EPKDF16_fKPDF16_EviiT2_lPKT1_lilS7_lilS4_lPT3_lil.uses_vcc, 1
	.set _ZL22rocblas_gemvtsm_kernelILb0ELi256EPKDF16_fKPDF16_EviiT2_lPKT1_lilS7_lilS4_lPT3_lil.uses_flat_scratch, 0
	.set _ZL22rocblas_gemvtsm_kernelILb0ELi256EPKDF16_fKPDF16_EviiT2_lPKT1_lilS7_lilS4_lPT3_lil.has_dyn_sized_stack, 0
	.set _ZL22rocblas_gemvtsm_kernelILb0ELi256EPKDF16_fKPDF16_EviiT2_lPKT1_lilS7_lilS4_lPT3_lil.has_recursion, 0
	.set _ZL22rocblas_gemvtsm_kernelILb0ELi256EPKDF16_fKPDF16_EviiT2_lPKT1_lilS7_lilS4_lPT3_lil.has_indirect_call, 0
	.section	.AMDGPU.csdata,"",@progbits
; Kernel info:
; codeLenInByte = 1572
; TotalNumSgprs: 26
; NumVgprs: 22
; ScratchSize: 0
; MemoryBound: 0
; FloatMode: 240
; IeeeMode: 1
; LDSByteSize: 256 bytes/workgroup (compile time only)
; SGPRBlocks: 0
; VGPRBlocks: 2
; NumSGPRsForWavesPerEU: 26
; NumVGPRsForWavesPerEU: 22
; Occupancy: 16
; WaveLimiterHint : 1
; COMPUTE_PGM_RSRC2:SCRATCH_EN: 0
; COMPUTE_PGM_RSRC2:USER_SGPR: 2
; COMPUTE_PGM_RSRC2:TRAP_HANDLER: 0
; COMPUTE_PGM_RSRC2:TGID_X_EN: 1
; COMPUTE_PGM_RSRC2:TGID_Y_EN: 0
; COMPUTE_PGM_RSRC2:TGID_Z_EN: 0
; COMPUTE_PGM_RSRC2:TIDIG_COMP_CNT: 0
	.section	.text._ZL23rocblas_gemvt_sn_kernelILb0ELi256ELi4EiPKDF16_PKffEviiT4_lPKT3_lilS7_lilPT5_i,"axG",@progbits,_ZL23rocblas_gemvt_sn_kernelILb0ELi256ELi4EiPKDF16_PKffEviiT4_lPKT3_lilS7_lilPT5_i,comdat
	.globl	_ZL23rocblas_gemvt_sn_kernelILb0ELi256ELi4EiPKDF16_PKffEviiT4_lPKT3_lilS7_lilPT5_i ; -- Begin function _ZL23rocblas_gemvt_sn_kernelILb0ELi256ELi4EiPKDF16_PKffEviiT4_lPKT3_lilS7_lilPT5_i
	.p2align	8
	.type	_ZL23rocblas_gemvt_sn_kernelILb0ELi256ELi4EiPKDF16_PKffEviiT4_lPKT3_lilS7_lilPT5_i,@function
_ZL23rocblas_gemvt_sn_kernelILb0ELi256ELi4EiPKDF16_PKffEviiT4_lPKT3_lilS7_lilPT5_i: ; @_ZL23rocblas_gemvt_sn_kernelILb0ELi256ELi4EiPKDF16_PKffEviiT4_lPKT3_lilS7_lilPT5_i
; %bb.0:
	s_load_b32 s33, s[0:1], 0x60
	s_lshr_b32 s10, ttmp7, 16
	s_wait_kmcnt 0x0
	s_cmp_ge_u32 s10, s33
	s_cbranch_scc1 .LBB440_87
; %bb.1:
	s_clause 0x6
	s_load_b64 s[26:27], s[0:1], 0x0
	s_load_b256 s[12:19], s[0:1], 0x8
	s_load_b32 s28, s[0:1], 0x68
	s_load_b32 s30, s[0:1], 0x28
	s_load_b128 s[20:23], s[0:1], 0x38
	s_load_b32 s64, s[0:1], 0x48
	s_load_b64 s[34:35], s[0:1], 0x58
	v_cmp_eq_u32_e64 s0, 0, v0
	v_and_b32_e32 v1, 31, v0
	v_cmp_gt_u32_e64 s1, 32, v0
	v_cmp_gt_u32_e64 s2, 8, v0
	v_lshrrev_b32_e32 v2, 3, v0
	s_mov_b32 s37, 0
	v_cmp_eq_u32_e64 s3, 0, v1
	s_mov_b32 s29, s37
	v_lshlrev_b32_e32 v29, 2, v1
	v_and_b32_e32 v30, 28, v2
	v_mbcnt_lo_u32_b32 v31, -1, 0
	s_mov_b32 s24, ttmp9
	s_mov_b32 s25, s37
	s_wait_kmcnt 0x0
	s_ashr_i32 s5, s27, 31
	s_cmp_gt_i32 s27, 0
	s_mov_b32 s4, s27
	s_cselect_b32 s6, -1, 0
	s_lshl_b32 s7, ttmp9, 10
	s_mul_u64 s[38:39], s[4:5], s[28:29]
	v_lshl_or_b32 v0, v0, 2, s7
	s_lshr_b32 s4, s5, 30
	s_ashr_i32 s5, s26, 31
	s_add_co_i32 s4, s27, s4
	s_lshr_b32 s5, s5, 30
	v_mul_lo_u32 v5, s64, v0
	s_add_co_i32 s5, s26, s5
	v_add_nc_u32_e32 v3, 4, v0
	s_and_b32 s66, s4, -4
	s_and_b32 s4, s5, -4
	s_and_b32 s65, s0, s6
	s_sub_co_i32 s67, s26, s4
	v_ashrrev_i32_e32 v1, 31, v0
	v_add_nc_u32_e32 v2, s64, v5
	v_cmp_ge_i32_e64 s4, s26, v3
	v_ashrrev_i32_e32 v6, 31, v5
	s_cmp_gt_i32 s66, 0
	v_add_nc_u32_e32 v4, s67, v0
	v_add_nc_u32_e32 v13, s64, v2
	v_ashrrev_i32_e32 v3, 31, v2
	s_cselect_b32 s68, -1, 0
	s_cmp_gt_i32 s67, 0
	v_lshlrev_b64_e32 v[7:8], 1, v[0:1]
	v_add_nc_u32_e32 v15, s64, v13
	v_ashrrev_i32_e32 v14, 31, v13
	s_cselect_b32 s69, -1, 0
	s_lshl_b32 s36, s30, 1
	v_lshlrev_b64_e32 v[9:10], 1, v[5:6]
	v_ashrrev_i32_e32 v16, 31, v15
	v_lshlrev_b64_e32 v[11:12], 1, v[2:3]
	v_lshlrev_b64_e32 v[13:14], 1, v[13:14]
	v_cmp_ge_i32_e64 s5, s26, v4
	v_mov_b32_e32 v0, 0
	v_lshlrev_b64_e32 v[15:16], 1, v[15:16]
	v_lshl_or_b32 v6, v31, 2, 64
	s_lshl_b64 s[40:41], s[24:25], 2
	s_mov_b64 s[50:51], s[36:37]
	s_mul_i32 s36, s30, 3
	s_add_nc_u64 s[42:43], s[34:35], s[40:41]
	s_lshl_b64 s[44:45], s[38:39], 2
	s_lshl_b64 s[46:47], s[28:29], 2
	s_mov_b32 s31, s37
	s_lshl_b32 s48, s30, 2
	s_mov_b32 s49, s37
	s_mov_b64 s[52:53], s[36:37]
	s_lshl_b64 s[18:19], s[18:19], 1
	s_lshl_b64 s[22:23], s[22:23], 1
	s_branch .LBB440_3
.LBB440_2:                              ;   in Loop: Header=BB440_3 Depth=1
	s_add_co_i32 s10, s10, 0x10000
	s_delay_alu instid0(SALU_CYCLE_1)
	s_cmp_lt_u32 s10, s33
	s_cbranch_scc0 .LBB440_87
.LBB440_3:                              ; =>This Loop Header: Depth=1
                                        ;     Child Loop BB440_10 Depth 2
                                        ;     Child Loop BB440_16 Depth 2
                                        ;       Child Loop BB440_47 Depth 3
                                        ;       Child Loop BB440_50 Depth 3
                                        ;     Child Loop BB440_66 Depth 2
                                        ;       Child Loop BB440_79 Depth 3
                                        ;       Child Loop BB440_82 Depth 3
	s_mov_b32 s11, s37
	v_mov_b32_e32 v17, 0
	s_mul_u64 s[6:7], s[14:15], s[10:11]
	v_dual_mov_b32 v18, 0 :: v_dual_mov_b32 v1, 0
	s_wait_alu 0xfffe
	s_lshl_b64 s[6:7], s[6:7], 2
	v_mov_b32_e32 v2, 0
	s_wait_alu 0xfffe
	s_add_nc_u64 s[6:7], s[12:13], s[6:7]
	global_load_b32 v32, v0, s[6:7]
	s_wait_loadcnt 0x0
	v_cmp_eq_f32_e64 s6, 0, v32
	v_cmp_neq_f32_e64 s7, 0, v32
	s_wait_alu 0xfffe
	s_and_b32 vcc_lo, exec_lo, s6
	s_wait_alu 0xfffe
	s_cbranch_vccnz .LBB440_5
; %bb.4:                                ;   in Loop: Header=BB440_3 Depth=1
	s_lshl_b64 s[8:9], s[10:11], 3
	s_wait_alu 0xfffe
	s_add_nc_u64 s[8:9], s[16:17], s[8:9]
	global_load_b64 v[1:2], v0, s[8:9]
	s_wait_loadcnt 0x0
	v_add_co_u32 v1, vcc_lo, v1, s18
	s_wait_alu 0xfffd
	v_add_co_ci_u32_e64 v2, null, s19, v2, vcc_lo
.LBB440_5:                              ;   in Loop: Header=BB440_3 Depth=1
	s_and_not1_b32 vcc_lo, exec_lo, s7
	s_wait_alu 0xfffe
	s_cbranch_vccnz .LBB440_7
; %bb.6:                                ;   in Loop: Header=BB440_3 Depth=1
	s_lshl_b64 s[8:9], s[10:11], 3
	s_wait_alu 0xfffe
	s_add_nc_u64 s[8:9], s[20:21], s[8:9]
	global_load_b64 v[3:4], v0, s[8:9]
	s_wait_loadcnt 0x0
	v_add_co_u32 v17, vcc_lo, v3, s22
	s_wait_alu 0xfffd
	v_add_co_ci_u32_e64 v18, null, s23, v4, vcc_lo
.LBB440_7:                              ;   in Loop: Header=BB440_3 Depth=1
	s_and_not1_b32 vcc_lo, exec_lo, s6
	s_mov_b32 s6, -1
	s_wait_alu 0xfffe
	s_cbranch_vccnz .LBB440_12
; %bb.8:                                ;   in Loop: Header=BB440_3 Depth=1
	s_and_saveexec_b32 s8, s65
	s_cbranch_execz .LBB440_11
; %bb.9:                                ;   in Loop: Header=BB440_3 Depth=1
	s_mul_u64 s[6:7], s[44:45], s[10:11]
	s_mov_b32 s9, s27
	s_wait_alu 0xfffe
	s_add_nc_u64 s[6:7], s[42:43], s[6:7]
.LBB440_10:                             ;   Parent Loop BB440_3 Depth=1
                                        ; =>  This Inner Loop Header: Depth=2
	s_add_co_i32 s9, s9, -1
	global_store_b32 v0, v0, s[6:7]
	s_wait_alu 0xfffe
	s_cmp_eq_u32 s9, 0
	s_add_nc_u64 s[6:7], s[6:7], s[46:47]
	s_cbranch_scc0 .LBB440_10
.LBB440_11:                             ;   in Loop: Header=BB440_3 Depth=1
	s_wait_alu 0xfffe
	s_or_b32 exec_lo, exec_lo, s8
	s_mov_b32 s6, 0
.LBB440_12:                             ;   in Loop: Header=BB440_3 Depth=1
	s_wait_alu 0xfffe
	s_and_not1_b32 vcc_lo, exec_lo, s6
	s_wait_alu 0xfffe
	s_cbranch_vccnz .LBB440_2
; %bb.13:                               ;   in Loop: Header=BB440_3 Depth=1
	v_add_co_u32 v33, vcc_lo, v1, v7
	s_mul_u64 s[54:55], s[38:39], s[10:11]
	s_wait_alu 0xfffd
	v_add_co_ci_u32_e64 v34, null, v2, v8, vcc_lo
	v_cmp_gt_u32_e64 s9, 24, v31
	v_cmp_gt_u32_e64 s8, 28, v31
	v_cmp_gt_u32_e64 s7, 30, v31
	v_cmp_ne_u32_e64 s6, 31, v31
	s_lshl_b64 s[54:55], s[54:55], 2
	s_and_not1_b32 vcc_lo, exec_lo, s68
	s_add_nc_u64 s[54:55], s[34:35], s[54:55]
	s_wait_alu 0xfffe
	s_cbranch_vccnz .LBB440_62
; %bb.14:                               ;   in Loop: Header=BB440_3 Depth=1
	s_wait_alu 0xf1ff
	v_cndmask_b32_e64 v2, 0, 4, s8
	v_cndmask_b32_e64 v3, 0, 2, s7
	v_add_co_u32 v19, vcc_lo, v17, v9
	v_cndmask_b32_e64 v1, 0, 8, s9
	v_add_co_ci_u32_e64 v4, null, 0, v31, s6
	v_add_lshl_u32 v36, v2, v31, 2
	v_add_lshl_u32 v37, v3, v31, 2
	s_wait_alu 0xfffd
	v_add_co_ci_u32_e64 v20, null, v18, v10, vcc_lo
	v_add_co_u32 v21, vcc_lo, v17, v11
	v_dual_mov_b32 v2, v0 :: v_dual_mov_b32 v3, v0
	s_wait_alu 0xfffd
	v_add_co_ci_u32_e64 v22, null, v18, v12, vcc_lo
	v_add_co_u32 v23, vcc_lo, v17, v13
	v_add_lshl_u32 v35, v1, v31, 2
	v_dual_mov_b32 v1, v0 :: v_dual_lshlrev_b32 v38, 2, v4
	s_wait_alu 0xfffd
	v_add_co_ci_u32_e64 v24, null, v18, v14, vcc_lo
	v_add_co_u32 v25, vcc_lo, v17, v15
	v_mov_b32_e32 v4, v3
	s_wait_alu 0xfffd
	v_add_co_ci_u32_e64 v26, null, v18, v16, vcc_lo
	v_mov_b32_e32 v3, v2
	v_mov_b32_e32 v2, v1
	;; [unrolled: 1-line block ×3, first 2 shown]
	s_mov_b32 s8, 0
	s_mov_b64 s[56:57], s[52:53]
	s_mov_b64 s[58:59], s[50:51]
	;; [unrolled: 1-line block ×3, first 2 shown]
	s_mov_b32 s11, 0
	s_branch .LBB440_16
.LBB440_15:                             ;   in Loop: Header=BB440_16 Depth=2
	s_wait_alu 0xfffe
	s_or_b32 exec_lo, exec_lo, s6
	s_add_co_i32 s11, s11, 4
	s_add_co_i32 s8, s8, s48
	s_add_nc_u64 s[60:61], s[60:61], s[48:49]
	s_add_nc_u64 s[58:59], s[58:59], s[48:49]
	s_cmp_ge_i32 s11, s66
	s_add_nc_u64 s[56:57], s[56:57], s[48:49]
	s_cbranch_scc1 .LBB440_63
.LBB440_16:                             ;   Parent Loop BB440_3 Depth=1
                                        ; =>  This Loop Header: Depth=2
                                        ;       Child Loop BB440_47 Depth 3
                                        ;       Child Loop BB440_50 Depth 3
                                        ; implicit-def: $vgpr39
                                        ; implicit-def: $vgpr40
                                        ; implicit-def: $vgpr41
                                        ; implicit-def: $vgpr42
	s_and_saveexec_b32 s6, s4
	s_wait_alu 0xfffe
	s_xor_b32 s6, exec_lo, s6
	s_cbranch_execnz .LBB440_43
; %bb.17:                               ;   in Loop: Header=BB440_16 Depth=2
	s_wait_alu 0xfffe
	s_and_not1_saveexec_b32 s25, s6
	s_cbranch_execnz .LBB440_44
.LBB440_18:                             ;   in Loop: Header=BB440_16 Depth=2
	s_or_b32 exec_lo, exec_lo, s25
	s_and_saveexec_b32 s6, s1
.LBB440_19:                             ;   in Loop: Header=BB440_16 Depth=2
	ds_store_b32 v29, v0
.LBB440_20:                             ;   in Loop: Header=BB440_16 Depth=2
	s_wait_alu 0xfffe
	s_or_b32 exec_lo, exec_lo, s6
	s_wait_dscnt 0x0
	ds_bpermute_b32 v27, v6, v42
	s_wait_storecnt_dscnt 0x0
	s_barrier_signal -1
	s_barrier_wait -1
	global_inv scope:SCOPE_SE
	v_add_f32_e32 v27, v42, v27
	ds_bpermute_b32 v28, v35, v27
	s_wait_dscnt 0x0
	v_add_f32_e32 v27, v27, v28
	ds_bpermute_b32 v28, v36, v27
	s_wait_dscnt 0x0
	;; [unrolled: 3-line block ×3, first 2 shown]
	v_add_f32_e32 v27, v27, v28
	ds_bpermute_b32 v28, v38, v27
	s_and_saveexec_b32 s6, s3
	s_cbranch_execz .LBB440_22
; %bb.21:                               ;   in Loop: Header=BB440_16 Depth=2
	s_wait_dscnt 0x0
	v_add_f32_e32 v27, v27, v28
	ds_store_b32 v30, v27
.LBB440_22:                             ;   in Loop: Header=BB440_16 Depth=2
	s_wait_alu 0xfffe
	s_or_b32 exec_lo, exec_lo, s6
	v_mov_b32_e32 v27, 0
	s_wait_loadcnt_dscnt 0x0
	s_barrier_signal -1
	s_barrier_wait -1
	global_inv scope:SCOPE_SE
	s_and_saveexec_b32 s6, s2
	s_cbranch_execnz .LBB440_51
; %bb.23:                               ;   in Loop: Header=BB440_16 Depth=2
	s_wait_alu 0xfffe
	s_or_b32 exec_lo, exec_lo, s6
	s_and_saveexec_b32 s6, s1
	s_cbranch_execnz .LBB440_52
.LBB440_24:                             ;   in Loop: Header=BB440_16 Depth=2
	s_wait_alu 0xfffe
	s_or_b32 exec_lo, exec_lo, s6
	s_and_saveexec_b32 s6, s1
.LBB440_25:                             ;   in Loop: Header=BB440_16 Depth=2
	ds_store_b32 v29, v0
.LBB440_26:                             ;   in Loop: Header=BB440_16 Depth=2
	s_wait_alu 0xfffe
	s_or_b32 exec_lo, exec_lo, s6
	ds_bpermute_b32 v28, v6, v41
	s_wait_loadcnt_dscnt 0x0
	s_barrier_signal -1
	s_barrier_wait -1
	global_inv scope:SCOPE_SE
	v_add_f32_e32 v28, v41, v28
	ds_bpermute_b32 v41, v35, v28
	s_wait_dscnt 0x0
	v_add_f32_e32 v28, v28, v41
	ds_bpermute_b32 v41, v36, v28
	s_wait_dscnt 0x0
	;; [unrolled: 3-line block ×3, first 2 shown]
	v_add_f32_e32 v28, v28, v41
	ds_bpermute_b32 v41, v38, v28
	s_and_saveexec_b32 s6, s3
	s_cbranch_execz .LBB440_28
; %bb.27:                               ;   in Loop: Header=BB440_16 Depth=2
	s_wait_dscnt 0x0
	v_add_f32_e32 v28, v28, v41
	ds_store_b32 v30, v28
.LBB440_28:                             ;   in Loop: Header=BB440_16 Depth=2
	s_wait_alu 0xfffe
	s_or_b32 exec_lo, exec_lo, s6
	v_mov_b32_e32 v28, 0
	s_wait_loadcnt_dscnt 0x0
	s_barrier_signal -1
	s_barrier_wait -1
	global_inv scope:SCOPE_SE
	s_and_saveexec_b32 s6, s2
	s_cbranch_execnz .LBB440_53
; %bb.29:                               ;   in Loop: Header=BB440_16 Depth=2
	s_wait_alu 0xfffe
	s_or_b32 exec_lo, exec_lo, s6
	s_and_saveexec_b32 s6, s1
	s_cbranch_execnz .LBB440_54
.LBB440_30:                             ;   in Loop: Header=BB440_16 Depth=2
	s_wait_alu 0xfffe
	s_or_b32 exec_lo, exec_lo, s6
	s_and_saveexec_b32 s6, s1
.LBB440_31:                             ;   in Loop: Header=BB440_16 Depth=2
	ds_store_b32 v29, v0
.LBB440_32:                             ;   in Loop: Header=BB440_16 Depth=2
	s_wait_alu 0xfffe
	s_or_b32 exec_lo, exec_lo, s6
	ds_bpermute_b32 v41, v6, v40
	s_wait_loadcnt_dscnt 0x0
	s_barrier_signal -1
	s_barrier_wait -1
	global_inv scope:SCOPE_SE
	v_add_f32_e32 v40, v40, v41
	ds_bpermute_b32 v41, v35, v40
	s_wait_dscnt 0x0
	v_add_f32_e32 v40, v40, v41
	ds_bpermute_b32 v41, v36, v40
	s_wait_dscnt 0x0
	;; [unrolled: 3-line block ×3, first 2 shown]
	v_add_f32_e32 v40, v40, v41
	ds_bpermute_b32 v41, v38, v40
	s_and_saveexec_b32 s6, s3
	s_cbranch_execz .LBB440_34
; %bb.33:                               ;   in Loop: Header=BB440_16 Depth=2
	s_wait_dscnt 0x0
	v_add_f32_e32 v40, v40, v41
	ds_store_b32 v30, v40
.LBB440_34:                             ;   in Loop: Header=BB440_16 Depth=2
	s_wait_alu 0xfffe
	s_or_b32 exec_lo, exec_lo, s6
	v_mov_b32_e32 v40, 0
	s_wait_loadcnt_dscnt 0x0
	s_barrier_signal -1
	s_barrier_wait -1
	global_inv scope:SCOPE_SE
	s_and_saveexec_b32 s6, s2
	s_cbranch_execnz .LBB440_55
; %bb.35:                               ;   in Loop: Header=BB440_16 Depth=2
	s_wait_alu 0xfffe
	s_or_b32 exec_lo, exec_lo, s6
	s_and_saveexec_b32 s6, s1
	s_cbranch_execnz .LBB440_56
.LBB440_36:                             ;   in Loop: Header=BB440_16 Depth=2
	s_wait_alu 0xfffe
	s_or_b32 exec_lo, exec_lo, s6
	s_and_saveexec_b32 s6, s1
.LBB440_37:                             ;   in Loop: Header=BB440_16 Depth=2
	ds_store_b32 v29, v0
.LBB440_38:                             ;   in Loop: Header=BB440_16 Depth=2
	s_wait_alu 0xfffe
	s_or_b32 exec_lo, exec_lo, s6
	ds_bpermute_b32 v41, v6, v39
	s_wait_loadcnt_dscnt 0x0
	s_barrier_signal -1
	s_barrier_wait -1
	global_inv scope:SCOPE_SE
	v_add_f32_e32 v39, v39, v41
	ds_bpermute_b32 v41, v35, v39
	s_wait_dscnt 0x0
	v_add_f32_e32 v39, v39, v41
	ds_bpermute_b32 v41, v36, v39
	s_wait_dscnt 0x0
	;; [unrolled: 3-line block ×3, first 2 shown]
	v_add_f32_e32 v39, v39, v41
	ds_bpermute_b32 v41, v38, v39
	s_and_saveexec_b32 s6, s3
	s_cbranch_execz .LBB440_40
; %bb.39:                               ;   in Loop: Header=BB440_16 Depth=2
	s_wait_dscnt 0x0
	v_add_f32_e32 v39, v39, v41
	ds_store_b32 v30, v39
.LBB440_40:                             ;   in Loop: Header=BB440_16 Depth=2
	s_wait_alu 0xfffe
	s_or_b32 exec_lo, exec_lo, s6
	v_mov_b32_e32 v39, 0
	s_wait_loadcnt_dscnt 0x0
	s_barrier_signal -1
	s_barrier_wait -1
	global_inv scope:SCOPE_SE
	s_and_saveexec_b32 s6, s2
	s_cbranch_execnz .LBB440_57
; %bb.41:                               ;   in Loop: Header=BB440_16 Depth=2
	s_wait_alu 0xfffe
	s_or_b32 exec_lo, exec_lo, s6
	s_and_saveexec_b32 s6, s1
	s_cbranch_execnz .LBB440_58
.LBB440_42:                             ;   in Loop: Header=BB440_16 Depth=2
	s_wait_alu 0xfffe
	s_or_b32 exec_lo, exec_lo, s6
	s_and_saveexec_b32 s6, s0
	s_cbranch_execz .LBB440_15
	s_branch .LBB440_59
.LBB440_43:                             ;   in Loop: Header=BB440_16 Depth=2
	s_mul_i32 s62, s11, s30
	s_wait_alu 0xfffe
	s_ashr_i32 s63, s62, 31
	s_add_co_i32 s70, s62, s30
	s_wait_alu 0xfffe
	s_lshl_b64 s[62:63], s[62:63], 1
	s_ashr_i32 s71, s70, 31
	s_wait_alu 0xfffe
	v_add_co_u32 v1, vcc_lo, v33, s62
	s_wait_alu 0xfffd
	v_add_co_ci_u32_e64 v2, null, s63, v34, vcc_lo
	s_lshl_b64 s[62:63], s[70:71], 1
	s_add_co_i32 s70, s70, s30
	s_wait_alu 0xfffe
	v_add_co_u32 v3, vcc_lo, v33, s62
	s_ashr_i32 s71, s70, 31
	s_add_co_i32 s62, s70, s30
	s_wait_alu 0xfffd
	v_add_co_ci_u32_e64 v4, null, s63, v34, vcc_lo
	s_wait_alu 0xfffe
	s_lshl_b64 s[70:71], s[70:71], 1
	s_ashr_i32 s63, s62, 31
	s_wait_dscnt 0x0
	s_wait_alu 0xfffe
	v_add_co_u32 v27, vcc_lo, v33, s70
	s_lshl_b64 s[62:63], s[62:63], 1
	s_wait_alu 0xfffd
	v_add_co_ci_u32_e64 v28, null, s71, v34, vcc_lo
	s_wait_alu 0xfffe
	v_add_co_u32 v39, vcc_lo, v33, s62
	s_wait_alu 0xfffd
	v_add_co_ci_u32_e64 v40, null, s63, v34, vcc_lo
	flat_load_u16 v47, v[19:20]
	s_clause 0x3
	flat_load_b64 v[41:42], v[1:2]
	flat_load_b64 v[43:44], v[3:4]
	;; [unrolled: 1-line block ×4, first 2 shown]
	s_clause 0x2
	flat_load_u16 v3, v[21:22]
	flat_load_u16 v4, v[23:24]
	;; [unrolled: 1-line block ×3, first 2 shown]
	s_wait_loadcnt_dscnt 0x707
	v_cvt_f32_f16_e32 v1, v47
	s_wait_loadcnt_dscnt 0x606
	v_fma_mix_f32 v40, v47, v41, 0 op_sel_hi:[1,1,0]
	s_wait_loadcnt_dscnt 0x505
	v_fma_mix_f32 v48, v47, v43, 0 op_sel_hi:[1,1,0]
	;; [unrolled: 2-line block ×4, first 2 shown]
	s_wait_loadcnt_dscnt 0x202
	v_cvt_f32_f16_e32 v2, v3
	v_fma_mix_f32 v40, v3, v41, v40 op_sel:[0,1,0] op_sel_hi:[1,1,0]
	v_fma_mix_f32 v41, v3, v43, v48 op_sel:[0,1,0] op_sel_hi:[1,1,0]
	;; [unrolled: 1-line block ×4, first 2 shown]
	s_wait_loadcnt_dscnt 0x101
	v_cvt_f32_f16_e32 v3, v4
	v_fma_mix_f32 v40, v4, v42, v40 op_sel_hi:[1,1,0]
	v_fma_mix_f32 v41, v4, v44, v41 op_sel_hi:[1,1,0]
	v_fma_mix_f32 v27, v4, v28, v27 op_sel_hi:[1,1,0]
	v_fma_mix_f32 v43, v4, v46, v43 op_sel_hi:[1,1,0]
	s_wait_loadcnt_dscnt 0x0
	v_cvt_f32_f16_e32 v4, v39
	v_fma_mix_f32 v42, v39, v42, v40 op_sel:[0,1,0] op_sel_hi:[1,1,0]
	v_fma_mix_f32 v41, v39, v44, v41 op_sel:[0,1,0] op_sel_hi:[1,1,0]
	v_fma_mix_f32 v40, v39, v28, v27 op_sel:[0,1,0] op_sel_hi:[1,1,0]
	v_fma_mix_f32 v39, v39, v46, v43 op_sel:[0,1,0] op_sel_hi:[1,1,0]
	s_and_not1_saveexec_b32 s25, s6
	s_cbranch_execz .LBB440_18
.LBB440_44:                             ;   in Loop: Header=BB440_16 Depth=2
	s_wait_dscnt 0x0
	v_dual_mov_b32 v39, 0 :: v_dual_mov_b32 v40, 0
	v_dual_mov_b32 v41, 0 :: v_dual_mov_b32 v42, 0
	s_and_saveexec_b32 s26, s5
	s_cbranch_execz .LBB440_61
; %bb.45:                               ;   in Loop: Header=BB440_16 Depth=2
	s_and_not1_b32 vcc_lo, exec_lo, s69
	s_wait_alu 0xfffe
	s_cbranch_vccnz .LBB440_48
; %bb.46:                               ;   in Loop: Header=BB440_16 Depth=2
	v_mov_b32_e32 v27, v5
	s_mov_b64 s[62:63], 0
.LBB440_47:                             ;   Parent Loop BB440_3 Depth=1
                                        ;     Parent Loop BB440_16 Depth=2
                                        ; =>    This Inner Loop Header: Depth=3
	s_delay_alu instid0(VALU_DEP_1) | instskip(SKIP_2) | instid1(VALU_DEP_1)
	v_ashrrev_i32_e32 v28, 31, v27
	s_wait_alu 0xfffe
	s_cmp_eq_u32 s62, 3
	v_lshlrev_b64_e32 v[39:40], 1, v[27:28]
	s_delay_alu instid0(VALU_DEP_1) | instskip(SKIP_1) | instid1(VALU_DEP_2)
	v_add_co_u32 v39, vcc_lo, v17, v39
	s_wait_alu 0xfffd
	v_add_co_ci_u32_e64 v40, null, v18, v40, vcc_lo
	s_cselect_b32 vcc_lo, -1, 0
	s_cmp_eq_u32 s62, 2
	s_cselect_b32 s6, -1, 0
	flat_load_u16 v28, v[39:40]
	s_cmp_eq_u32 s62, 1
	s_cselect_b32 s7, -1, 0
	s_cmp_eq_u32 s62, 0
	s_add_nc_u64 s[62:63], s[62:63], 1
	s_wait_loadcnt_dscnt 0x0
	v_cvt_f32_f16_e32 v28, v28
	s_wait_alu 0xfffe
	s_delay_alu instid0(VALU_DEP_1)
	v_dual_cndmask_b32 v4, v4, v28 :: v_dual_add_nc_u32 v27, s64, v27
	s_cselect_b32 vcc_lo, -1, 0
	v_cndmask_b32_e64 v3, v3, v28, s6
	v_cndmask_b32_e64 v2, v2, v28, s7
	s_wait_alu 0xfffe
	v_cndmask_b32_e32 v1, v1, v28, vcc_lo
	s_cmp_eq_u32 s67, s62
	s_cbranch_scc0 .LBB440_47
.LBB440_48:                             ;   in Loop: Header=BB440_16 Depth=2
	s_and_not1_b32 vcc_lo, exec_lo, s69
	s_wait_alu 0xfffe
	s_cbranch_vccnz .LBB440_60
; %bb.49:                               ;   in Loop: Header=BB440_16 Depth=2
	s_ashr_i32 s9, s8, 31
	v_dual_mov_b32 v42, 0 :: v_dual_mov_b32 v41, 0
	s_wait_alu 0xfffe
	s_lshl_b64 s[6:7], s[8:9], 1
	v_dual_mov_b32 v40, 0 :: v_dual_mov_b32 v39, 0
	s_wait_alu 0xfffe
	v_add_co_u32 v27, vcc_lo, v33, s6
	s_wait_alu 0xfffd
	v_add_co_ci_u32_e64 v28, null, s7, v34, vcc_lo
	s_mov_b64 s[62:63], 0
.LBB440_50:                             ;   Parent Loop BB440_3 Depth=1
                                        ;     Parent Loop BB440_16 Depth=2
                                        ; =>    This Inner Loop Header: Depth=3
	s_wait_alu 0xfffe
	s_cmp_eq_u32 s62, 1
	s_cselect_b32 vcc_lo, -1, 0
	s_cmp_eq_u32 s62, 2
	s_wait_alu 0xfffe
	v_cndmask_b32_e32 v43, v1, v2, vcc_lo
	s_cselect_b32 vcc_lo, -1, 0
	s_cmp_eq_u32 s62, 3
	s_wait_alu 0xfffe
	s_delay_alu instid0(VALU_DEP_1)
	v_cndmask_b32_e32 v49, v43, v3, vcc_lo
	s_cselect_b32 vcc_lo, -1, 0
	s_add_co_i32 s6, s60, s62
	s_add_co_i32 s70, s58, s62
	s_wait_alu 0xfffe
	s_ashr_i32 s7, s6, 31
	s_add_co_i32 s72, s56, s62
	s_ashr_i32 s71, s70, 31
	s_wait_alu 0xfffe
	s_lshl_b64 s[6:7], s[6:7], 1
	s_ashr_i32 s73, s72, 31
	s_lshl_b64 s[70:71], s[70:71], 1
	s_wait_alu 0xfffe
	v_add_co_u32 v43, s6, v33, s6
	s_lshl_b64 s[72:73], s[72:73], 1
	v_add_co_ci_u32_e64 v44, null, s7, v34, s6
	v_add_co_u32 v45, s6, v33, s70
	s_wait_alu 0xf1ff
	v_add_co_ci_u32_e64 v46, null, s71, v34, s6
	s_wait_alu 0xfffe
	v_add_co_u32 v47, s6, v33, s72
	s_wait_alu 0xf1ff
	v_add_co_ci_u32_e64 v48, null, s73, v34, s6
	flat_load_u16 v50, v[27:28]
	s_clause 0x2
	flat_load_u16 v43, v[43:44]
	flat_load_u16 v44, v[45:46]
	;; [unrolled: 1-line block ×3, first 2 shown]
	v_cndmask_b32_e32 v46, v49, v4, vcc_lo
	v_add_co_u32 v27, s6, v27, 2
	s_wait_alu 0xf1ff
	v_add_co_ci_u32_e64 v28, null, 0, v28, s6
	s_add_nc_u64 s[62:63], s[62:63], 1
	s_wait_alu 0xfffe
	s_cmp_lg_u32 s67, s62
	s_wait_loadcnt_dscnt 0x303
	v_fma_mix_f32 v42, v46, v50, v42 op_sel_hi:[0,1,0]
	s_wait_loadcnt_dscnt 0x202
	v_fma_mix_f32 v41, v46, v43, v41 op_sel_hi:[0,1,0]
	;; [unrolled: 2-line block ×4, first 2 shown]
	s_cbranch_scc1 .LBB440_50
	s_branch .LBB440_61
.LBB440_51:                             ;   in Loop: Header=BB440_16 Depth=2
	ds_load_b32 v27, v29
	s_wait_alu 0xfffe
	s_or_b32 exec_lo, exec_lo, s6
	s_and_saveexec_b32 s6, s1
	s_cbranch_execz .LBB440_24
.LBB440_52:                             ;   in Loop: Header=BB440_16 Depth=2
	s_wait_dscnt 0x0
	ds_bpermute_b32 v28, v36, v27
	s_wait_dscnt 0x0
	v_add_f32_e32 v27, v27, v28
	ds_bpermute_b32 v28, v37, v27
	s_wait_dscnt 0x0
	v_add_f32_e32 v27, v27, v28
	;; [unrolled: 3-line block ×3, first 2 shown]
	s_wait_alu 0xfffe
	s_or_b32 exec_lo, exec_lo, s6
	s_and_saveexec_b32 s6, s1
	s_cbranch_execnz .LBB440_25
	s_branch .LBB440_26
.LBB440_53:                             ;   in Loop: Header=BB440_16 Depth=2
	ds_load_b32 v28, v29
	s_wait_alu 0xfffe
	s_or_b32 exec_lo, exec_lo, s6
	s_and_saveexec_b32 s6, s1
	s_cbranch_execz .LBB440_30
.LBB440_54:                             ;   in Loop: Header=BB440_16 Depth=2
	s_wait_dscnt 0x0
	ds_bpermute_b32 v41, v36, v28
	s_wait_dscnt 0x0
	v_add_f32_e32 v28, v28, v41
	ds_bpermute_b32 v41, v37, v28
	s_wait_dscnt 0x0
	v_add_f32_e32 v28, v28, v41
	ds_bpermute_b32 v41, v38, v28
	s_wait_dscnt 0x0
	v_add_f32_e32 v28, v28, v41
	s_wait_alu 0xfffe
	s_or_b32 exec_lo, exec_lo, s6
	s_and_saveexec_b32 s6, s1
	s_cbranch_execnz .LBB440_31
	s_branch .LBB440_32
.LBB440_55:                             ;   in Loop: Header=BB440_16 Depth=2
	ds_load_b32 v40, v29
	s_wait_alu 0xfffe
	s_or_b32 exec_lo, exec_lo, s6
	s_and_saveexec_b32 s6, s1
	s_cbranch_execz .LBB440_36
.LBB440_56:                             ;   in Loop: Header=BB440_16 Depth=2
	s_wait_dscnt 0x0
	ds_bpermute_b32 v41, v36, v40
	s_wait_dscnt 0x0
	v_add_f32_e32 v40, v40, v41
	ds_bpermute_b32 v41, v37, v40
	s_wait_dscnt 0x0
	v_add_f32_e32 v40, v40, v41
	;; [unrolled: 3-line block ×3, first 2 shown]
	s_wait_alu 0xfffe
	s_or_b32 exec_lo, exec_lo, s6
	s_and_saveexec_b32 s6, s1
	s_cbranch_execnz .LBB440_37
	s_branch .LBB440_38
.LBB440_57:                             ;   in Loop: Header=BB440_16 Depth=2
	ds_load_b32 v39, v29
	s_wait_alu 0xfffe
	s_or_b32 exec_lo, exec_lo, s6
	s_and_saveexec_b32 s6, s1
	s_cbranch_execz .LBB440_42
.LBB440_58:                             ;   in Loop: Header=BB440_16 Depth=2
	s_wait_dscnt 0x0
	ds_bpermute_b32 v41, v36, v39
	s_wait_dscnt 0x0
	v_add_f32_e32 v39, v39, v41
	ds_bpermute_b32 v41, v37, v39
	s_wait_dscnt 0x0
	v_add_f32_e32 v39, v39, v41
	;; [unrolled: 3-line block ×3, first 2 shown]
	s_wait_alu 0xfffe
	s_or_b32 exec_lo, exec_lo, s6
	s_and_saveexec_b32 s6, s0
	s_cbranch_execz .LBB440_15
.LBB440_59:                             ;   in Loop: Header=BB440_16 Depth=2
	s_mul_i32 s7, s11, s28
	v_mul_f32_e32 v27, v32, v27
	s_wait_alu 0xfffe
	s_add_co_i32 s36, s7, s24
	v_mul_f32_e32 v28, v32, v28
	s_wait_alu 0xfffe
	s_lshl_b64 s[62:63], s[36:37], 2
	s_add_co_i32 s36, s36, s28
	s_wait_alu 0xfffe
	s_add_nc_u64 s[62:63], s[54:55], s[62:63]
	s_lshl_b64 s[70:71], s[36:37], 2
	s_add_co_i32 s36, s36, s28
	s_wait_alu 0xfffe
	s_add_nc_u64 s[70:71], s[54:55], s[70:71]
	s_clause 0x1
	global_store_b32 v0, v27, s[62:63]
	global_store_b32 v0, v28, s[70:71]
	v_mul_f32_e32 v27, v32, v40
	s_lshl_b64 s[62:63], s[36:37], 2
	s_add_co_i32 s36, s36, s28
	s_wait_dscnt 0x0
	v_mul_f32_e32 v28, v32, v39
	s_wait_alu 0xfffe
	s_lshl_b64 s[70:71], s[36:37], 2
	s_add_nc_u64 s[62:63], s[54:55], s[62:63]
	s_wait_alu 0xfffe
	s_add_nc_u64 s[70:71], s[54:55], s[70:71]
	s_clause 0x1
	global_store_b32 v0, v27, s[62:63]
	global_store_b32 v0, v28, s[70:71]
	s_branch .LBB440_15
.LBB440_60:                             ;   in Loop: Header=BB440_16 Depth=2
	v_dual_mov_b32 v39, 0 :: v_dual_mov_b32 v40, 0
	v_dual_mov_b32 v41, 0 :: v_dual_mov_b32 v42, 0
.LBB440_61:                             ;   in Loop: Header=BB440_16 Depth=2
	s_wait_alu 0xfffe
	s_or_b32 exec_lo, exec_lo, s26
	s_delay_alu instid0(SALU_CYCLE_1)
	s_or_b32 exec_lo, exec_lo, s25
	s_and_saveexec_b32 s6, s1
	s_cbranch_execnz .LBB440_19
	s_branch .LBB440_20
.LBB440_62:                             ;   in Loop: Header=BB440_3 Depth=1
	v_mov_b32_e32 v3, v0
	v_dual_mov_b32 v1, v0 :: v_dual_mov_b32 v2, v0
	s_mov_b32 s11, 0
	s_delay_alu instid0(VALU_DEP_2) | instskip(NEXT) | instid1(VALU_DEP_2)
	v_mov_b32_e32 v4, v3
	v_mov_b32_e32 v3, v2
	s_delay_alu instid0(VALU_DEP_3)
	v_mov_b32_e32 v2, v1
	v_mov_b32_e32 v1, v0
.LBB440_63:                             ;   in Loop: Header=BB440_3 Depth=1
	s_cmp_ge_i32 s11, s27
	s_cbranch_scc1 .LBB440_2
; %bb.64:                               ;   in Loop: Header=BB440_3 Depth=1
	v_cmp_gt_u32_e32 vcc_lo, 24, v31
	s_add_nc_u64 s[8:9], s[54:55], s[40:41]
	s_mul_i32 s54, s30, s11
	s_mov_b32 s36, s11
	s_wait_alu 0xfffd
	v_cndmask_b32_e64 v19, 0, 8, vcc_lo
	v_cmp_gt_u32_e32 vcc_lo, 28, v31
	s_delay_alu instid0(VALU_DEP_2) | instskip(SKIP_3) | instid1(VALU_DEP_2)
	v_add_lshl_u32 v35, v19, v31, 2
	s_wait_alu 0xfffd
	v_cndmask_b32_e64 v20, 0, 4, vcc_lo
	v_cmp_gt_u32_e32 vcc_lo, 30, v31
	v_add_lshl_u32 v36, v20, v31, 2
	s_wait_alu 0xfffd
	v_cndmask_b32_e64 v21, 0, 2, vcc_lo
	v_cmp_ne_u32_e32 vcc_lo, 31, v31
	s_delay_alu instid0(VALU_DEP_2)
	v_add_lshl_u32 v37, v21, v31, 2
	s_wait_alu 0xfffd
	v_add_co_ci_u32_e64 v22, null, 0, v31, vcc_lo
	v_add_co_u32 v19, vcc_lo, v17, v9
	s_wait_alu 0xfffd
	v_add_co_ci_u32_e64 v20, null, v18, v10, vcc_lo
	v_add_co_u32 v21, vcc_lo, v17, v11
	v_lshlrev_b32_e32 v38, 2, v22
	s_wait_alu 0xfffd
	v_add_co_ci_u32_e64 v22, null, v18, v12, vcc_lo
	v_add_co_u32 v23, vcc_lo, v17, v13
	s_wait_alu 0xfffd
	v_add_co_ci_u32_e64 v24, null, v18, v14, vcc_lo
	v_add_co_u32 v25, vcc_lo, v17, v15
	s_wait_alu 0xfffd
	v_add_co_ci_u32_e64 v26, null, v18, v16, vcc_lo
	s_branch .LBB440_66
.LBB440_65:                             ;   in Loop: Header=BB440_66 Depth=2
	s_wait_alu 0xfffe
	s_or_b32 exec_lo, exec_lo, s6
	s_add_co_i32 s36, s36, 1
	s_add_co_i32 s54, s54, s30
	s_wait_alu 0xfffe
	s_cmp_ge_i32 s36, s27
	s_cbranch_scc1 .LBB440_2
.LBB440_66:                             ;   Parent Loop BB440_3 Depth=1
                                        ; =>  This Loop Header: Depth=2
                                        ;       Child Loop BB440_79 Depth 3
                                        ;       Child Loop BB440_82 Depth 3
	s_wait_dscnt 0x0
	v_mov_b32_e32 v39, s37
	s_and_saveexec_b32 s6, s4
	s_wait_alu 0xfffe
	s_xor_b32 s6, exec_lo, s6
	s_cbranch_execnz .LBB440_75
; %bb.67:                               ;   in Loop: Header=BB440_66 Depth=2
	s_wait_alu 0xfffe
	s_and_not1_saveexec_b32 s11, s6
	s_cbranch_execnz .LBB440_76
.LBB440_68:                             ;   in Loop: Header=BB440_66 Depth=2
	s_or_b32 exec_lo, exec_lo, s11
	s_and_saveexec_b32 s6, s1
.LBB440_69:                             ;   in Loop: Header=BB440_66 Depth=2
	ds_store_b32 v29, v0
.LBB440_70:                             ;   in Loop: Header=BB440_66 Depth=2
	s_wait_alu 0xfffe
	s_or_b32 exec_lo, exec_lo, s6
	ds_bpermute_b32 v27, v6, v39
	s_wait_storecnt 0x0
	s_wait_loadcnt_dscnt 0x0
	s_barrier_signal -1
	s_barrier_wait -1
	global_inv scope:SCOPE_SE
	v_add_f32_e32 v27, v39, v27
	ds_bpermute_b32 v28, v35, v27
	s_wait_dscnt 0x0
	v_add_f32_e32 v27, v27, v28
	ds_bpermute_b32 v28, v36, v27
	s_wait_dscnt 0x0
	;; [unrolled: 3-line block ×3, first 2 shown]
	v_add_f32_e32 v27, v27, v28
	ds_bpermute_b32 v28, v38, v27
	s_and_saveexec_b32 s6, s3
	s_cbranch_execz .LBB440_72
; %bb.71:                               ;   in Loop: Header=BB440_66 Depth=2
	s_wait_dscnt 0x0
	v_add_f32_e32 v27, v27, v28
	ds_store_b32 v30, v27
.LBB440_72:                             ;   in Loop: Header=BB440_66 Depth=2
	s_wait_alu 0xfffe
	s_or_b32 exec_lo, exec_lo, s6
	v_mov_b32_e32 v27, 0
	s_wait_loadcnt_dscnt 0x0
	s_barrier_signal -1
	s_barrier_wait -1
	global_inv scope:SCOPE_SE
	s_and_saveexec_b32 s6, s2
	s_cbranch_execnz .LBB440_84
; %bb.73:                               ;   in Loop: Header=BB440_66 Depth=2
	s_wait_alu 0xfffe
	s_or_b32 exec_lo, exec_lo, s6
	s_and_saveexec_b32 s6, s1
	s_cbranch_execnz .LBB440_85
.LBB440_74:                             ;   in Loop: Header=BB440_66 Depth=2
	s_wait_alu 0xfffe
	s_or_b32 exec_lo, exec_lo, s6
	s_and_saveexec_b32 s6, s0
	s_cbranch_execz .LBB440_65
	s_branch .LBB440_86
.LBB440_75:                             ;   in Loop: Header=BB440_66 Depth=2
	s_mul_i32 s56, s36, s30
	s_wait_alu 0xfffe
	s_ashr_i32 s57, s56, 31
	s_wait_alu 0xfffe
	s_lshl_b64 s[56:57], s[56:57], 1
	s_wait_alu 0xfffe
	v_add_co_u32 v1, vcc_lo, v33, s56
	s_wait_alu 0xfffd
	v_add_co_ci_u32_e64 v2, null, s57, v34, vcc_lo
	flat_load_b64 v[27:28], v[1:2]
	s_clause 0x3
	flat_load_u16 v1, v[19:20]
	flat_load_u16 v2, v[21:22]
	;; [unrolled: 1-line block ×4, first 2 shown]
	s_wait_loadcnt_dscnt 0x303
	v_fma_mix_f32 v4, v1, v27, 0 op_sel_hi:[1,1,0]
	v_cvt_f32_f16_e32 v1, v1
	s_wait_loadcnt_dscnt 0x202
	s_delay_alu instid0(VALU_DEP_2) | instskip(SKIP_2) | instid1(VALU_DEP_2)
	v_fma_mix_f32 v4, v2, v27, v4 op_sel:[0,1,0] op_sel_hi:[1,1,0]
	v_cvt_f32_f16_e32 v2, v2
	s_wait_loadcnt_dscnt 0x101
	v_fma_mix_f32 v27, v3, v28, v4 op_sel_hi:[1,1,0]
	v_cvt_f32_f16_e32 v3, v3
	s_wait_loadcnt_dscnt 0x0
	v_cvt_f32_f16_e32 v4, v39
	s_delay_alu instid0(VALU_DEP_3)
	v_fma_mix_f32 v39, v39, v28, v27 op_sel:[0,1,0] op_sel_hi:[1,1,0]
	s_and_not1_saveexec_b32 s11, s6
	s_cbranch_execz .LBB440_68
.LBB440_76:                             ;   in Loop: Header=BB440_66 Depth=2
	s_and_saveexec_b32 s25, s5
	s_cbranch_execz .LBB440_83
; %bb.77:                               ;   in Loop: Header=BB440_66 Depth=2
	s_and_not1_b32 vcc_lo, exec_lo, s69
	s_wait_alu 0xfffe
	s_cbranch_vccnz .LBB440_80
; %bb.78:                               ;   in Loop: Header=BB440_66 Depth=2
	v_mov_b32_e32 v27, v5
	s_mov_b64 s[56:57], 0
.LBB440_79:                             ;   Parent Loop BB440_3 Depth=1
                                        ;     Parent Loop BB440_66 Depth=2
                                        ; =>    This Inner Loop Header: Depth=3
	s_delay_alu instid0(VALU_DEP_1) | instskip(SKIP_2) | instid1(VALU_DEP_1)
	v_ashrrev_i32_e32 v28, 31, v27
	s_wait_alu 0xfffe
	s_cmp_eq_u32 s56, 3
	v_lshlrev_b64_e32 v[40:41], 1, v[27:28]
	s_delay_alu instid0(VALU_DEP_1) | instskip(SKIP_1) | instid1(VALU_DEP_2)
	v_add_co_u32 v40, vcc_lo, v17, v40
	s_wait_alu 0xfffd
	v_add_co_ci_u32_e64 v41, null, v18, v41, vcc_lo
	s_cselect_b32 vcc_lo, -1, 0
	s_cmp_eq_u32 s56, 2
	s_cselect_b32 s6, -1, 0
	flat_load_u16 v28, v[40:41]
	s_cmp_eq_u32 s56, 1
	s_cselect_b32 s7, -1, 0
	s_cmp_eq_u32 s56, 0
	s_add_nc_u64 s[56:57], s[56:57], 1
	s_wait_loadcnt_dscnt 0x0
	v_cvt_f32_f16_e32 v28, v28
	s_wait_alu 0xfffe
	s_delay_alu instid0(VALU_DEP_1)
	v_dual_cndmask_b32 v4, v4, v28 :: v_dual_add_nc_u32 v27, s64, v27
	s_cselect_b32 vcc_lo, -1, 0
	v_cndmask_b32_e64 v3, v3, v28, s6
	v_cndmask_b32_e64 v2, v2, v28, s7
	s_wait_alu 0xfffe
	v_cndmask_b32_e32 v1, v1, v28, vcc_lo
	s_cmp_eq_u32 s67, s56
	s_cbranch_scc0 .LBB440_79
.LBB440_80:                             ;   in Loop: Header=BB440_66 Depth=2
	s_and_not1_b32 vcc_lo, exec_lo, s69
	s_wait_alu 0xfffe
	s_cbranch_vccnz .LBB440_83
; %bb.81:                               ;   in Loop: Header=BB440_66 Depth=2
	s_ashr_i32 s55, s54, 31
	s_delay_alu instid0(SALU_CYCLE_1)
	s_lshl_b64 s[6:7], s[54:55], 1
	s_wait_alu 0xfffe
	v_add_co_u32 v27, vcc_lo, v33, s6
	s_wait_alu 0xfffd
	v_add_co_ci_u32_e64 v28, null, s7, v34, vcc_lo
	s_mov_b64 s[6:7], 0
.LBB440_82:                             ;   Parent Loop BB440_3 Depth=1
                                        ;     Parent Loop BB440_66 Depth=2
                                        ; =>    This Inner Loop Header: Depth=3
	flat_load_u16 v40, v[27:28]
	s_wait_alu 0xfffe
	s_cmp_eq_u32 s6, 1
	s_cselect_b32 vcc_lo, -1, 0
	s_cmp_eq_u32 s6, 2
	s_wait_alu 0xfffe
	v_cndmask_b32_e32 v41, v1, v2, vcc_lo
	s_cselect_b32 vcc_lo, -1, 0
	s_cmp_eq_u32 s6, 3
	s_add_nc_u64 s[6:7], s[6:7], 1
	s_wait_alu 0xfffe
	v_cndmask_b32_e32 v41, v41, v3, vcc_lo
	s_cselect_b32 vcc_lo, -1, 0
	s_cmp_lg_u32 s67, s6
	s_wait_alu 0xfffe
	s_delay_alu instid0(VALU_DEP_1)
	v_cndmask_b32_e32 v41, v41, v4, vcc_lo
	v_add_co_u32 v27, vcc_lo, v27, 2
	s_wait_alu 0xfffd
	v_add_co_ci_u32_e64 v28, null, 0, v28, vcc_lo
	s_wait_loadcnt_dscnt 0x0
	v_fma_mix_f32 v39, v41, v40, v39 op_sel_hi:[0,1,0]
	s_cbranch_scc1 .LBB440_82
.LBB440_83:                             ;   in Loop: Header=BB440_66 Depth=2
	s_or_b32 exec_lo, exec_lo, s25
	s_delay_alu instid0(SALU_CYCLE_1)
	s_or_b32 exec_lo, exec_lo, s11
	s_and_saveexec_b32 s6, s1
	s_cbranch_execnz .LBB440_69
	s_branch .LBB440_70
.LBB440_84:                             ;   in Loop: Header=BB440_66 Depth=2
	ds_load_b32 v27, v29
	s_wait_alu 0xfffe
	s_or_b32 exec_lo, exec_lo, s6
	s_and_saveexec_b32 s6, s1
	s_cbranch_execz .LBB440_74
.LBB440_85:                             ;   in Loop: Header=BB440_66 Depth=2
	s_wait_dscnt 0x0
	ds_bpermute_b32 v28, v36, v27
	s_wait_dscnt 0x0
	v_add_f32_e32 v27, v27, v28
	ds_bpermute_b32 v28, v37, v27
	s_wait_dscnt 0x0
	v_add_f32_e32 v27, v27, v28
	;; [unrolled: 3-line block ×3, first 2 shown]
	s_wait_alu 0xfffe
	s_or_b32 exec_lo, exec_lo, s6
	s_and_saveexec_b32 s6, s0
	s_cbranch_execz .LBB440_65
.LBB440_86:                             ;   in Loop: Header=BB440_66 Depth=2
	s_mul_u64 s[56:57], s[36:37], s[28:29]
	s_wait_dscnt 0x0
	v_mul_f32_e32 v27, v32, v27
	s_wait_alu 0xfffe
	s_lshl_b64 s[56:57], s[56:57], 2
	s_wait_alu 0xfffe
	s_add_nc_u64 s[56:57], s[8:9], s[56:57]
	global_store_b32 v0, v27, s[56:57]
	s_branch .LBB440_65
.LBB440_87:
	s_endpgm
	.section	.rodata,"a",@progbits
	.p2align	6, 0x0
	.amdhsa_kernel _ZL23rocblas_gemvt_sn_kernelILb0ELi256ELi4EiPKDF16_PKffEviiT4_lPKT3_lilS7_lilPT5_i
		.amdhsa_group_segment_fixed_size 128
		.amdhsa_private_segment_fixed_size 0
		.amdhsa_kernarg_size 360
		.amdhsa_user_sgpr_count 2
		.amdhsa_user_sgpr_dispatch_ptr 0
		.amdhsa_user_sgpr_queue_ptr 0
		.amdhsa_user_sgpr_kernarg_segment_ptr 1
		.amdhsa_user_sgpr_dispatch_id 0
		.amdhsa_user_sgpr_private_segment_size 0
		.amdhsa_wavefront_size32 1
		.amdhsa_uses_dynamic_stack 0
		.amdhsa_enable_private_segment 0
		.amdhsa_system_sgpr_workgroup_id_x 1
		.amdhsa_system_sgpr_workgroup_id_y 0
		.amdhsa_system_sgpr_workgroup_id_z 1
		.amdhsa_system_sgpr_workgroup_info 0
		.amdhsa_system_vgpr_workitem_id 0
		.amdhsa_next_free_vgpr 51
		.amdhsa_next_free_sgpr 74
		.amdhsa_reserve_vcc 1
		.amdhsa_float_round_mode_32 0
		.amdhsa_float_round_mode_16_64 0
		.amdhsa_float_denorm_mode_32 3
		.amdhsa_float_denorm_mode_16_64 3
		.amdhsa_fp16_overflow 0
		.amdhsa_workgroup_processor_mode 1
		.amdhsa_memory_ordered 1
		.amdhsa_forward_progress 1
		.amdhsa_inst_pref_size 37
		.amdhsa_round_robin_scheduling 0
		.amdhsa_exception_fp_ieee_invalid_op 0
		.amdhsa_exception_fp_denorm_src 0
		.amdhsa_exception_fp_ieee_div_zero 0
		.amdhsa_exception_fp_ieee_overflow 0
		.amdhsa_exception_fp_ieee_underflow 0
		.amdhsa_exception_fp_ieee_inexact 0
		.amdhsa_exception_int_div_zero 0
	.end_amdhsa_kernel
	.section	.text._ZL23rocblas_gemvt_sn_kernelILb0ELi256ELi4EiPKDF16_PKffEviiT4_lPKT3_lilS7_lilPT5_i,"axG",@progbits,_ZL23rocblas_gemvt_sn_kernelILb0ELi256ELi4EiPKDF16_PKffEviiT4_lPKT3_lilS7_lilPT5_i,comdat
.Lfunc_end440:
	.size	_ZL23rocblas_gemvt_sn_kernelILb0ELi256ELi4EiPKDF16_PKffEviiT4_lPKT3_lilS7_lilPT5_i, .Lfunc_end440-_ZL23rocblas_gemvt_sn_kernelILb0ELi256ELi4EiPKDF16_PKffEviiT4_lPKT3_lilS7_lilPT5_i
                                        ; -- End function
	.set _ZL23rocblas_gemvt_sn_kernelILb0ELi256ELi4EiPKDF16_PKffEviiT4_lPKT3_lilS7_lilPT5_i.num_vgpr, 51
	.set _ZL23rocblas_gemvt_sn_kernelILb0ELi256ELi4EiPKDF16_PKffEviiT4_lPKT3_lilS7_lilPT5_i.num_agpr, 0
	.set _ZL23rocblas_gemvt_sn_kernelILb0ELi256ELi4EiPKDF16_PKffEviiT4_lPKT3_lilS7_lilPT5_i.numbered_sgpr, 74
	.set _ZL23rocblas_gemvt_sn_kernelILb0ELi256ELi4EiPKDF16_PKffEviiT4_lPKT3_lilS7_lilPT5_i.num_named_barrier, 0
	.set _ZL23rocblas_gemvt_sn_kernelILb0ELi256ELi4EiPKDF16_PKffEviiT4_lPKT3_lilS7_lilPT5_i.private_seg_size, 0
	.set _ZL23rocblas_gemvt_sn_kernelILb0ELi256ELi4EiPKDF16_PKffEviiT4_lPKT3_lilS7_lilPT5_i.uses_vcc, 1
	.set _ZL23rocblas_gemvt_sn_kernelILb0ELi256ELi4EiPKDF16_PKffEviiT4_lPKT3_lilS7_lilPT5_i.uses_flat_scratch, 1
	.set _ZL23rocblas_gemvt_sn_kernelILb0ELi256ELi4EiPKDF16_PKffEviiT4_lPKT3_lilS7_lilPT5_i.has_dyn_sized_stack, 0
	.set _ZL23rocblas_gemvt_sn_kernelILb0ELi256ELi4EiPKDF16_PKffEviiT4_lPKT3_lilS7_lilPT5_i.has_recursion, 0
	.set _ZL23rocblas_gemvt_sn_kernelILb0ELi256ELi4EiPKDF16_PKffEviiT4_lPKT3_lilS7_lilPT5_i.has_indirect_call, 0
	.section	.AMDGPU.csdata,"",@progbits
; Kernel info:
; codeLenInByte = 4692
; TotalNumSgprs: 76
; NumVgprs: 51
; ScratchSize: 0
; MemoryBound: 0
; FloatMode: 240
; IeeeMode: 1
; LDSByteSize: 128 bytes/workgroup (compile time only)
; SGPRBlocks: 0
; VGPRBlocks: 6
; NumSGPRsForWavesPerEU: 76
; NumVGPRsForWavesPerEU: 51
; Occupancy: 16
; WaveLimiterHint : 0
; COMPUTE_PGM_RSRC2:SCRATCH_EN: 0
; COMPUTE_PGM_RSRC2:USER_SGPR: 2
; COMPUTE_PGM_RSRC2:TRAP_HANDLER: 0
; COMPUTE_PGM_RSRC2:TGID_X_EN: 1
; COMPUTE_PGM_RSRC2:TGID_Y_EN: 0
; COMPUTE_PGM_RSRC2:TGID_Z_EN: 1
; COMPUTE_PGM_RSRC2:TIDIG_COMP_CNT: 0
	.section	.text._ZL23rocblas_gemvt_sn_kernelILb0ELi256ELi4ElPKDF16_PKffEviiT4_lPKT3_lilS7_lilPT5_i,"axG",@progbits,_ZL23rocblas_gemvt_sn_kernelILb0ELi256ELi4ElPKDF16_PKffEviiT4_lPKT3_lilS7_lilPT5_i,comdat
	.globl	_ZL23rocblas_gemvt_sn_kernelILb0ELi256ELi4ElPKDF16_PKffEviiT4_lPKT3_lilS7_lilPT5_i ; -- Begin function _ZL23rocblas_gemvt_sn_kernelILb0ELi256ELi4ElPKDF16_PKffEviiT4_lPKT3_lilS7_lilPT5_i
	.p2align	8
	.type	_ZL23rocblas_gemvt_sn_kernelILb0ELi256ELi4ElPKDF16_PKffEviiT4_lPKT3_lilS7_lilPT5_i,@function
_ZL23rocblas_gemvt_sn_kernelILb0ELi256ELi4ElPKDF16_PKffEviiT4_lPKT3_lilS7_lilPT5_i: ; @_ZL23rocblas_gemvt_sn_kernelILb0ELi256ELi4ElPKDF16_PKffEviiT4_lPKT3_lilS7_lilPT5_i
; %bb.0:
	s_load_b32 s33, s[0:1], 0x60
	s_lshr_b32 s10, ttmp7, 16
	s_wait_kmcnt 0x0
	s_cmp_ge_u32 s10, s33
	s_cbranch_scc1 .LBB441_87
; %bb.1:
	s_clause 0x6
	s_load_b32 s26, s[0:1], 0x28
	s_load_b32 s6, s[0:1], 0x48
	s_load_b64 s[28:29], s[0:1], 0x0
	s_load_b32 s30, s[0:1], 0x68
	s_load_b256 s[12:19], s[0:1], 0x8
	s_load_b128 s[20:23], s[0:1], 0x38
	s_load_b64 s[34:35], s[0:1], 0x58
	s_mov_b32 s25, 0
	v_cmp_eq_u32_e64 s0, 0, v0
	s_mov_b32 s31, s25
	v_and_b32_e32 v3, 31, v0
	v_cmp_gt_u32_e64 s5, 8, v0
	v_mbcnt_lo_u32_b32 v33, -1, 0
	s_mov_b32 s24, ttmp9
	s_delay_alu instid0(VALU_DEP_1)
	v_lshl_or_b32 v34, v33, 2, 64
	s_wait_kmcnt 0x0
	s_ashr_i32 s27, s26, 31
	s_ashr_i32 s7, s6, 31
	;; [unrolled: 1-line block ×3, first 2 shown]
	s_mov_b32 s2, s29
	s_cmp_gt_i32 s29, 0
	s_mul_u64 s[36:37], s[2:3], s[30:31]
	s_cselect_b32 s1, -1, 0
	s_lshl_b32 s2, ttmp9, 10
	s_ashr_i32 s4, s28, 31
	v_lshl_or_b32 v1, v0, 2, s2
	s_and_b32 s58, s0, s1
	s_lshr_b32 s1, s4, 30
	s_lshr_b32 s3, s3, 30
	s_add_co_i32 s1, s28, s1
	v_add_nc_u32_e32 v4, 4, v1
	s_and_b32 s1, s1, -4
	s_wait_alu 0xfffe
	s_add_co_i32 s2, s29, s3
	s_sub_co_i32 s60, s28, s1
	v_cmp_gt_u32_e64 s3, 32, v0
	v_add_nc_u32_e32 v5, s60, v1
	v_cmp_ge_i32_e64 s1, s28, v4
	v_lshrrev_b32_e32 v4, 3, v0
	v_or_b32_e32 v0, 1, v1
	s_wait_alu 0xfffe
	s_and_b32 s59, s2, -4
	v_cmp_ge_i32_e64 s2, s28, v5
	v_or_b32_e32 v5, 2, v1
	v_and_b32_e32 v32, 28, v4
	v_mad_co_i64_i32 v[9:10], null, s6, v0, 0
	v_or_b32_e32 v0, 3, v1
	s_delay_alu instid0(VALU_DEP_4) | instskip(SKIP_2) | instid1(VALU_DEP_3)
	v_mad_co_i64_i32 v[11:12], null, s6, v5, 0
	v_ashrrev_i32_e32 v2, 31, v1
	s_cmp_gt_i32 s59, 0
	v_mad_co_i64_i32 v[13:14], null, s6, v0, 0
	v_mov_b32_e32 v0, 0
	v_cmp_eq_u32_e64 s4, 0, v3
	v_lshlrev_b32_e32 v31, 2, v3
	v_mad_co_i64_i32 v[3:4], null, s6, v1, 0
	s_cselect_b32 s61, -1, 0
	s_cmp_gt_i32 s60, 0
	v_lshlrev_b64_e32 v[7:8], 1, v[1:2]
	v_lshlrev_b64_e32 v[9:10], 1, v[9:10]
	;; [unrolled: 1-line block ×5, first 2 shown]
	s_cselect_b32 s62, -1, 0
	s_lshl_b64 s[38:39], s[24:25], 2
	s_lshl_b64 s[42:43], s[36:37], 2
	s_add_nc_u64 s[40:41], s[34:35], s[38:39]
	s_lshl_b64 s[44:45], s[30:31], 2
	s_lshl_b64 s[46:47], s[6:7], 1
	s_mul_u64 s[48:49], s[26:27], 6
	s_lshl_b64 s[50:51], s[26:27], 3
	s_lshl_b64 s[52:53], s[26:27], 2
	;; [unrolled: 1-line block ×5, first 2 shown]
	s_branch .LBB441_3
.LBB441_2:                              ;   in Loop: Header=BB441_3 Depth=1
	s_add_co_i32 s10, s10, 0x10000
	s_delay_alu instid0(SALU_CYCLE_1)
	s_cmp_lt_u32 s10, s33
	s_cbranch_scc0 .LBB441_87
.LBB441_3:                              ; =>This Loop Header: Depth=1
                                        ;     Child Loop BB441_10 Depth 2
                                        ;     Child Loop BB441_16 Depth 2
                                        ;       Child Loop BB441_47 Depth 3
                                        ;       Child Loop BB441_50 Depth 3
                                        ;     Child Loop BB441_66 Depth 2
                                        ;       Child Loop BB441_79 Depth 3
                                        ;       Child Loop BB441_82 Depth 3
	s_mov_b32 s11, s25
	v_mov_b32_e32 v17, 0
	s_mul_u64 s[6:7], s[14:15], s[10:11]
	v_dual_mov_b32 v18, 0 :: v_dual_mov_b32 v1, 0
	s_wait_alu 0xfffe
	s_lshl_b64 s[6:7], s[6:7], 2
	v_mov_b32_e32 v2, 0
	s_wait_alu 0xfffe
	s_add_nc_u64 s[6:7], s[12:13], s[6:7]
	global_load_b32 v35, v0, s[6:7]
	s_wait_loadcnt 0x0
	v_cmp_eq_f32_e64 s6, 0, v35
	v_cmp_neq_f32_e64 s7, 0, v35
	s_wait_alu 0xfffe
	s_and_b32 vcc_lo, exec_lo, s6
	s_wait_alu 0xfffe
	s_cbranch_vccnz .LBB441_5
; %bb.4:                                ;   in Loop: Header=BB441_3 Depth=1
	s_lshl_b64 s[8:9], s[10:11], 3
	s_wait_alu 0xfffe
	s_add_nc_u64 s[8:9], s[16:17], s[8:9]
	global_load_b64 v[1:2], v0, s[8:9]
	s_wait_loadcnt 0x0
	v_add_co_u32 v1, vcc_lo, v1, s18
	s_wait_alu 0xfffd
	v_add_co_ci_u32_e64 v2, null, s19, v2, vcc_lo
.LBB441_5:                              ;   in Loop: Header=BB441_3 Depth=1
	s_and_not1_b32 vcc_lo, exec_lo, s7
	s_wait_alu 0xfffe
	s_cbranch_vccnz .LBB441_7
; %bb.6:                                ;   in Loop: Header=BB441_3 Depth=1
	s_lshl_b64 s[8:9], s[10:11], 3
	s_wait_alu 0xfffe
	s_add_nc_u64 s[8:9], s[20:21], s[8:9]
	global_load_b64 v[3:4], v0, s[8:9]
	s_wait_loadcnt 0x0
	v_add_co_u32 v17, vcc_lo, v3, s22
	s_wait_alu 0xfffd
	v_add_co_ci_u32_e64 v18, null, s23, v4, vcc_lo
.LBB441_7:                              ;   in Loop: Header=BB441_3 Depth=1
	s_and_not1_b32 vcc_lo, exec_lo, s6
	s_mov_b32 s6, -1
	s_wait_alu 0xfffe
	s_cbranch_vccnz .LBB441_12
; %bb.8:                                ;   in Loop: Header=BB441_3 Depth=1
	s_and_saveexec_b32 s8, s58
	s_cbranch_execz .LBB441_11
; %bb.9:                                ;   in Loop: Header=BB441_3 Depth=1
	s_mul_u64 s[6:7], s[42:43], s[10:11]
	s_mov_b32 s9, s29
	s_wait_alu 0xfffe
	s_add_nc_u64 s[6:7], s[40:41], s[6:7]
.LBB441_10:                             ;   Parent Loop BB441_3 Depth=1
                                        ; =>  This Inner Loop Header: Depth=2
	s_add_co_i32 s9, s9, -1
	global_store_b32 v0, v0, s[6:7]
	s_wait_alu 0xfffe
	s_cmp_eq_u32 s9, 0
	s_add_nc_u64 s[6:7], s[6:7], s[44:45]
	s_cbranch_scc0 .LBB441_10
.LBB441_11:                             ;   in Loop: Header=BB441_3 Depth=1
	s_wait_alu 0xfffe
	s_or_b32 exec_lo, exec_lo, s8
	s_mov_b32 s6, 0
.LBB441_12:                             ;   in Loop: Header=BB441_3 Depth=1
	s_wait_alu 0xfffe
	s_and_not1_b32 vcc_lo, exec_lo, s6
	s_wait_alu 0xfffe
	s_cbranch_vccnz .LBB441_2
; %bb.13:                               ;   in Loop: Header=BB441_3 Depth=1
	s_mul_u64 s[6:7], s[36:37], s[10:11]
	v_add_co_u32 v15, vcc_lo, v1, v7
	s_wait_alu 0xfffe
	s_lshl_b64 s[56:57], s[6:7], 2
	s_wait_alu 0xfffd
	v_add_co_ci_u32_e64 v16, null, v2, v8, vcc_lo
	v_cmp_gt_u32_e64 s9, 24, v33
	v_cmp_gt_u32_e64 s8, 28, v33
	;; [unrolled: 1-line block ×3, first 2 shown]
	v_cmp_ne_u32_e64 s6, 31, v33
	s_add_nc_u64 s[56:57], s[34:35], s[56:57]
	s_and_not1_b32 vcc_lo, exec_lo, s61
	s_add_nc_u64 s[56:57], s[56:57], s[38:39]
	s_wait_alu 0xfffe
	s_cbranch_vccnz .LBB441_62
; %bb.14:                               ;   in Loop: Header=BB441_3 Depth=1
	v_cndmask_b32_e64 v3, 0, 2, s7
	v_add_co_u32 v19, vcc_lo, v17, v5
	v_cndmask_b32_e64 v1, 0, 8, s9
	v_cndmask_b32_e64 v2, 0, 4, s8
	v_add_co_ci_u32_e64 v4, null, 0, v33, s6
	v_add_lshl_u32 v38, v3, v33, 2
	s_wait_alu 0xfffd
	v_add_co_ci_u32_e64 v20, null, v18, v6, vcc_lo
	v_add_co_u32 v21, vcc_lo, v17, v9
	v_mov_b32_e32 v3, v0
	s_wait_alu 0xfffd
	v_add_co_ci_u32_e64 v22, null, v18, v10, vcc_lo
	v_add_co_u32 v23, vcc_lo, v17, v11
	v_add_lshl_u32 v36, v1, v33, 2
	v_add_lshl_u32 v37, v2, v33, 2
	v_dual_mov_b32 v2, v0 :: v_dual_lshlrev_b32 v39, 2, v4
	s_wait_alu 0xfffd
	v_add_co_ci_u32_e64 v24, null, v18, v12, vcc_lo
	s_wait_dscnt 0x0
	v_dual_mov_b32 v1, v0 :: v_dual_mov_b32 v28, v16
	v_add_co_u32 v25, vcc_lo, v17, v13
	v_dual_mov_b32 v27, v15 :: v_dual_mov_b32 v4, v3
	s_wait_alu 0xfffd
	v_add_co_ci_u32_e64 v26, null, v18, v14, vcc_lo
	v_mov_b32_e32 v3, v2
	v_mov_b32_e32 v2, v1
	;; [unrolled: 1-line block ×3, first 2 shown]
	s_mov_b32 s24, 0
	s_branch .LBB441_16
.LBB441_15:                             ;   in Loop: Header=BB441_16 Depth=2
	s_wait_alu 0xfffe
	s_or_b32 exec_lo, exec_lo, s6
	v_add_co_u32 v27, vcc_lo, v27, s50
	s_wait_alu 0xfffd
	v_add_co_ci_u32_e64 v28, null, s51, v28, vcc_lo
	s_add_co_i32 s24, s24, 4
	s_wait_alu 0xfffe
	s_cmp_ge_i32 s24, s59
	s_cbranch_scc1 .LBB441_63
.LBB441_16:                             ;   Parent Loop BB441_3 Depth=1
                                        ; =>  This Loop Header: Depth=2
                                        ;       Child Loop BB441_47 Depth 3
                                        ;       Child Loop BB441_50 Depth 3
                                        ; implicit-def: $vgpr40
                                        ; implicit-def: $vgpr41
                                        ; implicit-def: $vgpr42
                                        ; implicit-def: $vgpr43
	s_and_saveexec_b32 s6, s1
	s_wait_alu 0xfffe
	s_xor_b32 s6, exec_lo, s6
	s_cbranch_execnz .LBB441_43
; %bb.17:                               ;   in Loop: Header=BB441_16 Depth=2
	s_wait_alu 0xfffe
	s_and_not1_saveexec_b32 s11, s6
	s_cbranch_execnz .LBB441_44
.LBB441_18:                             ;   in Loop: Header=BB441_16 Depth=2
	s_or_b32 exec_lo, exec_lo, s11
	s_and_saveexec_b32 s6, s3
.LBB441_19:                             ;   in Loop: Header=BB441_16 Depth=2
	ds_store_b32 v31, v0
.LBB441_20:                             ;   in Loop: Header=BB441_16 Depth=2
	s_wait_alu 0xfffe
	s_or_b32 exec_lo, exec_lo, s6
	ds_bpermute_b32 v29, v34, v43
	s_wait_storecnt_dscnt 0x0
	s_barrier_signal -1
	s_barrier_wait -1
	global_inv scope:SCOPE_SE
	v_add_f32_e32 v29, v43, v29
	ds_bpermute_b32 v30, v36, v29
	s_wait_dscnt 0x0
	v_add_f32_e32 v29, v29, v30
	ds_bpermute_b32 v30, v37, v29
	s_wait_dscnt 0x0
	;; [unrolled: 3-line block ×3, first 2 shown]
	v_add_f32_e32 v29, v29, v30
	ds_bpermute_b32 v30, v39, v29
	s_and_saveexec_b32 s6, s4
	s_cbranch_execz .LBB441_22
; %bb.21:                               ;   in Loop: Header=BB441_16 Depth=2
	s_wait_dscnt 0x0
	v_add_f32_e32 v29, v29, v30
	ds_store_b32 v32, v29
.LBB441_22:                             ;   in Loop: Header=BB441_16 Depth=2
	s_wait_alu 0xfffe
	s_or_b32 exec_lo, exec_lo, s6
	v_mov_b32_e32 v29, 0
	s_wait_loadcnt_dscnt 0x0
	s_barrier_signal -1
	s_barrier_wait -1
	global_inv scope:SCOPE_SE
	s_and_saveexec_b32 s6, s5
	s_cbranch_execnz .LBB441_51
; %bb.23:                               ;   in Loop: Header=BB441_16 Depth=2
	s_wait_alu 0xfffe
	s_or_b32 exec_lo, exec_lo, s6
	s_and_saveexec_b32 s6, s3
	s_cbranch_execnz .LBB441_52
.LBB441_24:                             ;   in Loop: Header=BB441_16 Depth=2
	s_wait_alu 0xfffe
	s_or_b32 exec_lo, exec_lo, s6
	s_and_saveexec_b32 s6, s3
.LBB441_25:                             ;   in Loop: Header=BB441_16 Depth=2
	ds_store_b32 v31, v0
.LBB441_26:                             ;   in Loop: Header=BB441_16 Depth=2
	s_wait_alu 0xfffe
	s_or_b32 exec_lo, exec_lo, s6
	ds_bpermute_b32 v30, v34, v42
	s_wait_loadcnt_dscnt 0x0
	s_barrier_signal -1
	s_barrier_wait -1
	global_inv scope:SCOPE_SE
	v_add_f32_e32 v30, v42, v30
	ds_bpermute_b32 v42, v36, v30
	s_wait_dscnt 0x0
	v_add_f32_e32 v30, v30, v42
	ds_bpermute_b32 v42, v37, v30
	s_wait_dscnt 0x0
	;; [unrolled: 3-line block ×3, first 2 shown]
	v_add_f32_e32 v30, v30, v42
	ds_bpermute_b32 v42, v39, v30
	s_and_saveexec_b32 s6, s4
	s_cbranch_execz .LBB441_28
; %bb.27:                               ;   in Loop: Header=BB441_16 Depth=2
	s_wait_dscnt 0x0
	v_add_f32_e32 v30, v30, v42
	ds_store_b32 v32, v30
.LBB441_28:                             ;   in Loop: Header=BB441_16 Depth=2
	s_wait_alu 0xfffe
	s_or_b32 exec_lo, exec_lo, s6
	v_mov_b32_e32 v30, 0
	s_wait_loadcnt_dscnt 0x0
	s_barrier_signal -1
	s_barrier_wait -1
	global_inv scope:SCOPE_SE
	s_and_saveexec_b32 s6, s5
	s_cbranch_execnz .LBB441_53
; %bb.29:                               ;   in Loop: Header=BB441_16 Depth=2
	s_wait_alu 0xfffe
	s_or_b32 exec_lo, exec_lo, s6
	s_and_saveexec_b32 s6, s3
	s_cbranch_execnz .LBB441_54
.LBB441_30:                             ;   in Loop: Header=BB441_16 Depth=2
	s_wait_alu 0xfffe
	s_or_b32 exec_lo, exec_lo, s6
	s_and_saveexec_b32 s6, s3
.LBB441_31:                             ;   in Loop: Header=BB441_16 Depth=2
	ds_store_b32 v31, v0
.LBB441_32:                             ;   in Loop: Header=BB441_16 Depth=2
	s_wait_alu 0xfffe
	s_or_b32 exec_lo, exec_lo, s6
	ds_bpermute_b32 v42, v34, v41
	s_wait_loadcnt_dscnt 0x0
	s_barrier_signal -1
	s_barrier_wait -1
	global_inv scope:SCOPE_SE
	v_add_f32_e32 v41, v41, v42
	ds_bpermute_b32 v42, v36, v41
	s_wait_dscnt 0x0
	v_add_f32_e32 v41, v41, v42
	ds_bpermute_b32 v42, v37, v41
	s_wait_dscnt 0x0
	;; [unrolled: 3-line block ×3, first 2 shown]
	v_add_f32_e32 v41, v41, v42
	ds_bpermute_b32 v42, v39, v41
	s_and_saveexec_b32 s6, s4
	s_cbranch_execz .LBB441_34
; %bb.33:                               ;   in Loop: Header=BB441_16 Depth=2
	s_wait_dscnt 0x0
	v_add_f32_e32 v41, v41, v42
	ds_store_b32 v32, v41
.LBB441_34:                             ;   in Loop: Header=BB441_16 Depth=2
	s_wait_alu 0xfffe
	s_or_b32 exec_lo, exec_lo, s6
	v_mov_b32_e32 v41, 0
	s_wait_loadcnt_dscnt 0x0
	s_barrier_signal -1
	s_barrier_wait -1
	global_inv scope:SCOPE_SE
	s_and_saveexec_b32 s6, s5
	s_cbranch_execnz .LBB441_55
; %bb.35:                               ;   in Loop: Header=BB441_16 Depth=2
	s_wait_alu 0xfffe
	s_or_b32 exec_lo, exec_lo, s6
	s_and_saveexec_b32 s6, s3
	s_cbranch_execnz .LBB441_56
.LBB441_36:                             ;   in Loop: Header=BB441_16 Depth=2
	s_wait_alu 0xfffe
	s_or_b32 exec_lo, exec_lo, s6
	s_and_saveexec_b32 s6, s3
.LBB441_37:                             ;   in Loop: Header=BB441_16 Depth=2
	ds_store_b32 v31, v0
.LBB441_38:                             ;   in Loop: Header=BB441_16 Depth=2
	s_wait_alu 0xfffe
	s_or_b32 exec_lo, exec_lo, s6
	ds_bpermute_b32 v42, v34, v40
	s_wait_loadcnt_dscnt 0x0
	s_barrier_signal -1
	s_barrier_wait -1
	global_inv scope:SCOPE_SE
	v_add_f32_e32 v40, v40, v42
	ds_bpermute_b32 v42, v36, v40
	s_wait_dscnt 0x0
	v_add_f32_e32 v40, v40, v42
	ds_bpermute_b32 v42, v37, v40
	s_wait_dscnt 0x0
	;; [unrolled: 3-line block ×3, first 2 shown]
	v_add_f32_e32 v40, v40, v42
	ds_bpermute_b32 v42, v39, v40
	s_and_saveexec_b32 s6, s4
	s_cbranch_execz .LBB441_40
; %bb.39:                               ;   in Loop: Header=BB441_16 Depth=2
	s_wait_dscnt 0x0
	v_add_f32_e32 v40, v40, v42
	ds_store_b32 v32, v40
.LBB441_40:                             ;   in Loop: Header=BB441_16 Depth=2
	s_wait_alu 0xfffe
	s_or_b32 exec_lo, exec_lo, s6
	v_mov_b32_e32 v40, 0
	s_wait_loadcnt_dscnt 0x0
	s_barrier_signal -1
	s_barrier_wait -1
	global_inv scope:SCOPE_SE
	s_and_saveexec_b32 s6, s5
	s_cbranch_execnz .LBB441_57
; %bb.41:                               ;   in Loop: Header=BB441_16 Depth=2
	s_wait_alu 0xfffe
	s_or_b32 exec_lo, exec_lo, s6
	s_and_saveexec_b32 s6, s3
	s_cbranch_execnz .LBB441_58
.LBB441_42:                             ;   in Loop: Header=BB441_16 Depth=2
	s_wait_alu 0xfffe
	s_or_b32 exec_lo, exec_lo, s6
	s_and_saveexec_b32 s6, s0
	s_cbranch_execz .LBB441_15
	s_branch .LBB441_59
.LBB441_43:                             ;   in Loop: Header=BB441_16 Depth=2
	s_mul_u64 s[8:9], s[24:25], s[26:27]
	s_or_b32 s64, s24, 1
	s_mov_b32 s65, s25
	s_wait_alu 0xfffe
	s_lshl_b64 s[8:9], s[8:9], 1
	s_mul_u64 s[64:65], s[64:65], s[26:27]
	s_wait_alu 0xfffe
	v_add_co_u32 v1, vcc_lo, v15, s8
	s_wait_alu 0xfffd
	v_add_co_ci_u32_e64 v2, null, s9, v16, vcc_lo
	s_lshl_b64 s[8:9], s[64:65], 1
	s_or_b32 s64, s24, 2
	s_mov_b32 s65, s25
	s_wait_alu 0xfffe
	v_add_co_u32 v3, vcc_lo, v15, s8
	s_wait_alu 0xfffd
	v_add_co_ci_u32_e64 v4, null, s9, v16, vcc_lo
	s_mul_u64 s[8:9], s[64:65], s[26:27]
	s_or_b32 s64, s24, 3
	s_wait_alu 0xfffe
	s_lshl_b64 s[8:9], s[8:9], 1
	s_mul_u64 s[64:65], s[64:65], s[26:27]
	s_wait_alu 0xfffe
	v_add_co_u32 v29, vcc_lo, v15, s8
	s_wait_alu 0xfffd
	v_add_co_ci_u32_e64 v30, null, s9, v16, vcc_lo
	s_lshl_b64 s[8:9], s[64:65], 1
	s_wait_dscnt 0x0
	s_wait_alu 0xfffe
	v_add_co_u32 v40, vcc_lo, v15, s8
	s_wait_alu 0xfffd
	v_add_co_ci_u32_e64 v41, null, s9, v16, vcc_lo
	flat_load_u16 v48, v[19:20]
	s_clause 0x3
	flat_load_b64 v[42:43], v[1:2]
	flat_load_b64 v[44:45], v[3:4]
	;; [unrolled: 1-line block ×4, first 2 shown]
	s_clause 0x2
	flat_load_u16 v3, v[21:22]
	flat_load_u16 v4, v[23:24]
	;; [unrolled: 1-line block ×3, first 2 shown]
	s_wait_loadcnt_dscnt 0x707
	v_cvt_f32_f16_e32 v1, v48
	s_wait_loadcnt_dscnt 0x606
	v_fma_mix_f32 v41, v48, v42, 0 op_sel_hi:[1,1,0]
	s_wait_loadcnt_dscnt 0x505
	v_fma_mix_f32 v49, v48, v44, 0 op_sel_hi:[1,1,0]
	;; [unrolled: 2-line block ×4, first 2 shown]
	s_wait_loadcnt_dscnt 0x202
	v_cvt_f32_f16_e32 v2, v3
	v_fma_mix_f32 v41, v3, v42, v41 op_sel:[0,1,0] op_sel_hi:[1,1,0]
	v_fma_mix_f32 v42, v3, v44, v49 op_sel:[0,1,0] op_sel_hi:[1,1,0]
	;; [unrolled: 1-line block ×4, first 2 shown]
	s_wait_loadcnt_dscnt 0x101
	v_cvt_f32_f16_e32 v3, v4
	v_fma_mix_f32 v41, v4, v43, v41 op_sel_hi:[1,1,0]
	v_fma_mix_f32 v42, v4, v45, v42 op_sel_hi:[1,1,0]
	;; [unrolled: 1-line block ×4, first 2 shown]
	s_wait_loadcnt_dscnt 0x0
	v_cvt_f32_f16_e32 v4, v40
	v_fma_mix_f32 v43, v40, v43, v41 op_sel:[0,1,0] op_sel_hi:[1,1,0]
	v_fma_mix_f32 v42, v40, v45, v42 op_sel:[0,1,0] op_sel_hi:[1,1,0]
	;; [unrolled: 1-line block ×4, first 2 shown]
	s_and_not1_saveexec_b32 s11, s6
	s_cbranch_execz .LBB441_18
.LBB441_44:                             ;   in Loop: Header=BB441_16 Depth=2
	s_wait_dscnt 0x0
	v_dual_mov_b32 v40, 0 :: v_dual_mov_b32 v41, 0
	v_dual_mov_b32 v42, 0 :: v_dual_mov_b32 v43, 0
	s_and_saveexec_b32 s28, s2
	s_cbranch_execz .LBB441_61
; %bb.45:                               ;   in Loop: Header=BB441_16 Depth=2
	s_and_not1_b32 vcc_lo, exec_lo, s62
	s_wait_alu 0xfffe
	s_cbranch_vccnz .LBB441_48
; %bb.46:                               ;   in Loop: Header=BB441_16 Depth=2
	v_dual_mov_b32 v30, v20 :: v_dual_mov_b32 v29, v19
	s_mov_b64 s[8:9], 0
.LBB441_47:                             ;   Parent Loop BB441_3 Depth=1
                                        ;     Parent Loop BB441_16 Depth=2
                                        ; =>    This Inner Loop Header: Depth=3
	flat_load_u16 v40, v[29:30]
	s_wait_alu 0xfffe
	s_cmp_eq_u32 s8, 3
	v_add_co_u32 v29, vcc_lo, v29, s46
	s_wait_alu 0xfffd
	v_add_co_ci_u32_e64 v30, null, s47, v30, vcc_lo
	s_cselect_b32 vcc_lo, -1, 0
	s_cmp_eq_u32 s8, 2
	s_cselect_b32 s6, -1, 0
	s_cmp_eq_u32 s8, 1
	s_cselect_b32 s7, -1, 0
	s_cmp_eq_u32 s8, 0
	s_add_nc_u64 s[8:9], s[8:9], 1
	s_wait_loadcnt_dscnt 0x0
	v_cvt_f32_f16_e32 v40, v40
	s_wait_alu 0xfffe
	s_delay_alu instid0(VALU_DEP_1)
	v_cndmask_b32_e32 v4, v4, v40, vcc_lo
	s_cselect_b32 vcc_lo, -1, 0
	v_cndmask_b32_e64 v3, v3, v40, s6
	v_cndmask_b32_e64 v2, v2, v40, s7
	s_wait_alu 0xfffe
	v_cndmask_b32_e32 v1, v1, v40, vcc_lo
	s_cmp_eq_u32 s60, s8
	s_cbranch_scc0 .LBB441_47
.LBB441_48:                             ;   in Loop: Header=BB441_16 Depth=2
	s_and_not1_b32 vcc_lo, exec_lo, s62
	s_wait_alu 0xfffe
	s_cbranch_vccnz .LBB441_60
; %bb.49:                               ;   in Loop: Header=BB441_16 Depth=2
	v_dual_mov_b32 v43, 0 :: v_dual_mov_b32 v30, v28
	v_dual_mov_b32 v29, v27 :: v_dual_mov_b32 v42, 0
	;; [unrolled: 1-line block ×3, first 2 shown]
	s_mov_b64 s[8:9], 0
.LBB441_50:                             ;   Parent Loop BB441_3 Depth=1
                                        ;     Parent Loop BB441_16 Depth=2
                                        ; =>    This Inner Loop Header: Depth=3
	s_delay_alu instid0(VALU_DEP_2)
	v_add_co_u32 v44, vcc_lo, v29, s54
	s_wait_alu 0xfffd
	v_add_co_ci_u32_e64 v45, null, s55, v30, vcc_lo
	v_add_co_u32 v46, vcc_lo, v29, s52
	s_wait_alu 0xfffd
	v_add_co_ci_u32_e64 v47, null, s53, v30, vcc_lo
	v_add_co_u32 v48, vcc_lo, v29, s48
	s_wait_alu 0xfffd
	v_add_co_ci_u32_e64 v49, null, s49, v30, vcc_lo
	s_clause 0x3
	flat_load_u16 v50, v[29:30]
	flat_load_u16 v44, v[44:45]
	;; [unrolled: 1-line block ×4, first 2 shown]
	s_wait_alu 0xfffe
	s_cmp_eq_u32 s8, 1
	v_add_co_u32 v29, s6, v29, 2
	s_cselect_b32 vcc_lo, -1, 0
	s_cmp_eq_u32 s8, 2
	s_wait_alu 0xfffe
	v_cndmask_b32_e32 v47, v1, v2, vcc_lo
	s_cselect_b32 vcc_lo, -1, 0
	s_cmp_eq_u32 s8, 3
	v_add_co_ci_u32_e64 v30, null, 0, v30, s6
	s_wait_alu 0xfffe
	v_cndmask_b32_e32 v47, v47, v3, vcc_lo
	s_cselect_b32 vcc_lo, -1, 0
	s_add_nc_u64 s[8:9], s[8:9], 1
	s_wait_alu 0xfffe
	s_cmp_lg_u32 s60, s8
	v_cndmask_b32_e32 v47, v47, v4, vcc_lo
	s_wait_loadcnt_dscnt 0x303
	s_delay_alu instid0(VALU_DEP_1)
	v_fma_mix_f32 v43, v47, v50, v43 op_sel_hi:[0,1,0]
	s_wait_loadcnt_dscnt 0x202
	v_fma_mix_f32 v42, v47, v44, v42 op_sel_hi:[0,1,0]
	s_wait_loadcnt_dscnt 0x101
	;; [unrolled: 2-line block ×3, first 2 shown]
	v_fma_mix_f32 v40, v47, v46, v40 op_sel_hi:[0,1,0]
	s_cbranch_scc1 .LBB441_50
	s_branch .LBB441_61
.LBB441_51:                             ;   in Loop: Header=BB441_16 Depth=2
	ds_load_b32 v29, v31
	s_wait_alu 0xfffe
	s_or_b32 exec_lo, exec_lo, s6
	s_and_saveexec_b32 s6, s3
	s_cbranch_execz .LBB441_24
.LBB441_52:                             ;   in Loop: Header=BB441_16 Depth=2
	s_wait_dscnt 0x0
	ds_bpermute_b32 v30, v37, v29
	s_wait_dscnt 0x0
	v_add_f32_e32 v29, v29, v30
	ds_bpermute_b32 v30, v38, v29
	s_wait_dscnt 0x0
	v_add_f32_e32 v29, v29, v30
	;; [unrolled: 3-line block ×3, first 2 shown]
	s_wait_alu 0xfffe
	s_or_b32 exec_lo, exec_lo, s6
	s_and_saveexec_b32 s6, s3
	s_cbranch_execnz .LBB441_25
	s_branch .LBB441_26
.LBB441_53:                             ;   in Loop: Header=BB441_16 Depth=2
	ds_load_b32 v30, v31
	s_wait_alu 0xfffe
	s_or_b32 exec_lo, exec_lo, s6
	s_and_saveexec_b32 s6, s3
	s_cbranch_execz .LBB441_30
.LBB441_54:                             ;   in Loop: Header=BB441_16 Depth=2
	s_wait_dscnt 0x0
	ds_bpermute_b32 v42, v37, v30
	s_wait_dscnt 0x0
	v_add_f32_e32 v30, v30, v42
	ds_bpermute_b32 v42, v38, v30
	s_wait_dscnt 0x0
	v_add_f32_e32 v30, v30, v42
	ds_bpermute_b32 v42, v39, v30
	s_wait_dscnt 0x0
	v_add_f32_e32 v30, v30, v42
	s_wait_alu 0xfffe
	s_or_b32 exec_lo, exec_lo, s6
	s_and_saveexec_b32 s6, s3
	s_cbranch_execnz .LBB441_31
	s_branch .LBB441_32
.LBB441_55:                             ;   in Loop: Header=BB441_16 Depth=2
	ds_load_b32 v41, v31
	s_wait_alu 0xfffe
	s_or_b32 exec_lo, exec_lo, s6
	s_and_saveexec_b32 s6, s3
	s_cbranch_execz .LBB441_36
.LBB441_56:                             ;   in Loop: Header=BB441_16 Depth=2
	s_wait_dscnt 0x0
	ds_bpermute_b32 v42, v37, v41
	s_wait_dscnt 0x0
	v_add_f32_e32 v41, v41, v42
	ds_bpermute_b32 v42, v38, v41
	s_wait_dscnt 0x0
	v_add_f32_e32 v41, v41, v42
	;; [unrolled: 3-line block ×3, first 2 shown]
	s_wait_alu 0xfffe
	s_or_b32 exec_lo, exec_lo, s6
	s_and_saveexec_b32 s6, s3
	s_cbranch_execnz .LBB441_37
	s_branch .LBB441_38
.LBB441_57:                             ;   in Loop: Header=BB441_16 Depth=2
	ds_load_b32 v40, v31
	s_wait_alu 0xfffe
	s_or_b32 exec_lo, exec_lo, s6
	s_and_saveexec_b32 s6, s3
	s_cbranch_execz .LBB441_42
.LBB441_58:                             ;   in Loop: Header=BB441_16 Depth=2
	s_wait_dscnt 0x0
	ds_bpermute_b32 v42, v37, v40
	s_wait_dscnt 0x0
	v_add_f32_e32 v40, v40, v42
	ds_bpermute_b32 v42, v38, v40
	s_wait_dscnt 0x0
	v_add_f32_e32 v40, v40, v42
	;; [unrolled: 3-line block ×3, first 2 shown]
	s_wait_alu 0xfffe
	s_or_b32 exec_lo, exec_lo, s6
	s_and_saveexec_b32 s6, s0
	s_cbranch_execz .LBB441_15
.LBB441_59:                             ;   in Loop: Header=BB441_16 Depth=2
	s_mul_u64 s[8:9], s[24:25], s[30:31]
	v_mul_f32_e32 v29, v35, v29
	s_or_b32 s64, s24, 1
	s_mov_b32 s65, s25
	s_wait_alu 0xfffe
	s_lshl_b64 s[8:9], s[8:9], 2
	s_mul_u64 s[64:65], s[64:65], s[30:31]
	s_wait_alu 0xfffe
	s_add_nc_u64 s[8:9], s[56:57], s[8:9]
	v_mul_f32_e32 v30, v35, v30
	s_or_b32 s66, s24, 2
	s_mov_b32 s67, s25
	global_store_b32 v0, v29, s[8:9]
	s_lshl_b64 s[8:9], s[64:65], 2
	s_mul_u64 s[64:65], s[66:67], s[30:31]
	s_or_b32 s66, s24, 3
	s_wait_alu 0xfffe
	s_add_nc_u64 s[8:9], s[56:57], s[8:9]
	s_mul_u64 s[66:67], s[66:67], s[30:31]
	v_mul_f32_e32 v29, v35, v41
	global_store_b32 v0, v30, s[8:9]
	s_lshl_b64 s[8:9], s[64:65], 2
	s_wait_dscnt 0x0
	v_mul_f32_e32 v30, v35, v40
	s_lshl_b64 s[64:65], s[66:67], 2
	s_wait_alu 0xfffe
	s_add_nc_u64 s[8:9], s[56:57], s[8:9]
	s_add_nc_u64 s[64:65], s[56:57], s[64:65]
	s_clause 0x1
	global_store_b32 v0, v29, s[8:9]
	global_store_b32 v0, v30, s[64:65]
	s_branch .LBB441_15
.LBB441_60:                             ;   in Loop: Header=BB441_16 Depth=2
	v_dual_mov_b32 v40, 0 :: v_dual_mov_b32 v41, 0
	v_dual_mov_b32 v42, 0 :: v_dual_mov_b32 v43, 0
.LBB441_61:                             ;   in Loop: Header=BB441_16 Depth=2
	s_wait_alu 0xfffe
	s_or_b32 exec_lo, exec_lo, s28
	s_delay_alu instid0(SALU_CYCLE_1)
	s_or_b32 exec_lo, exec_lo, s11
	s_and_saveexec_b32 s6, s3
	s_cbranch_execnz .LBB441_19
	s_branch .LBB441_20
.LBB441_62:                             ;   in Loop: Header=BB441_3 Depth=1
	v_mov_b32_e32 v3, v0
	v_dual_mov_b32 v1, v0 :: v_dual_mov_b32 v2, v0
	s_mov_b32 s24, 0
	s_delay_alu instid0(VALU_DEP_2) | instskip(NEXT) | instid1(VALU_DEP_2)
	v_mov_b32_e32 v4, v3
	v_mov_b32_e32 v3, v2
	s_delay_alu instid0(VALU_DEP_3)
	v_mov_b32_e32 v2, v1
	v_mov_b32_e32 v1, v0
.LBB441_63:                             ;   in Loop: Header=BB441_3 Depth=1
	s_wait_alu 0xfffe
	s_cmp_ge_i32 s24, s29
	s_cbranch_scc1 .LBB441_2
; %bb.64:                               ;   in Loop: Header=BB441_3 Depth=1
	v_cmp_gt_u32_e32 vcc_lo, 24, v33
	s_wait_alu 0xfffd
	v_cndmask_b32_e64 v19, 0, 8, vcc_lo
	v_cmp_gt_u32_e32 vcc_lo, 28, v33
	s_delay_alu instid0(VALU_DEP_2) | instskip(SKIP_4) | instid1(VALU_DEP_3)
	v_add_lshl_u32 v29, v19, v33, 2
	s_wait_alu 0xfffd
	v_cndmask_b32_e64 v21, 0, 4, vcc_lo
	v_cmp_gt_u32_e32 vcc_lo, 30, v33
	v_mad_co_u64_u32 v[19:20], null, s54, s24, v[15:16]
	v_add_lshl_u32 v30, v21, v33, 2
	s_wait_alu 0xfffd
	v_cndmask_b32_e64 v22, 0, 2, vcc_lo
	v_cmp_ne_u32_e32 vcc_lo, 31, v33
	s_delay_alu instid0(VALU_DEP_2)
	v_add_lshl_u32 v36, v22, v33, 2
	s_wait_alu 0xfffd
	v_add_co_ci_u32_e64 v23, null, 0, v33, vcc_lo
	v_add_co_u32 v21, vcc_lo, v17, v5
	s_wait_alu 0xfffd
	v_add_co_ci_u32_e64 v22, null, v18, v6, vcc_lo
	s_wait_dscnt 0x0
	s_delay_alu instid0(VALU_DEP_2)
	v_mad_co_u64_u32 v[27:28], null, s55, s24, v[20:21]
	v_lshlrev_b32_e32 v37, 2, v23
	v_add_co_u32 v23, vcc_lo, v17, v9
	s_wait_alu 0xfffd
	v_add_co_ci_u32_e64 v24, null, v18, v10, vcc_lo
	v_add_co_u32 v25, vcc_lo, v17, v11
	s_wait_alu 0xfffd
	v_add_co_ci_u32_e64 v26, null, v18, v12, vcc_lo
	;; [unrolled: 3-line block ×3, first 2 shown]
	v_mov_b32_e32 v20, v27
	s_branch .LBB441_66
.LBB441_65:                             ;   in Loop: Header=BB441_66 Depth=2
	s_wait_alu 0xfffe
	s_or_b32 exec_lo, exec_lo, s6
	v_add_co_u32 v19, vcc_lo, v19, s54
	s_wait_alu 0xfffd
	v_add_co_ci_u32_e64 v20, null, s55, v20, vcc_lo
	s_add_co_i32 s24, s24, 1
	s_wait_alu 0xfffe
	s_cmp_ge_i32 s24, s29
	s_cbranch_scc1 .LBB441_2
.LBB441_66:                             ;   Parent Loop BB441_3 Depth=1
                                        ; =>  This Loop Header: Depth=2
                                        ;       Child Loop BB441_79 Depth 3
                                        ;       Child Loop BB441_82 Depth 3
	v_mov_b32_e32 v38, s25
	s_and_saveexec_b32 s6, s1
	s_wait_alu 0xfffe
	s_xor_b32 s6, exec_lo, s6
	s_cbranch_execnz .LBB441_75
; %bb.67:                               ;   in Loop: Header=BB441_66 Depth=2
	s_wait_alu 0xfffe
	s_and_not1_saveexec_b32 s11, s6
	s_cbranch_execnz .LBB441_76
.LBB441_68:                             ;   in Loop: Header=BB441_66 Depth=2
	s_or_b32 exec_lo, exec_lo, s11
	s_and_saveexec_b32 s6, s3
.LBB441_69:                             ;   in Loop: Header=BB441_66 Depth=2
	ds_store_b32 v31, v0
.LBB441_70:                             ;   in Loop: Header=BB441_66 Depth=2
	s_wait_alu 0xfffe
	s_or_b32 exec_lo, exec_lo, s6
	s_wait_dscnt 0x0
	ds_bpermute_b32 v27, v34, v38
	s_wait_storecnt 0x0
	s_wait_loadcnt_dscnt 0x0
	s_barrier_signal -1
	s_barrier_wait -1
	global_inv scope:SCOPE_SE
	v_add_f32_e32 v27, v38, v27
	ds_bpermute_b32 v28, v29, v27
	s_wait_dscnt 0x0
	v_add_f32_e32 v27, v27, v28
	ds_bpermute_b32 v28, v30, v27
	s_wait_dscnt 0x0
	;; [unrolled: 3-line block ×3, first 2 shown]
	v_add_f32_e32 v27, v27, v28
	ds_bpermute_b32 v28, v37, v27
	s_and_saveexec_b32 s6, s4
	s_cbranch_execz .LBB441_72
; %bb.71:                               ;   in Loop: Header=BB441_66 Depth=2
	s_wait_dscnt 0x0
	v_add_f32_e32 v27, v27, v28
	ds_store_b32 v32, v27
.LBB441_72:                             ;   in Loop: Header=BB441_66 Depth=2
	s_wait_alu 0xfffe
	s_or_b32 exec_lo, exec_lo, s6
	v_mov_b32_e32 v27, 0
	s_wait_loadcnt_dscnt 0x0
	s_barrier_signal -1
	s_barrier_wait -1
	global_inv scope:SCOPE_SE
	s_and_saveexec_b32 s6, s5
	s_cbranch_execnz .LBB441_84
; %bb.73:                               ;   in Loop: Header=BB441_66 Depth=2
	s_wait_alu 0xfffe
	s_or_b32 exec_lo, exec_lo, s6
	s_and_saveexec_b32 s6, s3
	s_cbranch_execnz .LBB441_85
.LBB441_74:                             ;   in Loop: Header=BB441_66 Depth=2
	s_wait_alu 0xfffe
	s_or_b32 exec_lo, exec_lo, s6
	s_and_saveexec_b32 s6, s0
	s_cbranch_execz .LBB441_65
	s_branch .LBB441_86
.LBB441_75:                             ;   in Loop: Header=BB441_66 Depth=2
	s_mul_u64 s[8:9], s[24:25], s[26:27]
	s_wait_alu 0xfffe
	s_lshl_b64 s[8:9], s[8:9], 1
	s_wait_alu 0xfffe
	v_add_co_u32 v1, vcc_lo, v15, s8
	s_wait_alu 0xfffd
	v_add_co_ci_u32_e64 v2, null, s9, v16, vcc_lo
	s_wait_dscnt 0x0
	flat_load_b64 v[27:28], v[1:2]
	s_clause 0x3
	flat_load_u16 v1, v[21:22]
	flat_load_u16 v2, v[23:24]
	;; [unrolled: 1-line block ×4, first 2 shown]
	s_wait_loadcnt_dscnt 0x303
	v_fma_mix_f32 v4, v1, v27, 0 op_sel_hi:[1,1,0]
	v_cvt_f32_f16_e32 v1, v1
	s_wait_loadcnt_dscnt 0x202
	s_delay_alu instid0(VALU_DEP_2) | instskip(SKIP_2) | instid1(VALU_DEP_2)
	v_fma_mix_f32 v4, v2, v27, v4 op_sel:[0,1,0] op_sel_hi:[1,1,0]
	v_cvt_f32_f16_e32 v2, v2
	s_wait_loadcnt_dscnt 0x101
	v_fma_mix_f32 v27, v3, v28, v4 op_sel_hi:[1,1,0]
	v_cvt_f32_f16_e32 v3, v3
	s_wait_loadcnt_dscnt 0x0
	v_cvt_f32_f16_e32 v4, v38
	s_delay_alu instid0(VALU_DEP_3)
	v_fma_mix_f32 v38, v38, v28, v27 op_sel:[0,1,0] op_sel_hi:[1,1,0]
	s_and_not1_saveexec_b32 s11, s6
	s_cbranch_execz .LBB441_68
.LBB441_76:                             ;   in Loop: Header=BB441_66 Depth=2
	s_and_saveexec_b32 s28, s2
	s_cbranch_execz .LBB441_83
; %bb.77:                               ;   in Loop: Header=BB441_66 Depth=2
	s_and_not1_b32 vcc_lo, exec_lo, s62
	s_wait_alu 0xfffe
	s_cbranch_vccnz .LBB441_80
; %bb.78:                               ;   in Loop: Header=BB441_66 Depth=2
	s_wait_dscnt 0x0
	v_dual_mov_b32 v28, v22 :: v_dual_mov_b32 v27, v21
	s_mov_b64 s[8:9], 0
.LBB441_79:                             ;   Parent Loop BB441_3 Depth=1
                                        ;     Parent Loop BB441_66 Depth=2
                                        ; =>    This Inner Loop Header: Depth=3
	flat_load_u16 v39, v[27:28]
	s_wait_alu 0xfffe
	s_cmp_eq_u32 s8, 3
	v_add_co_u32 v27, vcc_lo, v27, s46
	s_wait_alu 0xfffd
	v_add_co_ci_u32_e64 v28, null, s47, v28, vcc_lo
	s_cselect_b32 vcc_lo, -1, 0
	s_cmp_eq_u32 s8, 2
	s_cselect_b32 s6, -1, 0
	s_cmp_eq_u32 s8, 1
	s_cselect_b32 s7, -1, 0
	s_cmp_eq_u32 s8, 0
	s_add_nc_u64 s[8:9], s[8:9], 1
	s_wait_loadcnt_dscnt 0x0
	v_cvt_f32_f16_e32 v39, v39
	s_wait_alu 0xfffe
	s_delay_alu instid0(VALU_DEP_1)
	v_cndmask_b32_e32 v4, v4, v39, vcc_lo
	s_cselect_b32 vcc_lo, -1, 0
	v_cndmask_b32_e64 v3, v3, v39, s6
	v_cndmask_b32_e64 v2, v2, v39, s7
	s_wait_alu 0xfffe
	v_cndmask_b32_e32 v1, v1, v39, vcc_lo
	s_cmp_eq_u32 s60, s8
	s_cbranch_scc0 .LBB441_79
.LBB441_80:                             ;   in Loop: Header=BB441_66 Depth=2
	s_and_not1_b32 vcc_lo, exec_lo, s62
	s_wait_alu 0xfffe
	s_cbranch_vccnz .LBB441_83
; %bb.81:                               ;   in Loop: Header=BB441_66 Depth=2
	s_wait_dscnt 0x0
	v_dual_mov_b32 v28, v20 :: v_dual_mov_b32 v27, v19
	s_mov_b64 s[6:7], 0
.LBB441_82:                             ;   Parent Loop BB441_3 Depth=1
                                        ;     Parent Loop BB441_66 Depth=2
                                        ; =>    This Inner Loop Header: Depth=3
	flat_load_u16 v39, v[27:28]
	s_wait_alu 0xfffe
	s_cmp_eq_u32 s6, 1
	s_cselect_b32 vcc_lo, -1, 0
	s_cmp_eq_u32 s6, 2
	s_wait_dscnt 0x1
	s_wait_alu 0xfffe
	v_cndmask_b32_e32 v40, v1, v2, vcc_lo
	s_cselect_b32 vcc_lo, -1, 0
	s_cmp_eq_u32 s6, 3
	s_add_nc_u64 s[6:7], s[6:7], 1
	s_wait_alu 0xfffe
	v_cndmask_b32_e32 v40, v40, v3, vcc_lo
	s_cselect_b32 vcc_lo, -1, 0
	s_cmp_lg_u32 s60, s6
	s_wait_alu 0xfffe
	s_delay_alu instid0(VALU_DEP_1)
	v_cndmask_b32_e32 v40, v40, v4, vcc_lo
	v_add_co_u32 v27, vcc_lo, v27, 2
	s_wait_alu 0xfffd
	v_add_co_ci_u32_e64 v28, null, 0, v28, vcc_lo
	s_wait_loadcnt_dscnt 0x0
	v_fma_mix_f32 v38, v40, v39, v38 op_sel_hi:[0,1,0]
	s_cbranch_scc1 .LBB441_82
.LBB441_83:                             ;   in Loop: Header=BB441_66 Depth=2
	s_wait_alu 0xfffe
	s_or_b32 exec_lo, exec_lo, s28
	s_delay_alu instid0(SALU_CYCLE_1)
	s_or_b32 exec_lo, exec_lo, s11
	s_and_saveexec_b32 s6, s3
	s_cbranch_execnz .LBB441_69
	s_branch .LBB441_70
.LBB441_84:                             ;   in Loop: Header=BB441_66 Depth=2
	ds_load_b32 v27, v31
	s_wait_alu 0xfffe
	s_or_b32 exec_lo, exec_lo, s6
	s_and_saveexec_b32 s6, s3
	s_cbranch_execz .LBB441_74
.LBB441_85:                             ;   in Loop: Header=BB441_66 Depth=2
	s_wait_dscnt 0x0
	ds_bpermute_b32 v28, v30, v27
	s_wait_dscnt 0x0
	v_add_f32_e32 v27, v27, v28
	ds_bpermute_b32 v28, v36, v27
	s_wait_dscnt 0x0
	v_add_f32_e32 v27, v27, v28
	ds_bpermute_b32 v28, v37, v27
	s_wait_dscnt 0x0
	v_add_f32_e32 v27, v27, v28
	s_wait_alu 0xfffe
	s_or_b32 exec_lo, exec_lo, s6
	s_and_saveexec_b32 s6, s0
	s_cbranch_execz .LBB441_65
.LBB441_86:                             ;   in Loop: Header=BB441_66 Depth=2
	s_mul_u64 s[8:9], s[24:25], s[30:31]
	s_wait_dscnt 0x0
	v_mul_f32_e32 v27, v35, v27
	s_wait_alu 0xfffe
	s_lshl_b64 s[8:9], s[8:9], 2
	s_wait_alu 0xfffe
	s_add_nc_u64 s[8:9], s[56:57], s[8:9]
	global_store_b32 v0, v27, s[8:9]
	s_branch .LBB441_65
.LBB441_87:
	s_endpgm
	.section	.rodata,"a",@progbits
	.p2align	6, 0x0
	.amdhsa_kernel _ZL23rocblas_gemvt_sn_kernelILb0ELi256ELi4ElPKDF16_PKffEviiT4_lPKT3_lilS7_lilPT5_i
		.amdhsa_group_segment_fixed_size 128
		.amdhsa_private_segment_fixed_size 0
		.amdhsa_kernarg_size 360
		.amdhsa_user_sgpr_count 2
		.amdhsa_user_sgpr_dispatch_ptr 0
		.amdhsa_user_sgpr_queue_ptr 0
		.amdhsa_user_sgpr_kernarg_segment_ptr 1
		.amdhsa_user_sgpr_dispatch_id 0
		.amdhsa_user_sgpr_private_segment_size 0
		.amdhsa_wavefront_size32 1
		.amdhsa_uses_dynamic_stack 0
		.amdhsa_enable_private_segment 0
		.amdhsa_system_sgpr_workgroup_id_x 1
		.amdhsa_system_sgpr_workgroup_id_y 0
		.amdhsa_system_sgpr_workgroup_id_z 1
		.amdhsa_system_sgpr_workgroup_info 0
		.amdhsa_system_vgpr_workitem_id 0
		.amdhsa_next_free_vgpr 51
		.amdhsa_next_free_sgpr 68
		.amdhsa_reserve_vcc 1
		.amdhsa_float_round_mode_32 0
		.amdhsa_float_round_mode_16_64 0
		.amdhsa_float_denorm_mode_32 3
		.amdhsa_float_denorm_mode_16_64 3
		.amdhsa_fp16_overflow 0
		.amdhsa_workgroup_processor_mode 1
		.amdhsa_memory_ordered 1
		.amdhsa_forward_progress 1
		.amdhsa_inst_pref_size 37
		.amdhsa_round_robin_scheduling 0
		.amdhsa_exception_fp_ieee_invalid_op 0
		.amdhsa_exception_fp_denorm_src 0
		.amdhsa_exception_fp_ieee_div_zero 0
		.amdhsa_exception_fp_ieee_overflow 0
		.amdhsa_exception_fp_ieee_underflow 0
		.amdhsa_exception_fp_ieee_inexact 0
		.amdhsa_exception_int_div_zero 0
	.end_amdhsa_kernel
	.section	.text._ZL23rocblas_gemvt_sn_kernelILb0ELi256ELi4ElPKDF16_PKffEviiT4_lPKT3_lilS7_lilPT5_i,"axG",@progbits,_ZL23rocblas_gemvt_sn_kernelILb0ELi256ELi4ElPKDF16_PKffEviiT4_lPKT3_lilS7_lilPT5_i,comdat
.Lfunc_end441:
	.size	_ZL23rocblas_gemvt_sn_kernelILb0ELi256ELi4ElPKDF16_PKffEviiT4_lPKT3_lilS7_lilPT5_i, .Lfunc_end441-_ZL23rocblas_gemvt_sn_kernelILb0ELi256ELi4ElPKDF16_PKffEviiT4_lPKT3_lilS7_lilPT5_i
                                        ; -- End function
	.set _ZL23rocblas_gemvt_sn_kernelILb0ELi256ELi4ElPKDF16_PKffEviiT4_lPKT3_lilS7_lilPT5_i.num_vgpr, 51
	.set _ZL23rocblas_gemvt_sn_kernelILb0ELi256ELi4ElPKDF16_PKffEviiT4_lPKT3_lilS7_lilPT5_i.num_agpr, 0
	.set _ZL23rocblas_gemvt_sn_kernelILb0ELi256ELi4ElPKDF16_PKffEviiT4_lPKT3_lilS7_lilPT5_i.numbered_sgpr, 68
	.set _ZL23rocblas_gemvt_sn_kernelILb0ELi256ELi4ElPKDF16_PKffEviiT4_lPKT3_lilS7_lilPT5_i.num_named_barrier, 0
	.set _ZL23rocblas_gemvt_sn_kernelILb0ELi256ELi4ElPKDF16_PKffEviiT4_lPKT3_lilS7_lilPT5_i.private_seg_size, 0
	.set _ZL23rocblas_gemvt_sn_kernelILb0ELi256ELi4ElPKDF16_PKffEviiT4_lPKT3_lilS7_lilPT5_i.uses_vcc, 1
	.set _ZL23rocblas_gemvt_sn_kernelILb0ELi256ELi4ElPKDF16_PKffEviiT4_lPKT3_lilS7_lilPT5_i.uses_flat_scratch, 1
	.set _ZL23rocblas_gemvt_sn_kernelILb0ELi256ELi4ElPKDF16_PKffEviiT4_lPKT3_lilS7_lilPT5_i.has_dyn_sized_stack, 0
	.set _ZL23rocblas_gemvt_sn_kernelILb0ELi256ELi4ElPKDF16_PKffEviiT4_lPKT3_lilS7_lilPT5_i.has_recursion, 0
	.set _ZL23rocblas_gemvt_sn_kernelILb0ELi256ELi4ElPKDF16_PKffEviiT4_lPKT3_lilS7_lilPT5_i.has_indirect_call, 0
	.section	.AMDGPU.csdata,"",@progbits
; Kernel info:
; codeLenInByte = 4632
; TotalNumSgprs: 70
; NumVgprs: 51
; ScratchSize: 0
; MemoryBound: 0
; FloatMode: 240
; IeeeMode: 1
; LDSByteSize: 128 bytes/workgroup (compile time only)
; SGPRBlocks: 0
; VGPRBlocks: 6
; NumSGPRsForWavesPerEU: 70
; NumVGPRsForWavesPerEU: 51
; Occupancy: 16
; WaveLimiterHint : 0
; COMPUTE_PGM_RSRC2:SCRATCH_EN: 0
; COMPUTE_PGM_RSRC2:USER_SGPR: 2
; COMPUTE_PGM_RSRC2:TRAP_HANDLER: 0
; COMPUTE_PGM_RSRC2:TGID_X_EN: 1
; COMPUTE_PGM_RSRC2:TGID_Y_EN: 0
; COMPUTE_PGM_RSRC2:TGID_Z_EN: 1
; COMPUTE_PGM_RSRC2:TIDIG_COMP_CNT: 0
	.section	.text._ZL23rocblas_gemvt_sn_reduceILi256ELi8EfPKfKPDF16_EviT2_lPT3_lilPT1_i,"axG",@progbits,_ZL23rocblas_gemvt_sn_reduceILi256ELi8EfPKfKPDF16_EviT2_lPT3_lilPT1_i,comdat
	.globl	_ZL23rocblas_gemvt_sn_reduceILi256ELi8EfPKfKPDF16_EviT2_lPT3_lilPT1_i ; -- Begin function _ZL23rocblas_gemvt_sn_reduceILi256ELi8EfPKfKPDF16_EviT2_lPT3_lilPT1_i
	.p2align	8
	.type	_ZL23rocblas_gemvt_sn_reduceILi256ELi8EfPKfKPDF16_EviT2_lPT3_lilPT1_i,@function
_ZL23rocblas_gemvt_sn_reduceILi256ELi8EfPKfKPDF16_EviT2_lPT3_lilPT1_i: ; @_ZL23rocblas_gemvt_sn_reduceILi256ELi8EfPKfKPDF16_EviT2_lPT3_lilPT1_i
; %bb.0:
	s_load_b32 s7, s[0:1], 0x40
	s_lshr_b32 s16, ttmp7, 16
	s_wait_kmcnt 0x0
	s_cmp_ge_u32 s16, s7
	s_cbranch_scc1 .LBB442_21
; %bb.1:
	s_clause 0x5
	s_load_b32 s18, s[0:1], 0x0
	s_load_b32 s28, s[0:1], 0x4c
	;; [unrolled: 1-line block ×4, first 2 shown]
	s_load_b64 s[20:21], s[0:1], 0x38
	s_load_b256 s[8:15], s[0:1], 0x8
	v_mbcnt_lo_u32_b32 v4, -1, 0
	v_and_b32_e32 v3, 31, v0
	v_dual_mov_b32 v2, 0 :: v_dual_lshlrev_b32 v9, 3, v0
	v_cmp_gt_u32_e64 s0, 32, v0
	s_delay_alu instid0(VALU_DEP_4) | instskip(NEXT) | instid1(VALU_DEP_4)
	v_cmp_gt_u32_e32 vcc_lo, 24, v4
	v_lshlrev_b32_e32 v10, 2, v3
	v_cmp_eq_u32_e64 s3, 0, v3
	v_lshlrev_b32_e32 v3, 5, v0
	v_cmp_gt_u32_e64 s4, 8, v0
	v_cndmask_b32_e64 v5, 0, 8, vcc_lo
	v_cmp_gt_u32_e32 vcc_lo, 28, v4
	v_cmp_eq_u32_e64 s5, 0, v0
	v_lshl_or_b32 v11, v4, 2, 64
	s_wait_kmcnt 0x0
	s_ashr_i32 s19, s18, 31
	v_xad_u32 v1, v0, -1, s18
	s_wait_alu 0xfffd
	v_cndmask_b32_e64 v6, 0, 4, vcc_lo
	s_lshr_b32 s1, s19, 29
	v_cmp_gt_u32_e32 vcc_lo, 30, v4
	s_add_co_i32 s1, s18, s1
	s_and_b32 s6, s2, 0xffff
	s_and_b32 s29, s1, -8
	v_add_lshl_u32 v12, v5, v4, 2
	s_wait_alu 0xfffd
	v_cndmask_b32_e64 v7, 0, 2, vcc_lo
	v_cmp_ne_u32_e32 vcc_lo, 31, v4
	s_sub_co_i32 s2, s18, s29
	v_lshrrev_b32_e32 v5, 3, v0
	v_cmp_gt_u32_e64 s2, s2, v0
	v_add_co_u32 v0, s26, s20, v3
	s_wait_alu 0xfffd
	v_add_co_ci_u32_e64 v8, null, 0, v4, vcc_lo
	v_add_lshl_u32 v13, v6, v4, 2
	v_add_lshl_u32 v14, v7, v4, 2
	v_add_co_ci_u32_e64 v4, null, s21, 0, s26
	s_mov_b32 s17, 0
	v_add_co_u32 v3, vcc_lo, v0, 28
	s_and_b32 s22, ttmp7, 0xffff
	s_ashr_i32 s25, s24, 31
	s_mov_b32 s23, s17
	v_lshlrev_b64_e32 v[0:1], 2, v[1:2]
	v_cmp_gt_i32_e64 s1, s29, v9
	v_lshlrev_b32_e32 v15, 2, v8
	v_and_b32_e32 v16, 28, v5
	s_wait_alu 0xfffd
	v_add_co_ci_u32_e64 v4, null, 0, v4, vcc_lo
	s_mul_u64 s[26:27], s[24:25], s[22:23]
	s_mul_i32 s23, s16, s28
	s_lshl_b32 s30, s6, 3
	s_lshl_b64 s[24:25], s[18:19], 2
	s_add_co_i32 s23, s22, s23
	s_lshl_b32 s31, s28, 16
	s_lshl_b32 s33, s6, 5
	s_lshl_b64 s[14:15], s[14:15], 1
	s_wait_alu 0xfffe
	s_lshl_b64 s[26:27], s[26:27], 1
	s_branch .LBB442_4
.LBB442_2:                              ;   in Loop: Header=BB442_4 Depth=1
	s_wait_alu 0xfffe
	v_add_co_u32 v5, vcc_lo, v5, s26
	s_wait_dscnt 0x0
	v_cvt_f16_f32_e32 v7, v7
	s_wait_alu 0xfffd
	v_add_co_ci_u32_e64 v6, null, s27, v6, vcc_lo
	flat_store_b16 v[5:6], v7
.LBB442_3:                              ;   in Loop: Header=BB442_4 Depth=1
	s_wait_alu 0xfffe
	s_or_b32 exec_lo, exec_lo, s34
	s_add_co_i32 s16, s16, 0x10000
	s_add_co_i32 s23, s23, s31
	s_cmp_lt_u32 s16, s7
	s_cbranch_scc0 .LBB442_21
.LBB442_4:                              ; =>This Loop Header: Depth=1
                                        ;     Child Loop BB442_14 Depth 2
	s_mul_u64 s[34:35], s[10:11], s[16:17]
	s_lshl_b64 s[36:37], s[16:17], 3
	s_wait_alu 0xfffe
	s_lshl_b64 s[34:35], s[34:35], 2
	s_add_nc_u64 s[36:37], s[12:13], s[36:37]
	s_wait_alu 0xfffe
	s_add_nc_u64 s[34:35], s[8:9], s[34:35]
	s_clause 0x1
	global_load_b64 v[5:6], v2, s[36:37]
	global_load_b32 v17, v2, s[34:35]
	v_mov_b32_e32 v18, 0
	s_and_saveexec_b32 s34, s1
	s_cbranch_execnz .LBB442_13
; %bb.5:                                ;   in Loop: Header=BB442_4 Depth=1
	s_wait_alu 0xfffe
	s_or_b32 exec_lo, exec_lo, s34
	s_and_saveexec_b32 s6, s2
	s_cbranch_execnz .LBB442_16
.LBB442_6:                              ;   in Loop: Header=BB442_4 Depth=1
	s_wait_alu 0xfffe
	s_or_b32 exec_lo, exec_lo, s6
	s_and_saveexec_b32 s6, s0
.LBB442_7:                              ;   in Loop: Header=BB442_4 Depth=1
	ds_store_b32 v10, v2
.LBB442_8:                              ;   in Loop: Header=BB442_4 Depth=1
	s_wait_alu 0xfffe
	s_or_b32 exec_lo, exec_lo, s6
	s_wait_dscnt 0x0
	ds_bpermute_b32 v7, v11, v18
	s_wait_loadcnt_dscnt 0x0
	s_barrier_signal -1
	s_barrier_wait -1
	global_inv scope:SCOPE_SE
	v_add_f32_e32 v7, v18, v7
	ds_bpermute_b32 v8, v12, v7
	s_wait_dscnt 0x0
	v_add_f32_e32 v7, v7, v8
	ds_bpermute_b32 v8, v13, v7
	s_wait_dscnt 0x0
	;; [unrolled: 3-line block ×3, first 2 shown]
	v_add_f32_e32 v7, v7, v8
	ds_bpermute_b32 v8, v15, v7
	s_and_saveexec_b32 s6, s3
	s_cbranch_execz .LBB442_10
; %bb.9:                                ;   in Loop: Header=BB442_4 Depth=1
	s_wait_dscnt 0x0
	v_add_f32_e32 v7, v7, v8
	ds_store_b32 v16, v7
.LBB442_10:                             ;   in Loop: Header=BB442_4 Depth=1
	s_wait_alu 0xfffe
	s_or_b32 exec_lo, exec_lo, s6
	v_mov_b32_e32 v7, 0
	s_wait_loadcnt_dscnt 0x0
	s_barrier_signal -1
	s_barrier_wait -1
	global_inv scope:SCOPE_SE
	s_and_saveexec_b32 s6, s4
	s_cbranch_execnz .LBB442_17
; %bb.11:                               ;   in Loop: Header=BB442_4 Depth=1
	s_wait_alu 0xfffe
	s_or_b32 exec_lo, exec_lo, s6
	s_and_saveexec_b32 s6, s0
	s_cbranch_execnz .LBB442_18
.LBB442_12:                             ;   in Loop: Header=BB442_4 Depth=1
	s_wait_alu 0xfffe
	s_or_b32 exec_lo, exec_lo, s6
	s_and_saveexec_b32 s34, s5
	s_cbranch_execz .LBB442_3
	s_branch .LBB442_19
.LBB442_13:                             ;   in Loop: Header=BB442_4 Depth=1
	s_wait_dscnt 0x0
	v_mad_co_u64_u32 v[7:8], null, s24, s23, v[3:4]
	v_mov_b32_e32 v18, 0
	s_mov_b32 s35, 0
	s_delay_alu instid0(VALU_DEP_2) | instskip(NEXT) | instid1(VALU_DEP_1)
	v_mad_co_u64_u32 v[19:20], null, s25, s23, v[8:9]
	v_dual_mov_b32 v8, v19 :: v_dual_mov_b32 v19, v9
.LBB442_14:                             ;   Parent Loop BB442_4 Depth=1
                                        ; =>  This Inner Loop Header: Depth=2
	s_clause 0x1
	global_load_b128 v[20:23], v[7:8], off offset:-28
	global_load_b128 v[24:27], v[7:8], off offset:-12
	v_add_co_u32 v7, vcc_lo, v7, s33
	s_wait_alu 0xfffd
	v_add_co_ci_u32_e64 v8, null, 0, v8, vcc_lo
	v_add_nc_u32_e32 v19, s30, v19
	s_delay_alu instid0(VALU_DEP_1) | instskip(SKIP_4) | instid1(VALU_DEP_1)
	v_cmp_le_i32_e64 s6, s29, v19
	s_wait_alu 0xfffe
	s_or_b32 s35, s6, s35
	s_wait_loadcnt 0x1
	v_add_f32_e32 v18, v18, v20
	v_add_f32_e32 v18, v18, v21
	s_delay_alu instid0(VALU_DEP_1) | instskip(NEXT) | instid1(VALU_DEP_1)
	v_add_f32_e32 v18, v18, v22
	v_add_f32_e32 v18, v18, v23
	s_wait_loadcnt 0x0
	s_delay_alu instid0(VALU_DEP_1) | instskip(NEXT) | instid1(VALU_DEP_1)
	v_add_f32_e32 v18, v18, v24
	v_add_f32_e32 v18, v18, v25
	s_delay_alu instid0(VALU_DEP_1) | instskip(NEXT) | instid1(VALU_DEP_1)
	v_add_f32_e32 v18, v18, v26
	v_add_f32_e32 v18, v18, v27
	s_wait_alu 0xfffe
	s_and_not1_b32 exec_lo, exec_lo, s35
	s_cbranch_execnz .LBB442_14
; %bb.15:                               ;   in Loop: Header=BB442_4 Depth=1
	s_or_b32 exec_lo, exec_lo, s35
	s_delay_alu instid0(SALU_CYCLE_1)
	s_or_b32 exec_lo, exec_lo, s34
	s_and_saveexec_b32 s6, s2
	s_cbranch_execz .LBB442_6
.LBB442_16:                             ;   in Loop: Header=BB442_4 Depth=1
	s_mul_i32 s34, s28, s16
	s_mov_b32 s35, s17
	s_wait_alu 0xfffe
	s_add_co_i32 s34, s34, s22
	s_wait_alu 0xfffe
	s_mul_u64 s[34:35], s[34:35], s[18:19]
	s_wait_alu 0xfffe
	s_lshl_b64 s[34:35], s[34:35], 2
	s_wait_alu 0xfffe
	s_add_nc_u64 s[34:35], s[20:21], s[34:35]
	s_wait_dscnt 0x0
	s_wait_alu 0xfffe
	v_add_co_u32 v7, vcc_lo, s34, v0
	s_wait_alu 0xfffd
	v_add_co_ci_u32_e64 v8, null, s35, v1, vcc_lo
	global_load_b32 v7, v[7:8], off
	s_wait_loadcnt 0x0
	v_add_f32_e32 v18, v18, v7
	s_or_b32 exec_lo, exec_lo, s6
	s_and_saveexec_b32 s6, s0
	s_cbranch_execnz .LBB442_7
	s_branch .LBB442_8
.LBB442_17:                             ;   in Loop: Header=BB442_4 Depth=1
	ds_load_b32 v7, v10
	s_wait_alu 0xfffe
	s_or_b32 exec_lo, exec_lo, s6
	s_and_saveexec_b32 s6, s0
	s_cbranch_execz .LBB442_12
.LBB442_18:                             ;   in Loop: Header=BB442_4 Depth=1
	s_wait_dscnt 0x0
	ds_bpermute_b32 v8, v13, v7
	s_wait_dscnt 0x0
	v_add_f32_e32 v7, v7, v8
	ds_bpermute_b32 v8, v14, v7
	s_wait_dscnt 0x0
	v_add_f32_e32 v7, v7, v8
	;; [unrolled: 3-line block ×3, first 2 shown]
	s_wait_alu 0xfffe
	s_or_b32 exec_lo, exec_lo, s6
	s_and_saveexec_b32 s34, s5
	s_cbranch_execz .LBB442_3
.LBB442_19:                             ;   in Loop: Header=BB442_4 Depth=1
	v_cmp_eq_f32_e32 vcc_lo, 0, v17
	v_add_co_u32 v5, s6, v5, s14
	s_wait_alu 0xf1ff
	v_add_co_ci_u32_e64 v6, null, s15, v6, s6
	s_cbranch_vccnz .LBB442_2
; %bb.20:                               ;   in Loop: Header=BB442_4 Depth=1
	s_wait_alu 0xfffe
	v_add_co_u32 v18, vcc_lo, v5, s26
	s_wait_alu 0xfffd
	v_add_co_ci_u32_e64 v19, null, s27, v6, vcc_lo
	flat_load_u16 v8, v[18:19]
	s_wait_loadcnt_dscnt 0x0
	v_fma_mix_f32 v7, v17, v8, v7 op_sel_hi:[0,1,0]
	s_branch .LBB442_2
.LBB442_21:
	s_endpgm
	.section	.rodata,"a",@progbits
	.p2align	6, 0x0
	.amdhsa_kernel _ZL23rocblas_gemvt_sn_reduceILi256ELi8EfPKfKPDF16_EviT2_lPT3_lilPT1_i
		.amdhsa_group_segment_fixed_size 128
		.amdhsa_private_segment_fixed_size 0
		.amdhsa_kernarg_size 328
		.amdhsa_user_sgpr_count 2
		.amdhsa_user_sgpr_dispatch_ptr 0
		.amdhsa_user_sgpr_queue_ptr 0
		.amdhsa_user_sgpr_kernarg_segment_ptr 1
		.amdhsa_user_sgpr_dispatch_id 0
		.amdhsa_user_sgpr_private_segment_size 0
		.amdhsa_wavefront_size32 1
		.amdhsa_uses_dynamic_stack 0
		.amdhsa_enable_private_segment 0
		.amdhsa_system_sgpr_workgroup_id_x 1
		.amdhsa_system_sgpr_workgroup_id_y 1
		.amdhsa_system_sgpr_workgroup_id_z 1
		.amdhsa_system_sgpr_workgroup_info 0
		.amdhsa_system_vgpr_workitem_id 0
		.amdhsa_next_free_vgpr 28
		.amdhsa_next_free_sgpr 38
		.amdhsa_reserve_vcc 1
		.amdhsa_float_round_mode_32 0
		.amdhsa_float_round_mode_16_64 0
		.amdhsa_float_denorm_mode_32 3
		.amdhsa_float_denorm_mode_16_64 3
		.amdhsa_fp16_overflow 0
		.amdhsa_workgroup_processor_mode 1
		.amdhsa_memory_ordered 1
		.amdhsa_forward_progress 1
		.amdhsa_inst_pref_size 10
		.amdhsa_round_robin_scheduling 0
		.amdhsa_exception_fp_ieee_invalid_op 0
		.amdhsa_exception_fp_denorm_src 0
		.amdhsa_exception_fp_ieee_div_zero 0
		.amdhsa_exception_fp_ieee_overflow 0
		.amdhsa_exception_fp_ieee_underflow 0
		.amdhsa_exception_fp_ieee_inexact 0
		.amdhsa_exception_int_div_zero 0
	.end_amdhsa_kernel
	.section	.text._ZL23rocblas_gemvt_sn_reduceILi256ELi8EfPKfKPDF16_EviT2_lPT3_lilPT1_i,"axG",@progbits,_ZL23rocblas_gemvt_sn_reduceILi256ELi8EfPKfKPDF16_EviT2_lPT3_lilPT1_i,comdat
.Lfunc_end442:
	.size	_ZL23rocblas_gemvt_sn_reduceILi256ELi8EfPKfKPDF16_EviT2_lPT3_lilPT1_i, .Lfunc_end442-_ZL23rocblas_gemvt_sn_reduceILi256ELi8EfPKfKPDF16_EviT2_lPT3_lilPT1_i
                                        ; -- End function
	.set _ZL23rocblas_gemvt_sn_reduceILi256ELi8EfPKfKPDF16_EviT2_lPT3_lilPT1_i.num_vgpr, 28
	.set _ZL23rocblas_gemvt_sn_reduceILi256ELi8EfPKfKPDF16_EviT2_lPT3_lilPT1_i.num_agpr, 0
	.set _ZL23rocblas_gemvt_sn_reduceILi256ELi8EfPKfKPDF16_EviT2_lPT3_lilPT1_i.numbered_sgpr, 38
	.set _ZL23rocblas_gemvt_sn_reduceILi256ELi8EfPKfKPDF16_EviT2_lPT3_lilPT1_i.num_named_barrier, 0
	.set _ZL23rocblas_gemvt_sn_reduceILi256ELi8EfPKfKPDF16_EviT2_lPT3_lilPT1_i.private_seg_size, 0
	.set _ZL23rocblas_gemvt_sn_reduceILi256ELi8EfPKfKPDF16_EviT2_lPT3_lilPT1_i.uses_vcc, 1
	.set _ZL23rocblas_gemvt_sn_reduceILi256ELi8EfPKfKPDF16_EviT2_lPT3_lilPT1_i.uses_flat_scratch, 0
	.set _ZL23rocblas_gemvt_sn_reduceILi256ELi8EfPKfKPDF16_EviT2_lPT3_lilPT1_i.has_dyn_sized_stack, 0
	.set _ZL23rocblas_gemvt_sn_reduceILi256ELi8EfPKfKPDF16_EviT2_lPT3_lilPT1_i.has_recursion, 0
	.set _ZL23rocblas_gemvt_sn_reduceILi256ELi8EfPKfKPDF16_EviT2_lPT3_lilPT1_i.has_indirect_call, 0
	.section	.AMDGPU.csdata,"",@progbits
; Kernel info:
; codeLenInByte = 1264
; TotalNumSgprs: 40
; NumVgprs: 28
; ScratchSize: 0
; MemoryBound: 0
; FloatMode: 240
; IeeeMode: 1
; LDSByteSize: 128 bytes/workgroup (compile time only)
; SGPRBlocks: 0
; VGPRBlocks: 3
; NumSGPRsForWavesPerEU: 40
; NumVGPRsForWavesPerEU: 28
; Occupancy: 16
; WaveLimiterHint : 1
; COMPUTE_PGM_RSRC2:SCRATCH_EN: 0
; COMPUTE_PGM_RSRC2:USER_SGPR: 2
; COMPUTE_PGM_RSRC2:TRAP_HANDLER: 0
; COMPUTE_PGM_RSRC2:TGID_X_EN: 1
; COMPUTE_PGM_RSRC2:TGID_Y_EN: 1
; COMPUTE_PGM_RSRC2:TGID_Z_EN: 1
; COMPUTE_PGM_RSRC2:TIDIG_COMP_CNT: 0
	.section	.text._ZL23rocblas_gemvt_sn_kernelILb0ELi256ELi4EiPKDF16_ffEviiT4_lPKT3_lilS5_lilPT5_i,"axG",@progbits,_ZL23rocblas_gemvt_sn_kernelILb0ELi256ELi4EiPKDF16_ffEviiT4_lPKT3_lilS5_lilPT5_i,comdat
	.globl	_ZL23rocblas_gemvt_sn_kernelILb0ELi256ELi4EiPKDF16_ffEviiT4_lPKT3_lilS5_lilPT5_i ; -- Begin function _ZL23rocblas_gemvt_sn_kernelILb0ELi256ELi4EiPKDF16_ffEviiT4_lPKT3_lilS5_lilPT5_i
	.p2align	8
	.type	_ZL23rocblas_gemvt_sn_kernelILb0ELi256ELi4EiPKDF16_ffEviiT4_lPKT3_lilS5_lilPT5_i,@function
_ZL23rocblas_gemvt_sn_kernelILb0ELi256ELi4EiPKDF16_ffEviiT4_lPKT3_lilS5_lilPT5_i: ; @_ZL23rocblas_gemvt_sn_kernelILb0ELi256ELi4EiPKDF16_ffEviiT4_lPKT3_lilS5_lilPT5_i
; %bb.0:
	s_load_b32 s23, s[0:1], 0x60
	s_lshr_b32 s10, ttmp7, 16
	s_wait_kmcnt 0x0
	s_cmp_ge_u32 s10, s23
	s_cbranch_scc1 .LBB443_89
; %bb.1:
	s_clause 0x6
	s_load_b96 s[20:22], s[0:1], 0x0
	s_load_b128 s[12:15], s[0:1], 0x18
	s_load_b32 s26, s[0:1], 0x28
	s_load_b128 s[16:19], s[0:1], 0x38
	s_load_b32 s33, s[0:1], 0x48
	s_load_b64 s[28:29], s[0:1], 0x58
	s_load_b32 s30, s[0:1], 0x68
	s_mov_b32 s35, 0
	v_cmp_eq_u32_e64 s0, 0, v0
	s_mov_b32 s31, s35
	v_and_b32_e32 v1, 31, v0
	v_cmp_gt_u32_e64 s1, 32, v0
	v_cmp_gt_u32_e64 s2, 8, v0
	v_lshrrev_b32_e32 v2, 3, v0
	v_mbcnt_lo_u32_b32 v31, -1, 0
	v_cmp_eq_u32_e64 s3, 0, v1
	v_lshlrev_b32_e32 v29, 2, v1
	s_mov_b32 s24, ttmp9
	v_and_b32_e32 v30, 28, v2
	s_mov_b32 s25, s35
	s_wait_kmcnt 0x0
	s_cmp_neq_f32 s22, 0
	s_mov_b32 s4, s21
	s_mov_b32 s27, s35
	;; [unrolled: 1-line block ×3, first 2 shown]
	s_cselect_b32 s58, -1, 0
	s_cmp_eq_f32 s22, 0
	s_cselect_b32 s59, -1, 0
	s_ashr_i32 s5, s21, 31
	s_cmp_gt_i32 s21, 0
	s_mul_u64 s[36:37], s[4:5], s[30:31]
	s_cselect_b32 s4, -1, 0
	s_lshl_b32 s6, ttmp9, 10
	s_lshr_b32 s5, s5, 30
	v_lshl_or_b32 v0, v0, 2, s6
	s_ashr_i32 s7, s20, 31
	s_and_b32 s60, s0, s4
	s_add_co_i32 s4, s21, s5
	s_wait_alu 0xfffe
	s_lshr_b32 s5, s7, 30
	v_mul_lo_u32 v5, s33, v0
	s_and_b32 s61, s4, -4
	s_add_co_i32 s4, s20, s5
	v_add_nc_u32_e32 v3, 4, v0
	s_and_b32 s4, s4, -4
	v_ashrrev_i32_e32 v1, 31, v0
	s_sub_co_i32 s62, s20, s4
	s_cmp_gt_i32 s61, 0
	v_add_nc_u32_e32 v2, s33, v5
	v_cmp_ge_i32_e64 s4, s20, v3
	v_ashrrev_i32_e32 v6, 31, v5
	v_add_nc_u32_e32 v4, s62, v0
	s_cselect_b32 s63, -1, 0
	v_add_nc_u32_e32 v13, s33, v2
	v_ashrrev_i32_e32 v3, 31, v2
	s_cmp_gt_i32 s62, 0
	v_lshlrev_b64_e32 v[7:8], 1, v[0:1]
	s_cselect_b32 s64, -1, 0
	v_add_nc_u32_e32 v15, s33, v13
	v_ashrrev_i32_e32 v14, 31, v13
	s_lshl_b32 s34, s26, 1
	v_lshlrev_b64_e32 v[9:10], 1, v[5:6]
	v_lshlrev_b64_e32 v[11:12], 1, v[2:3]
	v_ashrrev_i32_e32 v16, 31, v15
	v_lshlrev_b64_e32 v[13:14], 1, v[13:14]
	v_cmp_ge_i32_e64 s5, s20, v4
	v_mov_b32_e32 v0, 0
	v_lshl_or_b32 v6, v31, 2, 64
	v_lshlrev_b64_e32 v[15:16], 1, v[15:16]
	s_mov_b64 s[42:43], s[34:35]
	s_mul_i32 s34, s26, 3
	s_lshl_b64 s[38:39], s[30:31], 2
	s_lshl_b32 s40, s26, 2
	s_mov_b64 s[44:45], s[34:35]
	s_lshl_b64 s[14:15], s[14:15], 1
	s_lshl_b64 s[18:19], s[18:19], 1
	;; [unrolled: 1-line block ×3, first 2 shown]
	s_branch .LBB443_3
.LBB443_2:                              ;   in Loop: Header=BB443_3 Depth=1
	s_add_co_i32 s10, s10, 0x10000
	s_delay_alu instid0(SALU_CYCLE_1)
	s_cmp_lt_u32 s10, s23
	s_cbranch_scc0 .LBB443_89
.LBB443_3:                              ; =>This Loop Header: Depth=1
                                        ;     Child Loop BB443_12 Depth 2
                                        ;     Child Loop BB443_18 Depth 2
                                        ;       Child Loop BB443_49 Depth 3
                                        ;       Child Loop BB443_52 Depth 3
                                        ;     Child Loop BB443_68 Depth 2
                                        ;       Child Loop BB443_81 Depth 3
                                        ;       Child Loop BB443_84 Depth 3
	s_mov_b32 s11, s35
	s_and_not1_b32 vcc_lo, exec_lo, s59
	s_mov_b32 s6, -1
	s_wait_alu 0xfffe
	s_cbranch_vccnz .LBB443_5
; %bb.4:                                ;   in Loop: Header=BB443_3 Depth=1
	s_mov_b32 s6, 0
.LBB443_5:                              ;   in Loop: Header=BB443_3 Depth=1
	v_mov_b32_e32 v17, 0
	v_dual_mov_b32 v18, 0 :: v_dual_mov_b32 v1, 0
	v_mov_b32_e32 v2, 0
	s_wait_alu 0xfffe
	s_and_not1_b32 vcc_lo, exec_lo, s6
	s_wait_alu 0xfffe
	s_cbranch_vccnz .LBB443_7
; %bb.6:                                ;   in Loop: Header=BB443_3 Depth=1
	s_lshl_b64 s[6:7], s[10:11], 3
	s_wait_alu 0xfffe
	s_add_nc_u64 s[6:7], s[12:13], s[6:7]
	global_load_b64 v[1:2], v0, s[6:7]
	s_wait_loadcnt 0x0
	v_add_co_u32 v1, vcc_lo, v1, s14
	s_wait_alu 0xfffd
	v_add_co_ci_u32_e64 v2, null, s15, v2, vcc_lo
.LBB443_7:                              ;   in Loop: Header=BB443_3 Depth=1
	s_and_not1_b32 vcc_lo, exec_lo, s58
	s_wait_alu 0xfffe
	s_cbranch_vccnz .LBB443_9
; %bb.8:                                ;   in Loop: Header=BB443_3 Depth=1
	s_lshl_b64 s[6:7], s[10:11], 3
	s_wait_alu 0xfffe
	s_add_nc_u64 s[6:7], s[16:17], s[6:7]
	global_load_b64 v[3:4], v0, s[6:7]
	s_wait_loadcnt 0x0
	v_add_co_u32 v17, vcc_lo, v3, s18
	s_wait_alu 0xfffd
	v_add_co_ci_u32_e64 v18, null, s19, v4, vcc_lo
.LBB443_9:                              ;   in Loop: Header=BB443_3 Depth=1
	s_mul_u64 s[6:7], s[36:37], s[10:11]
	s_and_not1_b32 vcc_lo, exec_lo, s59
	s_wait_alu 0xfffe
	s_lshl_b64 s[6:7], s[6:7], 2
	s_wait_alu 0xfffe
	s_add_nc_u64 s[48:49], s[28:29], s[6:7]
	s_mov_b32 s6, -1
	s_cbranch_vccnz .LBB443_14
; %bb.10:                               ;   in Loop: Header=BB443_3 Depth=1
	s_and_saveexec_b32 s8, s60
	s_cbranch_execz .LBB443_13
; %bb.11:                               ;   in Loop: Header=BB443_3 Depth=1
	s_add_nc_u64 s[6:7], s[48:49], s[46:47]
	s_mov_b32 s9, s21
.LBB443_12:                             ;   Parent Loop BB443_3 Depth=1
                                        ; =>  This Inner Loop Header: Depth=2
	s_wait_alu 0xfffe
	s_add_co_i32 s9, s9, -1
	global_store_b32 v0, v0, s[6:7]
	s_wait_alu 0xfffe
	s_cmp_eq_u32 s9, 0
	s_add_nc_u64 s[6:7], s[6:7], s[38:39]
	s_cbranch_scc0 .LBB443_12
.LBB443_13:                             ;   in Loop: Header=BB443_3 Depth=1
	s_wait_alu 0xfffe
	s_or_b32 exec_lo, exec_lo, s8
	s_mov_b32 s6, 0
.LBB443_14:                             ;   in Loop: Header=BB443_3 Depth=1
	s_wait_alu 0xfffe
	s_and_not1_b32 vcc_lo, exec_lo, s6
	s_wait_alu 0xfffe
	s_cbranch_vccnz .LBB443_2
; %bb.15:                               ;   in Loop: Header=BB443_3 Depth=1
	v_add_co_u32 v32, vcc_lo, v1, v7
	s_wait_alu 0xfffd
	v_add_co_ci_u32_e64 v33, null, v2, v8, vcc_lo
	v_cmp_gt_u32_e64 s9, 24, v31
	v_cmp_gt_u32_e64 s8, 28, v31
	;; [unrolled: 1-line block ×3, first 2 shown]
	v_cmp_ne_u32_e64 s6, 31, v31
	s_and_not1_b32 vcc_lo, exec_lo, s63
	s_wait_alu 0xfffe
	s_cbranch_vccnz .LBB443_64
; %bb.16:                               ;   in Loop: Header=BB443_3 Depth=1
	v_cndmask_b32_e64 v3, 0, 2, s7
	v_add_co_u32 v19, vcc_lo, v17, v9
	v_cndmask_b32_e64 v1, 0, 8, s9
	v_cndmask_b32_e64 v2, 0, 4, s8
	v_add_co_ci_u32_e64 v4, null, 0, v31, s6
	v_add_lshl_u32 v36, v3, v31, 2
	s_wait_alu 0xfffd
	v_add_co_ci_u32_e64 v20, null, v18, v10, vcc_lo
	v_add_co_u32 v21, vcc_lo, v17, v11
	v_mov_b32_e32 v3, v0
	s_wait_alu 0xfffd
	v_add_co_ci_u32_e64 v22, null, v18, v12, vcc_lo
	v_add_co_u32 v23, vcc_lo, v17, v13
	v_add_lshl_u32 v34, v1, v31, 2
	v_add_lshl_u32 v35, v2, v31, 2
	v_dual_mov_b32 v2, v0 :: v_dual_lshlrev_b32 v37, 2, v4
	s_wait_alu 0xfffd
	v_add_co_ci_u32_e64 v24, null, v18, v14, vcc_lo
	v_mov_b32_e32 v1, v0
	v_add_co_u32 v25, vcc_lo, v17, v15
	v_mov_b32_e32 v4, v3
	s_wait_alu 0xfffd
	v_add_co_ci_u32_e64 v26, null, v18, v16, vcc_lo
	v_mov_b32_e32 v3, v2
	v_mov_b32_e32 v2, v1
	;; [unrolled: 1-line block ×3, first 2 shown]
	s_mov_b32 s8, 0
	s_mov_b64 s[50:51], s[44:45]
	s_mov_b64 s[52:53], s[42:43]
	;; [unrolled: 1-line block ×3, first 2 shown]
	s_mov_b32 s11, 0
	s_branch .LBB443_18
.LBB443_17:                             ;   in Loop: Header=BB443_18 Depth=2
	s_wait_alu 0xfffe
	s_or_b32 exec_lo, exec_lo, s6
	s_add_co_i32 s11, s11, 4
	s_add_co_i32 s8, s8, s40
	s_add_nc_u64 s[54:55], s[54:55], s[40:41]
	s_add_nc_u64 s[52:53], s[52:53], s[40:41]
	s_cmp_ge_i32 s11, s61
	s_add_nc_u64 s[50:51], s[50:51], s[40:41]
	s_cbranch_scc1 .LBB443_65
.LBB443_18:                             ;   Parent Loop BB443_3 Depth=1
                                        ; =>  This Loop Header: Depth=2
                                        ;       Child Loop BB443_49 Depth 3
                                        ;       Child Loop BB443_52 Depth 3
                                        ; implicit-def: $vgpr38
                                        ; implicit-def: $vgpr39
                                        ; implicit-def: $vgpr40
                                        ; implicit-def: $vgpr41
	s_and_saveexec_b32 s6, s4
	s_wait_alu 0xfffe
	s_xor_b32 s6, exec_lo, s6
	s_cbranch_execnz .LBB443_45
; %bb.19:                               ;   in Loop: Header=BB443_18 Depth=2
	s_wait_alu 0xfffe
	s_and_not1_saveexec_b32 s20, s6
	s_cbranch_execnz .LBB443_46
.LBB443_20:                             ;   in Loop: Header=BB443_18 Depth=2
	s_wait_alu 0xfffe
	s_or_b32 exec_lo, exec_lo, s20
	s_and_saveexec_b32 s6, s1
.LBB443_21:                             ;   in Loop: Header=BB443_18 Depth=2
	ds_store_b32 v29, v0
.LBB443_22:                             ;   in Loop: Header=BB443_18 Depth=2
	s_wait_alu 0xfffe
	s_or_b32 exec_lo, exec_lo, s6
	s_wait_dscnt 0x0
	ds_bpermute_b32 v27, v6, v41
	s_wait_storecnt_dscnt 0x0
	s_barrier_signal -1
	s_barrier_wait -1
	global_inv scope:SCOPE_SE
	v_add_f32_e32 v27, v41, v27
	ds_bpermute_b32 v28, v34, v27
	s_wait_dscnt 0x0
	v_add_f32_e32 v27, v27, v28
	ds_bpermute_b32 v28, v35, v27
	s_wait_dscnt 0x0
	;; [unrolled: 3-line block ×3, first 2 shown]
	v_add_f32_e32 v27, v27, v28
	ds_bpermute_b32 v28, v37, v27
	s_and_saveexec_b32 s6, s3
	s_cbranch_execz .LBB443_24
; %bb.23:                               ;   in Loop: Header=BB443_18 Depth=2
	s_wait_dscnt 0x0
	v_add_f32_e32 v27, v27, v28
	ds_store_b32 v30, v27
.LBB443_24:                             ;   in Loop: Header=BB443_18 Depth=2
	s_wait_alu 0xfffe
	s_or_b32 exec_lo, exec_lo, s6
	v_mov_b32_e32 v27, 0
	s_wait_loadcnt_dscnt 0x0
	s_barrier_signal -1
	s_barrier_wait -1
	global_inv scope:SCOPE_SE
	s_and_saveexec_b32 s6, s2
	s_cbranch_execnz .LBB443_53
; %bb.25:                               ;   in Loop: Header=BB443_18 Depth=2
	s_wait_alu 0xfffe
	s_or_b32 exec_lo, exec_lo, s6
	s_and_saveexec_b32 s6, s1
	s_cbranch_execnz .LBB443_54
.LBB443_26:                             ;   in Loop: Header=BB443_18 Depth=2
	s_wait_alu 0xfffe
	s_or_b32 exec_lo, exec_lo, s6
	s_and_saveexec_b32 s6, s1
.LBB443_27:                             ;   in Loop: Header=BB443_18 Depth=2
	ds_store_b32 v29, v0
.LBB443_28:                             ;   in Loop: Header=BB443_18 Depth=2
	s_wait_alu 0xfffe
	s_or_b32 exec_lo, exec_lo, s6
	ds_bpermute_b32 v28, v6, v40
	s_wait_loadcnt_dscnt 0x0
	s_barrier_signal -1
	s_barrier_wait -1
	global_inv scope:SCOPE_SE
	v_add_f32_e32 v28, v40, v28
	ds_bpermute_b32 v40, v34, v28
	s_wait_dscnt 0x0
	v_add_f32_e32 v28, v28, v40
	ds_bpermute_b32 v40, v35, v28
	s_wait_dscnt 0x0
	;; [unrolled: 3-line block ×3, first 2 shown]
	v_add_f32_e32 v28, v28, v40
	ds_bpermute_b32 v40, v37, v28
	s_and_saveexec_b32 s6, s3
	s_cbranch_execz .LBB443_30
; %bb.29:                               ;   in Loop: Header=BB443_18 Depth=2
	s_wait_dscnt 0x0
	v_add_f32_e32 v28, v28, v40
	ds_store_b32 v30, v28
.LBB443_30:                             ;   in Loop: Header=BB443_18 Depth=2
	s_wait_alu 0xfffe
	s_or_b32 exec_lo, exec_lo, s6
	v_mov_b32_e32 v28, 0
	s_wait_loadcnt_dscnt 0x0
	s_barrier_signal -1
	s_barrier_wait -1
	global_inv scope:SCOPE_SE
	s_and_saveexec_b32 s6, s2
	s_cbranch_execnz .LBB443_55
; %bb.31:                               ;   in Loop: Header=BB443_18 Depth=2
	s_wait_alu 0xfffe
	s_or_b32 exec_lo, exec_lo, s6
	s_and_saveexec_b32 s6, s1
	s_cbranch_execnz .LBB443_56
.LBB443_32:                             ;   in Loop: Header=BB443_18 Depth=2
	s_wait_alu 0xfffe
	s_or_b32 exec_lo, exec_lo, s6
	s_and_saveexec_b32 s6, s1
.LBB443_33:                             ;   in Loop: Header=BB443_18 Depth=2
	ds_store_b32 v29, v0
.LBB443_34:                             ;   in Loop: Header=BB443_18 Depth=2
	s_wait_alu 0xfffe
	s_or_b32 exec_lo, exec_lo, s6
	ds_bpermute_b32 v40, v6, v39
	s_wait_loadcnt_dscnt 0x0
	s_barrier_signal -1
	s_barrier_wait -1
	global_inv scope:SCOPE_SE
	v_add_f32_e32 v39, v39, v40
	ds_bpermute_b32 v40, v34, v39
	s_wait_dscnt 0x0
	v_add_f32_e32 v39, v39, v40
	ds_bpermute_b32 v40, v35, v39
	s_wait_dscnt 0x0
	;; [unrolled: 3-line block ×3, first 2 shown]
	v_add_f32_e32 v39, v39, v40
	ds_bpermute_b32 v40, v37, v39
	s_and_saveexec_b32 s6, s3
	s_cbranch_execz .LBB443_36
; %bb.35:                               ;   in Loop: Header=BB443_18 Depth=2
	s_wait_dscnt 0x0
	v_add_f32_e32 v39, v39, v40
	ds_store_b32 v30, v39
.LBB443_36:                             ;   in Loop: Header=BB443_18 Depth=2
	s_wait_alu 0xfffe
	s_or_b32 exec_lo, exec_lo, s6
	v_mov_b32_e32 v39, 0
	s_wait_loadcnt_dscnt 0x0
	s_barrier_signal -1
	s_barrier_wait -1
	global_inv scope:SCOPE_SE
	s_and_saveexec_b32 s6, s2
	s_cbranch_execnz .LBB443_57
; %bb.37:                               ;   in Loop: Header=BB443_18 Depth=2
	s_wait_alu 0xfffe
	s_or_b32 exec_lo, exec_lo, s6
	s_and_saveexec_b32 s6, s1
	s_cbranch_execnz .LBB443_58
.LBB443_38:                             ;   in Loop: Header=BB443_18 Depth=2
	s_wait_alu 0xfffe
	s_or_b32 exec_lo, exec_lo, s6
	s_and_saveexec_b32 s6, s1
.LBB443_39:                             ;   in Loop: Header=BB443_18 Depth=2
	ds_store_b32 v29, v0
.LBB443_40:                             ;   in Loop: Header=BB443_18 Depth=2
	s_wait_alu 0xfffe
	s_or_b32 exec_lo, exec_lo, s6
	ds_bpermute_b32 v40, v6, v38
	s_wait_loadcnt_dscnt 0x0
	s_barrier_signal -1
	s_barrier_wait -1
	global_inv scope:SCOPE_SE
	v_add_f32_e32 v38, v38, v40
	ds_bpermute_b32 v40, v34, v38
	s_wait_dscnt 0x0
	v_add_f32_e32 v38, v38, v40
	ds_bpermute_b32 v40, v35, v38
	s_wait_dscnt 0x0
	;; [unrolled: 3-line block ×3, first 2 shown]
	v_add_f32_e32 v38, v38, v40
	ds_bpermute_b32 v40, v37, v38
	s_and_saveexec_b32 s6, s3
	s_cbranch_execz .LBB443_42
; %bb.41:                               ;   in Loop: Header=BB443_18 Depth=2
	s_wait_dscnt 0x0
	v_add_f32_e32 v38, v38, v40
	ds_store_b32 v30, v38
.LBB443_42:                             ;   in Loop: Header=BB443_18 Depth=2
	s_wait_alu 0xfffe
	s_or_b32 exec_lo, exec_lo, s6
	v_mov_b32_e32 v38, 0
	s_wait_loadcnt_dscnt 0x0
	s_barrier_signal -1
	s_barrier_wait -1
	global_inv scope:SCOPE_SE
	s_and_saveexec_b32 s6, s2
	s_cbranch_execnz .LBB443_59
; %bb.43:                               ;   in Loop: Header=BB443_18 Depth=2
	s_wait_alu 0xfffe
	s_or_b32 exec_lo, exec_lo, s6
	s_and_saveexec_b32 s6, s1
	s_cbranch_execnz .LBB443_60
.LBB443_44:                             ;   in Loop: Header=BB443_18 Depth=2
	s_wait_alu 0xfffe
	s_or_b32 exec_lo, exec_lo, s6
	s_and_saveexec_b32 s6, s0
	s_cbranch_execz .LBB443_17
	s_branch .LBB443_61
.LBB443_45:                             ;   in Loop: Header=BB443_18 Depth=2
	s_mul_i32 s56, s11, s26
	s_wait_alu 0xfffe
	s_ashr_i32 s57, s56, 31
	s_add_co_i32 s66, s56, s26
	s_wait_alu 0xfffe
	s_lshl_b64 s[56:57], s[56:57], 1
	s_ashr_i32 s67, s66, 31
	s_wait_alu 0xfffe
	v_add_co_u32 v1, vcc_lo, v32, s56
	s_wait_alu 0xfffd
	v_add_co_ci_u32_e64 v2, null, s57, v33, vcc_lo
	s_lshl_b64 s[56:57], s[66:67], 1
	s_add_co_i32 s66, s66, s26
	s_wait_alu 0xfffe
	v_add_co_u32 v3, vcc_lo, v32, s56
	s_ashr_i32 s67, s66, 31
	s_add_co_i32 s56, s66, s26
	s_wait_alu 0xfffd
	v_add_co_ci_u32_e64 v4, null, s57, v33, vcc_lo
	s_wait_alu 0xfffe
	s_lshl_b64 s[66:67], s[66:67], 1
	s_ashr_i32 s57, s56, 31
	s_wait_dscnt 0x0
	s_wait_alu 0xfffe
	v_add_co_u32 v27, vcc_lo, v32, s66
	s_lshl_b64 s[56:57], s[56:57], 1
	s_wait_alu 0xfffd
	v_add_co_ci_u32_e64 v28, null, s67, v33, vcc_lo
	s_wait_alu 0xfffe
	v_add_co_u32 v38, vcc_lo, v32, s56
	s_wait_alu 0xfffd
	v_add_co_ci_u32_e64 v39, null, s57, v33, vcc_lo
	flat_load_u16 v46, v[19:20]
	s_clause 0x3
	flat_load_b64 v[40:41], v[1:2]
	flat_load_b64 v[42:43], v[3:4]
	;; [unrolled: 1-line block ×4, first 2 shown]
	s_clause 0x2
	flat_load_u16 v3, v[21:22]
	flat_load_u16 v4, v[23:24]
	flat_load_u16 v38, v[25:26]
	s_wait_loadcnt_dscnt 0x707
	v_cvt_f32_f16_e32 v1, v46
	s_wait_loadcnt_dscnt 0x606
	v_fma_mix_f32 v39, v46, v40, 0 op_sel_hi:[1,1,0]
	s_wait_loadcnt_dscnt 0x505
	v_fma_mix_f32 v47, v46, v42, 0 op_sel_hi:[1,1,0]
	;; [unrolled: 2-line block ×4, first 2 shown]
	s_wait_loadcnt_dscnt 0x202
	v_cvt_f32_f16_e32 v2, v3
	v_fma_mix_f32 v39, v3, v40, v39 op_sel:[0,1,0] op_sel_hi:[1,1,0]
	v_fma_mix_f32 v40, v3, v42, v47 op_sel:[0,1,0] op_sel_hi:[1,1,0]
	;; [unrolled: 1-line block ×4, first 2 shown]
	s_wait_loadcnt_dscnt 0x101
	v_cvt_f32_f16_e32 v3, v4
	v_fma_mix_f32 v39, v4, v41, v39 op_sel_hi:[1,1,0]
	v_fma_mix_f32 v40, v4, v43, v40 op_sel_hi:[1,1,0]
	;; [unrolled: 1-line block ×4, first 2 shown]
	s_wait_loadcnt_dscnt 0x0
	v_cvt_f32_f16_e32 v4, v38
	v_fma_mix_f32 v41, v38, v41, v39 op_sel:[0,1,0] op_sel_hi:[1,1,0]
	v_fma_mix_f32 v40, v38, v43, v40 op_sel:[0,1,0] op_sel_hi:[1,1,0]
	v_fma_mix_f32 v39, v38, v28, v27 op_sel:[0,1,0] op_sel_hi:[1,1,0]
	v_fma_mix_f32 v38, v38, v45, v42 op_sel:[0,1,0] op_sel_hi:[1,1,0]
	s_and_not1_saveexec_b32 s20, s6
	s_cbranch_execz .LBB443_20
.LBB443_46:                             ;   in Loop: Header=BB443_18 Depth=2
	s_wait_dscnt 0x0
	v_dual_mov_b32 v38, 0 :: v_dual_mov_b32 v39, 0
	v_dual_mov_b32 v40, 0 :: v_dual_mov_b32 v41, 0
	s_and_saveexec_b32 s25, s5
	s_cbranch_execz .LBB443_63
; %bb.47:                               ;   in Loop: Header=BB443_18 Depth=2
	s_and_not1_b32 vcc_lo, exec_lo, s64
	s_wait_alu 0xfffe
	s_cbranch_vccnz .LBB443_50
; %bb.48:                               ;   in Loop: Header=BB443_18 Depth=2
	v_mov_b32_e32 v27, v5
	s_mov_b64 s[56:57], 0
.LBB443_49:                             ;   Parent Loop BB443_3 Depth=1
                                        ;     Parent Loop BB443_18 Depth=2
                                        ; =>    This Inner Loop Header: Depth=3
	s_delay_alu instid0(VALU_DEP_1) | instskip(SKIP_2) | instid1(VALU_DEP_1)
	v_ashrrev_i32_e32 v28, 31, v27
	s_wait_alu 0xfffe
	s_cmp_eq_u32 s56, 3
	v_lshlrev_b64_e32 v[38:39], 1, v[27:28]
	s_delay_alu instid0(VALU_DEP_1) | instskip(SKIP_1) | instid1(VALU_DEP_2)
	v_add_co_u32 v38, vcc_lo, v17, v38
	s_wait_alu 0xfffd
	v_add_co_ci_u32_e64 v39, null, v18, v39, vcc_lo
	s_cselect_b32 vcc_lo, -1, 0
	s_cmp_eq_u32 s56, 2
	s_cselect_b32 s6, -1, 0
	flat_load_u16 v28, v[38:39]
	s_cmp_eq_u32 s56, 1
	s_cselect_b32 s7, -1, 0
	s_cmp_eq_u32 s56, 0
	s_add_nc_u64 s[56:57], s[56:57], 1
	s_wait_loadcnt_dscnt 0x0
	v_cvt_f32_f16_e32 v28, v28
	s_wait_alu 0xfffe
	s_delay_alu instid0(VALU_DEP_1)
	v_dual_cndmask_b32 v4, v4, v28 :: v_dual_add_nc_u32 v27, s33, v27
	s_cselect_b32 vcc_lo, -1, 0
	v_cndmask_b32_e64 v3, v3, v28, s6
	v_cndmask_b32_e64 v2, v2, v28, s7
	s_wait_alu 0xfffe
	v_cndmask_b32_e32 v1, v1, v28, vcc_lo
	s_cmp_eq_u32 s62, s56
	s_cbranch_scc0 .LBB443_49
.LBB443_50:                             ;   in Loop: Header=BB443_18 Depth=2
	s_and_not1_b32 vcc_lo, exec_lo, s64
	s_wait_alu 0xfffe
	s_cbranch_vccnz .LBB443_62
; %bb.51:                               ;   in Loop: Header=BB443_18 Depth=2
	s_ashr_i32 s9, s8, 31
	v_dual_mov_b32 v41, 0 :: v_dual_mov_b32 v40, 0
	s_wait_alu 0xfffe
	s_lshl_b64 s[6:7], s[8:9], 1
	v_dual_mov_b32 v39, 0 :: v_dual_mov_b32 v38, 0
	s_wait_alu 0xfffe
	v_add_co_u32 v27, vcc_lo, v32, s6
	s_wait_alu 0xfffd
	v_add_co_ci_u32_e64 v28, null, s7, v33, vcc_lo
	s_mov_b64 s[56:57], 0
.LBB443_52:                             ;   Parent Loop BB443_3 Depth=1
                                        ;     Parent Loop BB443_18 Depth=2
                                        ; =>    This Inner Loop Header: Depth=3
	s_wait_alu 0xfffe
	s_cmp_eq_u32 s56, 1
	s_cselect_b32 vcc_lo, -1, 0
	s_cmp_eq_u32 s56, 2
	s_wait_alu 0xfffe
	v_cndmask_b32_e32 v42, v1, v2, vcc_lo
	s_cselect_b32 vcc_lo, -1, 0
	s_cmp_eq_u32 s56, 3
	s_wait_alu 0xfffe
	s_delay_alu instid0(VALU_DEP_1)
	v_cndmask_b32_e32 v48, v42, v3, vcc_lo
	s_cselect_b32 vcc_lo, -1, 0
	s_add_co_i32 s6, s54, s56
	s_add_co_i32 s66, s52, s56
	s_wait_alu 0xfffe
	s_ashr_i32 s7, s6, 31
	s_add_co_i32 s68, s50, s56
	s_ashr_i32 s67, s66, 31
	s_wait_alu 0xfffe
	s_lshl_b64 s[6:7], s[6:7], 1
	s_ashr_i32 s69, s68, 31
	s_lshl_b64 s[66:67], s[66:67], 1
	s_wait_alu 0xfffe
	v_add_co_u32 v42, s6, v32, s6
	s_lshl_b64 s[68:69], s[68:69], 1
	v_add_co_ci_u32_e64 v43, null, s7, v33, s6
	v_add_co_u32 v44, s6, v32, s66
	s_wait_alu 0xf1ff
	v_add_co_ci_u32_e64 v45, null, s67, v33, s6
	s_wait_alu 0xfffe
	v_add_co_u32 v46, s6, v32, s68
	s_wait_alu 0xf1ff
	v_add_co_ci_u32_e64 v47, null, s69, v33, s6
	flat_load_u16 v49, v[27:28]
	s_clause 0x2
	flat_load_u16 v42, v[42:43]
	flat_load_u16 v43, v[44:45]
	;; [unrolled: 1-line block ×3, first 2 shown]
	v_cndmask_b32_e32 v45, v48, v4, vcc_lo
	v_add_co_u32 v27, s6, v27, 2
	s_wait_alu 0xf1ff
	v_add_co_ci_u32_e64 v28, null, 0, v28, s6
	s_add_nc_u64 s[56:57], s[56:57], 1
	s_wait_alu 0xfffe
	s_cmp_lg_u32 s62, s56
	s_wait_loadcnt_dscnt 0x303
	v_fma_mix_f32 v41, v45, v49, v41 op_sel_hi:[0,1,0]
	s_wait_loadcnt_dscnt 0x202
	v_fma_mix_f32 v40, v45, v42, v40 op_sel_hi:[0,1,0]
	;; [unrolled: 2-line block ×4, first 2 shown]
	s_cbranch_scc1 .LBB443_52
	s_branch .LBB443_63
.LBB443_53:                             ;   in Loop: Header=BB443_18 Depth=2
	ds_load_b32 v27, v29
	s_wait_alu 0xfffe
	s_or_b32 exec_lo, exec_lo, s6
	s_and_saveexec_b32 s6, s1
	s_cbranch_execz .LBB443_26
.LBB443_54:                             ;   in Loop: Header=BB443_18 Depth=2
	s_wait_dscnt 0x0
	ds_bpermute_b32 v28, v35, v27
	s_wait_dscnt 0x0
	v_add_f32_e32 v27, v27, v28
	ds_bpermute_b32 v28, v36, v27
	s_wait_dscnt 0x0
	v_add_f32_e32 v27, v27, v28
	;; [unrolled: 3-line block ×3, first 2 shown]
	s_wait_alu 0xfffe
	s_or_b32 exec_lo, exec_lo, s6
	s_and_saveexec_b32 s6, s1
	s_cbranch_execnz .LBB443_27
	s_branch .LBB443_28
.LBB443_55:                             ;   in Loop: Header=BB443_18 Depth=2
	ds_load_b32 v28, v29
	s_wait_alu 0xfffe
	s_or_b32 exec_lo, exec_lo, s6
	s_and_saveexec_b32 s6, s1
	s_cbranch_execz .LBB443_32
.LBB443_56:                             ;   in Loop: Header=BB443_18 Depth=2
	s_wait_dscnt 0x0
	ds_bpermute_b32 v40, v35, v28
	s_wait_dscnt 0x0
	v_add_f32_e32 v28, v28, v40
	ds_bpermute_b32 v40, v36, v28
	s_wait_dscnt 0x0
	v_add_f32_e32 v28, v28, v40
	;; [unrolled: 3-line block ×3, first 2 shown]
	s_wait_alu 0xfffe
	s_or_b32 exec_lo, exec_lo, s6
	s_and_saveexec_b32 s6, s1
	s_cbranch_execnz .LBB443_33
	s_branch .LBB443_34
.LBB443_57:                             ;   in Loop: Header=BB443_18 Depth=2
	ds_load_b32 v39, v29
	s_wait_alu 0xfffe
	s_or_b32 exec_lo, exec_lo, s6
	s_and_saveexec_b32 s6, s1
	s_cbranch_execz .LBB443_38
.LBB443_58:                             ;   in Loop: Header=BB443_18 Depth=2
	s_wait_dscnt 0x0
	ds_bpermute_b32 v40, v35, v39
	s_wait_dscnt 0x0
	v_add_f32_e32 v39, v39, v40
	ds_bpermute_b32 v40, v36, v39
	s_wait_dscnt 0x0
	v_add_f32_e32 v39, v39, v40
	;; [unrolled: 3-line block ×3, first 2 shown]
	s_wait_alu 0xfffe
	s_or_b32 exec_lo, exec_lo, s6
	s_and_saveexec_b32 s6, s1
	s_cbranch_execnz .LBB443_39
	s_branch .LBB443_40
.LBB443_59:                             ;   in Loop: Header=BB443_18 Depth=2
	ds_load_b32 v38, v29
	s_wait_alu 0xfffe
	s_or_b32 exec_lo, exec_lo, s6
	s_and_saveexec_b32 s6, s1
	s_cbranch_execz .LBB443_44
.LBB443_60:                             ;   in Loop: Header=BB443_18 Depth=2
	s_wait_dscnt 0x0
	ds_bpermute_b32 v40, v35, v38
	s_wait_dscnt 0x0
	v_add_f32_e32 v38, v38, v40
	ds_bpermute_b32 v40, v36, v38
	s_wait_dscnt 0x0
	v_add_f32_e32 v38, v38, v40
	;; [unrolled: 3-line block ×3, first 2 shown]
	s_wait_alu 0xfffe
	s_or_b32 exec_lo, exec_lo, s6
	s_and_saveexec_b32 s6, s0
	s_cbranch_execz .LBB443_17
.LBB443_61:                             ;   in Loop: Header=BB443_18 Depth=2
	s_mul_i32 s7, s11, s30
	v_dual_mul_f32 v27, s22, v27 :: v_dual_mul_f32 v28, s22, v28
	s_wait_alu 0xfffe
	s_add_co_i32 s34, s7, s24
	s_wait_alu 0xfffe
	s_lshl_b64 s[56:57], s[34:35], 2
	s_add_co_i32 s34, s34, s30
	s_wait_alu 0xfffe
	s_add_nc_u64 s[56:57], s[48:49], s[56:57]
	s_lshl_b64 s[66:67], s[34:35], 2
	s_add_co_i32 s34, s34, s30
	s_wait_alu 0xfffe
	s_add_nc_u64 s[66:67], s[48:49], s[66:67]
	s_clause 0x1
	global_store_b32 v0, v27, s[56:57]
	global_store_b32 v0, v28, s[66:67]
	s_wait_dscnt 0x0
	v_dual_mul_f32 v27, s22, v39 :: v_dual_mul_f32 v28, s22, v38
	s_lshl_b64 s[56:57], s[34:35], 2
	s_add_co_i32 s34, s34, s30
	s_wait_alu 0xfffe
	s_add_nc_u64 s[56:57], s[48:49], s[56:57]
	s_lshl_b64 s[66:67], s[34:35], 2
	s_wait_alu 0xfffe
	s_add_nc_u64 s[66:67], s[48:49], s[66:67]
	s_clause 0x1
	global_store_b32 v0, v27, s[56:57]
	global_store_b32 v0, v28, s[66:67]
	s_branch .LBB443_17
.LBB443_62:                             ;   in Loop: Header=BB443_18 Depth=2
	v_dual_mov_b32 v38, 0 :: v_dual_mov_b32 v39, 0
	v_dual_mov_b32 v40, 0 :: v_dual_mov_b32 v41, 0
.LBB443_63:                             ;   in Loop: Header=BB443_18 Depth=2
	s_or_b32 exec_lo, exec_lo, s25
	s_wait_alu 0xfffe
	s_or_b32 exec_lo, exec_lo, s20
	s_and_saveexec_b32 s6, s1
	s_cbranch_execnz .LBB443_21
	s_branch .LBB443_22
.LBB443_64:                             ;   in Loop: Header=BB443_3 Depth=1
	v_mov_b32_e32 v3, v0
	v_dual_mov_b32 v1, v0 :: v_dual_mov_b32 v2, v0
	s_mov_b32 s11, 0
	s_delay_alu instid0(VALU_DEP_2) | instskip(NEXT) | instid1(VALU_DEP_2)
	v_mov_b32_e32 v4, v3
	v_mov_b32_e32 v3, v2
	s_delay_alu instid0(VALU_DEP_3)
	v_mov_b32_e32 v2, v1
	v_mov_b32_e32 v1, v0
.LBB443_65:                             ;   in Loop: Header=BB443_3 Depth=1
	s_cmp_ge_i32 s11, s21
	s_cbranch_scc1 .LBB443_2
; %bb.66:                               ;   in Loop: Header=BB443_3 Depth=1
	v_cmp_gt_u32_e32 vcc_lo, 24, v31
	s_add_nc_u64 s[8:9], s[48:49], s[46:47]
	s_mul_i32 s48, s26, s11
	s_mov_b32 s34, s11
	s_wait_alu 0xfffd
	v_cndmask_b32_e64 v19, 0, 8, vcc_lo
	v_cmp_gt_u32_e32 vcc_lo, 28, v31
	s_delay_alu instid0(VALU_DEP_2) | instskip(SKIP_3) | instid1(VALU_DEP_2)
	v_add_lshl_u32 v34, v19, v31, 2
	s_wait_alu 0xfffd
	v_cndmask_b32_e64 v20, 0, 4, vcc_lo
	v_cmp_gt_u32_e32 vcc_lo, 30, v31
	v_add_lshl_u32 v35, v20, v31, 2
	s_wait_alu 0xfffd
	v_cndmask_b32_e64 v21, 0, 2, vcc_lo
	v_cmp_ne_u32_e32 vcc_lo, 31, v31
	s_delay_alu instid0(VALU_DEP_2)
	v_add_lshl_u32 v36, v21, v31, 2
	s_wait_alu 0xfffd
	v_add_co_ci_u32_e64 v22, null, 0, v31, vcc_lo
	v_add_co_u32 v19, vcc_lo, v17, v9
	s_wait_alu 0xfffd
	v_add_co_ci_u32_e64 v20, null, v18, v10, vcc_lo
	v_add_co_u32 v21, vcc_lo, v17, v11
	v_lshlrev_b32_e32 v37, 2, v22
	s_wait_alu 0xfffd
	v_add_co_ci_u32_e64 v22, null, v18, v12, vcc_lo
	v_add_co_u32 v23, vcc_lo, v17, v13
	s_wait_alu 0xfffd
	v_add_co_ci_u32_e64 v24, null, v18, v14, vcc_lo
	v_add_co_u32 v25, vcc_lo, v17, v15
	s_wait_alu 0xfffd
	v_add_co_ci_u32_e64 v26, null, v18, v16, vcc_lo
	s_branch .LBB443_68
.LBB443_67:                             ;   in Loop: Header=BB443_68 Depth=2
	s_wait_alu 0xfffe
	s_or_b32 exec_lo, exec_lo, s6
	s_add_co_i32 s34, s34, 1
	s_add_co_i32 s48, s48, s26
	s_wait_alu 0xfffe
	s_cmp_ge_i32 s34, s21
	s_cbranch_scc1 .LBB443_2
.LBB443_68:                             ;   Parent Loop BB443_3 Depth=1
                                        ; =>  This Loop Header: Depth=2
                                        ;       Child Loop BB443_81 Depth 3
                                        ;       Child Loop BB443_84 Depth 3
	s_wait_dscnt 0x0
	v_mov_b32_e32 v38, s35
	s_and_saveexec_b32 s6, s4
	s_wait_alu 0xfffe
	s_xor_b32 s6, exec_lo, s6
	s_cbranch_execnz .LBB443_77
; %bb.69:                               ;   in Loop: Header=BB443_68 Depth=2
	s_wait_alu 0xfffe
	s_and_not1_saveexec_b32 s11, s6
	s_cbranch_execnz .LBB443_78
.LBB443_70:                             ;   in Loop: Header=BB443_68 Depth=2
	s_or_b32 exec_lo, exec_lo, s11
	s_and_saveexec_b32 s6, s1
.LBB443_71:                             ;   in Loop: Header=BB443_68 Depth=2
	ds_store_b32 v29, v0
.LBB443_72:                             ;   in Loop: Header=BB443_68 Depth=2
	s_wait_alu 0xfffe
	s_or_b32 exec_lo, exec_lo, s6
	ds_bpermute_b32 v27, v6, v38
	s_wait_storecnt 0x0
	s_wait_loadcnt_dscnt 0x0
	s_barrier_signal -1
	s_barrier_wait -1
	global_inv scope:SCOPE_SE
	v_add_f32_e32 v27, v38, v27
	ds_bpermute_b32 v28, v34, v27
	s_wait_dscnt 0x0
	v_add_f32_e32 v27, v27, v28
	ds_bpermute_b32 v28, v35, v27
	s_wait_dscnt 0x0
	;; [unrolled: 3-line block ×3, first 2 shown]
	v_add_f32_e32 v27, v27, v28
	ds_bpermute_b32 v28, v37, v27
	s_and_saveexec_b32 s6, s3
	s_cbranch_execz .LBB443_74
; %bb.73:                               ;   in Loop: Header=BB443_68 Depth=2
	s_wait_dscnt 0x0
	v_add_f32_e32 v27, v27, v28
	ds_store_b32 v30, v27
.LBB443_74:                             ;   in Loop: Header=BB443_68 Depth=2
	s_wait_alu 0xfffe
	s_or_b32 exec_lo, exec_lo, s6
	v_mov_b32_e32 v27, 0
	s_wait_loadcnt_dscnt 0x0
	s_barrier_signal -1
	s_barrier_wait -1
	global_inv scope:SCOPE_SE
	s_and_saveexec_b32 s6, s2
	s_cbranch_execnz .LBB443_86
; %bb.75:                               ;   in Loop: Header=BB443_68 Depth=2
	s_wait_alu 0xfffe
	s_or_b32 exec_lo, exec_lo, s6
	s_and_saveexec_b32 s6, s1
	s_cbranch_execnz .LBB443_87
.LBB443_76:                             ;   in Loop: Header=BB443_68 Depth=2
	s_wait_alu 0xfffe
	s_or_b32 exec_lo, exec_lo, s6
	s_and_saveexec_b32 s6, s0
	s_cbranch_execz .LBB443_67
	s_branch .LBB443_88
.LBB443_77:                             ;   in Loop: Header=BB443_68 Depth=2
	s_mul_i32 s50, s34, s26
	s_wait_alu 0xfffe
	s_ashr_i32 s51, s50, 31
	s_wait_alu 0xfffe
	s_lshl_b64 s[50:51], s[50:51], 1
	s_wait_alu 0xfffe
	v_add_co_u32 v1, vcc_lo, v32, s50
	s_wait_alu 0xfffd
	v_add_co_ci_u32_e64 v2, null, s51, v33, vcc_lo
	flat_load_b64 v[27:28], v[1:2]
	s_clause 0x3
	flat_load_u16 v1, v[19:20]
	flat_load_u16 v2, v[21:22]
	;; [unrolled: 1-line block ×4, first 2 shown]
	s_wait_loadcnt_dscnt 0x303
	v_fma_mix_f32 v4, v1, v27, 0 op_sel_hi:[1,1,0]
	v_cvt_f32_f16_e32 v1, v1
	s_wait_loadcnt_dscnt 0x202
	s_delay_alu instid0(VALU_DEP_2) | instskip(SKIP_2) | instid1(VALU_DEP_2)
	v_fma_mix_f32 v4, v2, v27, v4 op_sel:[0,1,0] op_sel_hi:[1,1,0]
	v_cvt_f32_f16_e32 v2, v2
	s_wait_loadcnt_dscnt 0x101
	v_fma_mix_f32 v27, v3, v28, v4 op_sel_hi:[1,1,0]
	v_cvt_f32_f16_e32 v3, v3
	s_wait_loadcnt_dscnt 0x0
	v_cvt_f32_f16_e32 v4, v38
	s_delay_alu instid0(VALU_DEP_3)
	v_fma_mix_f32 v38, v38, v28, v27 op_sel:[0,1,0] op_sel_hi:[1,1,0]
	s_and_not1_saveexec_b32 s11, s6
	s_cbranch_execz .LBB443_70
.LBB443_78:                             ;   in Loop: Header=BB443_68 Depth=2
	s_and_saveexec_b32 s20, s5
	s_cbranch_execz .LBB443_85
; %bb.79:                               ;   in Loop: Header=BB443_68 Depth=2
	s_and_not1_b32 vcc_lo, exec_lo, s64
	s_wait_alu 0xfffe
	s_cbranch_vccnz .LBB443_82
; %bb.80:                               ;   in Loop: Header=BB443_68 Depth=2
	v_mov_b32_e32 v27, v5
	s_mov_b64 s[50:51], 0
.LBB443_81:                             ;   Parent Loop BB443_3 Depth=1
                                        ;     Parent Loop BB443_68 Depth=2
                                        ; =>    This Inner Loop Header: Depth=3
	s_delay_alu instid0(VALU_DEP_1) | instskip(SKIP_2) | instid1(VALU_DEP_1)
	v_ashrrev_i32_e32 v28, 31, v27
	s_wait_alu 0xfffe
	s_cmp_eq_u32 s50, 3
	v_lshlrev_b64_e32 v[39:40], 1, v[27:28]
	s_delay_alu instid0(VALU_DEP_1) | instskip(SKIP_1) | instid1(VALU_DEP_2)
	v_add_co_u32 v39, vcc_lo, v17, v39
	s_wait_alu 0xfffd
	v_add_co_ci_u32_e64 v40, null, v18, v40, vcc_lo
	s_cselect_b32 vcc_lo, -1, 0
	s_cmp_eq_u32 s50, 2
	s_cselect_b32 s6, -1, 0
	flat_load_u16 v28, v[39:40]
	s_cmp_eq_u32 s50, 1
	s_cselect_b32 s7, -1, 0
	s_cmp_eq_u32 s50, 0
	s_add_nc_u64 s[50:51], s[50:51], 1
	s_wait_loadcnt_dscnt 0x0
	v_cvt_f32_f16_e32 v28, v28
	s_wait_alu 0xfffe
	s_delay_alu instid0(VALU_DEP_1)
	v_dual_cndmask_b32 v4, v4, v28 :: v_dual_add_nc_u32 v27, s33, v27
	s_cselect_b32 vcc_lo, -1, 0
	v_cndmask_b32_e64 v3, v3, v28, s6
	v_cndmask_b32_e64 v2, v2, v28, s7
	s_wait_alu 0xfffe
	v_cndmask_b32_e32 v1, v1, v28, vcc_lo
	s_cmp_eq_u32 s62, s50
	s_cbranch_scc0 .LBB443_81
.LBB443_82:                             ;   in Loop: Header=BB443_68 Depth=2
	s_and_not1_b32 vcc_lo, exec_lo, s64
	s_wait_alu 0xfffe
	s_cbranch_vccnz .LBB443_85
; %bb.83:                               ;   in Loop: Header=BB443_68 Depth=2
	s_ashr_i32 s49, s48, 31
	s_delay_alu instid0(SALU_CYCLE_1)
	s_lshl_b64 s[6:7], s[48:49], 1
	s_wait_alu 0xfffe
	v_add_co_u32 v27, vcc_lo, v32, s6
	s_wait_alu 0xfffd
	v_add_co_ci_u32_e64 v28, null, s7, v33, vcc_lo
	s_mov_b64 s[6:7], 0
.LBB443_84:                             ;   Parent Loop BB443_3 Depth=1
                                        ;     Parent Loop BB443_68 Depth=2
                                        ; =>    This Inner Loop Header: Depth=3
	flat_load_u16 v39, v[27:28]
	s_wait_alu 0xfffe
	s_cmp_eq_u32 s6, 1
	s_cselect_b32 vcc_lo, -1, 0
	s_cmp_eq_u32 s6, 2
	s_wait_alu 0xfffe
	v_cndmask_b32_e32 v40, v1, v2, vcc_lo
	s_cselect_b32 vcc_lo, -1, 0
	s_cmp_eq_u32 s6, 3
	s_add_nc_u64 s[6:7], s[6:7], 1
	s_wait_alu 0xfffe
	v_cndmask_b32_e32 v40, v40, v3, vcc_lo
	s_cselect_b32 vcc_lo, -1, 0
	s_cmp_lg_u32 s62, s6
	s_wait_alu 0xfffe
	s_delay_alu instid0(VALU_DEP_1)
	v_cndmask_b32_e32 v40, v40, v4, vcc_lo
	v_add_co_u32 v27, vcc_lo, v27, 2
	s_wait_alu 0xfffd
	v_add_co_ci_u32_e64 v28, null, 0, v28, vcc_lo
	s_wait_loadcnt_dscnt 0x0
	v_fma_mix_f32 v38, v40, v39, v38 op_sel_hi:[0,1,0]
	s_cbranch_scc1 .LBB443_84
.LBB443_85:                             ;   in Loop: Header=BB443_68 Depth=2
	s_wait_alu 0xfffe
	s_or_b32 exec_lo, exec_lo, s20
	s_delay_alu instid0(SALU_CYCLE_1)
	s_or_b32 exec_lo, exec_lo, s11
	s_and_saveexec_b32 s6, s1
	s_cbranch_execnz .LBB443_71
	s_branch .LBB443_72
.LBB443_86:                             ;   in Loop: Header=BB443_68 Depth=2
	ds_load_b32 v27, v29
	s_wait_alu 0xfffe
	s_or_b32 exec_lo, exec_lo, s6
	s_and_saveexec_b32 s6, s1
	s_cbranch_execz .LBB443_76
.LBB443_87:                             ;   in Loop: Header=BB443_68 Depth=2
	s_wait_dscnt 0x0
	ds_bpermute_b32 v28, v35, v27
	s_wait_dscnt 0x0
	v_add_f32_e32 v27, v27, v28
	ds_bpermute_b32 v28, v36, v27
	s_wait_dscnt 0x0
	v_add_f32_e32 v27, v27, v28
	;; [unrolled: 3-line block ×3, first 2 shown]
	s_wait_alu 0xfffe
	s_or_b32 exec_lo, exec_lo, s6
	s_and_saveexec_b32 s6, s0
	s_cbranch_execz .LBB443_67
.LBB443_88:                             ;   in Loop: Header=BB443_68 Depth=2
	s_mul_u64 s[50:51], s[34:35], s[30:31]
	s_wait_dscnt 0x0
	v_mul_f32_e32 v27, s22, v27
	s_wait_alu 0xfffe
	s_lshl_b64 s[50:51], s[50:51], 2
	s_wait_alu 0xfffe
	s_add_nc_u64 s[50:51], s[8:9], s[50:51]
	global_store_b32 v0, v27, s[50:51]
	s_branch .LBB443_67
.LBB443_89:
	s_endpgm
	.section	.rodata,"a",@progbits
	.p2align	6, 0x0
	.amdhsa_kernel _ZL23rocblas_gemvt_sn_kernelILb0ELi256ELi4EiPKDF16_ffEviiT4_lPKT3_lilS5_lilPT5_i
		.amdhsa_group_segment_fixed_size 128
		.amdhsa_private_segment_fixed_size 0
		.amdhsa_kernarg_size 360
		.amdhsa_user_sgpr_count 2
		.amdhsa_user_sgpr_dispatch_ptr 0
		.amdhsa_user_sgpr_queue_ptr 0
		.amdhsa_user_sgpr_kernarg_segment_ptr 1
		.amdhsa_user_sgpr_dispatch_id 0
		.amdhsa_user_sgpr_private_segment_size 0
		.amdhsa_wavefront_size32 1
		.amdhsa_uses_dynamic_stack 0
		.amdhsa_enable_private_segment 0
		.amdhsa_system_sgpr_workgroup_id_x 1
		.amdhsa_system_sgpr_workgroup_id_y 0
		.amdhsa_system_sgpr_workgroup_id_z 1
		.amdhsa_system_sgpr_workgroup_info 0
		.amdhsa_system_vgpr_workitem_id 0
		.amdhsa_next_free_vgpr 50
		.amdhsa_next_free_sgpr 70
		.amdhsa_reserve_vcc 1
		.amdhsa_float_round_mode_32 0
		.amdhsa_float_round_mode_16_64 0
		.amdhsa_float_denorm_mode_32 3
		.amdhsa_float_denorm_mode_16_64 3
		.amdhsa_fp16_overflow 0
		.amdhsa_workgroup_processor_mode 1
		.amdhsa_memory_ordered 1
		.amdhsa_forward_progress 1
		.amdhsa_inst_pref_size 37
		.amdhsa_round_robin_scheduling 0
		.amdhsa_exception_fp_ieee_invalid_op 0
		.amdhsa_exception_fp_denorm_src 0
		.amdhsa_exception_fp_ieee_div_zero 0
		.amdhsa_exception_fp_ieee_overflow 0
		.amdhsa_exception_fp_ieee_underflow 0
		.amdhsa_exception_fp_ieee_inexact 0
		.amdhsa_exception_int_div_zero 0
	.end_amdhsa_kernel
	.section	.text._ZL23rocblas_gemvt_sn_kernelILb0ELi256ELi4EiPKDF16_ffEviiT4_lPKT3_lilS5_lilPT5_i,"axG",@progbits,_ZL23rocblas_gemvt_sn_kernelILb0ELi256ELi4EiPKDF16_ffEviiT4_lPKT3_lilS5_lilPT5_i,comdat
.Lfunc_end443:
	.size	_ZL23rocblas_gemvt_sn_kernelILb0ELi256ELi4EiPKDF16_ffEviiT4_lPKT3_lilS5_lilPT5_i, .Lfunc_end443-_ZL23rocblas_gemvt_sn_kernelILb0ELi256ELi4EiPKDF16_ffEviiT4_lPKT3_lilS5_lilPT5_i
                                        ; -- End function
	.set _ZL23rocblas_gemvt_sn_kernelILb0ELi256ELi4EiPKDF16_ffEviiT4_lPKT3_lilS5_lilPT5_i.num_vgpr, 50
	.set _ZL23rocblas_gemvt_sn_kernelILb0ELi256ELi4EiPKDF16_ffEviiT4_lPKT3_lilS5_lilPT5_i.num_agpr, 0
	.set _ZL23rocblas_gemvt_sn_kernelILb0ELi256ELi4EiPKDF16_ffEviiT4_lPKT3_lilS5_lilPT5_i.numbered_sgpr, 70
	.set _ZL23rocblas_gemvt_sn_kernelILb0ELi256ELi4EiPKDF16_ffEviiT4_lPKT3_lilS5_lilPT5_i.num_named_barrier, 0
	.set _ZL23rocblas_gemvt_sn_kernelILb0ELi256ELi4EiPKDF16_ffEviiT4_lPKT3_lilS5_lilPT5_i.private_seg_size, 0
	.set _ZL23rocblas_gemvt_sn_kernelILb0ELi256ELi4EiPKDF16_ffEviiT4_lPKT3_lilS5_lilPT5_i.uses_vcc, 1
	.set _ZL23rocblas_gemvt_sn_kernelILb0ELi256ELi4EiPKDF16_ffEviiT4_lPKT3_lilS5_lilPT5_i.uses_flat_scratch, 1
	.set _ZL23rocblas_gemvt_sn_kernelILb0ELi256ELi4EiPKDF16_ffEviiT4_lPKT3_lilS5_lilPT5_i.has_dyn_sized_stack, 0
	.set _ZL23rocblas_gemvt_sn_kernelILb0ELi256ELi4EiPKDF16_ffEviiT4_lPKT3_lilS5_lilPT5_i.has_recursion, 0
	.set _ZL23rocblas_gemvt_sn_kernelILb0ELi256ELi4EiPKDF16_ffEviiT4_lPKT3_lilS5_lilPT5_i.has_indirect_call, 0
	.section	.AMDGPU.csdata,"",@progbits
; Kernel info:
; codeLenInByte = 4672
; TotalNumSgprs: 72
; NumVgprs: 50
; ScratchSize: 0
; MemoryBound: 0
; FloatMode: 240
; IeeeMode: 1
; LDSByteSize: 128 bytes/workgroup (compile time only)
; SGPRBlocks: 0
; VGPRBlocks: 6
; NumSGPRsForWavesPerEU: 72
; NumVGPRsForWavesPerEU: 50
; Occupancy: 16
; WaveLimiterHint : 0
; COMPUTE_PGM_RSRC2:SCRATCH_EN: 0
; COMPUTE_PGM_RSRC2:USER_SGPR: 2
; COMPUTE_PGM_RSRC2:TRAP_HANDLER: 0
; COMPUTE_PGM_RSRC2:TGID_X_EN: 1
; COMPUTE_PGM_RSRC2:TGID_Y_EN: 0
; COMPUTE_PGM_RSRC2:TGID_Z_EN: 1
; COMPUTE_PGM_RSRC2:TIDIG_COMP_CNT: 0
	.section	.text._ZL23rocblas_gemvt_sn_kernelILb0ELi256ELi4ElPKDF16_ffEviiT4_lPKT3_lilS5_lilPT5_i,"axG",@progbits,_ZL23rocblas_gemvt_sn_kernelILb0ELi256ELi4ElPKDF16_ffEviiT4_lPKT3_lilS5_lilPT5_i,comdat
	.globl	_ZL23rocblas_gemvt_sn_kernelILb0ELi256ELi4ElPKDF16_ffEviiT4_lPKT3_lilS5_lilPT5_i ; -- Begin function _ZL23rocblas_gemvt_sn_kernelILb0ELi256ELi4ElPKDF16_ffEviiT4_lPKT3_lilS5_lilPT5_i
	.p2align	8
	.type	_ZL23rocblas_gemvt_sn_kernelILb0ELi256ELi4ElPKDF16_ffEviiT4_lPKT3_lilS5_lilPT5_i,@function
_ZL23rocblas_gemvt_sn_kernelILb0ELi256ELi4ElPKDF16_ffEviiT4_lPKT3_lilS5_lilPT5_i: ; @_ZL23rocblas_gemvt_sn_kernelILb0ELi256ELi4ElPKDF16_ffEviiT4_lPKT3_lilS5_lilPT5_i
; %bb.0:
	s_load_b32 s23, s[0:1], 0x60
	s_lshr_b32 s10, ttmp7, 16
	s_wait_kmcnt 0x0
	s_cmp_ge_u32 s10, s23
	s_cbranch_scc1 .LBB444_89
; %bb.1:
	s_clause 0x6
	s_load_b32 s26, s[0:1], 0x28
	s_load_b32 s6, s[0:1], 0x48
	s_load_b96 s[20:22], s[0:1], 0x0
	s_load_b128 s[12:15], s[0:1], 0x18
	s_load_b32 s28, s[0:1], 0x68
	s_load_b128 s[16:19], s[0:1], 0x38
	s_load_b64 s[30:31], s[0:1], 0x58
	s_mov_b32 s25, 0
	v_cmp_eq_u32_e64 s0, 0, v0
	s_mov_b32 s29, s25
	v_and_b32_e32 v1, 31, v0
	v_cmp_gt_u32_e64 s1, 32, v0
	v_cmp_gt_u32_e64 s2, 8, v0
	v_lshrrev_b32_e32 v2, 3, v0
	v_mbcnt_lo_u32_b32 v33, -1, 0
	v_cmp_eq_u32_e64 s3, 0, v1
	v_lshlrev_b32_e32 v31, 2, v1
	s_mov_b32 s24, ttmp9
	v_and_b32_e32 v32, 28, v2
	v_lshl_or_b32 v34, v33, 2, 64
	s_wait_kmcnt 0x0
	s_ashr_i32 s27, s26, 31
	s_ashr_i32 s7, s6, 31
	s_cmp_neq_f32 s22, 0
	s_mov_b32 s4, s21
	s_mul_u64 s[40:41], s[26:27], 6
	s_cselect_b32 s33, -1, 0
	s_cmp_eq_f32 s22, 0
	s_cselect_b32 s52, -1, 0
	s_ashr_i32 s5, s21, 31
	s_cmp_gt_i32 s21, 0
	s_mul_u64 s[34:35], s[4:5], s[28:29]
	s_cselect_b32 s4, -1, 0
	s_ashr_i32 s9, s20, 31
	s_and_b32 s53, s0, s4
	s_lshr_b32 s4, s9, 30
	s_lshl_b32 s8, ttmp9, 10
	s_add_co_i32 s4, s20, s4
	v_lshl_or_b32 v0, v0, 2, s8
	s_and_b32 s4, s4, -4
	s_lshr_b32 s5, s5, 30
	s_sub_co_i32 s55, s20, s4
	s_add_co_i32 s5, s21, s5
	v_add_nc_u32_e32 v4, s55, v0
	s_and_b32 s54, s5, -4
	v_add_nc_u32_e32 v3, 4, v0
	v_or_b32_e32 v5, 2, v0
	v_or_b32_e32 v6, 3, v0
	v_cmp_ge_i32_e64 s5, s20, v4
	v_or_b32_e32 v4, 1, v0
	v_cmp_ge_i32_e64 s4, s20, v3
	v_mad_co_i64_i32 v[2:3], null, s6, v0, 0
	v_mad_co_i64_i32 v[11:12], null, s6, v5, 0
	s_delay_alu instid0(VALU_DEP_4)
	v_mad_co_i64_i32 v[9:10], null, s6, v4, 0
	v_mad_co_i64_i32 v[13:14], null, s6, v6, 0
	v_ashrrev_i32_e32 v1, 31, v0
	s_wait_alu 0xfffe
	s_cmp_gt_i32 s54, 0
	v_lshlrev_b64_e32 v[5:6], 1, v[2:3]
	v_lshlrev_b64_e32 v[11:12], 1, v[11:12]
	;; [unrolled: 1-line block ×5, first 2 shown]
	v_mov_b32_e32 v0, 0
	s_cselect_b32 s56, -1, 0
	s_cmp_gt_i32 s55, 0
	s_cselect_b32 s57, -1, 0
	s_lshl_b64 s[36:37], s[28:29], 2
	s_lshl_b64 s[38:39], s[6:7], 1
	;; [unrolled: 1-line block ×8, first 2 shown]
	s_branch .LBB444_3
.LBB444_2:                              ;   in Loop: Header=BB444_3 Depth=1
	s_add_co_i32 s10, s10, 0x10000
	s_delay_alu instid0(SALU_CYCLE_1)
	s_cmp_lt_u32 s10, s23
	s_cbranch_scc0 .LBB444_89
.LBB444_3:                              ; =>This Loop Header: Depth=1
                                        ;     Child Loop BB444_12 Depth 2
                                        ;     Child Loop BB444_18 Depth 2
                                        ;       Child Loop BB444_49 Depth 3
                                        ;       Child Loop BB444_52 Depth 3
                                        ;     Child Loop BB444_68 Depth 2
                                        ;       Child Loop BB444_81 Depth 3
                                        ;       Child Loop BB444_84 Depth 3
	s_mov_b32 s11, s25
	s_and_not1_b32 vcc_lo, exec_lo, s52
	s_mov_b32 s6, -1
	s_wait_alu 0xfffe
	s_cbranch_vccnz .LBB444_5
; %bb.4:                                ;   in Loop: Header=BB444_3 Depth=1
	s_mov_b32 s6, 0
.LBB444_5:                              ;   in Loop: Header=BB444_3 Depth=1
	v_mov_b32_e32 v17, 0
	v_dual_mov_b32 v18, 0 :: v_dual_mov_b32 v1, 0
	v_mov_b32_e32 v2, 0
	s_wait_alu 0xfffe
	s_and_not1_b32 vcc_lo, exec_lo, s6
	s_wait_alu 0xfffe
	s_cbranch_vccnz .LBB444_7
; %bb.6:                                ;   in Loop: Header=BB444_3 Depth=1
	s_lshl_b64 s[6:7], s[10:11], 3
	s_wait_alu 0xfffe
	s_add_nc_u64 s[6:7], s[12:13], s[6:7]
	global_load_b64 v[1:2], v0, s[6:7]
	s_wait_loadcnt 0x0
	v_add_co_u32 v1, vcc_lo, v1, s14
	s_wait_alu 0xfffd
	v_add_co_ci_u32_e64 v2, null, s15, v2, vcc_lo
.LBB444_7:                              ;   in Loop: Header=BB444_3 Depth=1
	s_and_not1_b32 vcc_lo, exec_lo, s33
	s_wait_alu 0xfffe
	s_cbranch_vccnz .LBB444_9
; %bb.8:                                ;   in Loop: Header=BB444_3 Depth=1
	s_lshl_b64 s[6:7], s[10:11], 3
	s_wait_alu 0xfffe
	s_add_nc_u64 s[6:7], s[16:17], s[6:7]
	global_load_b64 v[3:4], v0, s[6:7]
	s_wait_loadcnt 0x0
	v_add_co_u32 v17, vcc_lo, v3, s18
	s_wait_alu 0xfffd
	v_add_co_ci_u32_e64 v18, null, s19, v4, vcc_lo
.LBB444_9:                              ;   in Loop: Header=BB444_3 Depth=1
	s_mul_u64 s[6:7], s[34:35], s[10:11]
	s_and_not1_b32 vcc_lo, exec_lo, s52
	s_wait_alu 0xfffe
	s_lshl_b64 s[6:7], s[6:7], 2
	s_wait_alu 0xfffe
	s_add_nc_u64 s[50:51], s[30:31], s[6:7]
	s_mov_b32 s6, -1
	s_cbranch_vccnz .LBB444_14
; %bb.10:                               ;   in Loop: Header=BB444_3 Depth=1
	s_and_saveexec_b32 s8, s53
	s_cbranch_execz .LBB444_13
; %bb.11:                               ;   in Loop: Header=BB444_3 Depth=1
	s_add_nc_u64 s[6:7], s[50:51], s[48:49]
	s_mov_b32 s9, s21
.LBB444_12:                             ;   Parent Loop BB444_3 Depth=1
                                        ; =>  This Inner Loop Header: Depth=2
	s_wait_alu 0xfffe
	s_add_co_i32 s9, s9, -1
	global_store_b32 v0, v0, s[6:7]
	s_wait_alu 0xfffe
	s_cmp_eq_u32 s9, 0
	s_add_nc_u64 s[6:7], s[6:7], s[36:37]
	s_cbranch_scc0 .LBB444_12
.LBB444_13:                             ;   in Loop: Header=BB444_3 Depth=1
	s_wait_alu 0xfffe
	s_or_b32 exec_lo, exec_lo, s8
	s_mov_b32 s6, 0
.LBB444_14:                             ;   in Loop: Header=BB444_3 Depth=1
	s_wait_alu 0xfffe
	s_and_not1_b32 vcc_lo, exec_lo, s6
	s_wait_alu 0xfffe
	s_cbranch_vccnz .LBB444_2
; %bb.15:                               ;   in Loop: Header=BB444_3 Depth=1
	v_add_co_u32 v15, vcc_lo, v1, v7
	s_wait_alu 0xfffd
	v_add_co_ci_u32_e64 v16, null, v2, v8, vcc_lo
	v_cmp_gt_u32_e64 s9, 24, v33
	v_cmp_gt_u32_e64 s8, 28, v33
	;; [unrolled: 1-line block ×3, first 2 shown]
	v_cmp_ne_u32_e64 s6, 31, v33
	s_and_not1_b32 vcc_lo, exec_lo, s56
	s_add_nc_u64 s[50:51], s[50:51], s[48:49]
	s_wait_alu 0xfffe
	s_cbranch_vccnz .LBB444_64
; %bb.16:                               ;   in Loop: Header=BB444_3 Depth=1
	s_wait_alu 0xf1ff
	v_cndmask_b32_e64 v2, 0, 4, s8
	v_cndmask_b32_e64 v3, 0, 2, s7
	v_add_co_u32 v19, vcc_lo, v17, v5
	v_cndmask_b32_e64 v1, 0, 8, s9
	v_add_co_ci_u32_e64 v4, null, 0, v33, s6
	v_add_lshl_u32 v36, v2, v33, 2
	v_add_lshl_u32 v37, v3, v33, 2
	s_wait_alu 0xfffd
	v_add_co_ci_u32_e64 v20, null, v18, v6, vcc_lo
	v_add_co_u32 v21, vcc_lo, v17, v9
	v_dual_mov_b32 v2, v0 :: v_dual_mov_b32 v3, v0
	s_wait_alu 0xfffd
	v_add_co_ci_u32_e64 v22, null, v18, v10, vcc_lo
	v_add_co_u32 v23, vcc_lo, v17, v11
	v_add_lshl_u32 v35, v1, v33, 2
	v_dual_mov_b32 v1, v0 :: v_dual_lshlrev_b32 v38, 2, v4
	s_wait_alu 0xfffd
	v_add_co_ci_u32_e64 v24, null, v18, v12, vcc_lo
	v_add_co_u32 v25, vcc_lo, v17, v13
	v_mov_b32_e32 v4, v3
	s_wait_alu 0xfffd
	v_add_co_ci_u32_e64 v26, null, v18, v14, vcc_lo
	s_wait_dscnt 0x0
	v_dual_mov_b32 v28, v16 :: v_dual_mov_b32 v27, v15
	v_mov_b32_e32 v3, v2
	v_mov_b32_e32 v2, v1
	v_mov_b32_e32 v1, v0
	s_mov_b32 s24, 0
	s_branch .LBB444_18
.LBB444_17:                             ;   in Loop: Header=BB444_18 Depth=2
	s_wait_alu 0xfffe
	s_or_b32 exec_lo, exec_lo, s6
	v_add_co_u32 v27, vcc_lo, v27, s42
	s_wait_alu 0xfffd
	v_add_co_ci_u32_e64 v28, null, s43, v28, vcc_lo
	s_add_co_i32 s24, s24, 4
	s_wait_alu 0xfffe
	s_cmp_ge_i32 s24, s54
	s_cbranch_scc1 .LBB444_65
.LBB444_18:                             ;   Parent Loop BB444_3 Depth=1
                                        ; =>  This Loop Header: Depth=2
                                        ;       Child Loop BB444_49 Depth 3
                                        ;       Child Loop BB444_52 Depth 3
                                        ; implicit-def: $vgpr39
                                        ; implicit-def: $vgpr40
                                        ; implicit-def: $vgpr41
                                        ; implicit-def: $vgpr42
	s_and_saveexec_b32 s6, s4
	s_wait_alu 0xfffe
	s_xor_b32 s6, exec_lo, s6
	s_cbranch_execnz .LBB444_45
; %bb.19:                               ;   in Loop: Header=BB444_18 Depth=2
	s_wait_alu 0xfffe
	s_and_not1_saveexec_b32 s11, s6
	s_cbranch_execnz .LBB444_46
.LBB444_20:                             ;   in Loop: Header=BB444_18 Depth=2
	s_or_b32 exec_lo, exec_lo, s11
	s_and_saveexec_b32 s6, s1
.LBB444_21:                             ;   in Loop: Header=BB444_18 Depth=2
	ds_store_b32 v31, v0
.LBB444_22:                             ;   in Loop: Header=BB444_18 Depth=2
	s_wait_alu 0xfffe
	s_or_b32 exec_lo, exec_lo, s6
	ds_bpermute_b32 v29, v34, v42
	s_wait_storecnt_dscnt 0x0
	s_barrier_signal -1
	s_barrier_wait -1
	global_inv scope:SCOPE_SE
	v_add_f32_e32 v29, v42, v29
	ds_bpermute_b32 v30, v35, v29
	s_wait_dscnt 0x0
	v_add_f32_e32 v29, v29, v30
	ds_bpermute_b32 v30, v36, v29
	s_wait_dscnt 0x0
	;; [unrolled: 3-line block ×3, first 2 shown]
	v_add_f32_e32 v29, v29, v30
	ds_bpermute_b32 v30, v38, v29
	s_and_saveexec_b32 s6, s3
	s_cbranch_execz .LBB444_24
; %bb.23:                               ;   in Loop: Header=BB444_18 Depth=2
	s_wait_dscnt 0x0
	v_add_f32_e32 v29, v29, v30
	ds_store_b32 v32, v29
.LBB444_24:                             ;   in Loop: Header=BB444_18 Depth=2
	s_wait_alu 0xfffe
	s_or_b32 exec_lo, exec_lo, s6
	v_mov_b32_e32 v29, 0
	s_wait_loadcnt_dscnt 0x0
	s_barrier_signal -1
	s_barrier_wait -1
	global_inv scope:SCOPE_SE
	s_and_saveexec_b32 s6, s2
	s_cbranch_execnz .LBB444_53
; %bb.25:                               ;   in Loop: Header=BB444_18 Depth=2
	s_wait_alu 0xfffe
	s_or_b32 exec_lo, exec_lo, s6
	s_and_saveexec_b32 s6, s1
	s_cbranch_execnz .LBB444_54
.LBB444_26:                             ;   in Loop: Header=BB444_18 Depth=2
	s_wait_alu 0xfffe
	s_or_b32 exec_lo, exec_lo, s6
	s_and_saveexec_b32 s6, s1
.LBB444_27:                             ;   in Loop: Header=BB444_18 Depth=2
	ds_store_b32 v31, v0
.LBB444_28:                             ;   in Loop: Header=BB444_18 Depth=2
	s_wait_alu 0xfffe
	s_or_b32 exec_lo, exec_lo, s6
	ds_bpermute_b32 v30, v34, v41
	s_wait_loadcnt_dscnt 0x0
	s_barrier_signal -1
	s_barrier_wait -1
	global_inv scope:SCOPE_SE
	v_add_f32_e32 v30, v41, v30
	ds_bpermute_b32 v41, v35, v30
	s_wait_dscnt 0x0
	v_add_f32_e32 v30, v30, v41
	ds_bpermute_b32 v41, v36, v30
	s_wait_dscnt 0x0
	;; [unrolled: 3-line block ×3, first 2 shown]
	v_add_f32_e32 v30, v30, v41
	ds_bpermute_b32 v41, v38, v30
	s_and_saveexec_b32 s6, s3
	s_cbranch_execz .LBB444_30
; %bb.29:                               ;   in Loop: Header=BB444_18 Depth=2
	s_wait_dscnt 0x0
	v_add_f32_e32 v30, v30, v41
	ds_store_b32 v32, v30
.LBB444_30:                             ;   in Loop: Header=BB444_18 Depth=2
	s_wait_alu 0xfffe
	s_or_b32 exec_lo, exec_lo, s6
	v_mov_b32_e32 v30, 0
	s_wait_loadcnt_dscnt 0x0
	s_barrier_signal -1
	s_barrier_wait -1
	global_inv scope:SCOPE_SE
	s_and_saveexec_b32 s6, s2
	s_cbranch_execnz .LBB444_55
; %bb.31:                               ;   in Loop: Header=BB444_18 Depth=2
	s_wait_alu 0xfffe
	s_or_b32 exec_lo, exec_lo, s6
	s_and_saveexec_b32 s6, s1
	s_cbranch_execnz .LBB444_56
.LBB444_32:                             ;   in Loop: Header=BB444_18 Depth=2
	s_wait_alu 0xfffe
	s_or_b32 exec_lo, exec_lo, s6
	s_and_saveexec_b32 s6, s1
.LBB444_33:                             ;   in Loop: Header=BB444_18 Depth=2
	ds_store_b32 v31, v0
.LBB444_34:                             ;   in Loop: Header=BB444_18 Depth=2
	s_wait_alu 0xfffe
	s_or_b32 exec_lo, exec_lo, s6
	ds_bpermute_b32 v41, v34, v40
	s_wait_loadcnt_dscnt 0x0
	s_barrier_signal -1
	s_barrier_wait -1
	global_inv scope:SCOPE_SE
	v_add_f32_e32 v40, v40, v41
	ds_bpermute_b32 v41, v35, v40
	s_wait_dscnt 0x0
	v_add_f32_e32 v40, v40, v41
	ds_bpermute_b32 v41, v36, v40
	s_wait_dscnt 0x0
	;; [unrolled: 3-line block ×3, first 2 shown]
	v_add_f32_e32 v40, v40, v41
	ds_bpermute_b32 v41, v38, v40
	s_and_saveexec_b32 s6, s3
	s_cbranch_execz .LBB444_36
; %bb.35:                               ;   in Loop: Header=BB444_18 Depth=2
	s_wait_dscnt 0x0
	v_add_f32_e32 v40, v40, v41
	ds_store_b32 v32, v40
.LBB444_36:                             ;   in Loop: Header=BB444_18 Depth=2
	s_wait_alu 0xfffe
	s_or_b32 exec_lo, exec_lo, s6
	v_mov_b32_e32 v40, 0
	s_wait_loadcnt_dscnt 0x0
	s_barrier_signal -1
	s_barrier_wait -1
	global_inv scope:SCOPE_SE
	s_and_saveexec_b32 s6, s2
	s_cbranch_execnz .LBB444_57
; %bb.37:                               ;   in Loop: Header=BB444_18 Depth=2
	s_wait_alu 0xfffe
	s_or_b32 exec_lo, exec_lo, s6
	s_and_saveexec_b32 s6, s1
	s_cbranch_execnz .LBB444_58
.LBB444_38:                             ;   in Loop: Header=BB444_18 Depth=2
	s_wait_alu 0xfffe
	s_or_b32 exec_lo, exec_lo, s6
	s_and_saveexec_b32 s6, s1
.LBB444_39:                             ;   in Loop: Header=BB444_18 Depth=2
	ds_store_b32 v31, v0
.LBB444_40:                             ;   in Loop: Header=BB444_18 Depth=2
	s_wait_alu 0xfffe
	s_or_b32 exec_lo, exec_lo, s6
	ds_bpermute_b32 v41, v34, v39
	s_wait_loadcnt_dscnt 0x0
	s_barrier_signal -1
	s_barrier_wait -1
	global_inv scope:SCOPE_SE
	v_add_f32_e32 v39, v39, v41
	ds_bpermute_b32 v41, v35, v39
	s_wait_dscnt 0x0
	v_add_f32_e32 v39, v39, v41
	ds_bpermute_b32 v41, v36, v39
	s_wait_dscnt 0x0
	;; [unrolled: 3-line block ×3, first 2 shown]
	v_add_f32_e32 v39, v39, v41
	ds_bpermute_b32 v41, v38, v39
	s_and_saveexec_b32 s6, s3
	s_cbranch_execz .LBB444_42
; %bb.41:                               ;   in Loop: Header=BB444_18 Depth=2
	s_wait_dscnt 0x0
	v_add_f32_e32 v39, v39, v41
	ds_store_b32 v32, v39
.LBB444_42:                             ;   in Loop: Header=BB444_18 Depth=2
	s_wait_alu 0xfffe
	s_or_b32 exec_lo, exec_lo, s6
	v_mov_b32_e32 v39, 0
	s_wait_loadcnt_dscnt 0x0
	s_barrier_signal -1
	s_barrier_wait -1
	global_inv scope:SCOPE_SE
	s_and_saveexec_b32 s6, s2
	s_cbranch_execnz .LBB444_59
; %bb.43:                               ;   in Loop: Header=BB444_18 Depth=2
	s_wait_alu 0xfffe
	s_or_b32 exec_lo, exec_lo, s6
	s_and_saveexec_b32 s6, s1
	s_cbranch_execnz .LBB444_60
.LBB444_44:                             ;   in Loop: Header=BB444_18 Depth=2
	s_wait_alu 0xfffe
	s_or_b32 exec_lo, exec_lo, s6
	s_and_saveexec_b32 s6, s0
	s_cbranch_execz .LBB444_17
	s_branch .LBB444_61
.LBB444_45:                             ;   in Loop: Header=BB444_18 Depth=2
	s_mul_u64 s[8:9], s[24:25], s[26:27]
	s_or_b32 s58, s24, 1
	s_mov_b32 s59, s25
	s_wait_alu 0xfffe
	s_lshl_b64 s[8:9], s[8:9], 1
	s_mul_u64 s[58:59], s[58:59], s[26:27]
	s_wait_alu 0xfffe
	v_add_co_u32 v1, vcc_lo, v15, s8
	s_wait_alu 0xfffd
	v_add_co_ci_u32_e64 v2, null, s9, v16, vcc_lo
	s_lshl_b64 s[8:9], s[58:59], 1
	s_or_b32 s58, s24, 2
	s_mov_b32 s59, s25
	s_wait_alu 0xfffe
	v_add_co_u32 v3, vcc_lo, v15, s8
	s_wait_alu 0xfffd
	v_add_co_ci_u32_e64 v4, null, s9, v16, vcc_lo
	s_mul_u64 s[8:9], s[58:59], s[26:27]
	s_or_b32 s58, s24, 3
	s_wait_alu 0xfffe
	s_lshl_b64 s[8:9], s[8:9], 1
	s_mul_u64 s[58:59], s[58:59], s[26:27]
	s_wait_alu 0xfffe
	v_add_co_u32 v29, vcc_lo, v15, s8
	s_wait_alu 0xfffd
	v_add_co_ci_u32_e64 v30, null, s9, v16, vcc_lo
	s_lshl_b64 s[8:9], s[58:59], 1
	s_wait_dscnt 0x0
	s_wait_alu 0xfffe
	v_add_co_u32 v39, vcc_lo, v15, s8
	s_wait_alu 0xfffd
	v_add_co_ci_u32_e64 v40, null, s9, v16, vcc_lo
	flat_load_u16 v47, v[19:20]
	s_clause 0x3
	flat_load_b64 v[41:42], v[1:2]
	flat_load_b64 v[43:44], v[3:4]
	;; [unrolled: 1-line block ×4, first 2 shown]
	s_clause 0x2
	flat_load_u16 v3, v[21:22]
	flat_load_u16 v4, v[23:24]
	;; [unrolled: 1-line block ×3, first 2 shown]
	s_wait_loadcnt_dscnt 0x707
	v_cvt_f32_f16_e32 v1, v47
	s_wait_loadcnt_dscnt 0x606
	v_fma_mix_f32 v40, v47, v41, 0 op_sel_hi:[1,1,0]
	s_wait_loadcnt_dscnt 0x505
	v_fma_mix_f32 v48, v47, v43, 0 op_sel_hi:[1,1,0]
	;; [unrolled: 2-line block ×4, first 2 shown]
	s_wait_loadcnt_dscnt 0x202
	v_cvt_f32_f16_e32 v2, v3
	v_fma_mix_f32 v40, v3, v41, v40 op_sel:[0,1,0] op_sel_hi:[1,1,0]
	v_fma_mix_f32 v41, v3, v43, v48 op_sel:[0,1,0] op_sel_hi:[1,1,0]
	;; [unrolled: 1-line block ×4, first 2 shown]
	s_wait_loadcnt_dscnt 0x101
	v_cvt_f32_f16_e32 v3, v4
	v_fma_mix_f32 v40, v4, v42, v40 op_sel_hi:[1,1,0]
	v_fma_mix_f32 v41, v4, v44, v41 op_sel_hi:[1,1,0]
	;; [unrolled: 1-line block ×4, first 2 shown]
	s_wait_loadcnt_dscnt 0x0
	v_cvt_f32_f16_e32 v4, v39
	v_fma_mix_f32 v42, v39, v42, v40 op_sel:[0,1,0] op_sel_hi:[1,1,0]
	v_fma_mix_f32 v41, v39, v44, v41 op_sel:[0,1,0] op_sel_hi:[1,1,0]
	;; [unrolled: 1-line block ×4, first 2 shown]
	s_and_not1_saveexec_b32 s11, s6
	s_cbranch_execz .LBB444_20
.LBB444_46:                             ;   in Loop: Header=BB444_18 Depth=2
	s_wait_dscnt 0x0
	v_dual_mov_b32 v39, 0 :: v_dual_mov_b32 v40, 0
	v_dual_mov_b32 v41, 0 :: v_dual_mov_b32 v42, 0
	s_and_saveexec_b32 s20, s5
	s_cbranch_execz .LBB444_63
; %bb.47:                               ;   in Loop: Header=BB444_18 Depth=2
	s_and_not1_b32 vcc_lo, exec_lo, s57
	s_wait_alu 0xfffe
	s_cbranch_vccnz .LBB444_50
; %bb.48:                               ;   in Loop: Header=BB444_18 Depth=2
	v_dual_mov_b32 v30, v20 :: v_dual_mov_b32 v29, v19
	s_mov_b64 s[8:9], 0
.LBB444_49:                             ;   Parent Loop BB444_3 Depth=1
                                        ;     Parent Loop BB444_18 Depth=2
                                        ; =>    This Inner Loop Header: Depth=3
	flat_load_u16 v39, v[29:30]
	s_wait_alu 0xfffe
	s_cmp_eq_u32 s8, 3
	v_add_co_u32 v29, vcc_lo, v29, s38
	s_wait_alu 0xfffd
	v_add_co_ci_u32_e64 v30, null, s39, v30, vcc_lo
	s_cselect_b32 vcc_lo, -1, 0
	s_cmp_eq_u32 s8, 2
	s_cselect_b32 s6, -1, 0
	s_cmp_eq_u32 s8, 1
	s_cselect_b32 s7, -1, 0
	s_cmp_eq_u32 s8, 0
	s_add_nc_u64 s[8:9], s[8:9], 1
	s_wait_loadcnt_dscnt 0x0
	v_cvt_f32_f16_e32 v39, v39
	s_wait_alu 0xfffe
	s_delay_alu instid0(VALU_DEP_1)
	v_cndmask_b32_e32 v4, v4, v39, vcc_lo
	s_cselect_b32 vcc_lo, -1, 0
	v_cndmask_b32_e64 v3, v3, v39, s6
	v_cndmask_b32_e64 v2, v2, v39, s7
	s_wait_alu 0xfffe
	v_cndmask_b32_e32 v1, v1, v39, vcc_lo
	s_cmp_eq_u32 s55, s8
	s_cbranch_scc0 .LBB444_49
.LBB444_50:                             ;   in Loop: Header=BB444_18 Depth=2
	s_and_not1_b32 vcc_lo, exec_lo, s57
	s_wait_alu 0xfffe
	s_cbranch_vccnz .LBB444_62
; %bb.51:                               ;   in Loop: Header=BB444_18 Depth=2
	v_dual_mov_b32 v30, v28 :: v_dual_mov_b32 v41, 0
	v_dual_mov_b32 v42, 0 :: v_dual_mov_b32 v29, v27
	;; [unrolled: 1-line block ×3, first 2 shown]
	s_mov_b64 s[8:9], 0
.LBB444_52:                             ;   Parent Loop BB444_3 Depth=1
                                        ;     Parent Loop BB444_18 Depth=2
                                        ; =>    This Inner Loop Header: Depth=3
	s_delay_alu instid0(VALU_DEP_2)
	v_add_co_u32 v43, vcc_lo, v29, s46
	s_wait_alu 0xfffd
	v_add_co_ci_u32_e64 v44, null, s47, v30, vcc_lo
	v_add_co_u32 v45, vcc_lo, v29, s44
	s_wait_alu 0xfffd
	v_add_co_ci_u32_e64 v46, null, s45, v30, vcc_lo
	;; [unrolled: 3-line block ×3, first 2 shown]
	s_clause 0x3
	flat_load_u16 v49, v[29:30]
	flat_load_u16 v43, v[43:44]
	;; [unrolled: 1-line block ×4, first 2 shown]
	s_wait_alu 0xfffe
	s_cmp_eq_u32 s8, 1
	v_add_co_u32 v29, s6, v29, 2
	s_cselect_b32 vcc_lo, -1, 0
	s_cmp_eq_u32 s8, 2
	s_wait_alu 0xfffe
	v_cndmask_b32_e32 v46, v1, v2, vcc_lo
	s_cselect_b32 vcc_lo, -1, 0
	s_cmp_eq_u32 s8, 3
	v_add_co_ci_u32_e64 v30, null, 0, v30, s6
	s_wait_alu 0xfffe
	v_cndmask_b32_e32 v46, v46, v3, vcc_lo
	s_cselect_b32 vcc_lo, -1, 0
	s_add_nc_u64 s[8:9], s[8:9], 1
	s_wait_alu 0xfffe
	s_cmp_lg_u32 s55, s8
	v_cndmask_b32_e32 v46, v46, v4, vcc_lo
	s_wait_loadcnt_dscnt 0x303
	s_delay_alu instid0(VALU_DEP_1)
	v_fma_mix_f32 v42, v46, v49, v42 op_sel_hi:[0,1,0]
	s_wait_loadcnt_dscnt 0x202
	v_fma_mix_f32 v41, v46, v43, v41 op_sel_hi:[0,1,0]
	s_wait_loadcnt_dscnt 0x101
	;; [unrolled: 2-line block ×3, first 2 shown]
	v_fma_mix_f32 v39, v46, v45, v39 op_sel_hi:[0,1,0]
	s_cbranch_scc1 .LBB444_52
	s_branch .LBB444_63
.LBB444_53:                             ;   in Loop: Header=BB444_18 Depth=2
	ds_load_b32 v29, v31
	s_wait_alu 0xfffe
	s_or_b32 exec_lo, exec_lo, s6
	s_and_saveexec_b32 s6, s1
	s_cbranch_execz .LBB444_26
.LBB444_54:                             ;   in Loop: Header=BB444_18 Depth=2
	s_wait_dscnt 0x0
	ds_bpermute_b32 v30, v36, v29
	s_wait_dscnt 0x0
	v_add_f32_e32 v29, v29, v30
	ds_bpermute_b32 v30, v37, v29
	s_wait_dscnt 0x0
	v_add_f32_e32 v29, v29, v30
	;; [unrolled: 3-line block ×3, first 2 shown]
	s_wait_alu 0xfffe
	s_or_b32 exec_lo, exec_lo, s6
	s_and_saveexec_b32 s6, s1
	s_cbranch_execnz .LBB444_27
	s_branch .LBB444_28
.LBB444_55:                             ;   in Loop: Header=BB444_18 Depth=2
	ds_load_b32 v30, v31
	s_wait_alu 0xfffe
	s_or_b32 exec_lo, exec_lo, s6
	s_and_saveexec_b32 s6, s1
	s_cbranch_execz .LBB444_32
.LBB444_56:                             ;   in Loop: Header=BB444_18 Depth=2
	s_wait_dscnt 0x0
	ds_bpermute_b32 v41, v36, v30
	s_wait_dscnt 0x0
	v_add_f32_e32 v30, v30, v41
	ds_bpermute_b32 v41, v37, v30
	s_wait_dscnt 0x0
	v_add_f32_e32 v30, v30, v41
	;; [unrolled: 3-line block ×3, first 2 shown]
	s_wait_alu 0xfffe
	s_or_b32 exec_lo, exec_lo, s6
	s_and_saveexec_b32 s6, s1
	s_cbranch_execnz .LBB444_33
	s_branch .LBB444_34
.LBB444_57:                             ;   in Loop: Header=BB444_18 Depth=2
	ds_load_b32 v40, v31
	s_wait_alu 0xfffe
	s_or_b32 exec_lo, exec_lo, s6
	s_and_saveexec_b32 s6, s1
	s_cbranch_execz .LBB444_38
.LBB444_58:                             ;   in Loop: Header=BB444_18 Depth=2
	s_wait_dscnt 0x0
	ds_bpermute_b32 v41, v36, v40
	s_wait_dscnt 0x0
	v_add_f32_e32 v40, v40, v41
	ds_bpermute_b32 v41, v37, v40
	s_wait_dscnt 0x0
	v_add_f32_e32 v40, v40, v41
	;; [unrolled: 3-line block ×3, first 2 shown]
	s_wait_alu 0xfffe
	s_or_b32 exec_lo, exec_lo, s6
	s_and_saveexec_b32 s6, s1
	s_cbranch_execnz .LBB444_39
	s_branch .LBB444_40
.LBB444_59:                             ;   in Loop: Header=BB444_18 Depth=2
	ds_load_b32 v39, v31
	s_wait_alu 0xfffe
	s_or_b32 exec_lo, exec_lo, s6
	s_and_saveexec_b32 s6, s1
	s_cbranch_execz .LBB444_44
.LBB444_60:                             ;   in Loop: Header=BB444_18 Depth=2
	s_wait_dscnt 0x0
	ds_bpermute_b32 v41, v36, v39
	s_wait_dscnt 0x0
	v_add_f32_e32 v39, v39, v41
	ds_bpermute_b32 v41, v37, v39
	s_wait_dscnt 0x0
	v_add_f32_e32 v39, v39, v41
	;; [unrolled: 3-line block ×3, first 2 shown]
	s_wait_alu 0xfffe
	s_or_b32 exec_lo, exec_lo, s6
	s_and_saveexec_b32 s6, s0
	s_cbranch_execz .LBB444_17
.LBB444_61:                             ;   in Loop: Header=BB444_18 Depth=2
	s_mul_u64 s[8:9], s[24:25], s[28:29]
	v_dual_mul_f32 v29, s22, v29 :: v_dual_mul_f32 v30, s22, v30
	s_or_b32 s58, s24, 1
	s_mov_b32 s59, s25
	s_wait_alu 0xfffe
	s_lshl_b64 s[8:9], s[8:9], 2
	s_mul_u64 s[58:59], s[58:59], s[28:29]
	s_wait_alu 0xfffe
	s_add_nc_u64 s[8:9], s[50:51], s[8:9]
	s_or_b32 s60, s24, 2
	s_mov_b32 s61, s25
	global_store_b32 v0, v29, s[8:9]
	s_lshl_b64 s[8:9], s[58:59], 2
	s_mul_u64 s[58:59], s[60:61], s[28:29]
	s_or_b32 s60, s24, 3
	s_wait_alu 0xfffe
	s_add_nc_u64 s[8:9], s[50:51], s[8:9]
	s_mul_u64 s[60:61], s[60:61], s[28:29]
	v_mul_f32_e32 v29, s22, v40
	global_store_b32 v0, v30, s[8:9]
	s_lshl_b64 s[8:9], s[58:59], 2
	s_wait_dscnt 0x0
	v_mul_f32_e32 v30, s22, v39
	s_lshl_b64 s[58:59], s[60:61], 2
	s_wait_alu 0xfffe
	s_add_nc_u64 s[8:9], s[50:51], s[8:9]
	s_add_nc_u64 s[58:59], s[50:51], s[58:59]
	s_clause 0x1
	global_store_b32 v0, v29, s[8:9]
	global_store_b32 v0, v30, s[58:59]
	s_branch .LBB444_17
.LBB444_62:                             ;   in Loop: Header=BB444_18 Depth=2
	v_dual_mov_b32 v39, 0 :: v_dual_mov_b32 v40, 0
	v_dual_mov_b32 v41, 0 :: v_dual_mov_b32 v42, 0
.LBB444_63:                             ;   in Loop: Header=BB444_18 Depth=2
	s_wait_alu 0xfffe
	s_or_b32 exec_lo, exec_lo, s20
	s_delay_alu instid0(SALU_CYCLE_1)
	s_or_b32 exec_lo, exec_lo, s11
	s_and_saveexec_b32 s6, s1
	s_cbranch_execnz .LBB444_21
	s_branch .LBB444_22
.LBB444_64:                             ;   in Loop: Header=BB444_3 Depth=1
	v_mov_b32_e32 v3, v0
	v_dual_mov_b32 v1, v0 :: v_dual_mov_b32 v2, v0
	s_mov_b32 s24, 0
	s_delay_alu instid0(VALU_DEP_2) | instskip(NEXT) | instid1(VALU_DEP_2)
	v_mov_b32_e32 v4, v3
	v_mov_b32_e32 v3, v2
	s_delay_alu instid0(VALU_DEP_3)
	v_mov_b32_e32 v2, v1
	v_mov_b32_e32 v1, v0
.LBB444_65:                             ;   in Loop: Header=BB444_3 Depth=1
	s_wait_alu 0xfffe
	s_cmp_ge_i32 s24, s21
	s_cbranch_scc1 .LBB444_2
; %bb.66:                               ;   in Loop: Header=BB444_3 Depth=1
	v_cmp_gt_u32_e32 vcc_lo, 24, v33
	s_wait_alu 0xfffd
	v_cndmask_b32_e64 v19, 0, 8, vcc_lo
	v_cmp_gt_u32_e32 vcc_lo, 28, v33
	s_delay_alu instid0(VALU_DEP_2) | instskip(SKIP_4) | instid1(VALU_DEP_3)
	v_add_lshl_u32 v29, v19, v33, 2
	s_wait_alu 0xfffd
	v_cndmask_b32_e64 v21, 0, 4, vcc_lo
	v_cmp_gt_u32_e32 vcc_lo, 30, v33
	v_mad_co_u64_u32 v[19:20], null, s46, s24, v[15:16]
	v_add_lshl_u32 v30, v21, v33, 2
	s_wait_alu 0xfffd
	v_cndmask_b32_e64 v22, 0, 2, vcc_lo
	v_cmp_ne_u32_e32 vcc_lo, 31, v33
	s_delay_alu instid0(VALU_DEP_2)
	v_add_lshl_u32 v35, v22, v33, 2
	s_wait_alu 0xfffd
	v_add_co_ci_u32_e64 v23, null, 0, v33, vcc_lo
	v_add_co_u32 v21, vcc_lo, v17, v5
	s_wait_alu 0xfffd
	v_add_co_ci_u32_e64 v22, null, v18, v6, vcc_lo
	s_delay_alu instid0(VALU_DEP_3)
	v_lshlrev_b32_e32 v36, 2, v23
	s_wait_dscnt 0x0
	v_mad_co_u64_u32 v[27:28], null, s47, s24, v[20:21]
	v_add_co_u32 v23, vcc_lo, v17, v9
	s_wait_alu 0xfffd
	v_add_co_ci_u32_e64 v24, null, v18, v10, vcc_lo
	v_add_co_u32 v25, vcc_lo, v17, v11
	s_wait_alu 0xfffd
	v_add_co_ci_u32_e64 v26, null, v18, v12, vcc_lo
	;; [unrolled: 3-line block ×3, first 2 shown]
	v_mov_b32_e32 v20, v27
	s_branch .LBB444_68
.LBB444_67:                             ;   in Loop: Header=BB444_68 Depth=2
	s_wait_alu 0xfffe
	s_or_b32 exec_lo, exec_lo, s6
	v_add_co_u32 v19, vcc_lo, v19, s46
	s_wait_alu 0xfffd
	v_add_co_ci_u32_e64 v20, null, s47, v20, vcc_lo
	s_add_co_i32 s24, s24, 1
	s_wait_alu 0xfffe
	s_cmp_ge_i32 s24, s21
	s_cbranch_scc1 .LBB444_2
.LBB444_68:                             ;   Parent Loop BB444_3 Depth=1
                                        ; =>  This Loop Header: Depth=2
                                        ;       Child Loop BB444_81 Depth 3
                                        ;       Child Loop BB444_84 Depth 3
	v_mov_b32_e32 v37, s25
	s_and_saveexec_b32 s6, s4
	s_wait_alu 0xfffe
	s_xor_b32 s6, exec_lo, s6
	s_cbranch_execnz .LBB444_77
; %bb.69:                               ;   in Loop: Header=BB444_68 Depth=2
	s_wait_alu 0xfffe
	s_and_not1_saveexec_b32 s11, s6
	s_cbranch_execnz .LBB444_78
.LBB444_70:                             ;   in Loop: Header=BB444_68 Depth=2
	s_or_b32 exec_lo, exec_lo, s11
	s_and_saveexec_b32 s6, s1
.LBB444_71:                             ;   in Loop: Header=BB444_68 Depth=2
	ds_store_b32 v31, v0
.LBB444_72:                             ;   in Loop: Header=BB444_68 Depth=2
	s_wait_alu 0xfffe
	s_or_b32 exec_lo, exec_lo, s6
	s_wait_dscnt 0x0
	ds_bpermute_b32 v27, v34, v37
	s_wait_storecnt 0x0
	s_wait_loadcnt_dscnt 0x0
	s_barrier_signal -1
	s_barrier_wait -1
	global_inv scope:SCOPE_SE
	v_add_f32_e32 v27, v37, v27
	ds_bpermute_b32 v28, v29, v27
	s_wait_dscnt 0x0
	v_add_f32_e32 v27, v27, v28
	ds_bpermute_b32 v28, v30, v27
	s_wait_dscnt 0x0
	;; [unrolled: 3-line block ×3, first 2 shown]
	v_add_f32_e32 v27, v27, v28
	ds_bpermute_b32 v28, v36, v27
	s_and_saveexec_b32 s6, s3
	s_cbranch_execz .LBB444_74
; %bb.73:                               ;   in Loop: Header=BB444_68 Depth=2
	s_wait_dscnt 0x0
	v_add_f32_e32 v27, v27, v28
	ds_store_b32 v32, v27
.LBB444_74:                             ;   in Loop: Header=BB444_68 Depth=2
	s_wait_alu 0xfffe
	s_or_b32 exec_lo, exec_lo, s6
	v_mov_b32_e32 v27, 0
	s_wait_loadcnt_dscnt 0x0
	s_barrier_signal -1
	s_barrier_wait -1
	global_inv scope:SCOPE_SE
	s_and_saveexec_b32 s6, s2
	s_cbranch_execnz .LBB444_86
; %bb.75:                               ;   in Loop: Header=BB444_68 Depth=2
	s_wait_alu 0xfffe
	s_or_b32 exec_lo, exec_lo, s6
	s_and_saveexec_b32 s6, s1
	s_cbranch_execnz .LBB444_87
.LBB444_76:                             ;   in Loop: Header=BB444_68 Depth=2
	s_wait_alu 0xfffe
	s_or_b32 exec_lo, exec_lo, s6
	s_and_saveexec_b32 s6, s0
	s_cbranch_execz .LBB444_67
	s_branch .LBB444_88
.LBB444_77:                             ;   in Loop: Header=BB444_68 Depth=2
	s_mul_u64 s[8:9], s[24:25], s[26:27]
	s_wait_alu 0xfffe
	s_lshl_b64 s[8:9], s[8:9], 1
	s_wait_alu 0xfffe
	v_add_co_u32 v1, vcc_lo, v15, s8
	s_wait_alu 0xfffd
	v_add_co_ci_u32_e64 v2, null, s9, v16, vcc_lo
	s_wait_dscnt 0x0
	flat_load_b64 v[27:28], v[1:2]
	s_clause 0x3
	flat_load_u16 v1, v[21:22]
	flat_load_u16 v2, v[23:24]
	;; [unrolled: 1-line block ×4, first 2 shown]
	s_wait_loadcnt_dscnt 0x303
	v_fma_mix_f32 v4, v1, v27, 0 op_sel_hi:[1,1,0]
	v_cvt_f32_f16_e32 v1, v1
	s_wait_loadcnt_dscnt 0x202
	s_delay_alu instid0(VALU_DEP_2) | instskip(SKIP_2) | instid1(VALU_DEP_2)
	v_fma_mix_f32 v4, v2, v27, v4 op_sel:[0,1,0] op_sel_hi:[1,1,0]
	v_cvt_f32_f16_e32 v2, v2
	s_wait_loadcnt_dscnt 0x101
	v_fma_mix_f32 v27, v3, v28, v4 op_sel_hi:[1,1,0]
	v_cvt_f32_f16_e32 v3, v3
	s_wait_loadcnt_dscnt 0x0
	v_cvt_f32_f16_e32 v4, v37
	s_delay_alu instid0(VALU_DEP_3)
	v_fma_mix_f32 v37, v37, v28, v27 op_sel:[0,1,0] op_sel_hi:[1,1,0]
	s_and_not1_saveexec_b32 s11, s6
	s_cbranch_execz .LBB444_70
.LBB444_78:                             ;   in Loop: Header=BB444_68 Depth=2
	s_and_saveexec_b32 s20, s5
	s_cbranch_execz .LBB444_85
; %bb.79:                               ;   in Loop: Header=BB444_68 Depth=2
	s_and_not1_b32 vcc_lo, exec_lo, s57
	s_wait_alu 0xfffe
	s_cbranch_vccnz .LBB444_82
; %bb.80:                               ;   in Loop: Header=BB444_68 Depth=2
	s_wait_dscnt 0x0
	v_dual_mov_b32 v28, v22 :: v_dual_mov_b32 v27, v21
	s_mov_b64 s[8:9], 0
.LBB444_81:                             ;   Parent Loop BB444_3 Depth=1
                                        ;     Parent Loop BB444_68 Depth=2
                                        ; =>    This Inner Loop Header: Depth=3
	flat_load_u16 v38, v[27:28]
	s_wait_alu 0xfffe
	s_cmp_eq_u32 s8, 3
	v_add_co_u32 v27, vcc_lo, v27, s38
	s_wait_alu 0xfffd
	v_add_co_ci_u32_e64 v28, null, s39, v28, vcc_lo
	s_cselect_b32 vcc_lo, -1, 0
	s_cmp_eq_u32 s8, 2
	s_cselect_b32 s6, -1, 0
	s_cmp_eq_u32 s8, 1
	s_cselect_b32 s7, -1, 0
	s_cmp_eq_u32 s8, 0
	s_add_nc_u64 s[8:9], s[8:9], 1
	s_wait_loadcnt_dscnt 0x0
	v_cvt_f32_f16_e32 v38, v38
	s_wait_alu 0xfffe
	s_delay_alu instid0(VALU_DEP_1)
	v_cndmask_b32_e32 v4, v4, v38, vcc_lo
	s_cselect_b32 vcc_lo, -1, 0
	v_cndmask_b32_e64 v3, v3, v38, s6
	v_cndmask_b32_e64 v2, v2, v38, s7
	s_wait_alu 0xfffe
	v_cndmask_b32_e32 v1, v1, v38, vcc_lo
	s_cmp_eq_u32 s55, s8
	s_cbranch_scc0 .LBB444_81
.LBB444_82:                             ;   in Loop: Header=BB444_68 Depth=2
	s_and_not1_b32 vcc_lo, exec_lo, s57
	s_wait_alu 0xfffe
	s_cbranch_vccnz .LBB444_85
; %bb.83:                               ;   in Loop: Header=BB444_68 Depth=2
	s_wait_dscnt 0x0
	v_dual_mov_b32 v28, v20 :: v_dual_mov_b32 v27, v19
	s_mov_b64 s[6:7], 0
.LBB444_84:                             ;   Parent Loop BB444_3 Depth=1
                                        ;     Parent Loop BB444_68 Depth=2
                                        ; =>    This Inner Loop Header: Depth=3
	flat_load_u16 v38, v[27:28]
	s_wait_alu 0xfffe
	s_cmp_eq_u32 s6, 1
	s_cselect_b32 vcc_lo, -1, 0
	s_cmp_eq_u32 s6, 2
	s_wait_dscnt 0x1
	s_wait_alu 0xfffe
	v_cndmask_b32_e32 v39, v1, v2, vcc_lo
	s_cselect_b32 vcc_lo, -1, 0
	s_cmp_eq_u32 s6, 3
	s_add_nc_u64 s[6:7], s[6:7], 1
	s_wait_alu 0xfffe
	v_cndmask_b32_e32 v39, v39, v3, vcc_lo
	s_cselect_b32 vcc_lo, -1, 0
	s_cmp_lg_u32 s55, s6
	s_wait_alu 0xfffe
	s_delay_alu instid0(VALU_DEP_1)
	v_cndmask_b32_e32 v39, v39, v4, vcc_lo
	v_add_co_u32 v27, vcc_lo, v27, 2
	s_wait_alu 0xfffd
	v_add_co_ci_u32_e64 v28, null, 0, v28, vcc_lo
	s_wait_loadcnt_dscnt 0x0
	v_fma_mix_f32 v37, v39, v38, v37 op_sel_hi:[0,1,0]
	s_cbranch_scc1 .LBB444_84
.LBB444_85:                             ;   in Loop: Header=BB444_68 Depth=2
	s_wait_alu 0xfffe
	s_or_b32 exec_lo, exec_lo, s20
	s_delay_alu instid0(SALU_CYCLE_1)
	s_or_b32 exec_lo, exec_lo, s11
	s_and_saveexec_b32 s6, s1
	s_cbranch_execnz .LBB444_71
	s_branch .LBB444_72
.LBB444_86:                             ;   in Loop: Header=BB444_68 Depth=2
	ds_load_b32 v27, v31
	s_wait_alu 0xfffe
	s_or_b32 exec_lo, exec_lo, s6
	s_and_saveexec_b32 s6, s1
	s_cbranch_execz .LBB444_76
.LBB444_87:                             ;   in Loop: Header=BB444_68 Depth=2
	s_wait_dscnt 0x0
	ds_bpermute_b32 v28, v30, v27
	s_wait_dscnt 0x0
	v_add_f32_e32 v27, v27, v28
	ds_bpermute_b32 v28, v35, v27
	s_wait_dscnt 0x0
	v_add_f32_e32 v27, v27, v28
	;; [unrolled: 3-line block ×3, first 2 shown]
	s_wait_alu 0xfffe
	s_or_b32 exec_lo, exec_lo, s6
	s_and_saveexec_b32 s6, s0
	s_cbranch_execz .LBB444_67
.LBB444_88:                             ;   in Loop: Header=BB444_68 Depth=2
	s_mul_u64 s[8:9], s[24:25], s[28:29]
	s_wait_dscnt 0x0
	v_mul_f32_e32 v27, s22, v27
	s_wait_alu 0xfffe
	s_lshl_b64 s[8:9], s[8:9], 2
	s_wait_alu 0xfffe
	s_add_nc_u64 s[8:9], s[50:51], s[8:9]
	global_store_b32 v0, v27, s[8:9]
	s_branch .LBB444_67
.LBB444_89:
	s_endpgm
	.section	.rodata,"a",@progbits
	.p2align	6, 0x0
	.amdhsa_kernel _ZL23rocblas_gemvt_sn_kernelILb0ELi256ELi4ElPKDF16_ffEviiT4_lPKT3_lilS5_lilPT5_i
		.amdhsa_group_segment_fixed_size 128
		.amdhsa_private_segment_fixed_size 0
		.amdhsa_kernarg_size 360
		.amdhsa_user_sgpr_count 2
		.amdhsa_user_sgpr_dispatch_ptr 0
		.amdhsa_user_sgpr_queue_ptr 0
		.amdhsa_user_sgpr_kernarg_segment_ptr 1
		.amdhsa_user_sgpr_dispatch_id 0
		.amdhsa_user_sgpr_private_segment_size 0
		.amdhsa_wavefront_size32 1
		.amdhsa_uses_dynamic_stack 0
		.amdhsa_enable_private_segment 0
		.amdhsa_system_sgpr_workgroup_id_x 1
		.amdhsa_system_sgpr_workgroup_id_y 0
		.amdhsa_system_sgpr_workgroup_id_z 1
		.amdhsa_system_sgpr_workgroup_info 0
		.amdhsa_system_vgpr_workitem_id 0
		.amdhsa_next_free_vgpr 50
		.amdhsa_next_free_sgpr 62
		.amdhsa_reserve_vcc 1
		.amdhsa_float_round_mode_32 0
		.amdhsa_float_round_mode_16_64 0
		.amdhsa_float_denorm_mode_32 3
		.amdhsa_float_denorm_mode_16_64 3
		.amdhsa_fp16_overflow 0
		.amdhsa_workgroup_processor_mode 1
		.amdhsa_memory_ordered 1
		.amdhsa_forward_progress 1
		.amdhsa_inst_pref_size 36
		.amdhsa_round_robin_scheduling 0
		.amdhsa_exception_fp_ieee_invalid_op 0
		.amdhsa_exception_fp_denorm_src 0
		.amdhsa_exception_fp_ieee_div_zero 0
		.amdhsa_exception_fp_ieee_overflow 0
		.amdhsa_exception_fp_ieee_underflow 0
		.amdhsa_exception_fp_ieee_inexact 0
		.amdhsa_exception_int_div_zero 0
	.end_amdhsa_kernel
	.section	.text._ZL23rocblas_gemvt_sn_kernelILb0ELi256ELi4ElPKDF16_ffEviiT4_lPKT3_lilS5_lilPT5_i,"axG",@progbits,_ZL23rocblas_gemvt_sn_kernelILb0ELi256ELi4ElPKDF16_ffEviiT4_lPKT3_lilS5_lilPT5_i,comdat
.Lfunc_end444:
	.size	_ZL23rocblas_gemvt_sn_kernelILb0ELi256ELi4ElPKDF16_ffEviiT4_lPKT3_lilS5_lilPT5_i, .Lfunc_end444-_ZL23rocblas_gemvt_sn_kernelILb0ELi256ELi4ElPKDF16_ffEviiT4_lPKT3_lilS5_lilPT5_i
                                        ; -- End function
	.set _ZL23rocblas_gemvt_sn_kernelILb0ELi256ELi4ElPKDF16_ffEviiT4_lPKT3_lilS5_lilPT5_i.num_vgpr, 50
	.set _ZL23rocblas_gemvt_sn_kernelILb0ELi256ELi4ElPKDF16_ffEviiT4_lPKT3_lilS5_lilPT5_i.num_agpr, 0
	.set _ZL23rocblas_gemvt_sn_kernelILb0ELi256ELi4ElPKDF16_ffEviiT4_lPKT3_lilS5_lilPT5_i.numbered_sgpr, 62
	.set _ZL23rocblas_gemvt_sn_kernelILb0ELi256ELi4ElPKDF16_ffEviiT4_lPKT3_lilS5_lilPT5_i.num_named_barrier, 0
	.set _ZL23rocblas_gemvt_sn_kernelILb0ELi256ELi4ElPKDF16_ffEviiT4_lPKT3_lilS5_lilPT5_i.private_seg_size, 0
	.set _ZL23rocblas_gemvt_sn_kernelILb0ELi256ELi4ElPKDF16_ffEviiT4_lPKT3_lilS5_lilPT5_i.uses_vcc, 1
	.set _ZL23rocblas_gemvt_sn_kernelILb0ELi256ELi4ElPKDF16_ffEviiT4_lPKT3_lilS5_lilPT5_i.uses_flat_scratch, 1
	.set _ZL23rocblas_gemvt_sn_kernelILb0ELi256ELi4ElPKDF16_ffEviiT4_lPKT3_lilS5_lilPT5_i.has_dyn_sized_stack, 0
	.set _ZL23rocblas_gemvt_sn_kernelILb0ELi256ELi4ElPKDF16_ffEviiT4_lPKT3_lilS5_lilPT5_i.has_recursion, 0
	.set _ZL23rocblas_gemvt_sn_kernelILb0ELi256ELi4ElPKDF16_ffEviiT4_lPKT3_lilS5_lilPT5_i.has_indirect_call, 0
	.section	.AMDGPU.csdata,"",@progbits
; Kernel info:
; codeLenInByte = 4600
; TotalNumSgprs: 64
; NumVgprs: 50
; ScratchSize: 0
; MemoryBound: 0
; FloatMode: 240
; IeeeMode: 1
; LDSByteSize: 128 bytes/workgroup (compile time only)
; SGPRBlocks: 0
; VGPRBlocks: 6
; NumSGPRsForWavesPerEU: 64
; NumVGPRsForWavesPerEU: 50
; Occupancy: 16
; WaveLimiterHint : 0
; COMPUTE_PGM_RSRC2:SCRATCH_EN: 0
; COMPUTE_PGM_RSRC2:USER_SGPR: 2
; COMPUTE_PGM_RSRC2:TRAP_HANDLER: 0
; COMPUTE_PGM_RSRC2:TGID_X_EN: 1
; COMPUTE_PGM_RSRC2:TGID_Y_EN: 0
; COMPUTE_PGM_RSRC2:TGID_Z_EN: 1
; COMPUTE_PGM_RSRC2:TIDIG_COMP_CNT: 0
	.section	.text._ZL23rocblas_gemvt_sn_reduceILi256ELi8EffKPDF16_EviT2_lPT3_lilPT1_i,"axG",@progbits,_ZL23rocblas_gemvt_sn_reduceILi256ELi8EffKPDF16_EviT2_lPT3_lilPT1_i,comdat
	.globl	_ZL23rocblas_gemvt_sn_reduceILi256ELi8EffKPDF16_EviT2_lPT3_lilPT1_i ; -- Begin function _ZL23rocblas_gemvt_sn_reduceILi256ELi8EffKPDF16_EviT2_lPT3_lilPT1_i
	.p2align	8
	.type	_ZL23rocblas_gemvt_sn_reduceILi256ELi8EffKPDF16_EviT2_lPT3_lilPT1_i,@function
_ZL23rocblas_gemvt_sn_reduceILi256ELi8EffKPDF16_EviT2_lPT3_lilPT1_i: ; @_ZL23rocblas_gemvt_sn_reduceILi256ELi8EffKPDF16_EviT2_lPT3_lilPT1_i
; %bb.0:
	s_load_b32 s24, s[0:1], 0x38
	s_lshr_b32 s12, ttmp7, 16
	s_wait_kmcnt 0x0
	s_cmp_ge_u32 s12, s24
	s_cbranch_scc1 .LBB445_21
; %bb.1:
	s_clause 0x5
	s_load_b32 s25, s[0:1], 0x44
	s_load_b32 s2, s[0:1], 0x4c
	;; [unrolled: 1-line block ×3, first 2 shown]
	s_load_b64 s[6:7], s[0:1], 0x0
	s_load_b64 s[14:15], s[0:1], 0x30
	s_load_b128 s[8:11], s[0:1], 0x10
	v_mbcnt_lo_u32_b32 v4, -1, 0
	v_and_b32_e32 v3, 31, v0
	v_dual_mov_b32 v2, 0 :: v_dual_lshlrev_b32 v9, 3, v0
	v_cmp_gt_u32_e64 s0, 32, v0
	s_delay_alu instid0(VALU_DEP_4) | instskip(NEXT) | instid1(VALU_DEP_4)
	v_cmp_gt_u32_e32 vcc_lo, 24, v4
	v_lshlrev_b32_e32 v10, 2, v3
	v_cmp_eq_u32_e64 s3, 0, v3
	v_lshlrev_b32_e32 v3, 5, v0
	v_cmp_gt_u32_e64 s4, 8, v0
	v_cndmask_b32_e64 v5, 0, 8, vcc_lo
	v_cmp_gt_u32_e32 vcc_lo, 28, v4
	v_cmp_eq_u32_e64 s5, 0, v0
	v_lshl_or_b32 v11, v4, 2, 64
	s_mov_b32 s13, 0
	s_wait_kmcnt 0x0
	s_and_b32 s30, s2, 0xffff
	s_wait_alu 0xfffd
	v_cndmask_b32_e64 v6, 0, 4, vcc_lo
	s_ashr_i32 s19, s6, 31
	v_cmp_gt_u32_e32 vcc_lo, 30, v4
	s_lshr_b32 s1, s19, 29
	s_mov_b32 s18, s6
	s_add_co_i32 s1, s6, s1
	v_xad_u32 v1, v0, -1, s6
	s_and_b32 s26, s1, -8
	s_wait_alu 0xfffd
	v_cndmask_b32_e64 v7, 0, 2, vcc_lo
	v_cmp_ne_u32_e32 vcc_lo, 31, v4
	s_sub_co_i32 s2, s6, s26
	v_add_lshl_u32 v12, v5, v4, 2
	v_cmp_gt_u32_e64 s2, s2, v0
	v_lshrrev_b32_e32 v5, 3, v0
	v_add_co_u32 v0, s6, s14, v3
	s_wait_alu 0xfffd
	v_add_co_ci_u32_e64 v8, null, 0, v4, vcc_lo
	v_add_lshl_u32 v13, v6, v4, 2
	v_add_lshl_u32 v14, v7, v4, 2
	s_wait_alu 0xf1ff
	v_add_co_ci_u32_e64 v4, null, s15, 0, s6
	s_and_b32 s16, ttmp7, 0xffff
	s_ashr_i32 s21, s20, 31
	s_lshl_b32 s27, s30, 3
	v_add_co_u32 v3, vcc_lo, v0, 28
	s_cmp_neq_f32 s7, 0
	s_mov_b32 s17, s13
	v_lshlrev_b64_e32 v[0:1], 2, v[1:2]
	v_cmp_gt_i32_e64 s1, s26, v9
	v_lshlrev_b32_e32 v15, 2, v8
	v_and_b32_e32 v16, 28, v5
	s_wait_alu 0xfffd
	v_add_co_ci_u32_e64 v4, null, 0, v4, vcc_lo
	s_mul_u64 s[22:23], s[20:21], s[16:17]
	s_mul_i32 s6, s12, s25
	s_cselect_b32 s28, -1, 0
	s_lshl_b64 s[20:21], s[18:19], 2
	s_wait_alu 0xfffe
	s_add_co_i32 s17, s16, s6
	s_lshl_b32 s29, s25, 16
	s_lshl_b32 s30, s30, 5
	s_lshl_b64 s[10:11], s[10:11], 1
	s_lshl_b64 s[22:23], s[22:23], 1
	s_branch .LBB445_4
.LBB445_2:                              ;   in Loop: Header=BB445_4 Depth=1
	v_add_co_u32 v5, vcc_lo, v5, s22
	s_wait_dscnt 0x0
	s_delay_alu instid0(VALU_DEP_2)
	v_cvt_f16_f32_e32 v7, v7
	s_wait_alu 0xfffd
	v_add_co_ci_u32_e64 v6, null, s23, v6, vcc_lo
	flat_store_b16 v[5:6], v7
.LBB445_3:                              ;   in Loop: Header=BB445_4 Depth=1
	s_wait_alu 0xfffe
	s_or_b32 exec_lo, exec_lo, s6
	s_add_co_i32 s12, s12, 0x10000
	s_add_co_i32 s17, s17, s29
	s_cmp_lt_u32 s12, s24
	s_cbranch_scc0 .LBB445_21
.LBB445_4:                              ; =>This Loop Header: Depth=1
                                        ;     Child Loop BB445_14 Depth 2
	s_lshl_b64 s[34:35], s[12:13], 3
	v_mov_b32_e32 v17, 0
	s_wait_alu 0xfffe
	s_add_nc_u64 s[34:35], s[8:9], s[34:35]
	global_load_b64 v[5:6], v2, s[34:35]
	s_and_saveexec_b32 s31, s1
	s_cbranch_execnz .LBB445_13
; %bb.5:                                ;   in Loop: Header=BB445_4 Depth=1
	s_wait_alu 0xfffe
	s_or_b32 exec_lo, exec_lo, s31
	s_and_saveexec_b32 s6, s2
	s_cbranch_execnz .LBB445_16
.LBB445_6:                              ;   in Loop: Header=BB445_4 Depth=1
	s_wait_alu 0xfffe
	s_or_b32 exec_lo, exec_lo, s6
	s_and_saveexec_b32 s6, s0
.LBB445_7:                              ;   in Loop: Header=BB445_4 Depth=1
	ds_store_b32 v10, v2
.LBB445_8:                              ;   in Loop: Header=BB445_4 Depth=1
	s_wait_alu 0xfffe
	s_or_b32 exec_lo, exec_lo, s6
	s_wait_dscnt 0x0
	ds_bpermute_b32 v7, v11, v17
	s_wait_loadcnt_dscnt 0x0
	s_barrier_signal -1
	s_barrier_wait -1
	global_inv scope:SCOPE_SE
	v_add_f32_e32 v7, v17, v7
	ds_bpermute_b32 v8, v12, v7
	s_wait_dscnt 0x0
	v_add_f32_e32 v7, v7, v8
	ds_bpermute_b32 v8, v13, v7
	s_wait_dscnt 0x0
	;; [unrolled: 3-line block ×3, first 2 shown]
	v_add_f32_e32 v7, v7, v8
	ds_bpermute_b32 v8, v15, v7
	s_and_saveexec_b32 s6, s3
	s_cbranch_execz .LBB445_10
; %bb.9:                                ;   in Loop: Header=BB445_4 Depth=1
	s_wait_dscnt 0x0
	v_add_f32_e32 v7, v7, v8
	ds_store_b32 v16, v7
.LBB445_10:                             ;   in Loop: Header=BB445_4 Depth=1
	s_wait_alu 0xfffe
	s_or_b32 exec_lo, exec_lo, s6
	v_mov_b32_e32 v7, 0
	s_wait_loadcnt_dscnt 0x0
	s_barrier_signal -1
	s_barrier_wait -1
	global_inv scope:SCOPE_SE
	s_and_saveexec_b32 s6, s4
	s_cbranch_execnz .LBB445_17
; %bb.11:                               ;   in Loop: Header=BB445_4 Depth=1
	s_wait_alu 0xfffe
	s_or_b32 exec_lo, exec_lo, s6
	s_and_saveexec_b32 s6, s0
	s_cbranch_execnz .LBB445_18
.LBB445_12:                             ;   in Loop: Header=BB445_4 Depth=1
	s_wait_alu 0xfffe
	s_or_b32 exec_lo, exec_lo, s6
	s_and_saveexec_b32 s6, s5
	s_cbranch_execz .LBB445_3
	s_branch .LBB445_19
.LBB445_13:                             ;   in Loop: Header=BB445_4 Depth=1
	s_wait_dscnt 0x0
	v_mad_co_u64_u32 v[7:8], null, s20, s17, v[3:4]
	s_mov_b32 s33, 0
	v_mad_co_u64_u32 v[18:19], null, s21, s17, v[8:9]
	s_delay_alu instid0(VALU_DEP_1)
	v_dual_mov_b32 v17, 0 :: v_dual_mov_b32 v8, v18
	v_mov_b32_e32 v18, v9
.LBB445_14:                             ;   Parent Loop BB445_4 Depth=1
                                        ; =>  This Inner Loop Header: Depth=2
	s_clause 0x1
	global_load_b128 v[19:22], v[7:8], off offset:-28
	global_load_b128 v[23:26], v[7:8], off offset:-12
	v_add_co_u32 v7, vcc_lo, v7, s30
	s_wait_alu 0xfffd
	v_add_co_ci_u32_e64 v8, null, 0, v8, vcc_lo
	v_add_nc_u32_e32 v18, s27, v18
	s_delay_alu instid0(VALU_DEP_1) | instskip(SKIP_3) | instid1(VALU_DEP_1)
	v_cmp_le_i32_e64 s6, s26, v18
	s_or_b32 s33, s6, s33
	s_wait_loadcnt 0x1
	v_add_f32_e32 v17, v17, v19
	v_add_f32_e32 v17, v17, v20
	s_delay_alu instid0(VALU_DEP_1) | instskip(NEXT) | instid1(VALU_DEP_1)
	v_add_f32_e32 v17, v17, v21
	v_add_f32_e32 v17, v17, v22
	s_wait_loadcnt 0x0
	s_delay_alu instid0(VALU_DEP_1) | instskip(NEXT) | instid1(VALU_DEP_1)
	v_add_f32_e32 v17, v17, v23
	v_add_f32_e32 v17, v17, v24
	s_delay_alu instid0(VALU_DEP_1) | instskip(NEXT) | instid1(VALU_DEP_1)
	v_add_f32_e32 v17, v17, v25
	v_add_f32_e32 v17, v17, v26
	s_and_not1_b32 exec_lo, exec_lo, s33
	s_cbranch_execnz .LBB445_14
; %bb.15:                               ;   in Loop: Header=BB445_4 Depth=1
	s_or_b32 exec_lo, exec_lo, s33
	s_wait_alu 0xfffe
	s_or_b32 exec_lo, exec_lo, s31
	s_and_saveexec_b32 s6, s2
	s_cbranch_execz .LBB445_6
.LBB445_16:                             ;   in Loop: Header=BB445_4 Depth=1
	s_mul_i32 s31, s25, s12
	s_mov_b32 s35, s13
	s_wait_alu 0xfffe
	s_add_co_i32 s34, s31, s16
	s_wait_alu 0xfffe
	s_mul_u64 s[34:35], s[34:35], s[18:19]
	s_wait_alu 0xfffe
	s_lshl_b64 s[34:35], s[34:35], 2
	s_wait_alu 0xfffe
	s_add_nc_u64 s[34:35], s[14:15], s[34:35]
	s_wait_dscnt 0x0
	s_wait_alu 0xfffe
	v_add_co_u32 v7, vcc_lo, s34, v0
	s_wait_alu 0xfffd
	v_add_co_ci_u32_e64 v8, null, s35, v1, vcc_lo
	global_load_b32 v7, v[7:8], off
	s_wait_loadcnt 0x0
	v_add_f32_e32 v17, v17, v7
	s_or_b32 exec_lo, exec_lo, s6
	s_and_saveexec_b32 s6, s0
	s_cbranch_execnz .LBB445_7
	s_branch .LBB445_8
.LBB445_17:                             ;   in Loop: Header=BB445_4 Depth=1
	ds_load_b32 v7, v10
	s_wait_alu 0xfffe
	s_or_b32 exec_lo, exec_lo, s6
	s_and_saveexec_b32 s6, s0
	s_cbranch_execz .LBB445_12
.LBB445_18:                             ;   in Loop: Header=BB445_4 Depth=1
	s_wait_dscnt 0x0
	ds_bpermute_b32 v8, v13, v7
	s_wait_dscnt 0x0
	v_add_f32_e32 v7, v7, v8
	ds_bpermute_b32 v8, v14, v7
	s_wait_dscnt 0x0
	v_add_f32_e32 v7, v7, v8
	;; [unrolled: 3-line block ×3, first 2 shown]
	s_wait_alu 0xfffe
	s_or_b32 exec_lo, exec_lo, s6
	s_and_saveexec_b32 s6, s5
	s_cbranch_execz .LBB445_3
.LBB445_19:                             ;   in Loop: Header=BB445_4 Depth=1
	v_add_co_u32 v5, vcc_lo, v5, s10
	s_wait_alu 0xfffd
	v_add_co_ci_u32_e64 v6, null, s11, v6, vcc_lo
	s_and_not1_b32 vcc_lo, exec_lo, s28
	s_wait_alu 0xfffe
	s_cbranch_vccnz .LBB445_2
; %bb.20:                               ;   in Loop: Header=BB445_4 Depth=1
	v_add_co_u32 v17, vcc_lo, v5, s22
	s_wait_alu 0xfffd
	v_add_co_ci_u32_e64 v18, null, s23, v6, vcc_lo
	flat_load_u16 v8, v[17:18]
	s_wait_loadcnt_dscnt 0x0
	v_fma_mix_f32 v7, s7, v8, v7 op_sel_hi:[0,1,0]
	s_branch .LBB445_2
.LBB445_21:
	s_endpgm
	.section	.rodata,"a",@progbits
	.p2align	6, 0x0
	.amdhsa_kernel _ZL23rocblas_gemvt_sn_reduceILi256ELi8EffKPDF16_EviT2_lPT3_lilPT1_i
		.amdhsa_group_segment_fixed_size 128
		.amdhsa_private_segment_fixed_size 0
		.amdhsa_kernarg_size 320
		.amdhsa_user_sgpr_count 2
		.amdhsa_user_sgpr_dispatch_ptr 0
		.amdhsa_user_sgpr_queue_ptr 0
		.amdhsa_user_sgpr_kernarg_segment_ptr 1
		.amdhsa_user_sgpr_dispatch_id 0
		.amdhsa_user_sgpr_private_segment_size 0
		.amdhsa_wavefront_size32 1
		.amdhsa_uses_dynamic_stack 0
		.amdhsa_enable_private_segment 0
		.amdhsa_system_sgpr_workgroup_id_x 1
		.amdhsa_system_sgpr_workgroup_id_y 1
		.amdhsa_system_sgpr_workgroup_id_z 1
		.amdhsa_system_sgpr_workgroup_info 0
		.amdhsa_system_vgpr_workitem_id 0
		.amdhsa_next_free_vgpr 27
		.amdhsa_next_free_sgpr 36
		.amdhsa_reserve_vcc 1
		.amdhsa_float_round_mode_32 0
		.amdhsa_float_round_mode_16_64 0
		.amdhsa_float_denorm_mode_32 3
		.amdhsa_float_denorm_mode_16_64 3
		.amdhsa_fp16_overflow 0
		.amdhsa_workgroup_processor_mode 1
		.amdhsa_memory_ordered 1
		.amdhsa_forward_progress 1
		.amdhsa_inst_pref_size 10
		.amdhsa_round_robin_scheduling 0
		.amdhsa_exception_fp_ieee_invalid_op 0
		.amdhsa_exception_fp_denorm_src 0
		.amdhsa_exception_fp_ieee_div_zero 0
		.amdhsa_exception_fp_ieee_overflow 0
		.amdhsa_exception_fp_ieee_underflow 0
		.amdhsa_exception_fp_ieee_inexact 0
		.amdhsa_exception_int_div_zero 0
	.end_amdhsa_kernel
	.section	.text._ZL23rocblas_gemvt_sn_reduceILi256ELi8EffKPDF16_EviT2_lPT3_lilPT1_i,"axG",@progbits,_ZL23rocblas_gemvt_sn_reduceILi256ELi8EffKPDF16_EviT2_lPT3_lilPT1_i,comdat
.Lfunc_end445:
	.size	_ZL23rocblas_gemvt_sn_reduceILi256ELi8EffKPDF16_EviT2_lPT3_lilPT1_i, .Lfunc_end445-_ZL23rocblas_gemvt_sn_reduceILi256ELi8EffKPDF16_EviT2_lPT3_lilPT1_i
                                        ; -- End function
	.set _ZL23rocblas_gemvt_sn_reduceILi256ELi8EffKPDF16_EviT2_lPT3_lilPT1_i.num_vgpr, 27
	.set _ZL23rocblas_gemvt_sn_reduceILi256ELi8EffKPDF16_EviT2_lPT3_lilPT1_i.num_agpr, 0
	.set _ZL23rocblas_gemvt_sn_reduceILi256ELi8EffKPDF16_EviT2_lPT3_lilPT1_i.numbered_sgpr, 36
	.set _ZL23rocblas_gemvt_sn_reduceILi256ELi8EffKPDF16_EviT2_lPT3_lilPT1_i.num_named_barrier, 0
	.set _ZL23rocblas_gemvt_sn_reduceILi256ELi8EffKPDF16_EviT2_lPT3_lilPT1_i.private_seg_size, 0
	.set _ZL23rocblas_gemvt_sn_reduceILi256ELi8EffKPDF16_EviT2_lPT3_lilPT1_i.uses_vcc, 1
	.set _ZL23rocblas_gemvt_sn_reduceILi256ELi8EffKPDF16_EviT2_lPT3_lilPT1_i.uses_flat_scratch, 0
	.set _ZL23rocblas_gemvt_sn_reduceILi256ELi8EffKPDF16_EviT2_lPT3_lilPT1_i.has_dyn_sized_stack, 0
	.set _ZL23rocblas_gemvt_sn_reduceILi256ELi8EffKPDF16_EviT2_lPT3_lilPT1_i.has_recursion, 0
	.set _ZL23rocblas_gemvt_sn_reduceILi256ELi8EffKPDF16_EviT2_lPT3_lilPT1_i.has_indirect_call, 0
	.section	.AMDGPU.csdata,"",@progbits
; Kernel info:
; codeLenInByte = 1240
; TotalNumSgprs: 38
; NumVgprs: 27
; ScratchSize: 0
; MemoryBound: 0
; FloatMode: 240
; IeeeMode: 1
; LDSByteSize: 128 bytes/workgroup (compile time only)
; SGPRBlocks: 0
; VGPRBlocks: 3
; NumSGPRsForWavesPerEU: 38
; NumVGPRsForWavesPerEU: 27
; Occupancy: 16
; WaveLimiterHint : 1
; COMPUTE_PGM_RSRC2:SCRATCH_EN: 0
; COMPUTE_PGM_RSRC2:USER_SGPR: 2
; COMPUTE_PGM_RSRC2:TRAP_HANDLER: 0
; COMPUTE_PGM_RSRC2:TGID_X_EN: 1
; COMPUTE_PGM_RSRC2:TGID_Y_EN: 1
; COMPUTE_PGM_RSRC2:TGID_Z_EN: 1
; COMPUTE_PGM_RSRC2:TIDIG_COMP_CNT: 0
	.section	.text._ZL32rocblas_gemvt_warp_reduce_kernelILb0ELi256EiPKDF16_PKfKPDF16_EviiT3_lPKT2_lT1_lS9_lSA_lS6_lPT4_lSA_li,"axG",@progbits,_ZL32rocblas_gemvt_warp_reduce_kernelILb0ELi256EiPKDF16_PKfKPDF16_EviiT3_lPKT2_lT1_lS9_lSA_lS6_lPT4_lSA_li,comdat
	.globl	_ZL32rocblas_gemvt_warp_reduce_kernelILb0ELi256EiPKDF16_PKfKPDF16_EviiT3_lPKT2_lT1_lS9_lSA_lS6_lPT4_lSA_li ; -- Begin function _ZL32rocblas_gemvt_warp_reduce_kernelILb0ELi256EiPKDF16_PKfKPDF16_EviiT3_lPKT2_lT1_lS9_lSA_lS6_lPT4_lSA_li
	.p2align	8
	.type	_ZL32rocblas_gemvt_warp_reduce_kernelILb0ELi256EiPKDF16_PKfKPDF16_EviiT3_lPKT2_lT1_lS9_lSA_lS6_lPT4_lSA_li,@function
_ZL32rocblas_gemvt_warp_reduce_kernelILb0ELi256EiPKDF16_PKfKPDF16_EviiT3_lPKT2_lT1_lS9_lSA_lS6_lPT4_lSA_li: ; @_ZL32rocblas_gemvt_warp_reduce_kernelILb0ELi256EiPKDF16_PKfKPDF16_EviiT3_lPKT2_lT1_lS9_lSA_lS6_lPT4_lSA_li
; %bb.0:
	s_load_b32 s33, s[0:1], 0x88
	s_lshr_b32 s28, ttmp7, 16
	s_wait_kmcnt 0x0
	s_cmp_ge_u32 s28, s33
	s_cbranch_scc1 .LBB446_38
; %bb.1:
	s_clause 0x6
	s_load_b32 s5, s[0:1], 0x0
	s_load_b256 s[8:15], s[0:1], 0x8
	s_load_b32 s4, s[0:1], 0x78
	s_load_b32 s7, s[0:1], 0x28
	s_load_b128 s[24:27], s[0:1], 0x38
	s_load_b32 s31, s[0:1], 0x48
	s_load_b256 s[16:23], s[0:1], 0x58
	v_lshrrev_b32_e32 v2, 3, v0
	v_and_b32_e32 v1, 31, v0
	v_mov_b32_e32 v11, 0
	v_mbcnt_lo_u32_b32 v15, -1, 0
	v_cmp_eq_u32_e64 s0, 0, v0
	v_and_b32_e32 v13, 28, v2
	v_lshlrev_b32_e32 v12, 2, v1
	v_cmp_gt_u32_e64 s1, 32, v0
	v_cmp_gt_u32_e64 s2, 8, v0
	v_lshl_or_b32 v17, v15, 2, 64
	s_mov_b32 s29, 0
	s_wait_kmcnt 0x0
	s_ashr_i32 s3, s5, 31
	v_cmp_gt_i32_e32 vcc_lo, s5, v0
	s_lshr_b32 s3, s3, 24
	s_mul_i32 s36, s7, ttmp9
	s_add_co_i32 s6, s5, s3
	v_cmp_eq_u32_e64 s3, 0, v1
	s_and_b32 s30, s6, 0xffffff00
	v_cndmask_b32_e32 v3, 0, v0, vcc_lo
	v_or_b32_e32 v2, s30, v0
	v_mul_lo_u32 v14, v0, s31
	s_mul_i32 s6, s4, ttmp9
	v_cmp_gt_i32_e64 s4, s30, v0
	v_lshlrev_b32_e32 v16, 1, v3
	v_mul_lo_u32 v1, s31, v2
	v_cmp_gt_i32_e64 s5, s5, v2
	s_lshl_b32 s40, s31, 8
	s_ashr_i32 s7, s6, 31
	s_ashr_i32 s37, s36, 31
	;; [unrolled: 1-line block ×3, first 2 shown]
	s_lshl_b64 s[14:15], s[14:15], 1
	s_lshl_b64 s[26:27], s[26:27], 1
	v_ashrrev_i32_e32 v2, 31, v1
	s_lshl_b64 s[22:23], s[22:23], 1
	s_lshl_b64 s[34:35], s[6:7], 1
	;; [unrolled: 1-line block ×3, first 2 shown]
	s_wait_alu 0xfffe
	s_lshl_b64 s[38:39], s[30:31], 1
	v_lshlrev_b64_e32 v[1:2], 1, v[1:2]
	s_branch .LBB446_4
.LBB446_2:                              ;   in Loop: Header=BB446_4 Depth=1
	s_or_b32 exec_lo, exec_lo, s6
.LBB446_3:                              ;   in Loop: Header=BB446_4 Depth=1
	s_add_co_i32 s28, s28, 0x10000
	s_delay_alu instid0(SALU_CYCLE_1)
	s_cmp_lt_u32 s28, s33
	s_cbranch_scc0 .LBB446_38
.LBB446_4:                              ; =>This Loop Header: Depth=1
                                        ;     Child Loop BB446_27 Depth 2
	s_mul_u64 s[6:7], s[10:11], s[28:29]
	s_mul_u64 s[42:43], s[18:19], s[28:29]
	s_lshl_b64 s[6:7], s[6:7], 2
	s_lshl_b64 s[42:43], s[42:43], 2
	s_add_nc_u64 s[6:7], s[8:9], s[6:7]
	s_add_nc_u64 s[42:43], s[16:17], s[42:43]
	s_clause 0x1
	global_load_b32 v18, v11, s[6:7]
	global_load_b32 v3, v11, s[42:43]
	s_wait_loadcnt 0x1
	v_cmp_eq_f32_e64 s6, 0, v18
	s_wait_loadcnt 0x0
	v_cmp_eq_f32_e32 vcc_lo, 1.0, v3
	v_readfirstlane_b32 s31, v3
	s_and_b32 s7, s6, vcc_lo
	s_delay_alu instid0(SALU_CYCLE_1)
	s_and_b32 vcc_lo, exec_lo, s7
	s_wait_alu 0xfffe
	s_cbranch_vccnz .LBB446_3
; %bb.5:                                ;   in Loop: Header=BB446_4 Depth=1
	v_mov_b32_e32 v3, 0
	s_wait_dscnt 0x0
	v_dual_mov_b32 v4, 0 :: v_dual_mov_b32 v5, 0
	v_cmp_neq_f32_e64 s7, 0, v18
	v_mov_b32_e32 v6, 0
	s_and_b32 vcc_lo, exec_lo, s6
	s_wait_alu 0xfffe
	s_cbranch_vccnz .LBB446_7
; %bb.6:                                ;   in Loop: Header=BB446_4 Depth=1
	s_lshl_b64 s[42:43], s[28:29], 3
	s_delay_alu instid0(SALU_CYCLE_1)
	s_add_nc_u64 s[42:43], s[12:13], s[42:43]
	global_load_b64 v[5:6], v11, s[42:43]
	s_wait_loadcnt 0x0
	v_add_co_u32 v5, vcc_lo, v5, s14
	s_wait_alu 0xfffd
	v_add_co_ci_u32_e64 v6, null, s15, v6, vcc_lo
.LBB446_7:                              ;   in Loop: Header=BB446_4 Depth=1
	s_and_not1_b32 vcc_lo, exec_lo, s7
	s_wait_alu 0xfffe
	s_cbranch_vccnz .LBB446_9
; %bb.8:                                ;   in Loop: Header=BB446_4 Depth=1
	s_lshl_b64 s[42:43], s[28:29], 3
	s_delay_alu instid0(SALU_CYCLE_1)
	s_add_nc_u64 s[42:43], s[24:25], s[42:43]
	global_load_b64 v[3:4], v11, s[42:43]
	s_wait_loadcnt 0x0
	v_add_co_u32 v3, vcc_lo, v3, s26
	s_wait_alu 0xfffd
	v_add_co_ci_u32_e64 v4, null, s27, v4, vcc_lo
.LBB446_9:                              ;   in Loop: Header=BB446_4 Depth=1
	s_lshl_b64 s[42:43], s[28:29], 3
	s_delay_alu instid0(SALU_CYCLE_1)
	s_add_nc_u64 s[42:43], s[20:21], s[42:43]
	global_load_b64 v[7:8], v11, s[42:43]
	s_wait_loadcnt 0x0
	v_add_co_u32 v19, vcc_lo, v7, s22
	s_wait_alu 0xfffd
	v_add_co_ci_u32_e64 v20, null, s23, v8, vcc_lo
	s_and_not1_b32 vcc_lo, exec_lo, s6
	s_wait_alu 0xfffe
	s_cbranch_vccnz .LBB446_13
; %bb.10:                               ;   in Loop: Header=BB446_4 Depth=1
	s_mov_b32 s6, 0
	s_mov_b32 s7, 0
                                        ; implicit-def: $vgpr7
	s_and_saveexec_b32 s41, s0
	s_cbranch_execz .LBB446_14
; %bb.11:                               ;   in Loop: Header=BB446_4 Depth=1
	s_cmp_eq_f32 s31, 0
	s_cbranch_scc1 .LBB446_15
; %bb.12:                               ;   in Loop: Header=BB446_4 Depth=1
	v_add_co_u32 v7, vcc_lo, v19, s34
	s_wait_alu 0xfffd
	v_add_co_ci_u32_e64 v8, null, s35, v20, vcc_lo
	flat_load_u16 v7, v[7:8]
	s_wait_loadcnt_dscnt 0x0
	v_fma_mixlo_f16 v7, s31, v7, 0 op_sel_hi:[0,1,0]
	s_branch .LBB446_16
.LBB446_13:                             ;   in Loop: Header=BB446_4 Depth=1
	s_mov_b32 s7, 0
                                        ; implicit-def: $vgpr7
	s_cbranch_execnz .LBB446_17
	s_branch .LBB446_36
.LBB446_14:                             ;   in Loop: Header=BB446_4 Depth=1
	s_wait_alu 0xfffe
	s_or_b32 exec_lo, exec_lo, s41
	s_delay_alu instid0(SALU_CYCLE_1)
	s_and_b32 vcc_lo, exec_lo, s6
	s_wait_alu 0xfffe
	s_cbranch_vccnz .LBB446_17
	s_branch .LBB446_36
.LBB446_15:                             ;   in Loop: Header=BB446_4 Depth=1
	v_mov_b32_e32 v7, 0
.LBB446_16:                             ;   in Loop: Header=BB446_4 Depth=1
	s_mov_b32 s7, exec_lo
	s_wait_alu 0xfffe
	s_or_b32 exec_lo, exec_lo, s41
	s_delay_alu instid0(SALU_CYCLE_1)
	s_and_b32 vcc_lo, exec_lo, s6
	s_wait_alu 0xfffe
	s_cbranch_vccz .LBB446_36
.LBB446_17:                             ;   in Loop: Header=BB446_4 Depth=1
	v_add_co_u32 v5, vcc_lo, v5, v16
	s_wait_alu 0xfffd
	v_add_co_ci_u32_e64 v6, null, 0, v6, vcc_lo
	v_mov_b32_e32 v21, 0
	s_delay_alu instid0(VALU_DEP_3) | instskip(SKIP_1) | instid1(VALU_DEP_3)
	v_add_co_u32 v5, vcc_lo, v5, s36
	s_wait_alu 0xfffd
	v_add_co_ci_u32_e64 v6, null, s37, v6, vcc_lo
	s_and_saveexec_b32 s41, s4
	s_cbranch_execnz .LBB446_26
; %bb.18:                               ;   in Loop: Header=BB446_4 Depth=1
	s_wait_alu 0xfffe
	s_or_b32 exec_lo, exec_lo, s41
	s_and_saveexec_b32 s6, s5
	s_cbranch_execnz .LBB446_29
.LBB446_19:                             ;   in Loop: Header=BB446_4 Depth=1
	s_or_b32 exec_lo, exec_lo, s6
	s_and_saveexec_b32 s6, s1
.LBB446_20:                             ;   in Loop: Header=BB446_4 Depth=1
	ds_store_b32 v12, v11
.LBB446_21:                             ;   in Loop: Header=BB446_4 Depth=1
	s_or_b32 exec_lo, exec_lo, s6
	ds_bpermute_b32 v3, v17, v21
	v_cmp_gt_u32_e32 vcc_lo, 24, v15
	s_wait_dscnt 0x0
	s_barrier_signal -1
	s_barrier_wait -1
	global_inv scope:SCOPE_SE
	s_wait_alu 0xfffd
	v_cndmask_b32_e64 v4, 0, 8, vcc_lo
	v_cmp_gt_u32_e32 vcc_lo, 28, v15
	s_delay_alu instid0(VALU_DEP_2)
	v_add_lshl_u32 v4, v4, v15, 2
	v_add_f32_e32 v5, v21, v3
	s_wait_alu 0xfffd
	v_cndmask_b32_e64 v3, 0, 4, vcc_lo
	v_cmp_gt_u32_e32 vcc_lo, 30, v15
	ds_bpermute_b32 v4, v4, v5
	v_add_lshl_u32 v3, v3, v15, 2
	s_wait_dscnt 0x0
	v_add_f32_e32 v5, v5, v4
	s_wait_alu 0xfffd
	v_cndmask_b32_e64 v4, 0, 2, vcc_lo
	v_cmp_ne_u32_e32 vcc_lo, 31, v15
	ds_bpermute_b32 v6, v3, v5
	v_add_lshl_u32 v4, v4, v15, 2
	s_wait_alu 0xfffd
	v_add_co_ci_u32_e64 v7, null, 0, v15, vcc_lo
	s_wait_dscnt 0x0
	v_add_f32_e32 v5, v5, v6
	ds_bpermute_b32 v6, v4, v5
	s_wait_dscnt 0x0
	v_dual_add_f32 v6, v5, v6 :: v_dual_lshlrev_b32 v5, 2, v7
	ds_bpermute_b32 v7, v5, v6
	s_and_saveexec_b32 s6, s3
	s_cbranch_execz .LBB446_23
; %bb.22:                               ;   in Loop: Header=BB446_4 Depth=1
	s_wait_dscnt 0x0
	v_add_f32_e32 v6, v6, v7
	ds_store_b32 v13, v6
.LBB446_23:                             ;   in Loop: Header=BB446_4 Depth=1
	s_or_b32 exec_lo, exec_lo, s6
	v_mov_b32_e32 v6, 0
	s_wait_loadcnt_dscnt 0x0
	s_barrier_signal -1
	s_barrier_wait -1
	global_inv scope:SCOPE_SE
	s_and_saveexec_b32 s6, s2
	s_cbranch_execnz .LBB446_30
; %bb.24:                               ;   in Loop: Header=BB446_4 Depth=1
	s_or_b32 exec_lo, exec_lo, s6
	s_and_saveexec_b32 s6, s1
	s_cbranch_execnz .LBB446_31
.LBB446_25:                             ;   in Loop: Header=BB446_4 Depth=1
	s_or_b32 exec_lo, exec_lo, s6
                                        ; implicit-def: $vgpr7
	s_and_saveexec_b32 s6, s0
	s_cbranch_execnz .LBB446_32
	s_branch .LBB446_35
.LBB446_26:                             ;   in Loop: Header=BB446_4 Depth=1
	v_dual_mov_b32 v21, 0 :: v_dual_mov_b32 v10, v6
	v_dual_mov_b32 v7, v14 :: v_dual_mov_b32 v22, v0
	v_mov_b32_e32 v9, v5
	s_mov_b32 s42, 0
.LBB446_27:                             ;   Parent Loop BB446_4 Depth=1
                                        ; =>  This Inner Loop Header: Depth=2
	s_delay_alu instid0(VALU_DEP_2) | instskip(NEXT) | instid1(VALU_DEP_1)
	v_ashrrev_i32_e32 v8, 31, v7
	v_lshlrev_b64_e32 v[23:24], 1, v[7:8]
	v_add_nc_u32_e32 v7, s40, v7
	s_delay_alu instid0(VALU_DEP_2) | instskip(SKIP_1) | instid1(VALU_DEP_3)
	v_add_co_u32 v23, vcc_lo, v3, v23
	s_wait_alu 0xfffd
	v_add_co_ci_u32_e64 v24, null, v4, v24, vcc_lo
	flat_load_u16 v8, v[9:10]
	flat_load_u16 v23, v[23:24]
	v_add_co_u32 v9, vcc_lo, 0x200, v9
	s_wait_alu 0xfffd
	v_add_co_ci_u32_e64 v10, null, 0, v10, vcc_lo
	s_wait_loadcnt_dscnt 0x0
	v_mul_f16_e32 v8, v8, v23
	s_delay_alu instid0(VALU_DEP_1) | instskip(NEXT) | instid1(VALU_DEP_1)
	v_cvt_f32_f16_e32 v8, v8
	v_dual_add_f32 v21, v21, v8 :: v_dual_add_nc_u32 v22, 0x100, v22
	s_delay_alu instid0(VALU_DEP_1) | instskip(SKIP_1) | instid1(SALU_CYCLE_1)
	v_cmp_le_i32_e64 s6, s30, v22
	s_or_b32 s42, s6, s42
	s_and_not1_b32 exec_lo, exec_lo, s42
	s_cbranch_execnz .LBB446_27
; %bb.28:                               ;   in Loop: Header=BB446_4 Depth=1
	s_or_b32 exec_lo, exec_lo, s42
	s_wait_alu 0xfffe
	s_or_b32 exec_lo, exec_lo, s41
	s_and_saveexec_b32 s6, s5
	s_cbranch_execz .LBB446_19
.LBB446_29:                             ;   in Loop: Header=BB446_4 Depth=1
	v_add_co_u32 v5, vcc_lo, v5, s38
	s_wait_alu 0xfffd
	v_add_co_ci_u32_e64 v6, null, s39, v6, vcc_lo
	v_add_co_u32 v3, vcc_lo, v3, v1
	s_wait_alu 0xfffd
	v_add_co_ci_u32_e64 v4, null, v4, v2, vcc_lo
	flat_load_u16 v5, v[5:6]
	flat_load_u16 v3, v[3:4]
	s_wait_loadcnt_dscnt 0x0
	v_mul_f16_e32 v3, v5, v3
	s_delay_alu instid0(VALU_DEP_1) | instskip(NEXT) | instid1(VALU_DEP_1)
	v_cvt_f32_f16_e32 v3, v3
	v_add_f32_e32 v21, v21, v3
	s_or_b32 exec_lo, exec_lo, s6
	s_and_saveexec_b32 s6, s1
	s_cbranch_execnz .LBB446_20
	s_branch .LBB446_21
.LBB446_30:                             ;   in Loop: Header=BB446_4 Depth=1
	ds_load_b32 v6, v12
	s_or_b32 exec_lo, exec_lo, s6
	s_and_saveexec_b32 s6, s1
	s_cbranch_execz .LBB446_25
.LBB446_31:                             ;   in Loop: Header=BB446_4 Depth=1
	s_wait_dscnt 0x0
	ds_bpermute_b32 v3, v3, v6
	s_wait_dscnt 0x0
	v_add_f32_e32 v3, v6, v3
	ds_bpermute_b32 v4, v4, v3
	s_wait_dscnt 0x0
	v_add_f32_e32 v3, v3, v4
	;; [unrolled: 3-line block ×3, first 2 shown]
	s_or_b32 exec_lo, exec_lo, s6
                                        ; implicit-def: $vgpr7
	s_and_saveexec_b32 s6, s0
	s_cbranch_execz .LBB446_35
.LBB446_32:                             ;   in Loop: Header=BB446_4 Depth=1
	s_wait_dscnt 0x0
	v_mul_f32_e32 v3, v18, v6
	s_cmp_eq_f32 s31, 0
	s_cbranch_scc1 .LBB446_34
; %bb.33:                               ;   in Loop: Header=BB446_4 Depth=1
	v_add_co_u32 v4, vcc_lo, v19, s34
	s_wait_alu 0xfffd
	v_add_co_ci_u32_e64 v5, null, s35, v20, vcc_lo
	flat_load_u16 v4, v[4:5]
	s_wait_loadcnt_dscnt 0x0
	v_fma_mix_f32 v3, s31, v4, v3 op_sel_hi:[0,1,0]
.LBB446_34:                             ;   in Loop: Header=BB446_4 Depth=1
	s_delay_alu instid0(VALU_DEP_1)
	v_cvt_f16_f32_e32 v7, v3
	s_or_b32 s7, s7, exec_lo
.LBB446_35:                             ;   in Loop: Header=BB446_4 Depth=1
	s_or_b32 exec_lo, exec_lo, s6
.LBB446_36:                             ;   in Loop: Header=BB446_4 Depth=1
	s_and_saveexec_b32 s6, s7
	s_cbranch_execz .LBB446_2
; %bb.37:                               ;   in Loop: Header=BB446_4 Depth=1
	v_add_co_u32 v3, vcc_lo, v19, s34
	s_wait_alu 0xfffd
	v_add_co_ci_u32_e64 v4, null, s35, v20, vcc_lo
	flat_store_b16 v[3:4], v7
	s_branch .LBB446_2
.LBB446_38:
	s_endpgm
	.section	.rodata,"a",@progbits
	.p2align	6, 0x0
	.amdhsa_kernel _ZL32rocblas_gemvt_warp_reduce_kernelILb0ELi256EiPKDF16_PKfKPDF16_EviiT3_lPKT2_lT1_lS9_lSA_lS6_lPT4_lSA_li
		.amdhsa_group_segment_fixed_size 128
		.amdhsa_private_segment_fixed_size 0
		.amdhsa_kernarg_size 140
		.amdhsa_user_sgpr_count 2
		.amdhsa_user_sgpr_dispatch_ptr 0
		.amdhsa_user_sgpr_queue_ptr 0
		.amdhsa_user_sgpr_kernarg_segment_ptr 1
		.amdhsa_user_sgpr_dispatch_id 0
		.amdhsa_user_sgpr_private_segment_size 0
		.amdhsa_wavefront_size32 1
		.amdhsa_uses_dynamic_stack 0
		.amdhsa_enable_private_segment 0
		.amdhsa_system_sgpr_workgroup_id_x 1
		.amdhsa_system_sgpr_workgroup_id_y 0
		.amdhsa_system_sgpr_workgroup_id_z 1
		.amdhsa_system_sgpr_workgroup_info 0
		.amdhsa_system_vgpr_workitem_id 0
		.amdhsa_next_free_vgpr 25
		.amdhsa_next_free_sgpr 44
		.amdhsa_reserve_vcc 1
		.amdhsa_float_round_mode_32 0
		.amdhsa_float_round_mode_16_64 0
		.amdhsa_float_denorm_mode_32 3
		.amdhsa_float_denorm_mode_16_64 3
		.amdhsa_fp16_overflow 0
		.amdhsa_workgroup_processor_mode 1
		.amdhsa_memory_ordered 1
		.amdhsa_forward_progress 1
		.amdhsa_inst_pref_size 13
		.amdhsa_round_robin_scheduling 0
		.amdhsa_exception_fp_ieee_invalid_op 0
		.amdhsa_exception_fp_denorm_src 0
		.amdhsa_exception_fp_ieee_div_zero 0
		.amdhsa_exception_fp_ieee_overflow 0
		.amdhsa_exception_fp_ieee_underflow 0
		.amdhsa_exception_fp_ieee_inexact 0
		.amdhsa_exception_int_div_zero 0
	.end_amdhsa_kernel
	.section	.text._ZL32rocblas_gemvt_warp_reduce_kernelILb0ELi256EiPKDF16_PKfKPDF16_EviiT3_lPKT2_lT1_lS9_lSA_lS6_lPT4_lSA_li,"axG",@progbits,_ZL32rocblas_gemvt_warp_reduce_kernelILb0ELi256EiPKDF16_PKfKPDF16_EviiT3_lPKT2_lT1_lS9_lSA_lS6_lPT4_lSA_li,comdat
.Lfunc_end446:
	.size	_ZL32rocblas_gemvt_warp_reduce_kernelILb0ELi256EiPKDF16_PKfKPDF16_EviiT3_lPKT2_lT1_lS9_lSA_lS6_lPT4_lSA_li, .Lfunc_end446-_ZL32rocblas_gemvt_warp_reduce_kernelILb0ELi256EiPKDF16_PKfKPDF16_EviiT3_lPKT2_lT1_lS9_lSA_lS6_lPT4_lSA_li
                                        ; -- End function
	.set _ZL32rocblas_gemvt_warp_reduce_kernelILb0ELi256EiPKDF16_PKfKPDF16_EviiT3_lPKT2_lT1_lS9_lSA_lS6_lPT4_lSA_li.num_vgpr, 25
	.set _ZL32rocblas_gemvt_warp_reduce_kernelILb0ELi256EiPKDF16_PKfKPDF16_EviiT3_lPKT2_lT1_lS9_lSA_lS6_lPT4_lSA_li.num_agpr, 0
	.set _ZL32rocblas_gemvt_warp_reduce_kernelILb0ELi256EiPKDF16_PKfKPDF16_EviiT3_lPKT2_lT1_lS9_lSA_lS6_lPT4_lSA_li.numbered_sgpr, 44
	.set _ZL32rocblas_gemvt_warp_reduce_kernelILb0ELi256EiPKDF16_PKfKPDF16_EviiT3_lPKT2_lT1_lS9_lSA_lS6_lPT4_lSA_li.num_named_barrier, 0
	.set _ZL32rocblas_gemvt_warp_reduce_kernelILb0ELi256EiPKDF16_PKfKPDF16_EviiT3_lPKT2_lT1_lS9_lSA_lS6_lPT4_lSA_li.private_seg_size, 0
	.set _ZL32rocblas_gemvt_warp_reduce_kernelILb0ELi256EiPKDF16_PKfKPDF16_EviiT3_lPKT2_lT1_lS9_lSA_lS6_lPT4_lSA_li.uses_vcc, 1
	.set _ZL32rocblas_gemvt_warp_reduce_kernelILb0ELi256EiPKDF16_PKfKPDF16_EviiT3_lPKT2_lT1_lS9_lSA_lS6_lPT4_lSA_li.uses_flat_scratch, 0
	.set _ZL32rocblas_gemvt_warp_reduce_kernelILb0ELi256EiPKDF16_PKfKPDF16_EviiT3_lPKT2_lT1_lS9_lSA_lS6_lPT4_lSA_li.has_dyn_sized_stack, 0
	.set _ZL32rocblas_gemvt_warp_reduce_kernelILb0ELi256EiPKDF16_PKfKPDF16_EviiT3_lPKT2_lT1_lS9_lSA_lS6_lPT4_lSA_li.has_recursion, 0
	.set _ZL32rocblas_gemvt_warp_reduce_kernelILb0ELi256EiPKDF16_PKfKPDF16_EviiT3_lPKT2_lT1_lS9_lSA_lS6_lPT4_lSA_li.has_indirect_call, 0
	.section	.AMDGPU.csdata,"",@progbits
; Kernel info:
; codeLenInByte = 1628
; TotalNumSgprs: 46
; NumVgprs: 25
; ScratchSize: 0
; MemoryBound: 0
; FloatMode: 240
; IeeeMode: 1
; LDSByteSize: 128 bytes/workgroup (compile time only)
; SGPRBlocks: 0
; VGPRBlocks: 3
; NumSGPRsForWavesPerEU: 46
; NumVGPRsForWavesPerEU: 25
; Occupancy: 16
; WaveLimiterHint : 1
; COMPUTE_PGM_RSRC2:SCRATCH_EN: 0
; COMPUTE_PGM_RSRC2:USER_SGPR: 2
; COMPUTE_PGM_RSRC2:TRAP_HANDLER: 0
; COMPUTE_PGM_RSRC2:TGID_X_EN: 1
; COMPUTE_PGM_RSRC2:TGID_Y_EN: 0
; COMPUTE_PGM_RSRC2:TGID_Z_EN: 1
; COMPUTE_PGM_RSRC2:TIDIG_COMP_CNT: 0
	.section	.text._ZL32rocblas_gemvt_warp_reduce_kernelILb0ELi256ElPKDF16_PKfKPDF16_EviiT3_lPKT2_lT1_lS9_lSA_lS6_lPT4_lSA_li,"axG",@progbits,_ZL32rocblas_gemvt_warp_reduce_kernelILb0ELi256ElPKDF16_PKfKPDF16_EviiT3_lPKT2_lT1_lS9_lSA_lS6_lPT4_lSA_li,comdat
	.globl	_ZL32rocblas_gemvt_warp_reduce_kernelILb0ELi256ElPKDF16_PKfKPDF16_EviiT3_lPKT2_lT1_lS9_lSA_lS6_lPT4_lSA_li ; -- Begin function _ZL32rocblas_gemvt_warp_reduce_kernelILb0ELi256ElPKDF16_PKfKPDF16_EviiT3_lPKT2_lT1_lS9_lSA_lS6_lPT4_lSA_li
	.p2align	8
	.type	_ZL32rocblas_gemvt_warp_reduce_kernelILb0ELi256ElPKDF16_PKfKPDF16_EviiT3_lPKT2_lT1_lS9_lSA_lS6_lPT4_lSA_li,@function
_ZL32rocblas_gemvt_warp_reduce_kernelILb0ELi256ElPKDF16_PKfKPDF16_EviiT3_lPKT2_lT1_lS9_lSA_lS6_lPT4_lSA_li: ; @_ZL32rocblas_gemvt_warp_reduce_kernelILb0ELi256ElPKDF16_PKfKPDF16_EviiT3_lPKT2_lT1_lS9_lSA_lS6_lPT4_lSA_li
; %bb.0:
	s_load_b32 s33, s[0:1], 0x88
	s_lshr_b32 s28, ttmp7, 16
	s_wait_kmcnt 0x0
	s_cmp_ge_u32 s28, s33
	s_cbranch_scc1 .LBB447_38
; %bb.1:
	s_clause 0x6
	s_load_b32 s40, s[0:1], 0x0
	s_load_b64 s[6:7], s[0:1], 0x48
	s_load_b256 s[8:15], s[0:1], 0x8
	s_load_b64 s[34:35], s[0:1], 0x28
	s_load_b128 s[24:27], s[0:1], 0x38
	s_load_b64 s[36:37], s[0:1], 0x78
	s_load_b256 s[16:23], s[0:1], 0x58
	v_and_b32_e32 v3, 31, v0
	v_lshrrev_b32_e32 v4, 3, v0
	v_mov_b32_e32 v13, 0
	s_mov_b32 s4, ttmp9
	s_ashr_i32 s5, ttmp9, 31
	v_mbcnt_lo_u32_b32 v14, -1, 0
	v_and_b32_e32 v16, 28, v4
	v_cmp_eq_u32_e64 s0, 0, v0
	v_cmp_gt_u32_e64 s1, 32, v0
	v_cmp_gt_u32_e64 s2, 8, v0
	v_lshl_or_b32 v18, v14, 2, 64
	s_mov_b32 s29, 0
	s_wait_kmcnt 0x0
	s_ashr_i32 s3, s40, 31
	v_mad_co_u64_u32 v[1:2], null, s6, v0, 0
	s_lshr_b32 s30, s3, 24
	v_cmp_eq_u32_e64 s3, 0, v3
	s_add_co_i32 s30, s40, s30
	v_cmp_gt_i32_e32 vcc_lo, s40, v0
	s_and_b32 s30, s30, 0xffffff00
	v_lshlrev_b32_e32 v15, 2, v3
	v_or_b32_e32 v5, s30, v0
	v_mad_co_u64_u32 v[2:3], null, s7, v0, v[2:3]
	s_ashr_i32 s31, s30, 31
	s_mul_u64 s[36:37], s[36:37], s[4:5]
	v_mul_lo_u32 v7, s7, v5
	v_mad_co_u64_u32 v[3:4], null, s6, v5, 0
	s_mul_u64 s[38:39], s[34:35], s[4:5]
	s_wait_alu 0xfffe
	s_mul_i32 s5, s6, s31
	v_cndmask_b32_e32 v6, 0, v0, vcc_lo
	v_lshlrev_b64_e32 v[1:2], 1, v[1:2]
	v_cmp_gt_i32_e64 s4, s30, v0
	s_lshl_b64 s[34:35], s[6:7], 9
	v_add3_u32 v4, v4, s5, v7
	v_cmp_gt_i32_e64 s5, s40, v5
	v_lshlrev_b32_e32 v17, 1, v6
	s_lshl_b64 s[14:15], s[14:15], 1
	s_lshl_b64 s[26:27], s[26:27], 1
	v_lshlrev_b64_e32 v[3:4], 1, v[3:4]
	s_lshl_b64 s[22:23], s[22:23], 1
	s_lshl_b64 s[36:37], s[36:37], 1
	;; [unrolled: 1-line block ×4, first 2 shown]
	s_branch .LBB447_4
.LBB447_2:                              ;   in Loop: Header=BB447_4 Depth=1
	s_wait_alu 0xfffe
	s_or_b32 exec_lo, exec_lo, s6
.LBB447_3:                              ;   in Loop: Header=BB447_4 Depth=1
	s_add_co_i32 s28, s28, 0x10000
	s_delay_alu instid0(SALU_CYCLE_1)
	s_cmp_lt_u32 s28, s33
	s_cbranch_scc0 .LBB447_38
.LBB447_4:                              ; =>This Loop Header: Depth=1
                                        ;     Child Loop BB447_27 Depth 2
	s_mul_u64 s[6:7], s[10:11], s[28:29]
	s_mul_u64 s[42:43], s[18:19], s[28:29]
	s_wait_alu 0xfffe
	s_lshl_b64 s[6:7], s[6:7], 2
	s_lshl_b64 s[42:43], s[42:43], 2
	s_wait_alu 0xfffe
	s_add_nc_u64 s[6:7], s[8:9], s[6:7]
	s_add_nc_u64 s[42:43], s[16:17], s[42:43]
	s_clause 0x1
	global_load_b32 v19, v13, s[6:7]
	global_load_b32 v5, v13, s[42:43]
	s_wait_loadcnt 0x1
	v_cmp_eq_f32_e64 s6, 0, v19
	s_wait_loadcnt 0x0
	v_cmp_eq_f32_e32 vcc_lo, 1.0, v5
	v_readfirstlane_b32 s31, v5
	s_wait_alu 0xfffe
	s_and_b32 s7, s6, vcc_lo
	s_wait_alu 0xfffe
	s_and_b32 vcc_lo, exec_lo, s7
	s_wait_alu 0xfffe
	s_cbranch_vccnz .LBB447_3
; %bb.5:                                ;   in Loop: Header=BB447_4 Depth=1
	v_mov_b32_e32 v5, 0
	s_wait_dscnt 0x0
	v_dual_mov_b32 v6, 0 :: v_dual_mov_b32 v7, 0
	v_cmp_neq_f32_e64 s7, 0, v19
	v_mov_b32_e32 v8, 0
	s_and_b32 vcc_lo, exec_lo, s6
	s_wait_alu 0xfffe
	s_cbranch_vccnz .LBB447_7
; %bb.6:                                ;   in Loop: Header=BB447_4 Depth=1
	s_lshl_b64 s[42:43], s[28:29], 3
	s_delay_alu instid0(SALU_CYCLE_1)
	s_add_nc_u64 s[42:43], s[12:13], s[42:43]
	global_load_b64 v[7:8], v13, s[42:43]
	s_wait_loadcnt 0x0
	v_add_co_u32 v7, vcc_lo, v7, s14
	s_wait_alu 0xfffd
	v_add_co_ci_u32_e64 v8, null, s15, v8, vcc_lo
.LBB447_7:                              ;   in Loop: Header=BB447_4 Depth=1
	s_and_not1_b32 vcc_lo, exec_lo, s7
	s_wait_alu 0xfffe
	s_cbranch_vccnz .LBB447_9
; %bb.8:                                ;   in Loop: Header=BB447_4 Depth=1
	s_lshl_b64 s[42:43], s[28:29], 3
	s_delay_alu instid0(SALU_CYCLE_1)
	s_add_nc_u64 s[42:43], s[24:25], s[42:43]
	global_load_b64 v[5:6], v13, s[42:43]
	s_wait_loadcnt 0x0
	v_add_co_u32 v5, vcc_lo, v5, s26
	s_wait_alu 0xfffd
	v_add_co_ci_u32_e64 v6, null, s27, v6, vcc_lo
.LBB447_9:                              ;   in Loop: Header=BB447_4 Depth=1
	s_lshl_b64 s[42:43], s[28:29], 3
	s_delay_alu instid0(SALU_CYCLE_1)
	s_add_nc_u64 s[42:43], s[20:21], s[42:43]
	global_load_b64 v[9:10], v13, s[42:43]
	s_wait_loadcnt 0x0
	v_add_co_u32 v20, vcc_lo, v9, s22
	s_wait_alu 0xfffd
	v_add_co_ci_u32_e64 v21, null, s23, v10, vcc_lo
	s_and_not1_b32 vcc_lo, exec_lo, s6
	s_wait_alu 0xfffe
	s_cbranch_vccnz .LBB447_13
; %bb.10:                               ;   in Loop: Header=BB447_4 Depth=1
	s_mov_b32 s6, 0
	s_mov_b32 s7, 0
                                        ; implicit-def: $vgpr9
	s_and_saveexec_b32 s42, s0
	s_cbranch_execz .LBB447_14
; %bb.11:                               ;   in Loop: Header=BB447_4 Depth=1
	s_cmp_eq_f32 s31, 0
	s_cbranch_scc1 .LBB447_15
; %bb.12:                               ;   in Loop: Header=BB447_4 Depth=1
	v_add_co_u32 v9, vcc_lo, v20, s36
	s_wait_alu 0xfffd
	v_add_co_ci_u32_e64 v10, null, s37, v21, vcc_lo
	flat_load_u16 v9, v[9:10]
	s_wait_loadcnt_dscnt 0x0
	v_fma_mixlo_f16 v9, s31, v9, 0 op_sel_hi:[0,1,0]
	s_branch .LBB447_16
.LBB447_13:                             ;   in Loop: Header=BB447_4 Depth=1
	s_mov_b32 s7, 0
                                        ; implicit-def: $vgpr9
	s_cbranch_execnz .LBB447_17
	s_branch .LBB447_36
.LBB447_14:                             ;   in Loop: Header=BB447_4 Depth=1
	s_or_b32 exec_lo, exec_lo, s42
	s_wait_alu 0xfffe
	s_and_b32 vcc_lo, exec_lo, s6
	s_wait_alu 0xfffe
	s_cbranch_vccnz .LBB447_17
	s_branch .LBB447_36
.LBB447_15:                             ;   in Loop: Header=BB447_4 Depth=1
	v_mov_b32_e32 v9, 0
.LBB447_16:                             ;   in Loop: Header=BB447_4 Depth=1
	s_mov_b32 s7, exec_lo
	s_or_b32 exec_lo, exec_lo, s42
	s_wait_alu 0xfffe
	s_and_b32 vcc_lo, exec_lo, s6
	s_wait_alu 0xfffe
	s_cbranch_vccz .LBB447_36
.LBB447_17:                             ;   in Loop: Header=BB447_4 Depth=1
	v_add_co_u32 v7, vcc_lo, v7, v17
	s_wait_alu 0xfffd
	v_add_co_ci_u32_e64 v8, null, 0, v8, vcc_lo
	v_mov_b32_e32 v22, 0
	s_delay_alu instid0(VALU_DEP_3) | instskip(SKIP_1) | instid1(VALU_DEP_3)
	v_add_co_u32 v7, vcc_lo, v7, s38
	s_wait_alu 0xfffd
	v_add_co_ci_u32_e64 v8, null, s39, v8, vcc_lo
	s_and_saveexec_b32 s42, s4
	s_cbranch_execnz .LBB447_26
; %bb.18:                               ;   in Loop: Header=BB447_4 Depth=1
	s_or_b32 exec_lo, exec_lo, s42
	s_and_saveexec_b32 s6, s5
	s_cbranch_execnz .LBB447_29
.LBB447_19:                             ;   in Loop: Header=BB447_4 Depth=1
	s_wait_alu 0xfffe
	s_or_b32 exec_lo, exec_lo, s6
	s_and_saveexec_b32 s6, s1
.LBB447_20:                             ;   in Loop: Header=BB447_4 Depth=1
	ds_store_b32 v15, v13
.LBB447_21:                             ;   in Loop: Header=BB447_4 Depth=1
	s_wait_alu 0xfffe
	s_or_b32 exec_lo, exec_lo, s6
	ds_bpermute_b32 v5, v18, v22
	v_cmp_gt_u32_e32 vcc_lo, 24, v14
	s_wait_dscnt 0x0
	s_barrier_signal -1
	s_barrier_wait -1
	global_inv scope:SCOPE_SE
	s_wait_alu 0xfffd
	v_cndmask_b32_e64 v6, 0, 8, vcc_lo
	v_cmp_gt_u32_e32 vcc_lo, 28, v14
	s_delay_alu instid0(VALU_DEP_2)
	v_add_lshl_u32 v6, v6, v14, 2
	v_add_f32_e32 v7, v22, v5
	s_wait_alu 0xfffd
	v_cndmask_b32_e64 v5, 0, 4, vcc_lo
	v_cmp_gt_u32_e32 vcc_lo, 30, v14
	ds_bpermute_b32 v6, v6, v7
	v_add_lshl_u32 v5, v5, v14, 2
	s_wait_dscnt 0x0
	v_add_f32_e32 v7, v7, v6
	s_wait_alu 0xfffd
	v_cndmask_b32_e64 v6, 0, 2, vcc_lo
	v_cmp_ne_u32_e32 vcc_lo, 31, v14
	ds_bpermute_b32 v8, v5, v7
	v_add_lshl_u32 v6, v6, v14, 2
	s_wait_alu 0xfffd
	v_add_co_ci_u32_e64 v9, null, 0, v14, vcc_lo
	s_wait_dscnt 0x0
	v_add_f32_e32 v7, v7, v8
	ds_bpermute_b32 v8, v6, v7
	s_wait_dscnt 0x0
	v_dual_add_f32 v8, v7, v8 :: v_dual_lshlrev_b32 v7, 2, v9
	ds_bpermute_b32 v9, v7, v8
	s_and_saveexec_b32 s6, s3
	s_cbranch_execz .LBB447_23
; %bb.22:                               ;   in Loop: Header=BB447_4 Depth=1
	s_wait_dscnt 0x0
	v_add_f32_e32 v8, v8, v9
	ds_store_b32 v16, v8
.LBB447_23:                             ;   in Loop: Header=BB447_4 Depth=1
	s_wait_alu 0xfffe
	s_or_b32 exec_lo, exec_lo, s6
	v_mov_b32_e32 v8, 0
	s_wait_loadcnt_dscnt 0x0
	s_barrier_signal -1
	s_barrier_wait -1
	global_inv scope:SCOPE_SE
	s_and_saveexec_b32 s6, s2
	s_cbranch_execnz .LBB447_30
; %bb.24:                               ;   in Loop: Header=BB447_4 Depth=1
	s_wait_alu 0xfffe
	s_or_b32 exec_lo, exec_lo, s6
	s_and_saveexec_b32 s6, s1
	s_cbranch_execnz .LBB447_31
.LBB447_25:                             ;   in Loop: Header=BB447_4 Depth=1
	s_wait_alu 0xfffe
	s_or_b32 exec_lo, exec_lo, s6
                                        ; implicit-def: $vgpr9
	s_and_saveexec_b32 s6, s0
	s_cbranch_execnz .LBB447_32
	s_branch .LBB447_35
.LBB447_26:                             ;   in Loop: Header=BB447_4 Depth=1
	v_add_co_u32 v9, vcc_lo, v5, v1
	v_dual_mov_b32 v12, v8 :: v_dual_mov_b32 v23, v0
	s_wait_alu 0xfffd
	v_add_co_ci_u32_e64 v10, null, v6, v2, vcc_lo
	v_dual_mov_b32 v22, 0 :: v_dual_mov_b32 v11, v7
	s_mov_b32 s43, 0
.LBB447_27:                             ;   Parent Loop BB447_4 Depth=1
                                        ; =>  This Inner Loop Header: Depth=2
	flat_load_u16 v24, v[11:12]
	flat_load_u16 v25, v[9:10]
	v_add_co_u32 v11, vcc_lo, 0x200, v11
	s_wait_alu 0xfffd
	v_add_co_ci_u32_e64 v12, null, 0, v12, vcc_lo
	v_add_co_u32 v9, vcc_lo, v9, s34
	s_wait_alu 0xfffd
	v_add_co_ci_u32_e64 v10, null, s35, v10, vcc_lo
	s_wait_loadcnt_dscnt 0x0
	v_mul_f16_e32 v24, v24, v25
	s_delay_alu instid0(VALU_DEP_1) | instskip(NEXT) | instid1(VALU_DEP_1)
	v_cvt_f32_f16_e32 v24, v24
	v_dual_add_f32 v22, v22, v24 :: v_dual_add_nc_u32 v23, 0x100, v23
	s_delay_alu instid0(VALU_DEP_1) | instskip(SKIP_1) | instid1(SALU_CYCLE_1)
	v_cmp_le_i32_e64 s6, s30, v23
	s_or_b32 s43, s6, s43
	s_and_not1_b32 exec_lo, exec_lo, s43
	s_cbranch_execnz .LBB447_27
; %bb.28:                               ;   in Loop: Header=BB447_4 Depth=1
	s_or_b32 exec_lo, exec_lo, s43
	s_delay_alu instid0(SALU_CYCLE_1)
	s_or_b32 exec_lo, exec_lo, s42
	s_and_saveexec_b32 s6, s5
	s_cbranch_execz .LBB447_19
.LBB447_29:                             ;   in Loop: Header=BB447_4 Depth=1
	v_add_co_u32 v7, vcc_lo, v7, s40
	s_wait_alu 0xfffd
	v_add_co_ci_u32_e64 v8, null, s41, v8, vcc_lo
	v_add_co_u32 v5, vcc_lo, v5, v3
	s_wait_alu 0xfffd
	v_add_co_ci_u32_e64 v6, null, v6, v4, vcc_lo
	flat_load_u16 v7, v[7:8]
	flat_load_u16 v5, v[5:6]
	s_wait_loadcnt_dscnt 0x0
	v_mul_f16_e32 v5, v7, v5
	s_delay_alu instid0(VALU_DEP_1) | instskip(NEXT) | instid1(VALU_DEP_1)
	v_cvt_f32_f16_e32 v5, v5
	v_add_f32_e32 v22, v22, v5
	s_wait_alu 0xfffe
	s_or_b32 exec_lo, exec_lo, s6
	s_and_saveexec_b32 s6, s1
	s_cbranch_execnz .LBB447_20
	s_branch .LBB447_21
.LBB447_30:                             ;   in Loop: Header=BB447_4 Depth=1
	ds_load_b32 v8, v15
	s_wait_alu 0xfffe
	s_or_b32 exec_lo, exec_lo, s6
	s_and_saveexec_b32 s6, s1
	s_cbranch_execz .LBB447_25
.LBB447_31:                             ;   in Loop: Header=BB447_4 Depth=1
	s_wait_dscnt 0x0
	ds_bpermute_b32 v5, v5, v8
	s_wait_dscnt 0x0
	v_add_f32_e32 v5, v8, v5
	ds_bpermute_b32 v6, v6, v5
	s_wait_dscnt 0x0
	v_add_f32_e32 v5, v5, v6
	ds_bpermute_b32 v6, v7, v5
	s_wait_dscnt 0x0
	v_add_f32_e32 v8, v5, v6
	s_wait_alu 0xfffe
	s_or_b32 exec_lo, exec_lo, s6
                                        ; implicit-def: $vgpr9
	s_and_saveexec_b32 s6, s0
	s_cbranch_execz .LBB447_35
.LBB447_32:                             ;   in Loop: Header=BB447_4 Depth=1
	s_wait_dscnt 0x0
	v_mul_f32_e32 v5, v19, v8
	s_cmp_eq_f32 s31, 0
	s_cbranch_scc1 .LBB447_34
; %bb.33:                               ;   in Loop: Header=BB447_4 Depth=1
	v_add_co_u32 v6, vcc_lo, v20, s36
	s_wait_alu 0xfffd
	v_add_co_ci_u32_e64 v7, null, s37, v21, vcc_lo
	flat_load_u16 v6, v[6:7]
	s_wait_loadcnt_dscnt 0x0
	v_fma_mix_f32 v5, s31, v6, v5 op_sel_hi:[0,1,0]
.LBB447_34:                             ;   in Loop: Header=BB447_4 Depth=1
	s_delay_alu instid0(VALU_DEP_1)
	v_cvt_f16_f32_e32 v9, v5
	s_or_b32 s7, s7, exec_lo
.LBB447_35:                             ;   in Loop: Header=BB447_4 Depth=1
	s_wait_alu 0xfffe
	s_or_b32 exec_lo, exec_lo, s6
.LBB447_36:                             ;   in Loop: Header=BB447_4 Depth=1
	s_wait_alu 0xfffe
	s_and_saveexec_b32 s6, s7
	s_cbranch_execz .LBB447_2
; %bb.37:                               ;   in Loop: Header=BB447_4 Depth=1
	v_add_co_u32 v5, vcc_lo, v20, s36
	s_wait_alu 0xfffd
	v_add_co_ci_u32_e64 v6, null, s37, v21, vcc_lo
	flat_store_b16 v[5:6], v9
	s_branch .LBB447_2
.LBB447_38:
	s_endpgm
	.section	.rodata,"a",@progbits
	.p2align	6, 0x0
	.amdhsa_kernel _ZL32rocblas_gemvt_warp_reduce_kernelILb0ELi256ElPKDF16_PKfKPDF16_EviiT3_lPKT2_lT1_lS9_lSA_lS6_lPT4_lSA_li
		.amdhsa_group_segment_fixed_size 128
		.amdhsa_private_segment_fixed_size 0
		.amdhsa_kernarg_size 140
		.amdhsa_user_sgpr_count 2
		.amdhsa_user_sgpr_dispatch_ptr 0
		.amdhsa_user_sgpr_queue_ptr 0
		.amdhsa_user_sgpr_kernarg_segment_ptr 1
		.amdhsa_user_sgpr_dispatch_id 0
		.amdhsa_user_sgpr_private_segment_size 0
		.amdhsa_wavefront_size32 1
		.amdhsa_uses_dynamic_stack 0
		.amdhsa_enable_private_segment 0
		.amdhsa_system_sgpr_workgroup_id_x 1
		.amdhsa_system_sgpr_workgroup_id_y 0
		.amdhsa_system_sgpr_workgroup_id_z 1
		.amdhsa_system_sgpr_workgroup_info 0
		.amdhsa_system_vgpr_workitem_id 0
		.amdhsa_next_free_vgpr 26
		.amdhsa_next_free_sgpr 44
		.amdhsa_reserve_vcc 1
		.amdhsa_float_round_mode_32 0
		.amdhsa_float_round_mode_16_64 0
		.amdhsa_float_denorm_mode_32 3
		.amdhsa_float_denorm_mode_16_64 3
		.amdhsa_fp16_overflow 0
		.amdhsa_workgroup_processor_mode 1
		.amdhsa_memory_ordered 1
		.amdhsa_forward_progress 1
		.amdhsa_inst_pref_size 14
		.amdhsa_round_robin_scheduling 0
		.amdhsa_exception_fp_ieee_invalid_op 0
		.amdhsa_exception_fp_denorm_src 0
		.amdhsa_exception_fp_ieee_div_zero 0
		.amdhsa_exception_fp_ieee_overflow 0
		.amdhsa_exception_fp_ieee_underflow 0
		.amdhsa_exception_fp_ieee_inexact 0
		.amdhsa_exception_int_div_zero 0
	.end_amdhsa_kernel
	.section	.text._ZL32rocblas_gemvt_warp_reduce_kernelILb0ELi256ElPKDF16_PKfKPDF16_EviiT3_lPKT2_lT1_lS9_lSA_lS6_lPT4_lSA_li,"axG",@progbits,_ZL32rocblas_gemvt_warp_reduce_kernelILb0ELi256ElPKDF16_PKfKPDF16_EviiT3_lPKT2_lT1_lS9_lSA_lS6_lPT4_lSA_li,comdat
.Lfunc_end447:
	.size	_ZL32rocblas_gemvt_warp_reduce_kernelILb0ELi256ElPKDF16_PKfKPDF16_EviiT3_lPKT2_lT1_lS9_lSA_lS6_lPT4_lSA_li, .Lfunc_end447-_ZL32rocblas_gemvt_warp_reduce_kernelILb0ELi256ElPKDF16_PKfKPDF16_EviiT3_lPKT2_lT1_lS9_lSA_lS6_lPT4_lSA_li
                                        ; -- End function
	.set _ZL32rocblas_gemvt_warp_reduce_kernelILb0ELi256ElPKDF16_PKfKPDF16_EviiT3_lPKT2_lT1_lS9_lSA_lS6_lPT4_lSA_li.num_vgpr, 26
	.set _ZL32rocblas_gemvt_warp_reduce_kernelILb0ELi256ElPKDF16_PKfKPDF16_EviiT3_lPKT2_lT1_lS9_lSA_lS6_lPT4_lSA_li.num_agpr, 0
	.set _ZL32rocblas_gemvt_warp_reduce_kernelILb0ELi256ElPKDF16_PKfKPDF16_EviiT3_lPKT2_lT1_lS9_lSA_lS6_lPT4_lSA_li.numbered_sgpr, 44
	.set _ZL32rocblas_gemvt_warp_reduce_kernelILb0ELi256ElPKDF16_PKfKPDF16_EviiT3_lPKT2_lT1_lS9_lSA_lS6_lPT4_lSA_li.num_named_barrier, 0
	.set _ZL32rocblas_gemvt_warp_reduce_kernelILb0ELi256ElPKDF16_PKfKPDF16_EviiT3_lPKT2_lT1_lS9_lSA_lS6_lPT4_lSA_li.private_seg_size, 0
	.set _ZL32rocblas_gemvt_warp_reduce_kernelILb0ELi256ElPKDF16_PKfKPDF16_EviiT3_lPKT2_lT1_lS9_lSA_lS6_lPT4_lSA_li.uses_vcc, 1
	.set _ZL32rocblas_gemvt_warp_reduce_kernelILb0ELi256ElPKDF16_PKfKPDF16_EviiT3_lPKT2_lT1_lS9_lSA_lS6_lPT4_lSA_li.uses_flat_scratch, 0
	.set _ZL32rocblas_gemvt_warp_reduce_kernelILb0ELi256ElPKDF16_PKfKPDF16_EviiT3_lPKT2_lT1_lS9_lSA_lS6_lPT4_lSA_li.has_dyn_sized_stack, 0
	.set _ZL32rocblas_gemvt_warp_reduce_kernelILb0ELi256ElPKDF16_PKfKPDF16_EviiT3_lPKT2_lT1_lS9_lSA_lS6_lPT4_lSA_li.has_recursion, 0
	.set _ZL32rocblas_gemvt_warp_reduce_kernelILb0ELi256ElPKDF16_PKfKPDF16_EviiT3_lPKT2_lT1_lS9_lSA_lS6_lPT4_lSA_li.has_indirect_call, 0
	.section	.AMDGPU.csdata,"",@progbits
; Kernel info:
; codeLenInByte = 1696
; TotalNumSgprs: 46
; NumVgprs: 26
; ScratchSize: 0
; MemoryBound: 0
; FloatMode: 240
; IeeeMode: 1
; LDSByteSize: 128 bytes/workgroup (compile time only)
; SGPRBlocks: 0
; VGPRBlocks: 3
; NumSGPRsForWavesPerEU: 46
; NumVGPRsForWavesPerEU: 26
; Occupancy: 16
; WaveLimiterHint : 1
; COMPUTE_PGM_RSRC2:SCRATCH_EN: 0
; COMPUTE_PGM_RSRC2:USER_SGPR: 2
; COMPUTE_PGM_RSRC2:TRAP_HANDLER: 0
; COMPUTE_PGM_RSRC2:TGID_X_EN: 1
; COMPUTE_PGM_RSRC2:TGID_Y_EN: 0
; COMPUTE_PGM_RSRC2:TGID_Z_EN: 1
; COMPUTE_PGM_RSRC2:TIDIG_COMP_CNT: 0
	.section	.text._ZL32rocblas_gemvt_warp_reduce_kernelILb0ELi256EiPKDF16_fKPDF16_EviiT3_lPKT2_lT1_lS7_lS8_lS4_lPT4_lS8_li,"axG",@progbits,_ZL32rocblas_gemvt_warp_reduce_kernelILb0ELi256EiPKDF16_fKPDF16_EviiT3_lPKT2_lT1_lS7_lS8_lS4_lPT4_lS8_li,comdat
	.globl	_ZL32rocblas_gemvt_warp_reduce_kernelILb0ELi256EiPKDF16_fKPDF16_EviiT3_lPKT2_lT1_lS7_lS8_lS4_lPT4_lS8_li ; -- Begin function _ZL32rocblas_gemvt_warp_reduce_kernelILb0ELi256EiPKDF16_fKPDF16_EviiT3_lPKT2_lT1_lS7_lS8_lS4_lPT4_lS8_li
	.p2align	8
	.type	_ZL32rocblas_gemvt_warp_reduce_kernelILb0ELi256EiPKDF16_fKPDF16_EviiT3_lPKT2_lT1_lS7_lS8_lS4_lPT4_lS8_li,@function
_ZL32rocblas_gemvt_warp_reduce_kernelILb0ELi256EiPKDF16_fKPDF16_EviiT3_lPKT2_lT1_lS7_lS8_lS4_lPT4_lS8_li: ; @_ZL32rocblas_gemvt_warp_reduce_kernelILb0ELi256EiPKDF16_fKPDF16_EviiT3_lPKT2_lT1_lS7_lS8_lS4_lPT4_lS8_li
; %bb.0:
	s_load_b32 s7, s[0:1], 0x88
	s_lshr_b32 s20, ttmp7, 16
	s_wait_kmcnt 0x0
	s_cmp_ge_u32 s20, s7
	s_cbranch_scc1 .LBB448_41
; %bb.1:
	s_clause 0x8
	s_load_b32 s30, s[0:1], 0x8
	s_load_b32 s31, s[0:1], 0x58
	s_load_b128 s[8:11], s[0:1], 0x18
	s_load_b32 s4, s[0:1], 0x28
	s_load_b32 s5, s[0:1], 0x0
	s_load_b128 s[12:15], s[0:1], 0x38
	s_load_b32 s6, s[0:1], 0x48
	s_load_b128 s[16:19], s[0:1], 0x68
	s_load_b32 s22, s[0:1], 0x78
	v_lshrrev_b32_e32 v2, 3, v0
	v_mov_b32_e32 v11, 0
	v_and_b32_e32 v1, 31, v0
	v_mbcnt_lo_u32_b32 v16, -1, 0
	v_cmp_eq_u32_e64 s0, 0, v0
	v_and_b32_e32 v14, 28, v2
	v_cmp_gt_u32_e64 s1, 32, v0
	v_lshlrev_b32_e32 v13, 2, v1
	v_lshl_or_b32 v18, v16, 2, 64
	s_mov_b32 s21, 0
	s_wait_kmcnt 0x0
	s_cmp_eq_f32 s30, 0
	v_cmp_gt_i32_e32 vcc_lo, s5, v0
	s_mul_i32 s26, s4, ttmp9
	s_cselect_b32 s33, -1, 0
	s_cmp_neq_f32 s31, 1.0
	s_mul_i32 s24, s22, ttmp9
	v_cndmask_b32_e32 v3, 0, v0, vcc_lo
	v_mul_lo_u32 v15, v0, s6
	s_cselect_b32 s2, -1, 0
	s_cmp_neq_f32 s30, 0
	s_delay_alu instid0(VALU_DEP_2) | instskip(SKIP_1) | instid1(SALU_CYCLE_1)
	v_lshlrev_b32_e32 v17, 1, v3
	s_cselect_b32 s3, -1, 0
	s_or_b32 s34, s3, s2
	s_cmp_neq_f32 s31, 0
	v_cndmask_b32_e64 v12, 0, 1, s3
	v_cmp_eq_u32_e64 s3, 0, v1
	v_cmp_gt_u32_e64 s2, 8, v0
	s_cselect_b32 s35, -1, 0
	s_ashr_i32 s23, s5, 31
	s_ashr_i32 s25, s24, 31
	s_lshr_b32 s23, s23, 24
	s_ashr_i32 s27, s26, 31
	s_add_co_i32 s23, s5, s23
	s_lshl_b32 s36, s6, 8
	s_and_b32 s22, s23, 0xffffff00
	s_lshl_b64 s[10:11], s[10:11], 1
	v_or_b32_e32 v2, s22, v0
	v_cmp_gt_i32_e64 s4, s22, v0
	s_ashr_i32 s23, s22, 31
	s_lshl_b64 s[14:15], s[14:15], 1
	s_lshl_b64 s[18:19], s[18:19], 1
	v_mul_lo_u32 v1, s6, v2
	v_cmp_gt_i32_e64 s5, s5, v2
	s_lshl_b64 s[24:25], s[24:25], 1
	s_lshl_b64 s[26:27], s[26:27], 1
	s_wait_alu 0xfffe
	s_lshl_b64 s[28:29], s[22:23], 1
	v_ashrrev_i32_e32 v2, 31, v1
	s_delay_alu instid0(VALU_DEP_1)
	v_lshlrev_b64_e32 v[1:2], 1, v[1:2]
	s_branch .LBB448_4
.LBB448_2:                              ;   in Loop: Header=BB448_4 Depth=1
	s_wait_alu 0xfffe
	s_or_b32 exec_lo, exec_lo, s6
.LBB448_3:                              ;   in Loop: Header=BB448_4 Depth=1
	s_add_co_i32 s20, s20, 0x10000
	s_delay_alu instid0(SALU_CYCLE_1)
	s_cmp_lt_u32 s20, s7
	s_cbranch_scc0 .LBB448_41
.LBB448_4:                              ; =>This Loop Header: Depth=1
                                        ;     Child Loop BB448_30 Depth 2
	s_and_not1_b32 vcc_lo, exec_lo, s34
	s_wait_alu 0xfffe
	s_cbranch_vccnz .LBB448_3
; %bb.5:                                ;   in Loop: Header=BB448_4 Depth=1
	s_and_not1_b32 vcc_lo, exec_lo, s33
	s_wait_alu 0xfffe
	s_cbranch_vccnz .LBB448_7
; %bb.6:                                ;   in Loop: Header=BB448_4 Depth=1
	s_mov_b32 s6, 0
	s_branch .LBB448_8
.LBB448_7:                              ;   in Loop: Header=BB448_4 Depth=1
	s_mov_b32 s6, -1
.LBB448_8:                              ;   in Loop: Header=BB448_4 Depth=1
	v_mov_b32_e32 v3, 0
	s_wait_dscnt 0x0
	v_dual_mov_b32 v4, 0 :: v_dual_mov_b32 v5, 0
	v_mov_b32_e32 v6, 0
	s_wait_alu 0xfffe
	s_and_not1_b32 vcc_lo, exec_lo, s6
	s_wait_alu 0xfffe
	s_cbranch_vccnz .LBB448_10
; %bb.9:                                ;   in Loop: Header=BB448_4 Depth=1
	s_lshl_b64 s[38:39], s[20:21], 3
	s_delay_alu instid0(SALU_CYCLE_1)
	s_add_nc_u64 s[38:39], s[8:9], s[38:39]
	global_load_b64 v[5:6], v11, s[38:39]
	s_wait_loadcnt 0x0
	v_add_co_u32 v5, vcc_lo, v5, s10
	s_wait_alu 0xfffd
	v_add_co_ci_u32_e64 v6, null, s11, v6, vcc_lo
.LBB448_10:                             ;   in Loop: Header=BB448_4 Depth=1
	v_cmp_ne_u32_e32 vcc_lo, 1, v12
	s_cbranch_vccnz .LBB448_12
; %bb.11:                               ;   in Loop: Header=BB448_4 Depth=1
	s_lshl_b64 s[38:39], s[20:21], 3
	s_delay_alu instid0(SALU_CYCLE_1)
	s_add_nc_u64 s[38:39], s[12:13], s[38:39]
	global_load_b64 v[3:4], v11, s[38:39]
	s_wait_loadcnt 0x0
	v_add_co_u32 v3, vcc_lo, v3, s14
	s_wait_alu 0xfffd
	v_add_co_ci_u32_e64 v4, null, s15, v4, vcc_lo
.LBB448_12:                             ;   in Loop: Header=BB448_4 Depth=1
	s_lshl_b64 s[38:39], s[20:21], 3
	s_delay_alu instid0(SALU_CYCLE_1)
	s_add_nc_u64 s[38:39], s[16:17], s[38:39]
	global_load_b64 v[7:8], v11, s[38:39]
	s_wait_loadcnt 0x0
	v_add_co_u32 v19, vcc_lo, v7, s18
	s_wait_alu 0xfffd
	v_add_co_ci_u32_e64 v20, null, s19, v8, vcc_lo
	s_and_not1_b32 vcc_lo, exec_lo, s33
	s_wait_alu 0xfffe
	s_cbranch_vccnz .LBB448_16
; %bb.13:                               ;   in Loop: Header=BB448_4 Depth=1
	s_mov_b32 s6, 0
	s_mov_b32 s23, 0
                                        ; implicit-def: $vgpr7
	s_and_saveexec_b32 s37, s0
	s_cbranch_execz .LBB448_17
; %bb.14:                               ;   in Loop: Header=BB448_4 Depth=1
	s_and_not1_b32 vcc_lo, exec_lo, s35
	s_wait_alu 0xfffe
	s_cbranch_vccnz .LBB448_18
; %bb.15:                               ;   in Loop: Header=BB448_4 Depth=1
	v_add_co_u32 v7, vcc_lo, v19, s24
	s_wait_alu 0xfffd
	v_add_co_ci_u32_e64 v8, null, s25, v20, vcc_lo
	flat_load_u16 v7, v[7:8]
	s_wait_loadcnt_dscnt 0x0
	v_fma_mixlo_f16 v7, s31, v7, 0 op_sel_hi:[0,1,0]
	s_branch .LBB448_19
.LBB448_16:                             ;   in Loop: Header=BB448_4 Depth=1
	s_mov_b32 s23, 0
                                        ; implicit-def: $vgpr7
	s_cbranch_execnz .LBB448_20
	s_branch .LBB448_39
.LBB448_17:                             ;   in Loop: Header=BB448_4 Depth=1
	s_wait_alu 0xfffe
	s_or_b32 exec_lo, exec_lo, s37
	s_delay_alu instid0(SALU_CYCLE_1)
	s_and_b32 vcc_lo, exec_lo, s6
	s_wait_alu 0xfffe
	s_cbranch_vccnz .LBB448_20
	s_branch .LBB448_39
.LBB448_18:                             ;   in Loop: Header=BB448_4 Depth=1
	v_mov_b32_e32 v7, 0
.LBB448_19:                             ;   in Loop: Header=BB448_4 Depth=1
	s_mov_b32 s23, exec_lo
	s_or_b32 exec_lo, exec_lo, s37
	s_delay_alu instid0(SALU_CYCLE_1)
	s_and_b32 vcc_lo, exec_lo, s6
	s_wait_alu 0xfffe
	s_cbranch_vccz .LBB448_39
.LBB448_20:                             ;   in Loop: Header=BB448_4 Depth=1
	v_add_co_u32 v5, vcc_lo, v5, v17
	s_wait_alu 0xfffd
	v_add_co_ci_u32_e64 v6, null, 0, v6, vcc_lo
	v_mov_b32_e32 v21, 0
	s_delay_alu instid0(VALU_DEP_3) | instskip(SKIP_1) | instid1(VALU_DEP_3)
	v_add_co_u32 v5, vcc_lo, v5, s26
	s_wait_alu 0xfffd
	v_add_co_ci_u32_e64 v6, null, s27, v6, vcc_lo
	s_and_saveexec_b32 s37, s4
	s_cbranch_execnz .LBB448_29
; %bb.21:                               ;   in Loop: Header=BB448_4 Depth=1
	s_wait_alu 0xfffe
	s_or_b32 exec_lo, exec_lo, s37
	s_and_saveexec_b32 s6, s5
	s_cbranch_execnz .LBB448_32
.LBB448_22:                             ;   in Loop: Header=BB448_4 Depth=1
	s_wait_alu 0xfffe
	s_or_b32 exec_lo, exec_lo, s6
	s_and_saveexec_b32 s6, s1
.LBB448_23:                             ;   in Loop: Header=BB448_4 Depth=1
	ds_store_b32 v13, v11
.LBB448_24:                             ;   in Loop: Header=BB448_4 Depth=1
	s_wait_alu 0xfffe
	s_or_b32 exec_lo, exec_lo, s6
	ds_bpermute_b32 v3, v18, v21
	v_cmp_gt_u32_e32 vcc_lo, 24, v16
	s_wait_dscnt 0x0
	s_barrier_signal -1
	s_barrier_wait -1
	global_inv scope:SCOPE_SE
	s_wait_alu 0xfffd
	v_cndmask_b32_e64 v4, 0, 8, vcc_lo
	v_cmp_gt_u32_e32 vcc_lo, 28, v16
	s_delay_alu instid0(VALU_DEP_2)
	v_add_lshl_u32 v4, v4, v16, 2
	v_add_f32_e32 v5, v21, v3
	s_wait_alu 0xfffd
	v_cndmask_b32_e64 v3, 0, 4, vcc_lo
	v_cmp_gt_u32_e32 vcc_lo, 30, v16
	ds_bpermute_b32 v4, v4, v5
	v_add_lshl_u32 v3, v3, v16, 2
	s_wait_dscnt 0x0
	v_add_f32_e32 v5, v5, v4
	s_wait_alu 0xfffd
	v_cndmask_b32_e64 v4, 0, 2, vcc_lo
	v_cmp_ne_u32_e32 vcc_lo, 31, v16
	ds_bpermute_b32 v6, v3, v5
	v_add_lshl_u32 v4, v4, v16, 2
	s_wait_alu 0xfffd
	v_add_co_ci_u32_e64 v7, null, 0, v16, vcc_lo
	s_wait_dscnt 0x0
	v_add_f32_e32 v5, v5, v6
	ds_bpermute_b32 v6, v4, v5
	s_wait_dscnt 0x0
	v_dual_add_f32 v6, v5, v6 :: v_dual_lshlrev_b32 v5, 2, v7
	ds_bpermute_b32 v7, v5, v6
	s_and_saveexec_b32 s6, s3
	s_cbranch_execz .LBB448_26
; %bb.25:                               ;   in Loop: Header=BB448_4 Depth=1
	s_wait_dscnt 0x0
	v_add_f32_e32 v6, v6, v7
	ds_store_b32 v14, v6
.LBB448_26:                             ;   in Loop: Header=BB448_4 Depth=1
	s_wait_alu 0xfffe
	s_or_b32 exec_lo, exec_lo, s6
	v_mov_b32_e32 v6, 0
	s_wait_loadcnt_dscnt 0x0
	s_barrier_signal -1
	s_barrier_wait -1
	global_inv scope:SCOPE_SE
	s_and_saveexec_b32 s6, s2
	s_cbranch_execnz .LBB448_33
; %bb.27:                               ;   in Loop: Header=BB448_4 Depth=1
	s_wait_alu 0xfffe
	s_or_b32 exec_lo, exec_lo, s6
	s_and_saveexec_b32 s6, s1
	s_cbranch_execnz .LBB448_34
.LBB448_28:                             ;   in Loop: Header=BB448_4 Depth=1
	s_wait_alu 0xfffe
	s_or_b32 exec_lo, exec_lo, s6
                                        ; implicit-def: $vgpr7
	s_and_saveexec_b32 s6, s0
	s_cbranch_execnz .LBB448_35
	s_branch .LBB448_38
.LBB448_29:                             ;   in Loop: Header=BB448_4 Depth=1
	v_dual_mov_b32 v21, 0 :: v_dual_mov_b32 v10, v6
	v_dual_mov_b32 v7, v15 :: v_dual_mov_b32 v22, v0
	v_mov_b32_e32 v9, v5
	s_mov_b32 s38, 0
.LBB448_30:                             ;   Parent Loop BB448_4 Depth=1
                                        ; =>  This Inner Loop Header: Depth=2
	s_delay_alu instid0(VALU_DEP_2) | instskip(NEXT) | instid1(VALU_DEP_1)
	v_ashrrev_i32_e32 v8, 31, v7
	v_lshlrev_b64_e32 v[23:24], 1, v[7:8]
	v_add_nc_u32_e32 v7, s36, v7
	s_delay_alu instid0(VALU_DEP_2) | instskip(SKIP_1) | instid1(VALU_DEP_3)
	v_add_co_u32 v23, vcc_lo, v3, v23
	s_wait_alu 0xfffd
	v_add_co_ci_u32_e64 v24, null, v4, v24, vcc_lo
	flat_load_u16 v8, v[9:10]
	flat_load_u16 v23, v[23:24]
	v_add_co_u32 v9, vcc_lo, 0x200, v9
	s_wait_alu 0xfffd
	v_add_co_ci_u32_e64 v10, null, 0, v10, vcc_lo
	s_wait_loadcnt_dscnt 0x0
	v_mul_f16_e32 v8, v8, v23
	s_delay_alu instid0(VALU_DEP_1) | instskip(NEXT) | instid1(VALU_DEP_1)
	v_cvt_f32_f16_e32 v8, v8
	v_dual_add_f32 v21, v21, v8 :: v_dual_add_nc_u32 v22, 0x100, v22
	s_delay_alu instid0(VALU_DEP_1) | instskip(SKIP_1) | instid1(SALU_CYCLE_1)
	v_cmp_le_i32_e64 s6, s22, v22
	s_or_b32 s38, s6, s38
	s_and_not1_b32 exec_lo, exec_lo, s38
	s_cbranch_execnz .LBB448_30
; %bb.31:                               ;   in Loop: Header=BB448_4 Depth=1
	s_or_b32 exec_lo, exec_lo, s38
	s_wait_alu 0xfffe
	s_or_b32 exec_lo, exec_lo, s37
	s_and_saveexec_b32 s6, s5
	s_cbranch_execz .LBB448_22
.LBB448_32:                             ;   in Loop: Header=BB448_4 Depth=1
	v_add_co_u32 v5, vcc_lo, v5, s28
	s_wait_alu 0xfffd
	v_add_co_ci_u32_e64 v6, null, s29, v6, vcc_lo
	v_add_co_u32 v3, vcc_lo, v3, v1
	s_wait_alu 0xfffd
	v_add_co_ci_u32_e64 v4, null, v4, v2, vcc_lo
	flat_load_u16 v5, v[5:6]
	flat_load_u16 v3, v[3:4]
	s_wait_loadcnt_dscnt 0x0
	v_mul_f16_e32 v3, v5, v3
	s_delay_alu instid0(VALU_DEP_1) | instskip(NEXT) | instid1(VALU_DEP_1)
	v_cvt_f32_f16_e32 v3, v3
	v_add_f32_e32 v21, v21, v3
	s_wait_alu 0xfffe
	s_or_b32 exec_lo, exec_lo, s6
	s_and_saveexec_b32 s6, s1
	s_cbranch_execnz .LBB448_23
	s_branch .LBB448_24
.LBB448_33:                             ;   in Loop: Header=BB448_4 Depth=1
	ds_load_b32 v6, v13
	s_wait_alu 0xfffe
	s_or_b32 exec_lo, exec_lo, s6
	s_and_saveexec_b32 s6, s1
	s_cbranch_execz .LBB448_28
.LBB448_34:                             ;   in Loop: Header=BB448_4 Depth=1
	s_wait_dscnt 0x0
	ds_bpermute_b32 v3, v3, v6
	s_wait_dscnt 0x0
	v_add_f32_e32 v3, v6, v3
	ds_bpermute_b32 v4, v4, v3
	s_wait_dscnt 0x0
	v_add_f32_e32 v3, v3, v4
	;; [unrolled: 3-line block ×3, first 2 shown]
	s_wait_alu 0xfffe
	s_or_b32 exec_lo, exec_lo, s6
                                        ; implicit-def: $vgpr7
	s_and_saveexec_b32 s6, s0
	s_cbranch_execz .LBB448_38
.LBB448_35:                             ;   in Loop: Header=BB448_4 Depth=1
	s_wait_dscnt 0x0
	v_mul_f32_e32 v3, s30, v6
	s_and_not1_b32 vcc_lo, exec_lo, s35
	s_wait_alu 0xfffe
	s_cbranch_vccnz .LBB448_37
; %bb.36:                               ;   in Loop: Header=BB448_4 Depth=1
	v_add_co_u32 v4, vcc_lo, v19, s24
	s_wait_alu 0xfffd
	v_add_co_ci_u32_e64 v5, null, s25, v20, vcc_lo
	flat_load_u16 v4, v[4:5]
	s_wait_loadcnt_dscnt 0x0
	v_fma_mix_f32 v3, s31, v4, v3 op_sel_hi:[0,1,0]
.LBB448_37:                             ;   in Loop: Header=BB448_4 Depth=1
	s_delay_alu instid0(VALU_DEP_1)
	v_cvt_f16_f32_e32 v7, v3
	s_or_b32 s23, s23, exec_lo
.LBB448_38:                             ;   in Loop: Header=BB448_4 Depth=1
	s_wait_alu 0xfffe
	s_or_b32 exec_lo, exec_lo, s6
.LBB448_39:                             ;   in Loop: Header=BB448_4 Depth=1
	s_wait_alu 0xfffe
	s_and_saveexec_b32 s6, s23
	s_cbranch_execz .LBB448_2
; %bb.40:                               ;   in Loop: Header=BB448_4 Depth=1
	v_add_co_u32 v3, vcc_lo, v19, s24
	s_wait_alu 0xfffd
	v_add_co_ci_u32_e64 v4, null, s25, v20, vcc_lo
	flat_store_b16 v[3:4], v7
	s_branch .LBB448_2
.LBB448_41:
	s_endpgm
	.section	.rodata,"a",@progbits
	.p2align	6, 0x0
	.amdhsa_kernel _ZL32rocblas_gemvt_warp_reduce_kernelILb0ELi256EiPKDF16_fKPDF16_EviiT3_lPKT2_lT1_lS7_lS8_lS4_lPT4_lS8_li
		.amdhsa_group_segment_fixed_size 128
		.amdhsa_private_segment_fixed_size 0
		.amdhsa_kernarg_size 140
		.amdhsa_user_sgpr_count 2
		.amdhsa_user_sgpr_dispatch_ptr 0
		.amdhsa_user_sgpr_queue_ptr 0
		.amdhsa_user_sgpr_kernarg_segment_ptr 1
		.amdhsa_user_sgpr_dispatch_id 0
		.amdhsa_user_sgpr_private_segment_size 0
		.amdhsa_wavefront_size32 1
		.amdhsa_uses_dynamic_stack 0
		.amdhsa_enable_private_segment 0
		.amdhsa_system_sgpr_workgroup_id_x 1
		.amdhsa_system_sgpr_workgroup_id_y 0
		.amdhsa_system_sgpr_workgroup_id_z 1
		.amdhsa_system_sgpr_workgroup_info 0
		.amdhsa_system_vgpr_workitem_id 0
		.amdhsa_next_free_vgpr 25
		.amdhsa_next_free_sgpr 40
		.amdhsa_reserve_vcc 1
		.amdhsa_float_round_mode_32 0
		.amdhsa_float_round_mode_16_64 0
		.amdhsa_float_denorm_mode_32 3
		.amdhsa_float_denorm_mode_16_64 3
		.amdhsa_fp16_overflow 0
		.amdhsa_workgroup_processor_mode 1
		.amdhsa_memory_ordered 1
		.amdhsa_forward_progress 1
		.amdhsa_inst_pref_size 14
		.amdhsa_round_robin_scheduling 0
		.amdhsa_exception_fp_ieee_invalid_op 0
		.amdhsa_exception_fp_denorm_src 0
		.amdhsa_exception_fp_ieee_div_zero 0
		.amdhsa_exception_fp_ieee_overflow 0
		.amdhsa_exception_fp_ieee_underflow 0
		.amdhsa_exception_fp_ieee_inexact 0
		.amdhsa_exception_int_div_zero 0
	.end_amdhsa_kernel
	.section	.text._ZL32rocblas_gemvt_warp_reduce_kernelILb0ELi256EiPKDF16_fKPDF16_EviiT3_lPKT2_lT1_lS7_lS8_lS4_lPT4_lS8_li,"axG",@progbits,_ZL32rocblas_gemvt_warp_reduce_kernelILb0ELi256EiPKDF16_fKPDF16_EviiT3_lPKT2_lT1_lS7_lS8_lS4_lPT4_lS8_li,comdat
.Lfunc_end448:
	.size	_ZL32rocblas_gemvt_warp_reduce_kernelILb0ELi256EiPKDF16_fKPDF16_EviiT3_lPKT2_lT1_lS7_lS8_lS4_lPT4_lS8_li, .Lfunc_end448-_ZL32rocblas_gemvt_warp_reduce_kernelILb0ELi256EiPKDF16_fKPDF16_EviiT3_lPKT2_lT1_lS7_lS8_lS4_lPT4_lS8_li
                                        ; -- End function
	.set _ZL32rocblas_gemvt_warp_reduce_kernelILb0ELi256EiPKDF16_fKPDF16_EviiT3_lPKT2_lT1_lS7_lS8_lS4_lPT4_lS8_li.num_vgpr, 25
	.set _ZL32rocblas_gemvt_warp_reduce_kernelILb0ELi256EiPKDF16_fKPDF16_EviiT3_lPKT2_lT1_lS7_lS8_lS4_lPT4_lS8_li.num_agpr, 0
	.set _ZL32rocblas_gemvt_warp_reduce_kernelILb0ELi256EiPKDF16_fKPDF16_EviiT3_lPKT2_lT1_lS7_lS8_lS4_lPT4_lS8_li.numbered_sgpr, 40
	.set _ZL32rocblas_gemvt_warp_reduce_kernelILb0ELi256EiPKDF16_fKPDF16_EviiT3_lPKT2_lT1_lS7_lS8_lS4_lPT4_lS8_li.num_named_barrier, 0
	.set _ZL32rocblas_gemvt_warp_reduce_kernelILb0ELi256EiPKDF16_fKPDF16_EviiT3_lPKT2_lT1_lS7_lS8_lS4_lPT4_lS8_li.private_seg_size, 0
	.set _ZL32rocblas_gemvt_warp_reduce_kernelILb0ELi256EiPKDF16_fKPDF16_EviiT3_lPKT2_lT1_lS7_lS8_lS4_lPT4_lS8_li.uses_vcc, 1
	.set _ZL32rocblas_gemvt_warp_reduce_kernelILb0ELi256EiPKDF16_fKPDF16_EviiT3_lPKT2_lT1_lS7_lS8_lS4_lPT4_lS8_li.uses_flat_scratch, 0
	.set _ZL32rocblas_gemvt_warp_reduce_kernelILb0ELi256EiPKDF16_fKPDF16_EviiT3_lPKT2_lT1_lS7_lS8_lS4_lPT4_lS8_li.has_dyn_sized_stack, 0
	.set _ZL32rocblas_gemvt_warp_reduce_kernelILb0ELi256EiPKDF16_fKPDF16_EviiT3_lPKT2_lT1_lS7_lS8_lS4_lPT4_lS8_li.has_recursion, 0
	.set _ZL32rocblas_gemvt_warp_reduce_kernelILb0ELi256EiPKDF16_fKPDF16_EviiT3_lPKT2_lT1_lS7_lS8_lS4_lPT4_lS8_li.has_indirect_call, 0
	.section	.AMDGPU.csdata,"",@progbits
; Kernel info:
; codeLenInByte = 1676
; TotalNumSgprs: 42
; NumVgprs: 25
; ScratchSize: 0
; MemoryBound: 0
; FloatMode: 240
; IeeeMode: 1
; LDSByteSize: 128 bytes/workgroup (compile time only)
; SGPRBlocks: 0
; VGPRBlocks: 3
; NumSGPRsForWavesPerEU: 42
; NumVGPRsForWavesPerEU: 25
; Occupancy: 16
; WaveLimiterHint : 1
; COMPUTE_PGM_RSRC2:SCRATCH_EN: 0
; COMPUTE_PGM_RSRC2:USER_SGPR: 2
; COMPUTE_PGM_RSRC2:TRAP_HANDLER: 0
; COMPUTE_PGM_RSRC2:TGID_X_EN: 1
; COMPUTE_PGM_RSRC2:TGID_Y_EN: 0
; COMPUTE_PGM_RSRC2:TGID_Z_EN: 1
; COMPUTE_PGM_RSRC2:TIDIG_COMP_CNT: 0
	.section	.text._ZL32rocblas_gemvt_warp_reduce_kernelILb0ELi256ElPKDF16_fKPDF16_EviiT3_lPKT2_lT1_lS7_lS8_lS4_lPT4_lS8_li,"axG",@progbits,_ZL32rocblas_gemvt_warp_reduce_kernelILb0ELi256ElPKDF16_fKPDF16_EviiT3_lPKT2_lT1_lS7_lS8_lS4_lPT4_lS8_li,comdat
	.globl	_ZL32rocblas_gemvt_warp_reduce_kernelILb0ELi256ElPKDF16_fKPDF16_EviiT3_lPKT2_lT1_lS7_lS8_lS4_lPT4_lS8_li ; -- Begin function _ZL32rocblas_gemvt_warp_reduce_kernelILb0ELi256ElPKDF16_fKPDF16_EviiT3_lPKT2_lT1_lS7_lS8_lS4_lPT4_lS8_li
	.p2align	8
	.type	_ZL32rocblas_gemvt_warp_reduce_kernelILb0ELi256ElPKDF16_fKPDF16_EviiT3_lPKT2_lT1_lS7_lS8_lS4_lPT4_lS8_li,@function
_ZL32rocblas_gemvt_warp_reduce_kernelILb0ELi256ElPKDF16_fKPDF16_EviiT3_lPKT2_lT1_lS7_lS8_lS4_lPT4_lS8_li: ; @_ZL32rocblas_gemvt_warp_reduce_kernelILb0ELi256ElPKDF16_fKPDF16_EviiT3_lPKT2_lT1_lS7_lS8_lS4_lPT4_lS8_li
; %bb.0:
	s_load_b32 s7, s[0:1], 0x88
	s_lshr_b32 s20, ttmp7, 16
	s_wait_kmcnt 0x0
	s_cmp_ge_u32 s20, s7
	s_cbranch_scc1 .LBB449_41
; %bb.1:
	s_clause 0x8
	s_load_b32 s33, s[0:1], 0x8
	s_load_b32 s34, s[0:1], 0x58
	s_load_b64 s[26:27], s[0:1], 0x48
	s_load_b128 s[8:11], s[0:1], 0x38
	s_load_b32 s6, s[0:1], 0x0
	s_load_b128 s[12:15], s[0:1], 0x18
	s_load_b64 s[28:29], s[0:1], 0x28
	s_load_b64 s[30:31], s[0:1], 0x78
	s_load_b128 s[16:19], s[0:1], 0x68
	v_and_b32_e32 v3, 31, v0
	v_lshrrev_b32_e32 v4, 3, v0
	v_mov_b32_e32 v13, 0
	v_mbcnt_lo_u32_b32 v17, -1, 0
	s_mov_b32 s4, ttmp9
	v_lshlrev_b32_e32 v14, 2, v3
	v_and_b32_e32 v16, 28, v4
	v_cmp_eq_u32_e64 s0, 0, v0
	v_cmp_gt_u32_e64 s1, 32, v0
	v_cmp_gt_u32_e64 s2, 8, v0
	v_lshl_or_b32 v19, v17, 2, 64
	s_wait_kmcnt 0x0
	s_cmp_eq_f32 s33, 0
	s_mov_b32 s21, 0
	v_mad_co_u64_u32 v[1:2], null, s26, v0, 0
	s_cselect_b32 s35, -1, 0
	s_cmp_neq_f32 s34, 1.0
	v_cmp_gt_i32_e32 vcc_lo, s6, v0
	s_cselect_b32 s3, -1, 0
	s_cmp_neq_f32 s33, 0
	v_cndmask_b32_e32 v5, 0, v0, vcc_lo
	s_cselect_b32 s5, -1, 0
	s_delay_alu instid0(SALU_CYCLE_1)
	s_or_b32 s36, s5, s3
	s_cmp_neq_f32 s34, 0
	v_cndmask_b32_e64 v15, 0, 1, s5
	v_cmp_eq_u32_e64 s3, 0, v3
	v_mad_co_u64_u32 v[2:3], null, s27, v0, v[2:3]
	s_cselect_b32 s37, -1, 0
	s_ashr_i32 s5, s6, 31
	s_lshl_b64 s[24:25], s[26:27], 9
	s_wait_alu 0xfffe
	s_lshr_b32 s5, s5, 24
	v_lshlrev_b32_e32 v18, 1, v5
	s_wait_alu 0xfffe
	s_add_co_i32 s5, s6, s5
	v_lshlrev_b64_e32 v[1:2], 1, v[1:2]
	s_wait_alu 0xfffe
	s_and_b32 s22, s5, 0xffffff00
	s_ashr_i32 s5, ttmp9, 31
	v_or_b32_e32 v6, s22, v0
	s_ashr_i32 s23, s22, 31
	s_wait_alu 0xfffe
	s_mul_u64 s[30:31], s[30:31], s[4:5]
	s_mul_u64 s[28:29], s[28:29], s[4:5]
	v_cmp_gt_i32_e64 s4, s22, v0
	v_mul_lo_u32 v7, s27, v6
	v_mad_co_u64_u32 v[3:4], null, s26, v6, 0
	s_mul_i32 s26, s26, s23
	v_cmp_gt_i32_e64 s5, s6, v6
	s_lshl_b64 s[14:15], s[14:15], 1
	s_lshl_b64 s[10:11], s[10:11], 1
	;; [unrolled: 1-line block ×4, first 2 shown]
	s_wait_alu 0xfffe
	v_add3_u32 v4, v4, s26, v7
	s_lshl_b64 s[26:27], s[30:31], 1
	s_lshl_b64 s[30:31], s[22:23], 1
	s_delay_alu instid0(VALU_DEP_1)
	v_lshlrev_b64_e32 v[3:4], 1, v[3:4]
	s_branch .LBB449_4
.LBB449_2:                              ;   in Loop: Header=BB449_4 Depth=1
	s_wait_alu 0xfffe
	s_or_b32 exec_lo, exec_lo, s6
.LBB449_3:                              ;   in Loop: Header=BB449_4 Depth=1
	s_add_co_i32 s20, s20, 0x10000
	s_delay_alu instid0(SALU_CYCLE_1)
	s_cmp_lt_u32 s20, s7
	s_cbranch_scc0 .LBB449_41
.LBB449_4:                              ; =>This Loop Header: Depth=1
                                        ;     Child Loop BB449_30 Depth 2
	s_and_not1_b32 vcc_lo, exec_lo, s36
	s_wait_alu 0xfffe
	s_cbranch_vccnz .LBB449_3
; %bb.5:                                ;   in Loop: Header=BB449_4 Depth=1
	s_and_not1_b32 vcc_lo, exec_lo, s35
	s_wait_alu 0xfffe
	s_cbranch_vccnz .LBB449_7
; %bb.6:                                ;   in Loop: Header=BB449_4 Depth=1
	s_mov_b32 s6, 0
	s_branch .LBB449_8
.LBB449_7:                              ;   in Loop: Header=BB449_4 Depth=1
	s_mov_b32 s6, -1
.LBB449_8:                              ;   in Loop: Header=BB449_4 Depth=1
	v_mov_b32_e32 v5, 0
	s_wait_dscnt 0x0
	v_dual_mov_b32 v6, 0 :: v_dual_mov_b32 v7, 0
	v_mov_b32_e32 v8, 0
	s_wait_alu 0xfffe
	s_and_not1_b32 vcc_lo, exec_lo, s6
	s_wait_alu 0xfffe
	s_cbranch_vccnz .LBB449_10
; %bb.9:                                ;   in Loop: Header=BB449_4 Depth=1
	s_lshl_b64 s[38:39], s[20:21], 3
	s_delay_alu instid0(SALU_CYCLE_1)
	s_add_nc_u64 s[38:39], s[12:13], s[38:39]
	global_load_b64 v[7:8], v13, s[38:39]
	s_wait_loadcnt 0x0
	v_add_co_u32 v7, vcc_lo, v7, s14
	s_wait_alu 0xfffd
	v_add_co_ci_u32_e64 v8, null, s15, v8, vcc_lo
.LBB449_10:                             ;   in Loop: Header=BB449_4 Depth=1
	v_cmp_ne_u32_e32 vcc_lo, 1, v15
	s_cbranch_vccnz .LBB449_12
; %bb.11:                               ;   in Loop: Header=BB449_4 Depth=1
	s_lshl_b64 s[38:39], s[20:21], 3
	s_delay_alu instid0(SALU_CYCLE_1)
	s_add_nc_u64 s[38:39], s[8:9], s[38:39]
	global_load_b64 v[5:6], v13, s[38:39]
	s_wait_loadcnt 0x0
	v_add_co_u32 v5, vcc_lo, v5, s10
	s_wait_alu 0xfffd
	v_add_co_ci_u32_e64 v6, null, s11, v6, vcc_lo
.LBB449_12:                             ;   in Loop: Header=BB449_4 Depth=1
	s_lshl_b64 s[38:39], s[20:21], 3
	s_delay_alu instid0(SALU_CYCLE_1)
	s_add_nc_u64 s[38:39], s[16:17], s[38:39]
	global_load_b64 v[9:10], v13, s[38:39]
	s_wait_loadcnt 0x0
	v_add_co_u32 v20, vcc_lo, v9, s18
	s_wait_alu 0xfffd
	v_add_co_ci_u32_e64 v21, null, s19, v10, vcc_lo
	s_and_not1_b32 vcc_lo, exec_lo, s35
	s_wait_alu 0xfffe
	s_cbranch_vccnz .LBB449_16
; %bb.13:                               ;   in Loop: Header=BB449_4 Depth=1
	s_mov_b32 s6, 0
	s_mov_b32 s23, 0
                                        ; implicit-def: $vgpr9
	s_and_saveexec_b32 s38, s0
	s_cbranch_execz .LBB449_17
; %bb.14:                               ;   in Loop: Header=BB449_4 Depth=1
	s_and_not1_b32 vcc_lo, exec_lo, s37
	s_wait_alu 0xfffe
	s_cbranch_vccnz .LBB449_18
; %bb.15:                               ;   in Loop: Header=BB449_4 Depth=1
	v_add_co_u32 v9, vcc_lo, v20, s26
	s_wait_alu 0xfffd
	v_add_co_ci_u32_e64 v10, null, s27, v21, vcc_lo
	flat_load_u16 v9, v[9:10]
	s_wait_loadcnt_dscnt 0x0
	v_fma_mixlo_f16 v9, s34, v9, 0 op_sel_hi:[0,1,0]
	s_branch .LBB449_19
.LBB449_16:                             ;   in Loop: Header=BB449_4 Depth=1
	s_mov_b32 s23, 0
                                        ; implicit-def: $vgpr9
	s_cbranch_execnz .LBB449_20
	s_branch .LBB449_39
.LBB449_17:                             ;   in Loop: Header=BB449_4 Depth=1
	s_or_b32 exec_lo, exec_lo, s38
	s_wait_alu 0xfffe
	s_and_b32 vcc_lo, exec_lo, s6
	s_wait_alu 0xfffe
	s_cbranch_vccnz .LBB449_20
	s_branch .LBB449_39
.LBB449_18:                             ;   in Loop: Header=BB449_4 Depth=1
	v_mov_b32_e32 v9, 0
.LBB449_19:                             ;   in Loop: Header=BB449_4 Depth=1
	s_mov_b32 s23, exec_lo
	s_or_b32 exec_lo, exec_lo, s38
	s_delay_alu instid0(SALU_CYCLE_1)
	s_and_b32 vcc_lo, exec_lo, s6
	s_wait_alu 0xfffe
	s_cbranch_vccz .LBB449_39
.LBB449_20:                             ;   in Loop: Header=BB449_4 Depth=1
	v_add_co_u32 v7, vcc_lo, v7, v18
	s_wait_alu 0xfffd
	v_add_co_ci_u32_e64 v8, null, 0, v8, vcc_lo
	v_mov_b32_e32 v22, 0
	s_delay_alu instid0(VALU_DEP_3) | instskip(SKIP_1) | instid1(VALU_DEP_3)
	v_add_co_u32 v7, vcc_lo, v7, s28
	s_wait_alu 0xfffd
	v_add_co_ci_u32_e64 v8, null, s29, v8, vcc_lo
	s_and_saveexec_b32 s38, s4
	s_cbranch_execnz .LBB449_29
; %bb.21:                               ;   in Loop: Header=BB449_4 Depth=1
	s_or_b32 exec_lo, exec_lo, s38
	s_and_saveexec_b32 s6, s5
	s_cbranch_execnz .LBB449_32
.LBB449_22:                             ;   in Loop: Header=BB449_4 Depth=1
	s_wait_alu 0xfffe
	s_or_b32 exec_lo, exec_lo, s6
	s_and_saveexec_b32 s6, s1
.LBB449_23:                             ;   in Loop: Header=BB449_4 Depth=1
	ds_store_b32 v14, v13
.LBB449_24:                             ;   in Loop: Header=BB449_4 Depth=1
	s_wait_alu 0xfffe
	s_or_b32 exec_lo, exec_lo, s6
	ds_bpermute_b32 v5, v19, v22
	v_cmp_gt_u32_e32 vcc_lo, 24, v17
	s_wait_dscnt 0x0
	s_barrier_signal -1
	s_barrier_wait -1
	global_inv scope:SCOPE_SE
	s_wait_alu 0xfffd
	v_cndmask_b32_e64 v6, 0, 8, vcc_lo
	v_cmp_gt_u32_e32 vcc_lo, 28, v17
	s_delay_alu instid0(VALU_DEP_2)
	v_add_lshl_u32 v6, v6, v17, 2
	v_add_f32_e32 v7, v22, v5
	s_wait_alu 0xfffd
	v_cndmask_b32_e64 v5, 0, 4, vcc_lo
	v_cmp_gt_u32_e32 vcc_lo, 30, v17
	ds_bpermute_b32 v6, v6, v7
	v_add_lshl_u32 v5, v5, v17, 2
	s_wait_dscnt 0x0
	v_add_f32_e32 v7, v7, v6
	s_wait_alu 0xfffd
	v_cndmask_b32_e64 v6, 0, 2, vcc_lo
	v_cmp_ne_u32_e32 vcc_lo, 31, v17
	ds_bpermute_b32 v8, v5, v7
	v_add_lshl_u32 v6, v6, v17, 2
	s_wait_alu 0xfffd
	v_add_co_ci_u32_e64 v9, null, 0, v17, vcc_lo
	s_wait_dscnt 0x0
	v_add_f32_e32 v7, v7, v8
	ds_bpermute_b32 v8, v6, v7
	s_wait_dscnt 0x0
	v_dual_add_f32 v8, v7, v8 :: v_dual_lshlrev_b32 v7, 2, v9
	ds_bpermute_b32 v9, v7, v8
	s_and_saveexec_b32 s6, s3
	s_cbranch_execz .LBB449_26
; %bb.25:                               ;   in Loop: Header=BB449_4 Depth=1
	s_wait_dscnt 0x0
	v_add_f32_e32 v8, v8, v9
	ds_store_b32 v16, v8
.LBB449_26:                             ;   in Loop: Header=BB449_4 Depth=1
	s_wait_alu 0xfffe
	s_or_b32 exec_lo, exec_lo, s6
	v_mov_b32_e32 v8, 0
	s_wait_loadcnt_dscnt 0x0
	s_barrier_signal -1
	s_barrier_wait -1
	global_inv scope:SCOPE_SE
	s_and_saveexec_b32 s6, s2
	s_cbranch_execnz .LBB449_33
; %bb.27:                               ;   in Loop: Header=BB449_4 Depth=1
	s_wait_alu 0xfffe
	s_or_b32 exec_lo, exec_lo, s6
	s_and_saveexec_b32 s6, s1
	s_cbranch_execnz .LBB449_34
.LBB449_28:                             ;   in Loop: Header=BB449_4 Depth=1
	s_wait_alu 0xfffe
	s_or_b32 exec_lo, exec_lo, s6
                                        ; implicit-def: $vgpr9
	s_and_saveexec_b32 s6, s0
	s_cbranch_execnz .LBB449_35
	s_branch .LBB449_38
.LBB449_29:                             ;   in Loop: Header=BB449_4 Depth=1
	v_add_co_u32 v9, vcc_lo, v5, v1
	v_dual_mov_b32 v12, v8 :: v_dual_mov_b32 v23, v0
	s_wait_alu 0xfffd
	v_add_co_ci_u32_e64 v10, null, v6, v2, vcc_lo
	v_dual_mov_b32 v22, 0 :: v_dual_mov_b32 v11, v7
	s_mov_b32 s39, 0
.LBB449_30:                             ;   Parent Loop BB449_4 Depth=1
                                        ; =>  This Inner Loop Header: Depth=2
	flat_load_u16 v24, v[11:12]
	flat_load_u16 v25, v[9:10]
	v_add_co_u32 v11, vcc_lo, 0x200, v11
	s_wait_alu 0xfffd
	v_add_co_ci_u32_e64 v12, null, 0, v12, vcc_lo
	v_add_co_u32 v9, vcc_lo, v9, s24
	s_wait_alu 0xfffd
	v_add_co_ci_u32_e64 v10, null, s25, v10, vcc_lo
	s_wait_loadcnt_dscnt 0x0
	v_mul_f16_e32 v24, v24, v25
	s_delay_alu instid0(VALU_DEP_1) | instskip(NEXT) | instid1(VALU_DEP_1)
	v_cvt_f32_f16_e32 v24, v24
	v_dual_add_f32 v22, v22, v24 :: v_dual_add_nc_u32 v23, 0x100, v23
	s_delay_alu instid0(VALU_DEP_1) | instskip(SKIP_1) | instid1(SALU_CYCLE_1)
	v_cmp_le_i32_e64 s6, s22, v23
	s_or_b32 s39, s6, s39
	s_and_not1_b32 exec_lo, exec_lo, s39
	s_cbranch_execnz .LBB449_30
; %bb.31:                               ;   in Loop: Header=BB449_4 Depth=1
	s_or_b32 exec_lo, exec_lo, s39
	s_delay_alu instid0(SALU_CYCLE_1)
	s_or_b32 exec_lo, exec_lo, s38
	s_and_saveexec_b32 s6, s5
	s_cbranch_execz .LBB449_22
.LBB449_32:                             ;   in Loop: Header=BB449_4 Depth=1
	v_add_co_u32 v7, vcc_lo, v7, s30
	s_wait_alu 0xfffd
	v_add_co_ci_u32_e64 v8, null, s31, v8, vcc_lo
	v_add_co_u32 v5, vcc_lo, v5, v3
	s_wait_alu 0xfffd
	v_add_co_ci_u32_e64 v6, null, v6, v4, vcc_lo
	flat_load_u16 v7, v[7:8]
	flat_load_u16 v5, v[5:6]
	s_wait_loadcnt_dscnt 0x0
	v_mul_f16_e32 v5, v7, v5
	s_delay_alu instid0(VALU_DEP_1) | instskip(NEXT) | instid1(VALU_DEP_1)
	v_cvt_f32_f16_e32 v5, v5
	v_add_f32_e32 v22, v22, v5
	s_wait_alu 0xfffe
	s_or_b32 exec_lo, exec_lo, s6
	s_and_saveexec_b32 s6, s1
	s_cbranch_execnz .LBB449_23
	s_branch .LBB449_24
.LBB449_33:                             ;   in Loop: Header=BB449_4 Depth=1
	ds_load_b32 v8, v14
	s_wait_alu 0xfffe
	s_or_b32 exec_lo, exec_lo, s6
	s_and_saveexec_b32 s6, s1
	s_cbranch_execz .LBB449_28
.LBB449_34:                             ;   in Loop: Header=BB449_4 Depth=1
	s_wait_dscnt 0x0
	ds_bpermute_b32 v5, v5, v8
	s_wait_dscnt 0x0
	v_add_f32_e32 v5, v8, v5
	ds_bpermute_b32 v6, v6, v5
	s_wait_dscnt 0x0
	v_add_f32_e32 v5, v5, v6
	ds_bpermute_b32 v6, v7, v5
	s_wait_dscnt 0x0
	v_add_f32_e32 v8, v5, v6
	s_wait_alu 0xfffe
	s_or_b32 exec_lo, exec_lo, s6
                                        ; implicit-def: $vgpr9
	s_and_saveexec_b32 s6, s0
	s_cbranch_execz .LBB449_38
.LBB449_35:                             ;   in Loop: Header=BB449_4 Depth=1
	s_wait_dscnt 0x0
	v_mul_f32_e32 v5, s33, v8
	s_and_not1_b32 vcc_lo, exec_lo, s37
	s_wait_alu 0xfffe
	s_cbranch_vccnz .LBB449_37
; %bb.36:                               ;   in Loop: Header=BB449_4 Depth=1
	v_add_co_u32 v6, vcc_lo, v20, s26
	s_wait_alu 0xfffd
	v_add_co_ci_u32_e64 v7, null, s27, v21, vcc_lo
	flat_load_u16 v6, v[6:7]
	s_wait_loadcnt_dscnt 0x0
	v_fma_mix_f32 v5, s34, v6, v5 op_sel_hi:[0,1,0]
.LBB449_37:                             ;   in Loop: Header=BB449_4 Depth=1
	s_delay_alu instid0(VALU_DEP_1)
	v_cvt_f16_f32_e32 v9, v5
	s_or_b32 s23, s23, exec_lo
.LBB449_38:                             ;   in Loop: Header=BB449_4 Depth=1
	s_wait_alu 0xfffe
	s_or_b32 exec_lo, exec_lo, s6
.LBB449_39:                             ;   in Loop: Header=BB449_4 Depth=1
	s_wait_alu 0xfffe
	s_and_saveexec_b32 s6, s23
	s_cbranch_execz .LBB449_2
; %bb.40:                               ;   in Loop: Header=BB449_4 Depth=1
	v_add_co_u32 v5, vcc_lo, v20, s26
	s_wait_alu 0xfffd
	v_add_co_ci_u32_e64 v6, null, s27, v21, vcc_lo
	flat_store_b16 v[5:6], v9
	s_branch .LBB449_2
.LBB449_41:
	s_endpgm
	.section	.rodata,"a",@progbits
	.p2align	6, 0x0
	.amdhsa_kernel _ZL32rocblas_gemvt_warp_reduce_kernelILb0ELi256ElPKDF16_fKPDF16_EviiT3_lPKT2_lT1_lS7_lS8_lS4_lPT4_lS8_li
		.amdhsa_group_segment_fixed_size 128
		.amdhsa_private_segment_fixed_size 0
		.amdhsa_kernarg_size 140
		.amdhsa_user_sgpr_count 2
		.amdhsa_user_sgpr_dispatch_ptr 0
		.amdhsa_user_sgpr_queue_ptr 0
		.amdhsa_user_sgpr_kernarg_segment_ptr 1
		.amdhsa_user_sgpr_dispatch_id 0
		.amdhsa_user_sgpr_private_segment_size 0
		.amdhsa_wavefront_size32 1
		.amdhsa_uses_dynamic_stack 0
		.amdhsa_enable_private_segment 0
		.amdhsa_system_sgpr_workgroup_id_x 1
		.amdhsa_system_sgpr_workgroup_id_y 0
		.amdhsa_system_sgpr_workgroup_id_z 1
		.amdhsa_system_sgpr_workgroup_info 0
		.amdhsa_system_vgpr_workitem_id 0
		.amdhsa_next_free_vgpr 26
		.amdhsa_next_free_sgpr 40
		.amdhsa_reserve_vcc 1
		.amdhsa_float_round_mode_32 0
		.amdhsa_float_round_mode_16_64 0
		.amdhsa_float_denorm_mode_32 3
		.amdhsa_float_denorm_mode_16_64 3
		.amdhsa_fp16_overflow 0
		.amdhsa_workgroup_processor_mode 1
		.amdhsa_memory_ordered 1
		.amdhsa_forward_progress 1
		.amdhsa_inst_pref_size 14
		.amdhsa_round_robin_scheduling 0
		.amdhsa_exception_fp_ieee_invalid_op 0
		.amdhsa_exception_fp_denorm_src 0
		.amdhsa_exception_fp_ieee_div_zero 0
		.amdhsa_exception_fp_ieee_overflow 0
		.amdhsa_exception_fp_ieee_underflow 0
		.amdhsa_exception_fp_ieee_inexact 0
		.amdhsa_exception_int_div_zero 0
	.end_amdhsa_kernel
	.section	.text._ZL32rocblas_gemvt_warp_reduce_kernelILb0ELi256ElPKDF16_fKPDF16_EviiT3_lPKT2_lT1_lS7_lS8_lS4_lPT4_lS8_li,"axG",@progbits,_ZL32rocblas_gemvt_warp_reduce_kernelILb0ELi256ElPKDF16_fKPDF16_EviiT3_lPKT2_lT1_lS7_lS8_lS4_lPT4_lS8_li,comdat
.Lfunc_end449:
	.size	_ZL32rocblas_gemvt_warp_reduce_kernelILb0ELi256ElPKDF16_fKPDF16_EviiT3_lPKT2_lT1_lS7_lS8_lS4_lPT4_lS8_li, .Lfunc_end449-_ZL32rocblas_gemvt_warp_reduce_kernelILb0ELi256ElPKDF16_fKPDF16_EviiT3_lPKT2_lT1_lS7_lS8_lS4_lPT4_lS8_li
                                        ; -- End function
	.set _ZL32rocblas_gemvt_warp_reduce_kernelILb0ELi256ElPKDF16_fKPDF16_EviiT3_lPKT2_lT1_lS7_lS8_lS4_lPT4_lS8_li.num_vgpr, 26
	.set _ZL32rocblas_gemvt_warp_reduce_kernelILb0ELi256ElPKDF16_fKPDF16_EviiT3_lPKT2_lT1_lS7_lS8_lS4_lPT4_lS8_li.num_agpr, 0
	.set _ZL32rocblas_gemvt_warp_reduce_kernelILb0ELi256ElPKDF16_fKPDF16_EviiT3_lPKT2_lT1_lS7_lS8_lS4_lPT4_lS8_li.numbered_sgpr, 40
	.set _ZL32rocblas_gemvt_warp_reduce_kernelILb0ELi256ElPKDF16_fKPDF16_EviiT3_lPKT2_lT1_lS7_lS8_lS4_lPT4_lS8_li.num_named_barrier, 0
	.set _ZL32rocblas_gemvt_warp_reduce_kernelILb0ELi256ElPKDF16_fKPDF16_EviiT3_lPKT2_lT1_lS7_lS8_lS4_lPT4_lS8_li.private_seg_size, 0
	.set _ZL32rocblas_gemvt_warp_reduce_kernelILb0ELi256ElPKDF16_fKPDF16_EviiT3_lPKT2_lT1_lS7_lS8_lS4_lPT4_lS8_li.uses_vcc, 1
	.set _ZL32rocblas_gemvt_warp_reduce_kernelILb0ELi256ElPKDF16_fKPDF16_EviiT3_lPKT2_lT1_lS7_lS8_lS4_lPT4_lS8_li.uses_flat_scratch, 0
	.set _ZL32rocblas_gemvt_warp_reduce_kernelILb0ELi256ElPKDF16_fKPDF16_EviiT3_lPKT2_lT1_lS7_lS8_lS4_lPT4_lS8_li.has_dyn_sized_stack, 0
	.set _ZL32rocblas_gemvt_warp_reduce_kernelILb0ELi256ElPKDF16_fKPDF16_EviiT3_lPKT2_lT1_lS7_lS8_lS4_lPT4_lS8_li.has_recursion, 0
	.set _ZL32rocblas_gemvt_warp_reduce_kernelILb0ELi256ElPKDF16_fKPDF16_EviiT3_lPKT2_lT1_lS7_lS8_lS4_lPT4_lS8_li.has_indirect_call, 0
	.section	.AMDGPU.csdata,"",@progbits
; Kernel info:
; codeLenInByte = 1708
; TotalNumSgprs: 42
; NumVgprs: 26
; ScratchSize: 0
; MemoryBound: 0
; FloatMode: 240
; IeeeMode: 1
; LDSByteSize: 128 bytes/workgroup (compile time only)
; SGPRBlocks: 0
; VGPRBlocks: 3
; NumSGPRsForWavesPerEU: 42
; NumVGPRsForWavesPerEU: 26
; Occupancy: 16
; WaveLimiterHint : 1
; COMPUTE_PGM_RSRC2:SCRATCH_EN: 0
; COMPUTE_PGM_RSRC2:USER_SGPR: 2
; COMPUTE_PGM_RSRC2:TRAP_HANDLER: 0
; COMPUTE_PGM_RSRC2:TGID_X_EN: 1
; COMPUTE_PGM_RSRC2:TGID_Y_EN: 0
; COMPUTE_PGM_RSRC2:TGID_Z_EN: 1
; COMPUTE_PGM_RSRC2:TIDIG_COMP_CNT: 0
	.section	.text._ZL20rocblas_gemvt_kernelILb0ELi256EPKDF16_PKfKPDF16_EviiT2_lPKT1_lilS9_lilS6_lPT3_lili,"axG",@progbits,_ZL20rocblas_gemvt_kernelILb0ELi256EPKDF16_PKfKPDF16_EviiT2_lPKT1_lilS9_lilS6_lPT3_lili,comdat
	.globl	_ZL20rocblas_gemvt_kernelILb0ELi256EPKDF16_PKfKPDF16_EviiT2_lPKT1_lilS9_lilS6_lPT3_lili ; -- Begin function _ZL20rocblas_gemvt_kernelILb0ELi256EPKDF16_PKfKPDF16_EviiT2_lPKT1_lilS9_lilS6_lPT3_lili
	.p2align	8
	.type	_ZL20rocblas_gemvt_kernelILb0ELi256EPKDF16_PKfKPDF16_EviiT2_lPKT1_lilS9_lilS6_lPT3_lili,@function
_ZL20rocblas_gemvt_kernelILb0ELi256EPKDF16_PKfKPDF16_EviiT2_lPKT1_lilS9_lilS6_lPT3_lili: ; @_ZL20rocblas_gemvt_kernelILb0ELi256EPKDF16_PKfKPDF16_EviiT2_lPKT1_lilS9_lilS6_lPT3_lili
; %bb.0:
	s_load_b32 s11, s[0:1], 0x88
	s_lshr_b32 s34, ttmp7, 16
	s_wait_kmcnt 0x0
	s_cmp_ge_u32 s34, s11
	s_cbranch_scc1 .LBB450_45
; %bb.1:
	s_clause 0x6
	s_load_b32 s4, s[0:1], 0x28
	s_load_b32 s38, s[0:1], 0x48
	;; [unrolled: 1-line block ×4, first 2 shown]
	s_load_b128 s[28:31], s[0:1], 0x38
	s_load_b256 s[12:19], s[0:1], 0x8
	s_load_b256 s[20:27], s[0:1], 0x58
	s_mov_b32 s2, ttmp9
	s_ashr_i32 s3, ttmp9, 31
	v_cmp_eq_u32_e64 s0, 0, v0
	v_dual_mov_b32 v12, 0 :: v_dual_lshlrev_b32 v13, 2, v0
	v_cmp_gt_u32_e64 s1, 0x80, v0
	s_mov_b32 s35, 0
	s_wait_kmcnt 0x0
	s_ashr_i32 s5, s4, 31
	v_mad_co_i64_i32 v[1:2], null, s38, v0, 0
	s_ashr_i32 s9, s8, 31
	s_ashr_i32 s7, s6, 31
	s_lshr_b32 s9, s9, 24
	v_cmp_gt_i32_e32 vcc_lo, s8, v0
	s_add_co_i32 s9, s8, s9
	s_mul_u64 s[40:41], s[6:7], s[2:3]
	s_wait_alu 0xfffe
	s_and_b32 s36, s9, 0xffffff00
	s_mul_u64 s[42:43], s[4:5], s[2:3]
	v_or_b32_e32 v3, s36, v0
	v_cndmask_b32_e32 v5, 0, v0, vcc_lo
	s_ashr_i32 s39, s38, 31
	s_cmp_gt_i32 s8, 0xff
	v_cmp_gt_u32_e64 s3, 64, v0
	v_cmp_gt_i32_e64 s2, s8, v3
	v_mad_co_i64_i32 v[3:4], null, s38, v3, 0
	v_cmp_gt_u32_e64 s4, 32, v0
	v_cmp_gt_u32_e64 s5, 16, v0
	;; [unrolled: 1-line block ×5, first 2 shown]
	v_lshlrev_b64_e32 v[0:1], 1, v[1:2]
	v_lshlrev_b64_e32 v[2:3], 1, v[3:4]
	v_lshlrev_b32_e32 v14, 1, v5
	s_cselect_b32 s33, -1, 0
	s_ashr_i32 s37, s36, 31
	s_wait_alu 0xfffe
	s_lshl_b64 s[38:39], s[38:39], 9
	s_lshl_b64 s[18:19], s[18:19], 1
	s_lshl_b64 s[30:31], s[30:31], 1
	s_lshl_b64 s[26:27], s[26:27], 1
	s_lshl_b64 s[40:41], s[40:41], 1
	s_lshl_b64 s[42:43], s[42:43], 1
	s_lshl_b64 s[44:45], s[36:37], 1
	s_branch .LBB450_4
.LBB450_2:                              ;   in Loop: Header=BB450_4 Depth=1
	s_or_b32 exec_lo, exec_lo, s10
.LBB450_3:                              ;   in Loop: Header=BB450_4 Depth=1
	s_add_co_i32 s34, s34, 0x10000
	s_delay_alu instid0(SALU_CYCLE_1)
	s_cmp_lt_u32 s34, s11
	s_cbranch_scc0 .LBB450_45
.LBB450_4:                              ; =>This Loop Header: Depth=1
                                        ;     Child Loop BB450_19 Depth 2
	s_mul_u64 s[46:47], s[14:15], s[34:35]
	s_mul_u64 s[48:49], s[22:23], s[34:35]
	s_lshl_b64 s[46:47], s[46:47], 2
	s_lshl_b64 s[48:49], s[48:49], 2
	s_add_nc_u64 s[46:47], s[12:13], s[46:47]
	s_add_nc_u64 s[48:49], s[20:21], s[48:49]
	s_clause 0x1
	global_load_b32 v15, v12, s[46:47]
	global_load_b32 v4, v12, s[48:49]
	s_wait_loadcnt 0x1
	v_cmp_eq_f32_e64 s9, 0, v15
	s_wait_loadcnt 0x0
	v_cmp_eq_f32_e32 vcc_lo, 1.0, v4
	v_readfirstlane_b32 s37, v4
	s_and_b32 s10, s9, vcc_lo
	s_delay_alu instid0(SALU_CYCLE_1)
	s_and_b32 vcc_lo, exec_lo, s10
	s_wait_alu 0xfffe
	s_cbranch_vccnz .LBB450_3
; %bb.5:                                ;   in Loop: Header=BB450_4 Depth=1
	v_mov_b32_e32 v4, 0
	v_dual_mov_b32 v5, 0 :: v_dual_mov_b32 v6, 0
	v_cmp_neq_f32_e64 s10, 0, v15
	v_mov_b32_e32 v7, 0
	s_and_b32 vcc_lo, exec_lo, s9
	s_wait_alu 0xfffe
	s_cbranch_vccnz .LBB450_7
; %bb.6:                                ;   in Loop: Header=BB450_4 Depth=1
	s_lshl_b64 s[46:47], s[34:35], 3
	s_delay_alu instid0(SALU_CYCLE_1)
	s_add_nc_u64 s[46:47], s[16:17], s[46:47]
	global_load_b64 v[6:7], v12, s[46:47]
	s_wait_loadcnt 0x0
	v_add_co_u32 v6, vcc_lo, v6, s18
	s_wait_alu 0xfffd
	v_add_co_ci_u32_e64 v7, null, s19, v7, vcc_lo
.LBB450_7:                              ;   in Loop: Header=BB450_4 Depth=1
	s_and_not1_b32 vcc_lo, exec_lo, s10
	s_wait_alu 0xfffe
	s_cbranch_vccnz .LBB450_9
; %bb.8:                                ;   in Loop: Header=BB450_4 Depth=1
	s_lshl_b64 s[46:47], s[34:35], 3
	s_delay_alu instid0(SALU_CYCLE_1)
	s_add_nc_u64 s[46:47], s[28:29], s[46:47]
	global_load_b64 v[4:5], v12, s[46:47]
	s_wait_loadcnt 0x0
	v_add_co_u32 v4, vcc_lo, v4, s30
	s_wait_alu 0xfffd
	v_add_co_ci_u32_e64 v5, null, s31, v5, vcc_lo
.LBB450_9:                              ;   in Loop: Header=BB450_4 Depth=1
	s_lshl_b64 s[46:47], s[34:35], 3
	s_delay_alu instid0(SALU_CYCLE_1)
	s_add_nc_u64 s[46:47], s[24:25], s[46:47]
	global_load_b64 v[8:9], v12, s[46:47]
	s_wait_loadcnt 0x0
	v_add_co_u32 v16, vcc_lo, v8, s26
	s_wait_alu 0xfffd
	v_add_co_ci_u32_e64 v17, null, s27, v9, vcc_lo
	s_and_not1_b32 vcc_lo, exec_lo, s9
	s_wait_alu 0xfffe
	s_cbranch_vccnz .LBB450_13
; %bb.10:                               ;   in Loop: Header=BB450_4 Depth=1
	s_mov_b32 s10, 0
	s_mov_b32 s9, 0
                                        ; implicit-def: $vgpr8
	s_and_saveexec_b32 s46, s0
	s_cbranch_execz .LBB450_14
; %bb.11:                               ;   in Loop: Header=BB450_4 Depth=1
	s_cmp_eq_f32 s37, 0
	s_cbranch_scc1 .LBB450_15
; %bb.12:                               ;   in Loop: Header=BB450_4 Depth=1
	v_add_co_u32 v8, vcc_lo, v16, s40
	s_wait_alu 0xfffd
	v_add_co_ci_u32_e64 v9, null, s41, v17, vcc_lo
	flat_load_u16 v8, v[8:9]
	s_wait_loadcnt_dscnt 0x0
	v_fma_mixlo_f16 v8, s37, v8, 0 op_sel_hi:[0,1,0]
	s_branch .LBB450_16
.LBB450_13:                             ;   in Loop: Header=BB450_4 Depth=1
	s_mov_b32 s9, 0
                                        ; implicit-def: $vgpr8
	s_cbranch_execnz .LBB450_17
	s_branch .LBB450_43
.LBB450_14:                             ;   in Loop: Header=BB450_4 Depth=1
	s_or_b32 exec_lo, exec_lo, s46
	s_delay_alu instid0(SALU_CYCLE_1)
	s_and_b32 vcc_lo, exec_lo, s10
	s_wait_alu 0xfffe
	s_cbranch_vccnz .LBB450_17
	s_branch .LBB450_43
.LBB450_15:                             ;   in Loop: Header=BB450_4 Depth=1
	v_mov_b32_e32 v8, 0
.LBB450_16:                             ;   in Loop: Header=BB450_4 Depth=1
	s_mov_b32 s9, exec_lo
	s_or_b32 exec_lo, exec_lo, s46
	s_delay_alu instid0(SALU_CYCLE_1)
	s_and_b32 vcc_lo, exec_lo, s10
	s_wait_alu 0xfffe
	s_cbranch_vccz .LBB450_43
.LBB450_17:                             ;   in Loop: Header=BB450_4 Depth=1
	v_add_co_u32 v6, vcc_lo, v6, v14
	s_wait_alu 0xfffd
	v_add_co_ci_u32_e64 v7, null, 0, v7, vcc_lo
	v_mov_b32_e32 v18, 0
	s_delay_alu instid0(VALU_DEP_3) | instskip(SKIP_1) | instid1(VALU_DEP_3)
	v_add_co_u32 v6, vcc_lo, v6, s42
	s_wait_alu 0xfffd
	v_add_co_ci_u32_e64 v7, null, s43, v7, vcc_lo
	s_and_not1_b32 vcc_lo, exec_lo, s33
	s_wait_alu 0xfffe
	s_cbranch_vccnz .LBB450_20
; %bb.18:                               ;   in Loop: Header=BB450_4 Depth=1
	v_add_co_u32 v8, vcc_lo, v4, v0
	v_dual_mov_b32 v18, 0 :: v_dual_mov_b32 v11, v7
	s_wait_alu 0xfffd
	v_add_co_ci_u32_e64 v9, null, v5, v1, vcc_lo
	v_mov_b32_e32 v10, v6
	s_mov_b32 s10, 0
.LBB450_19:                             ;   Parent Loop BB450_4 Depth=1
                                        ; =>  This Inner Loop Header: Depth=2
	flat_load_u16 v19, v[10:11]
	flat_load_u16 v20, v[8:9]
	v_add_co_u32 v8, vcc_lo, v8, s38
	s_wait_alu 0xfffd
	v_add_co_ci_u32_e64 v9, null, s39, v9, vcc_lo
	v_add_co_u32 v10, vcc_lo, 0x200, v10
	s_wait_alu 0xfffd
	v_add_co_ci_u32_e64 v11, null, 0, v11, vcc_lo
	s_addk_co_i32 s10, 0x100
	s_delay_alu instid0(SALU_CYCLE_1) | instskip(SKIP_2) | instid1(VALU_DEP_1)
	s_cmp_ge_i32 s10, s36
	s_wait_loadcnt_dscnt 0x0
	v_mul_f16_e32 v19, v19, v20
	v_cvt_f32_f16_e32 v19, v19
	s_delay_alu instid0(VALU_DEP_1)
	v_add_f32_e32 v18, v18, v19
	s_cbranch_scc0 .LBB450_19
.LBB450_20:                             ;   in Loop: Header=BB450_4 Depth=1
	s_and_saveexec_b32 s10, s2
	s_cbranch_execz .LBB450_22
; %bb.21:                               ;   in Loop: Header=BB450_4 Depth=1
	v_add_co_u32 v6, vcc_lo, v6, s44
	s_wait_alu 0xfffd
	v_add_co_ci_u32_e64 v7, null, s45, v7, vcc_lo
	v_add_co_u32 v4, vcc_lo, v4, v2
	s_wait_alu 0xfffd
	v_add_co_ci_u32_e64 v5, null, v5, v3, vcc_lo
	flat_load_u16 v6, v[6:7]
	flat_load_u16 v4, v[4:5]
	s_wait_loadcnt_dscnt 0x0
	v_mul_f16_e32 v4, v6, v4
	s_delay_alu instid0(VALU_DEP_1) | instskip(NEXT) | instid1(VALU_DEP_1)
	v_cvt_f32_f16_e32 v4, v4
	v_add_f32_e32 v18, v18, v4
.LBB450_22:                             ;   in Loop: Header=BB450_4 Depth=1
	s_or_b32 exec_lo, exec_lo, s10
	ds_store_b32 v13, v18
	s_wait_dscnt 0x0
	s_barrier_signal -1
	s_barrier_wait -1
	global_inv scope:SCOPE_SE
	s_and_saveexec_b32 s10, s1
	s_cbranch_execz .LBB450_24
; %bb.23:                               ;   in Loop: Header=BB450_4 Depth=1
	ds_load_2addr_stride64_b32 v[4:5], v13 offset1:2
	s_wait_dscnt 0x0
	v_add_f32_e32 v4, v5, v4
	ds_store_b32 v13, v4
.LBB450_24:                             ;   in Loop: Header=BB450_4 Depth=1
	s_or_b32 exec_lo, exec_lo, s10
	s_wait_loadcnt_dscnt 0x0
	s_barrier_signal -1
	s_barrier_wait -1
	global_inv scope:SCOPE_SE
	s_and_saveexec_b32 s10, s3
	s_cbranch_execz .LBB450_26
; %bb.25:                               ;   in Loop: Header=BB450_4 Depth=1
	ds_load_2addr_stride64_b32 v[4:5], v13 offset1:1
	s_wait_dscnt 0x0
	v_add_f32_e32 v4, v5, v4
	ds_store_b32 v13, v4
.LBB450_26:                             ;   in Loop: Header=BB450_4 Depth=1
	s_or_b32 exec_lo, exec_lo, s10
	s_wait_loadcnt_dscnt 0x0
	s_barrier_signal -1
	s_barrier_wait -1
	global_inv scope:SCOPE_SE
	s_and_saveexec_b32 s10, s4
	s_cbranch_execz .LBB450_28
; %bb.27:                               ;   in Loop: Header=BB450_4 Depth=1
	ds_load_2addr_b32 v[4:5], v13 offset1:32
	s_wait_dscnt 0x0
	v_add_f32_e32 v4, v5, v4
	ds_store_b32 v13, v4
.LBB450_28:                             ;   in Loop: Header=BB450_4 Depth=1
	s_or_b32 exec_lo, exec_lo, s10
	s_wait_loadcnt_dscnt 0x0
	s_barrier_signal -1
	s_barrier_wait -1
	global_inv scope:SCOPE_SE
	s_and_saveexec_b32 s10, s5
	s_cbranch_execz .LBB450_30
; %bb.29:                               ;   in Loop: Header=BB450_4 Depth=1
	ds_load_2addr_b32 v[4:5], v13 offset1:16
	s_wait_dscnt 0x0
	v_add_f32_e32 v4, v5, v4
	ds_store_b32 v13, v4
.LBB450_30:                             ;   in Loop: Header=BB450_4 Depth=1
	;; [unrolled: 13-line block ×5, first 2 shown]
	s_or_b32 exec_lo, exec_lo, s10
	s_wait_loadcnt_dscnt 0x0
	s_barrier_signal -1
	s_barrier_wait -1
	global_inv scope:SCOPE_SE
	s_and_saveexec_b32 s10, s0
	s_cbranch_execz .LBB450_38
; %bb.37:                               ;   in Loop: Header=BB450_4 Depth=1
	ds_load_b64 v[4:5], v12
	s_wait_dscnt 0x0
	v_add_f32_e32 v4, v5, v4
	ds_store_b32 v12, v4
.LBB450_38:                             ;   in Loop: Header=BB450_4 Depth=1
	s_or_b32 exec_lo, exec_lo, s10
	s_wait_loadcnt_dscnt 0x0
	s_barrier_signal -1
	s_barrier_wait -1
	global_inv scope:SCOPE_SE
                                        ; implicit-def: $vgpr8
	s_and_saveexec_b32 s10, s0
	s_cbranch_execz .LBB450_42
; %bb.39:                               ;   in Loop: Header=BB450_4 Depth=1
	ds_load_b32 v4, v12
	s_cmp_eq_f32 s37, 0
	s_wait_dscnt 0x0
	v_mul_f32_e32 v4, v15, v4
	s_cbranch_scc1 .LBB450_41
; %bb.40:                               ;   in Loop: Header=BB450_4 Depth=1
	v_add_co_u32 v5, vcc_lo, v16, s40
	s_wait_alu 0xfffd
	v_add_co_ci_u32_e64 v6, null, s41, v17, vcc_lo
	flat_load_u16 v5, v[5:6]
	s_wait_loadcnt_dscnt 0x0
	v_fma_mix_f32 v4, s37, v5, v4 op_sel_hi:[0,1,0]
.LBB450_41:                             ;   in Loop: Header=BB450_4 Depth=1
	s_delay_alu instid0(VALU_DEP_1)
	v_cvt_f16_f32_e32 v8, v4
	s_or_b32 s9, s9, exec_lo
.LBB450_42:                             ;   in Loop: Header=BB450_4 Depth=1
	s_or_b32 exec_lo, exec_lo, s10
.LBB450_43:                             ;   in Loop: Header=BB450_4 Depth=1
	s_wait_alu 0xfffe
	s_and_saveexec_b32 s10, s9
	s_cbranch_execz .LBB450_2
; %bb.44:                               ;   in Loop: Header=BB450_4 Depth=1
	v_add_co_u32 v4, vcc_lo, v16, s40
	s_wait_alu 0xfffd
	v_add_co_ci_u32_e64 v5, null, s41, v17, vcc_lo
	flat_store_b16 v[4:5], v8
	s_branch .LBB450_2
.LBB450_45:
	s_endpgm
	.section	.rodata,"a",@progbits
	.p2align	6, 0x0
	.amdhsa_kernel _ZL20rocblas_gemvt_kernelILb0ELi256EPKDF16_PKfKPDF16_EviiT2_lPKT1_lilS9_lilS6_lPT3_lili
		.amdhsa_group_segment_fixed_size 1024
		.amdhsa_private_segment_fixed_size 0
		.amdhsa_kernarg_size 140
		.amdhsa_user_sgpr_count 2
		.amdhsa_user_sgpr_dispatch_ptr 0
		.amdhsa_user_sgpr_queue_ptr 0
		.amdhsa_user_sgpr_kernarg_segment_ptr 1
		.amdhsa_user_sgpr_dispatch_id 0
		.amdhsa_user_sgpr_private_segment_size 0
		.amdhsa_wavefront_size32 1
		.amdhsa_uses_dynamic_stack 0
		.amdhsa_enable_private_segment 0
		.amdhsa_system_sgpr_workgroup_id_x 1
		.amdhsa_system_sgpr_workgroup_id_y 0
		.amdhsa_system_sgpr_workgroup_id_z 1
		.amdhsa_system_sgpr_workgroup_info 0
		.amdhsa_system_vgpr_workitem_id 0
		.amdhsa_next_free_vgpr 21
		.amdhsa_next_free_sgpr 50
		.amdhsa_reserve_vcc 1
		.amdhsa_float_round_mode_32 0
		.amdhsa_float_round_mode_16_64 0
		.amdhsa_float_denorm_mode_32 3
		.amdhsa_float_denorm_mode_16_64 3
		.amdhsa_fp16_overflow 0
		.amdhsa_workgroup_processor_mode 1
		.amdhsa_memory_ordered 1
		.amdhsa_forward_progress 1
		.amdhsa_inst_pref_size 14
		.amdhsa_round_robin_scheduling 0
		.amdhsa_exception_fp_ieee_invalid_op 0
		.amdhsa_exception_fp_denorm_src 0
		.amdhsa_exception_fp_ieee_div_zero 0
		.amdhsa_exception_fp_ieee_overflow 0
		.amdhsa_exception_fp_ieee_underflow 0
		.amdhsa_exception_fp_ieee_inexact 0
		.amdhsa_exception_int_div_zero 0
	.end_amdhsa_kernel
	.section	.text._ZL20rocblas_gemvt_kernelILb0ELi256EPKDF16_PKfKPDF16_EviiT2_lPKT1_lilS9_lilS6_lPT3_lili,"axG",@progbits,_ZL20rocblas_gemvt_kernelILb0ELi256EPKDF16_PKfKPDF16_EviiT2_lPKT1_lilS9_lilS6_lPT3_lili,comdat
.Lfunc_end450:
	.size	_ZL20rocblas_gemvt_kernelILb0ELi256EPKDF16_PKfKPDF16_EviiT2_lPKT1_lilS9_lilS6_lPT3_lili, .Lfunc_end450-_ZL20rocblas_gemvt_kernelILb0ELi256EPKDF16_PKfKPDF16_EviiT2_lPKT1_lilS9_lilS6_lPT3_lili
                                        ; -- End function
	.set _ZL20rocblas_gemvt_kernelILb0ELi256EPKDF16_PKfKPDF16_EviiT2_lPKT1_lilS9_lilS6_lPT3_lili.num_vgpr, 21
	.set _ZL20rocblas_gemvt_kernelILb0ELi256EPKDF16_PKfKPDF16_EviiT2_lPKT1_lilS9_lilS6_lPT3_lili.num_agpr, 0
	.set _ZL20rocblas_gemvt_kernelILb0ELi256EPKDF16_PKfKPDF16_EviiT2_lPKT1_lilS9_lilS6_lPT3_lili.numbered_sgpr, 50
	.set _ZL20rocblas_gemvt_kernelILb0ELi256EPKDF16_PKfKPDF16_EviiT2_lPKT1_lilS9_lilS6_lPT3_lili.num_named_barrier, 0
	.set _ZL20rocblas_gemvt_kernelILb0ELi256EPKDF16_PKfKPDF16_EviiT2_lPKT1_lilS9_lilS6_lPT3_lili.private_seg_size, 0
	.set _ZL20rocblas_gemvt_kernelILb0ELi256EPKDF16_PKfKPDF16_EviiT2_lPKT1_lilS9_lilS6_lPT3_lili.uses_vcc, 1
	.set _ZL20rocblas_gemvt_kernelILb0ELi256EPKDF16_PKfKPDF16_EviiT2_lPKT1_lilS9_lilS6_lPT3_lili.uses_flat_scratch, 0
	.set _ZL20rocblas_gemvt_kernelILb0ELi256EPKDF16_PKfKPDF16_EviiT2_lPKT1_lilS9_lilS6_lPT3_lili.has_dyn_sized_stack, 0
	.set _ZL20rocblas_gemvt_kernelILb0ELi256EPKDF16_PKfKPDF16_EviiT2_lPKT1_lilS9_lilS6_lPT3_lili.has_recursion, 0
	.set _ZL20rocblas_gemvt_kernelILb0ELi256EPKDF16_PKfKPDF16_EviiT2_lPKT1_lilS9_lilS6_lPT3_lili.has_indirect_call, 0
	.section	.AMDGPU.csdata,"",@progbits
; Kernel info:
; codeLenInByte = 1732
; TotalNumSgprs: 52
; NumVgprs: 21
; ScratchSize: 0
; MemoryBound: 0
; FloatMode: 240
; IeeeMode: 1
; LDSByteSize: 1024 bytes/workgroup (compile time only)
; SGPRBlocks: 0
; VGPRBlocks: 2
; NumSGPRsForWavesPerEU: 52
; NumVGPRsForWavesPerEU: 21
; Occupancy: 16
; WaveLimiterHint : 1
; COMPUTE_PGM_RSRC2:SCRATCH_EN: 0
; COMPUTE_PGM_RSRC2:USER_SGPR: 2
; COMPUTE_PGM_RSRC2:TRAP_HANDLER: 0
; COMPUTE_PGM_RSRC2:TGID_X_EN: 1
; COMPUTE_PGM_RSRC2:TGID_Y_EN: 0
; COMPUTE_PGM_RSRC2:TGID_Z_EN: 1
; COMPUTE_PGM_RSRC2:TIDIG_COMP_CNT: 0
	.section	.text._ZL20rocblas_gemvt_kernelILb0ELi256EPKDF16_fKPDF16_EviiT2_lPKT1_lilS7_lilS4_lPT3_lili,"axG",@progbits,_ZL20rocblas_gemvt_kernelILb0ELi256EPKDF16_fKPDF16_EviiT2_lPKT1_lilS7_lilS4_lPT3_lili,comdat
	.globl	_ZL20rocblas_gemvt_kernelILb0ELi256EPKDF16_fKPDF16_EviiT2_lPKT1_lilS7_lilS4_lPT3_lili ; -- Begin function _ZL20rocblas_gemvt_kernelILb0ELi256EPKDF16_fKPDF16_EviiT2_lPKT1_lilS7_lilS4_lPT3_lili
	.p2align	8
	.type	_ZL20rocblas_gemvt_kernelILb0ELi256EPKDF16_fKPDF16_EviiT2_lPKT1_lilS7_lilS4_lPT3_lili,@function
_ZL20rocblas_gemvt_kernelILb0ELi256EPKDF16_fKPDF16_EviiT2_lPKT1_lilS7_lilS4_lPT3_lili: ; @_ZL20rocblas_gemvt_kernelILb0ELi256EPKDF16_fKPDF16_EviiT2_lPKT1_lilS7_lilS4_lPT3_lili
; %bb.0:
	s_load_b32 s33, s[0:1], 0x88
	s_lshr_b32 s10, ttmp7, 16
	s_wait_kmcnt 0x0
	s_cmp_ge_u32 s10, s33
	s_cbranch_scc1 .LBB451_48
; %bb.1:
	s_clause 0x8
	s_load_b32 s26, s[0:1], 0x28
	s_load_b32 s28, s[0:1], 0x48
	;; [unrolled: 1-line block ×6, first 2 shown]
	s_load_b128 s[12:15], s[0:1], 0x18
	s_load_b128 s[16:19], s[0:1], 0x38
	;; [unrolled: 1-line block ×3, first 2 shown]
	v_cmp_eq_u32_e64 s0, 0, v0
	v_dual_mov_b32 v13, 0 :: v_dual_lshlrev_b32 v14, 2, v0
	v_cmp_gt_u32_e64 s1, 0x80, v0
	v_cmp_gt_u32_e64 s2, 64, v0
	;; [unrolled: 1-line block ×5, first 2 shown]
	s_mov_b32 s8, ttmp9
	s_mov_b32 s11, 0
	s_wait_kmcnt 0x0
	s_ashr_i32 s27, s26, 31
	s_ashr_i32 s29, s28, 31
	;; [unrolled: 1-line block ×3, first 2 shown]
	s_cmp_eq_f32 s36, 0
	v_mad_co_i64_i32 v[1:2], null, s28, v0, 0
	v_cmp_gt_i32_e32 vcc_lo, s41, v0
	s_cselect_b32 s38, -1, 0
	s_cmp_neq_f32 s37, 1.0
	v_cndmask_b32_e32 v5, 0, v0, vcc_lo
	s_cselect_b32 s6, -1, 0
	s_cmp_neq_f32 s36, 0
	s_delay_alu instid0(VALU_DEP_3) | instskip(SKIP_1) | instid1(SALU_CYCLE_1)
	v_lshlrev_b64_e32 v[1:2], 1, v[1:2]
	s_cselect_b32 s7, -1, 0
	s_or_b32 s39, s7, s6
	s_cmp_neq_f32 s37, 0
	v_cndmask_b32_e64 v15, 0, 1, s7
	v_cmp_gt_u32_e64 s6, 4, v0
	v_cmp_gt_u32_e64 s7, 2, v0
	s_cselect_b32 s40, -1, 0
	s_ashr_i32 s9, s41, 31
	s_delay_alu instid0(SALU_CYCLE_1) | instskip(NEXT) | instid1(SALU_CYCLE_1)
	s_lshr_b32 s9, s9, 24
	s_add_co_i32 s24, s41, s9
	s_ashr_i32 s9, ttmp9, 31
	s_and_b32 s24, s24, 0xffffff00
	s_cmp_gt_i32 s41, 0xff
	v_or_b32_e32 v0, s24, v0
	s_mul_u64 s[30:31], s[30:31], s[8:9]
	s_mul_u64 s[34:35], s[26:27], s[8:9]
	s_cselect_b32 s9, -1, 0
	s_ashr_i32 s25, s24, 31
	v_mad_co_i64_i32 v[3:4], null, s28, v0, 0
	v_cmp_gt_i32_e64 s8, s41, v0
	v_lshlrev_b32_e32 v0, 1, v5
	s_lshl_b64 s[26:27], s[28:29], 9
	s_lshl_b64 s[14:15], s[14:15], 1
	;; [unrolled: 1-line block ×4, first 2 shown]
	v_lshlrev_b64_e32 v[3:4], 1, v[3:4]
	s_lshl_b64 s[28:29], s[30:31], 1
	s_lshl_b64 s[30:31], s[34:35], 1
	s_wait_alu 0xfffe
	s_lshl_b64 s[34:35], s[24:25], 1
	s_branch .LBB451_4
.LBB451_2:                              ;   in Loop: Header=BB451_4 Depth=1
	s_wait_alu 0xfffe
	s_or_b32 exec_lo, exec_lo, s41
.LBB451_3:                              ;   in Loop: Header=BB451_4 Depth=1
	s_add_co_i32 s10, s10, 0x10000
	s_delay_alu instid0(SALU_CYCLE_1)
	s_cmp_lt_u32 s10, s33
	s_cbranch_scc0 .LBB451_48
.LBB451_4:                              ; =>This Loop Header: Depth=1
                                        ;     Child Loop BB451_22 Depth 2
	s_and_not1_b32 vcc_lo, exec_lo, s39
	s_wait_alu 0xfffe
	s_cbranch_vccnz .LBB451_3
; %bb.5:                                ;   in Loop: Header=BB451_4 Depth=1
	s_and_not1_b32 vcc_lo, exec_lo, s38
	s_wait_alu 0xfffe
	s_cbranch_vccnz .LBB451_7
; %bb.6:                                ;   in Loop: Header=BB451_4 Depth=1
	s_mov_b32 s25, 0
	s_branch .LBB451_8
.LBB451_7:                              ;   in Loop: Header=BB451_4 Depth=1
	s_mov_b32 s25, -1
.LBB451_8:                              ;   in Loop: Header=BB451_4 Depth=1
	v_mov_b32_e32 v5, 0
	v_dual_mov_b32 v6, 0 :: v_dual_mov_b32 v7, 0
	v_mov_b32_e32 v8, 0
	s_wait_alu 0xfffe
	s_and_not1_b32 vcc_lo, exec_lo, s25
	s_wait_alu 0xfffe
	s_cbranch_vccnz .LBB451_10
; %bb.9:                                ;   in Loop: Header=BB451_4 Depth=1
	s_lshl_b64 s[42:43], s[10:11], 3
	s_delay_alu instid0(SALU_CYCLE_1)
	s_add_nc_u64 s[42:43], s[12:13], s[42:43]
	global_load_b64 v[7:8], v13, s[42:43]
	s_wait_loadcnt 0x0
	v_add_co_u32 v7, vcc_lo, v7, s14
	s_wait_alu 0xfffd
	v_add_co_ci_u32_e64 v8, null, s15, v8, vcc_lo
.LBB451_10:                             ;   in Loop: Header=BB451_4 Depth=1
	v_cmp_ne_u32_e32 vcc_lo, 1, v15
	s_cbranch_vccnz .LBB451_12
; %bb.11:                               ;   in Loop: Header=BB451_4 Depth=1
	s_lshl_b64 s[42:43], s[10:11], 3
	s_delay_alu instid0(SALU_CYCLE_1)
	s_add_nc_u64 s[42:43], s[16:17], s[42:43]
	global_load_b64 v[5:6], v13, s[42:43]
	s_wait_loadcnt 0x0
	v_add_co_u32 v5, vcc_lo, v5, s18
	s_wait_alu 0xfffd
	v_add_co_ci_u32_e64 v6, null, s19, v6, vcc_lo
.LBB451_12:                             ;   in Loop: Header=BB451_4 Depth=1
	s_lshl_b64 s[42:43], s[10:11], 3
	s_delay_alu instid0(SALU_CYCLE_1)
	s_add_nc_u64 s[42:43], s[20:21], s[42:43]
	global_load_b64 v[9:10], v13, s[42:43]
	s_wait_loadcnt 0x0
	v_add_co_u32 v16, vcc_lo, v9, s22
	s_wait_alu 0xfffd
	v_add_co_ci_u32_e64 v17, null, s23, v10, vcc_lo
	s_and_not1_b32 vcc_lo, exec_lo, s38
	s_wait_alu 0xfffe
	s_cbranch_vccnz .LBB451_16
; %bb.13:                               ;   in Loop: Header=BB451_4 Depth=1
	s_mov_b32 s41, 0
	s_mov_b32 s25, 0
                                        ; implicit-def: $vgpr9
	s_and_saveexec_b32 s42, s0
	s_cbranch_execz .LBB451_17
; %bb.14:                               ;   in Loop: Header=BB451_4 Depth=1
	s_and_not1_b32 vcc_lo, exec_lo, s40
	s_wait_alu 0xfffe
	s_cbranch_vccnz .LBB451_18
; %bb.15:                               ;   in Loop: Header=BB451_4 Depth=1
	v_add_co_u32 v9, vcc_lo, v16, s28
	s_wait_alu 0xfffd
	v_add_co_ci_u32_e64 v10, null, s29, v17, vcc_lo
	flat_load_u16 v9, v[9:10]
	s_wait_loadcnt_dscnt 0x0
	v_fma_mixlo_f16 v9, s37, v9, 0 op_sel_hi:[0,1,0]
	s_branch .LBB451_19
.LBB451_16:                             ;   in Loop: Header=BB451_4 Depth=1
	s_mov_b32 s25, 0
                                        ; implicit-def: $vgpr9
	s_cbranch_execnz .LBB451_20
	s_branch .LBB451_46
.LBB451_17:                             ;   in Loop: Header=BB451_4 Depth=1
	s_or_b32 exec_lo, exec_lo, s42
	s_wait_alu 0xfffe
	s_and_b32 vcc_lo, exec_lo, s41
	s_wait_alu 0xfffe
	s_cbranch_vccnz .LBB451_20
	s_branch .LBB451_46
.LBB451_18:                             ;   in Loop: Header=BB451_4 Depth=1
	v_mov_b32_e32 v9, 0
.LBB451_19:                             ;   in Loop: Header=BB451_4 Depth=1
	s_mov_b32 s25, exec_lo
	s_or_b32 exec_lo, exec_lo, s42
	s_delay_alu instid0(SALU_CYCLE_1)
	s_and_b32 vcc_lo, exec_lo, s41
	s_wait_alu 0xfffe
	s_cbranch_vccz .LBB451_46
.LBB451_20:                             ;   in Loop: Header=BB451_4 Depth=1
	v_add_co_u32 v7, vcc_lo, v7, v0
	s_wait_alu 0xfffd
	v_add_co_ci_u32_e64 v8, null, 0, v8, vcc_lo
	v_mov_b32_e32 v18, 0
	s_delay_alu instid0(VALU_DEP_3) | instskip(SKIP_1) | instid1(VALU_DEP_3)
	v_add_co_u32 v7, vcc_lo, v7, s30
	s_wait_alu 0xfffd
	v_add_co_ci_u32_e64 v8, null, s31, v8, vcc_lo
	s_and_not1_b32 vcc_lo, exec_lo, s9
	s_wait_alu 0xfffe
	s_cbranch_vccnz .LBB451_23
; %bb.21:                               ;   in Loop: Header=BB451_4 Depth=1
	v_add_co_u32 v9, vcc_lo, v5, v1
	v_mov_b32_e32 v12, v8
	s_wait_alu 0xfffd
	v_add_co_ci_u32_e64 v10, null, v6, v2, vcc_lo
	v_dual_mov_b32 v18, 0 :: v_dual_mov_b32 v11, v7
	s_mov_b32 s41, 0
.LBB451_22:                             ;   Parent Loop BB451_4 Depth=1
                                        ; =>  This Inner Loop Header: Depth=2
	flat_load_u16 v19, v[11:12]
	flat_load_u16 v20, v[9:10]
	v_add_co_u32 v9, vcc_lo, v9, s26
	s_wait_alu 0xfffd
	v_add_co_ci_u32_e64 v10, null, s27, v10, vcc_lo
	v_add_co_u32 v11, vcc_lo, 0x200, v11
	s_wait_alu 0xfffd
	v_add_co_ci_u32_e64 v12, null, 0, v12, vcc_lo
	s_wait_alu 0xfffe
	s_addk_co_i32 s41, 0x100
	s_wait_alu 0xfffe
	s_cmp_ge_i32 s41, s24
	s_wait_loadcnt_dscnt 0x0
	v_mul_f16_e32 v19, v19, v20
	s_delay_alu instid0(VALU_DEP_1) | instskip(NEXT) | instid1(VALU_DEP_1)
	v_cvt_f32_f16_e32 v19, v19
	v_add_f32_e32 v18, v18, v19
	s_cbranch_scc0 .LBB451_22
.LBB451_23:                             ;   in Loop: Header=BB451_4 Depth=1
	s_and_saveexec_b32 s41, s8
	s_cbranch_execz .LBB451_25
; %bb.24:                               ;   in Loop: Header=BB451_4 Depth=1
	v_add_co_u32 v7, vcc_lo, v7, s34
	s_wait_alu 0xfffd
	v_add_co_ci_u32_e64 v8, null, s35, v8, vcc_lo
	v_add_co_u32 v5, vcc_lo, v5, v3
	s_wait_alu 0xfffd
	v_add_co_ci_u32_e64 v6, null, v6, v4, vcc_lo
	flat_load_u16 v7, v[7:8]
	flat_load_u16 v5, v[5:6]
	s_wait_loadcnt_dscnt 0x0
	v_mul_f16_e32 v5, v7, v5
	s_delay_alu instid0(VALU_DEP_1) | instskip(NEXT) | instid1(VALU_DEP_1)
	v_cvt_f32_f16_e32 v5, v5
	v_add_f32_e32 v18, v18, v5
.LBB451_25:                             ;   in Loop: Header=BB451_4 Depth=1
	s_wait_alu 0xfffe
	s_or_b32 exec_lo, exec_lo, s41
	ds_store_b32 v14, v18
	s_wait_dscnt 0x0
	s_barrier_signal -1
	s_barrier_wait -1
	global_inv scope:SCOPE_SE
	s_and_saveexec_b32 s41, s1
	s_cbranch_execz .LBB451_27
; %bb.26:                               ;   in Loop: Header=BB451_4 Depth=1
	ds_load_2addr_stride64_b32 v[5:6], v14 offset1:2
	s_wait_dscnt 0x0
	v_add_f32_e32 v5, v6, v5
	ds_store_b32 v14, v5
.LBB451_27:                             ;   in Loop: Header=BB451_4 Depth=1
	s_wait_alu 0xfffe
	s_or_b32 exec_lo, exec_lo, s41
	s_wait_loadcnt_dscnt 0x0
	s_barrier_signal -1
	s_barrier_wait -1
	global_inv scope:SCOPE_SE
	s_and_saveexec_b32 s41, s2
	s_cbranch_execz .LBB451_29
; %bb.28:                               ;   in Loop: Header=BB451_4 Depth=1
	ds_load_2addr_stride64_b32 v[5:6], v14 offset1:1
	s_wait_dscnt 0x0
	v_add_f32_e32 v5, v6, v5
	ds_store_b32 v14, v5
.LBB451_29:                             ;   in Loop: Header=BB451_4 Depth=1
	s_wait_alu 0xfffe
	s_or_b32 exec_lo, exec_lo, s41
	s_wait_loadcnt_dscnt 0x0
	s_barrier_signal -1
	s_barrier_wait -1
	global_inv scope:SCOPE_SE
	s_and_saveexec_b32 s41, s3
	s_cbranch_execz .LBB451_31
; %bb.30:                               ;   in Loop: Header=BB451_4 Depth=1
	ds_load_2addr_b32 v[5:6], v14 offset1:32
	s_wait_dscnt 0x0
	v_add_f32_e32 v5, v6, v5
	ds_store_b32 v14, v5
.LBB451_31:                             ;   in Loop: Header=BB451_4 Depth=1
	s_wait_alu 0xfffe
	s_or_b32 exec_lo, exec_lo, s41
	s_wait_loadcnt_dscnt 0x0
	s_barrier_signal -1
	s_barrier_wait -1
	global_inv scope:SCOPE_SE
	s_and_saveexec_b32 s41, s4
	s_cbranch_execz .LBB451_33
; %bb.32:                               ;   in Loop: Header=BB451_4 Depth=1
	ds_load_2addr_b32 v[5:6], v14 offset1:16
	s_wait_dscnt 0x0
	v_add_f32_e32 v5, v6, v5
	ds_store_b32 v14, v5
.LBB451_33:                             ;   in Loop: Header=BB451_4 Depth=1
	s_wait_alu 0xfffe
	s_or_b32 exec_lo, exec_lo, s41
	s_wait_loadcnt_dscnt 0x0
	s_barrier_signal -1
	s_barrier_wait -1
	global_inv scope:SCOPE_SE
	s_and_saveexec_b32 s41, s5
	s_cbranch_execz .LBB451_35
; %bb.34:                               ;   in Loop: Header=BB451_4 Depth=1
	ds_load_2addr_b32 v[5:6], v14 offset1:8
	s_wait_dscnt 0x0
	v_add_f32_e32 v5, v6, v5
	ds_store_b32 v14, v5
.LBB451_35:                             ;   in Loop: Header=BB451_4 Depth=1
	s_wait_alu 0xfffe
	s_or_b32 exec_lo, exec_lo, s41
	s_wait_loadcnt_dscnt 0x0
	s_barrier_signal -1
	s_barrier_wait -1
	global_inv scope:SCOPE_SE
	s_and_saveexec_b32 s41, s6
	s_cbranch_execz .LBB451_37
; %bb.36:                               ;   in Loop: Header=BB451_4 Depth=1
	ds_load_2addr_b32 v[5:6], v14 offset1:4
	s_wait_dscnt 0x0
	v_add_f32_e32 v5, v6, v5
	ds_store_b32 v14, v5
.LBB451_37:                             ;   in Loop: Header=BB451_4 Depth=1
	s_wait_alu 0xfffe
	s_or_b32 exec_lo, exec_lo, s41
	s_wait_loadcnt_dscnt 0x0
	s_barrier_signal -1
	s_barrier_wait -1
	global_inv scope:SCOPE_SE
	s_and_saveexec_b32 s41, s7
	s_cbranch_execz .LBB451_39
; %bb.38:                               ;   in Loop: Header=BB451_4 Depth=1
	ds_load_2addr_b32 v[5:6], v14 offset1:2
	s_wait_dscnt 0x0
	v_add_f32_e32 v5, v6, v5
	ds_store_b32 v14, v5
.LBB451_39:                             ;   in Loop: Header=BB451_4 Depth=1
	s_wait_alu 0xfffe
	s_or_b32 exec_lo, exec_lo, s41
	s_wait_loadcnt_dscnt 0x0
	s_barrier_signal -1
	s_barrier_wait -1
	global_inv scope:SCOPE_SE
	s_and_saveexec_b32 s41, s0
	s_cbranch_execz .LBB451_41
; %bb.40:                               ;   in Loop: Header=BB451_4 Depth=1
	ds_load_b64 v[5:6], v13
	s_wait_dscnt 0x0
	v_add_f32_e32 v5, v6, v5
	ds_store_b32 v13, v5
.LBB451_41:                             ;   in Loop: Header=BB451_4 Depth=1
	s_wait_alu 0xfffe
	s_or_b32 exec_lo, exec_lo, s41
	s_wait_loadcnt_dscnt 0x0
	s_barrier_signal -1
	s_barrier_wait -1
	global_inv scope:SCOPE_SE
                                        ; implicit-def: $vgpr9
	s_and_saveexec_b32 s41, s0
	s_cbranch_execz .LBB451_45
; %bb.42:                               ;   in Loop: Header=BB451_4 Depth=1
	ds_load_b32 v5, v13
	s_and_not1_b32 vcc_lo, exec_lo, s40
	s_wait_dscnt 0x0
	v_mul_f32_e32 v5, s36, v5
	s_wait_alu 0xfffe
	s_cbranch_vccnz .LBB451_44
; %bb.43:                               ;   in Loop: Header=BB451_4 Depth=1
	v_add_co_u32 v6, vcc_lo, v16, s28
	s_wait_alu 0xfffd
	v_add_co_ci_u32_e64 v7, null, s29, v17, vcc_lo
	flat_load_u16 v6, v[6:7]
	s_wait_loadcnt_dscnt 0x0
	v_fma_mix_f32 v5, s37, v6, v5 op_sel_hi:[0,1,0]
.LBB451_44:                             ;   in Loop: Header=BB451_4 Depth=1
	s_delay_alu instid0(VALU_DEP_1)
	v_cvt_f16_f32_e32 v9, v5
	s_or_b32 s25, s25, exec_lo
.LBB451_45:                             ;   in Loop: Header=BB451_4 Depth=1
	s_wait_alu 0xfffe
	s_or_b32 exec_lo, exec_lo, s41
.LBB451_46:                             ;   in Loop: Header=BB451_4 Depth=1
	s_wait_alu 0xfffe
	s_and_saveexec_b32 s41, s25
	s_cbranch_execz .LBB451_2
; %bb.47:                               ;   in Loop: Header=BB451_4 Depth=1
	v_add_co_u32 v5, vcc_lo, v16, s28
	s_wait_alu 0xfffd
	v_add_co_ci_u32_e64 v6, null, s29, v17, vcc_lo
	flat_store_b16 v[5:6], v9
	s_branch .LBB451_2
.LBB451_48:
	s_endpgm
	.section	.rodata,"a",@progbits
	.p2align	6, 0x0
	.amdhsa_kernel _ZL20rocblas_gemvt_kernelILb0ELi256EPKDF16_fKPDF16_EviiT2_lPKT1_lilS7_lilS4_lPT3_lili
		.amdhsa_group_segment_fixed_size 1024
		.amdhsa_private_segment_fixed_size 0
		.amdhsa_kernarg_size 140
		.amdhsa_user_sgpr_count 2
		.amdhsa_user_sgpr_dispatch_ptr 0
		.amdhsa_user_sgpr_queue_ptr 0
		.amdhsa_user_sgpr_kernarg_segment_ptr 1
		.amdhsa_user_sgpr_dispatch_id 0
		.amdhsa_user_sgpr_private_segment_size 0
		.amdhsa_wavefront_size32 1
		.amdhsa_uses_dynamic_stack 0
		.amdhsa_enable_private_segment 0
		.amdhsa_system_sgpr_workgroup_id_x 1
		.amdhsa_system_sgpr_workgroup_id_y 0
		.amdhsa_system_sgpr_workgroup_id_z 1
		.amdhsa_system_sgpr_workgroup_info 0
		.amdhsa_system_vgpr_workitem_id 0
		.amdhsa_next_free_vgpr 21
		.amdhsa_next_free_sgpr 44
		.amdhsa_reserve_vcc 1
		.amdhsa_float_round_mode_32 0
		.amdhsa_float_round_mode_16_64 0
		.amdhsa_float_denorm_mode_32 3
		.amdhsa_float_denorm_mode_16_64 3
		.amdhsa_fp16_overflow 0
		.amdhsa_workgroup_processor_mode 1
		.amdhsa_memory_ordered 1
		.amdhsa_forward_progress 1
		.amdhsa_inst_pref_size 14
		.amdhsa_round_robin_scheduling 0
		.amdhsa_exception_fp_ieee_invalid_op 0
		.amdhsa_exception_fp_denorm_src 0
		.amdhsa_exception_fp_ieee_div_zero 0
		.amdhsa_exception_fp_ieee_overflow 0
		.amdhsa_exception_fp_ieee_underflow 0
		.amdhsa_exception_fp_ieee_inexact 0
		.amdhsa_exception_int_div_zero 0
	.end_amdhsa_kernel
	.section	.text._ZL20rocblas_gemvt_kernelILb0ELi256EPKDF16_fKPDF16_EviiT2_lPKT1_lilS7_lilS4_lPT3_lili,"axG",@progbits,_ZL20rocblas_gemvt_kernelILb0ELi256EPKDF16_fKPDF16_EviiT2_lPKT1_lilS7_lilS4_lPT3_lili,comdat
.Lfunc_end451:
	.size	_ZL20rocblas_gemvt_kernelILb0ELi256EPKDF16_fKPDF16_EviiT2_lPKT1_lilS7_lilS4_lPT3_lili, .Lfunc_end451-_ZL20rocblas_gemvt_kernelILb0ELi256EPKDF16_fKPDF16_EviiT2_lPKT1_lilS7_lilS4_lPT3_lili
                                        ; -- End function
	.set _ZL20rocblas_gemvt_kernelILb0ELi256EPKDF16_fKPDF16_EviiT2_lPKT1_lilS7_lilS4_lPT3_lili.num_vgpr, 21
	.set _ZL20rocblas_gemvt_kernelILb0ELi256EPKDF16_fKPDF16_EviiT2_lPKT1_lilS7_lilS4_lPT3_lili.num_agpr, 0
	.set _ZL20rocblas_gemvt_kernelILb0ELi256EPKDF16_fKPDF16_EviiT2_lPKT1_lilS7_lilS4_lPT3_lili.numbered_sgpr, 44
	.set _ZL20rocblas_gemvt_kernelILb0ELi256EPKDF16_fKPDF16_EviiT2_lPKT1_lilS7_lilS4_lPT3_lili.num_named_barrier, 0
	.set _ZL20rocblas_gemvt_kernelILb0ELi256EPKDF16_fKPDF16_EviiT2_lPKT1_lilS7_lilS4_lPT3_lili.private_seg_size, 0
	.set _ZL20rocblas_gemvt_kernelILb0ELi256EPKDF16_fKPDF16_EviiT2_lPKT1_lilS7_lilS4_lPT3_lili.uses_vcc, 1
	.set _ZL20rocblas_gemvt_kernelILb0ELi256EPKDF16_fKPDF16_EviiT2_lPKT1_lilS7_lilS4_lPT3_lili.uses_flat_scratch, 0
	.set _ZL20rocblas_gemvt_kernelILb0ELi256EPKDF16_fKPDF16_EviiT2_lPKT1_lilS7_lilS4_lPT3_lili.has_dyn_sized_stack, 0
	.set _ZL20rocblas_gemvt_kernelILb0ELi256EPKDF16_fKPDF16_EviiT2_lPKT1_lilS7_lilS4_lPT3_lili.has_recursion, 0
	.set _ZL20rocblas_gemvt_kernelILb0ELi256EPKDF16_fKPDF16_EviiT2_lPKT1_lilS7_lilS4_lPT3_lili.has_indirect_call, 0
	.section	.AMDGPU.csdata,"",@progbits
; Kernel info:
; codeLenInByte = 1784
; TotalNumSgprs: 46
; NumVgprs: 21
; ScratchSize: 0
; MemoryBound: 0
; FloatMode: 240
; IeeeMode: 1
; LDSByteSize: 1024 bytes/workgroup (compile time only)
; SGPRBlocks: 0
; VGPRBlocks: 2
; NumSGPRsForWavesPerEU: 46
; NumVGPRsForWavesPerEU: 21
; Occupancy: 16
; WaveLimiterHint : 1
; COMPUTE_PGM_RSRC2:SCRATCH_EN: 0
; COMPUTE_PGM_RSRC2:USER_SGPR: 2
; COMPUTE_PGM_RSRC2:TRAP_HANDLER: 0
; COMPUTE_PGM_RSRC2:TGID_X_EN: 1
; COMPUTE_PGM_RSRC2:TGID_Y_EN: 0
; COMPUTE_PGM_RSRC2:TGID_Z_EN: 1
; COMPUTE_PGM_RSRC2:TIDIG_COMP_CNT: 0
	.section	.text._ZL32rocblas_gemvt_warp_reduce_kernelILb0ELi1024EiPKDF16_PKfKPDF16_EviiT3_lPKT2_lT1_lS9_lSA_lS6_lPT4_lSA_li,"axG",@progbits,_ZL32rocblas_gemvt_warp_reduce_kernelILb0ELi1024EiPKDF16_PKfKPDF16_EviiT3_lPKT2_lT1_lS9_lSA_lS6_lPT4_lSA_li,comdat
	.globl	_ZL32rocblas_gemvt_warp_reduce_kernelILb0ELi1024EiPKDF16_PKfKPDF16_EviiT3_lPKT2_lT1_lS9_lSA_lS6_lPT4_lSA_li ; -- Begin function _ZL32rocblas_gemvt_warp_reduce_kernelILb0ELi1024EiPKDF16_PKfKPDF16_EviiT3_lPKT2_lT1_lS9_lSA_lS6_lPT4_lSA_li
	.p2align	8
	.type	_ZL32rocblas_gemvt_warp_reduce_kernelILb0ELi1024EiPKDF16_PKfKPDF16_EviiT3_lPKT2_lT1_lS9_lSA_lS6_lPT4_lSA_li,@function
_ZL32rocblas_gemvt_warp_reduce_kernelILb0ELi1024EiPKDF16_PKfKPDF16_EviiT3_lPKT2_lT1_lS9_lSA_lS6_lPT4_lSA_li: ; @_ZL32rocblas_gemvt_warp_reduce_kernelILb0ELi1024EiPKDF16_PKfKPDF16_EviiT3_lPKT2_lT1_lS9_lSA_lS6_lPT4_lSA_li
; %bb.0:
	s_load_b32 s7, s[0:1], 0x88
	s_lshr_b32 s28, ttmp7, 16
	s_wait_kmcnt 0x0
	s_cmp_ge_u32 s28, s7
	s_cbranch_scc1 .LBB452_38
; %bb.1:
	s_clause 0x6
	s_load_b32 s4, s[0:1], 0x0
	s_load_b32 s3, s[0:1], 0x78
	s_load_b256 s[8:15], s[0:1], 0x8
	s_load_b32 s5, s[0:1], 0x28
	s_load_b128 s[24:27], s[0:1], 0x38
	s_load_b32 s6, s[0:1], 0x48
	s_load_b256 s[16:23], s[0:1], 0x58
	v_lshrrev_b32_e32 v2, 3, v0
	v_and_b32_e32 v1, 31, v0
	v_mov_b32_e32 v11, 0
	v_mbcnt_lo_u32_b32 v15, -1, 0
	v_cmp_eq_u32_e64 s0, 0, v0
	v_and_b32_e32 v13, 0x7c, v2
	v_lshlrev_b32_e32 v12, 2, v1
	v_cmp_gt_u32_e64 s1, 32, v0
	v_lshl_or_b32 v17, v15, 2, 64
	s_mov_b32 s29, 0
	s_wait_kmcnt 0x0
	s_ashr_i32 s2, s4, 31
	v_cmp_gt_i32_e32 vcc_lo, s4, v0
	s_lshr_b32 s2, s2, 22
	s_mul_i32 s34, s3, ttmp9
	s_add_co_i32 s30, s4, s2
	v_cmp_eq_u32_e64 s2, 0, v1
	s_and_b32 s30, s30, 0xfffffc00
	v_cndmask_b32_e32 v3, 0, v0, vcc_lo
	v_or_b32_e32 v2, s30, v0
	v_mul_lo_u32 v14, v0, s6
	s_mul_i32 s36, s5, ttmp9
	v_cmp_gt_i32_e64 s3, s30, v0
	v_lshlrev_b32_e32 v16, 1, v3
	v_mul_lo_u32 v1, s6, v2
	v_cmp_gt_i32_e64 s4, s4, v2
	s_ashr_i32 s35, s34, 31
	s_ashr_i32 s37, s36, 31
	;; [unrolled: 1-line block ×3, first 2 shown]
	s_lshl_b32 s33, s6, 10
	s_lshl_b64 s[14:15], s[14:15], 1
	s_lshl_b64 s[26:27], s[26:27], 1
	v_ashrrev_i32_e32 v2, 31, v1
	s_lshl_b64 s[22:23], s[22:23], 1
	s_lshl_b64 s[34:35], s[34:35], 1
	;; [unrolled: 1-line block ×3, first 2 shown]
	s_wait_alu 0xfffe
	s_lshl_b64 s[38:39], s[30:31], 1
	v_lshlrev_b64_e32 v[1:2], 1, v[1:2]
	s_branch .LBB452_4
.LBB452_2:                              ;   in Loop: Header=BB452_4 Depth=1
	s_wait_alu 0xfffe
	s_or_b32 exec_lo, exec_lo, s5
.LBB452_3:                              ;   in Loop: Header=BB452_4 Depth=1
	s_add_co_i32 s28, s28, 0x10000
	s_delay_alu instid0(SALU_CYCLE_1)
	s_cmp_lt_u32 s28, s7
	s_cbranch_scc0 .LBB452_38
.LBB452_4:                              ; =>This Loop Header: Depth=1
                                        ;     Child Loop BB452_27 Depth 2
	s_mul_u64 s[40:41], s[10:11], s[28:29]
	s_mul_u64 s[42:43], s[18:19], s[28:29]
	s_lshl_b64 s[40:41], s[40:41], 2
	s_lshl_b64 s[42:43], s[42:43], 2
	s_add_nc_u64 s[40:41], s[8:9], s[40:41]
	s_add_nc_u64 s[42:43], s[16:17], s[42:43]
	s_clause 0x1
	global_load_b32 v18, v11, s[40:41]
	global_load_b32 v3, v11, s[42:43]
	s_wait_loadcnt 0x1
	v_cmp_eq_f32_e64 s5, 0, v18
	s_wait_loadcnt 0x0
	v_cmp_eq_f32_e32 vcc_lo, 1.0, v3
	v_readfirstlane_b32 s31, v3
	s_and_b32 s6, s5, vcc_lo
	s_wait_alu 0xfffe
	s_and_b32 vcc_lo, exec_lo, s6
	s_wait_alu 0xfffe
	s_cbranch_vccnz .LBB452_3
; %bb.5:                                ;   in Loop: Header=BB452_4 Depth=1
	v_mov_b32_e32 v3, 0
	v_dual_mov_b32 v4, 0 :: v_dual_mov_b32 v5, 0
	v_cmp_neq_f32_e64 s6, 0, v18
	v_mov_b32_e32 v6, 0
	s_and_b32 vcc_lo, exec_lo, s5
	s_wait_alu 0xfffe
	s_cbranch_vccnz .LBB452_7
; %bb.6:                                ;   in Loop: Header=BB452_4 Depth=1
	s_lshl_b64 s[40:41], s[28:29], 3
	s_delay_alu instid0(SALU_CYCLE_1)
	s_add_nc_u64 s[40:41], s[12:13], s[40:41]
	global_load_b64 v[5:6], v11, s[40:41]
	s_wait_loadcnt 0x0
	v_add_co_u32 v5, vcc_lo, v5, s14
	s_wait_alu 0xfffd
	v_add_co_ci_u32_e64 v6, null, s15, v6, vcc_lo
.LBB452_7:                              ;   in Loop: Header=BB452_4 Depth=1
	s_and_not1_b32 vcc_lo, exec_lo, s6
	s_wait_alu 0xfffe
	s_cbranch_vccnz .LBB452_9
; %bb.8:                                ;   in Loop: Header=BB452_4 Depth=1
	s_lshl_b64 s[40:41], s[28:29], 3
	s_delay_alu instid0(SALU_CYCLE_1)
	s_add_nc_u64 s[40:41], s[24:25], s[40:41]
	global_load_b64 v[3:4], v11, s[40:41]
	s_wait_loadcnt 0x0
	v_add_co_u32 v3, vcc_lo, v3, s26
	s_wait_alu 0xfffd
	v_add_co_ci_u32_e64 v4, null, s27, v4, vcc_lo
.LBB452_9:                              ;   in Loop: Header=BB452_4 Depth=1
	s_lshl_b64 s[40:41], s[28:29], 3
	s_delay_alu instid0(SALU_CYCLE_1)
	s_add_nc_u64 s[40:41], s[20:21], s[40:41]
	s_wait_dscnt 0x0
	global_load_b64 v[7:8], v11, s[40:41]
	s_wait_loadcnt 0x0
	v_add_co_u32 v19, vcc_lo, v7, s22
	s_wait_alu 0xfffd
	v_add_co_ci_u32_e64 v20, null, s23, v8, vcc_lo
	s_and_not1_b32 vcc_lo, exec_lo, s5
	s_wait_alu 0xfffe
	s_cbranch_vccnz .LBB452_13
; %bb.10:                               ;   in Loop: Header=BB452_4 Depth=1
	s_mov_b32 s5, 0
	s_mov_b32 s6, 0
                                        ; implicit-def: $vgpr7
	s_and_saveexec_b32 s40, s0
	s_cbranch_execz .LBB452_14
; %bb.11:                               ;   in Loop: Header=BB452_4 Depth=1
	s_cmp_eq_f32 s31, 0
	s_cbranch_scc1 .LBB452_15
; %bb.12:                               ;   in Loop: Header=BB452_4 Depth=1
	v_add_co_u32 v7, vcc_lo, v19, s34
	s_wait_alu 0xfffd
	v_add_co_ci_u32_e64 v8, null, s35, v20, vcc_lo
	flat_load_u16 v7, v[7:8]
	s_wait_loadcnt_dscnt 0x0
	v_fma_mixlo_f16 v7, s31, v7, 0 op_sel_hi:[0,1,0]
	s_branch .LBB452_16
.LBB452_13:                             ;   in Loop: Header=BB452_4 Depth=1
	s_mov_b32 s6, 0
                                        ; implicit-def: $vgpr7
	s_cbranch_execnz .LBB452_17
	s_branch .LBB452_36
.LBB452_14:                             ;   in Loop: Header=BB452_4 Depth=1
	s_or_b32 exec_lo, exec_lo, s40
	s_wait_alu 0xfffe
	s_and_b32 vcc_lo, exec_lo, s5
	s_wait_alu 0xfffe
	s_cbranch_vccnz .LBB452_17
	s_branch .LBB452_36
.LBB452_15:                             ;   in Loop: Header=BB452_4 Depth=1
	v_mov_b32_e32 v7, 0
.LBB452_16:                             ;   in Loop: Header=BB452_4 Depth=1
	s_mov_b32 s6, exec_lo
	s_or_b32 exec_lo, exec_lo, s40
	s_wait_alu 0xfffe
	s_and_b32 vcc_lo, exec_lo, s5
	s_wait_alu 0xfffe
	s_cbranch_vccz .LBB452_36
.LBB452_17:                             ;   in Loop: Header=BB452_4 Depth=1
	v_add_co_u32 v5, vcc_lo, v5, v16
	s_wait_alu 0xfffd
	v_add_co_ci_u32_e64 v6, null, 0, v6, vcc_lo
	v_mov_b32_e32 v21, 0
	s_delay_alu instid0(VALU_DEP_3) | instskip(SKIP_1) | instid1(VALU_DEP_3)
	v_add_co_u32 v5, vcc_lo, v5, s36
	s_wait_alu 0xfffd
	v_add_co_ci_u32_e64 v6, null, s37, v6, vcc_lo
	s_and_saveexec_b32 s40, s3
	s_cbranch_execnz .LBB452_26
; %bb.18:                               ;   in Loop: Header=BB452_4 Depth=1
	s_or_b32 exec_lo, exec_lo, s40
	s_and_saveexec_b32 s5, s4
	s_cbranch_execnz .LBB452_29
.LBB452_19:                             ;   in Loop: Header=BB452_4 Depth=1
	s_wait_alu 0xfffe
	s_or_b32 exec_lo, exec_lo, s5
	s_and_saveexec_b32 s5, s1
.LBB452_20:                             ;   in Loop: Header=BB452_4 Depth=1
	ds_store_b32 v12, v11
.LBB452_21:                             ;   in Loop: Header=BB452_4 Depth=1
	s_wait_alu 0xfffe
	s_or_b32 exec_lo, exec_lo, s5
	ds_bpermute_b32 v4, v17, v21
	v_cmp_gt_u32_e32 vcc_lo, 24, v15
	s_wait_dscnt 0x0
	s_barrier_signal -1
	s_barrier_wait -1
	global_inv scope:SCOPE_SE
	s_wait_alu 0xfffd
	v_cndmask_b32_e64 v3, 0, 8, vcc_lo
	v_cmp_gt_u32_e32 vcc_lo, 28, v15
	s_delay_alu instid0(VALU_DEP_2)
	v_add_lshl_u32 v3, v3, v15, 2
	v_add_f32_e32 v5, v21, v4
	s_wait_alu 0xfffd
	v_cndmask_b32_e64 v4, 0, 4, vcc_lo
	v_cmp_gt_u32_e32 vcc_lo, 30, v15
	ds_bpermute_b32 v6, v3, v5
	v_add_lshl_u32 v4, v4, v15, 2
	s_wait_dscnt 0x0
	v_add_f32_e32 v6, v5, v6
	s_wait_alu 0xfffd
	v_cndmask_b32_e64 v5, 0, 2, vcc_lo
	v_cmp_ne_u32_e32 vcc_lo, 31, v15
	ds_bpermute_b32 v7, v4, v6
	v_add_lshl_u32 v5, v5, v15, 2
	s_wait_alu 0xfffd
	v_add_co_ci_u32_e64 v8, null, 0, v15, vcc_lo
	s_wait_dscnt 0x0
	v_add_f32_e32 v6, v6, v7
	ds_bpermute_b32 v7, v5, v6
	s_wait_dscnt 0x0
	v_dual_add_f32 v7, v6, v7 :: v_dual_lshlrev_b32 v6, 2, v8
	ds_bpermute_b32 v8, v6, v7
	s_and_saveexec_b32 s5, s2
	s_cbranch_execz .LBB452_23
; %bb.22:                               ;   in Loop: Header=BB452_4 Depth=1
	s_wait_dscnt 0x0
	v_add_f32_e32 v7, v7, v8
	ds_store_b32 v13, v7
.LBB452_23:                             ;   in Loop: Header=BB452_4 Depth=1
	s_wait_alu 0xfffe
	s_or_b32 exec_lo, exec_lo, s5
	s_wait_dscnt 0x0
	v_mov_b32_e32 v8, 0
	s_wait_loadcnt 0x0
	s_barrier_signal -1
	s_barrier_wait -1
	global_inv scope:SCOPE_SE
	s_and_saveexec_b32 s5, s1
	s_cbranch_execnz .LBB452_30
; %bb.24:                               ;   in Loop: Header=BB452_4 Depth=1
	s_wait_alu 0xfffe
	s_or_b32 exec_lo, exec_lo, s5
	s_and_saveexec_b32 s5, s1
	s_cbranch_execnz .LBB452_31
.LBB452_25:                             ;   in Loop: Header=BB452_4 Depth=1
	s_wait_alu 0xfffe
	s_or_b32 exec_lo, exec_lo, s5
                                        ; implicit-def: $vgpr7
	s_and_saveexec_b32 s5, s0
	s_cbranch_execnz .LBB452_32
	s_branch .LBB452_35
.LBB452_26:                             ;   in Loop: Header=BB452_4 Depth=1
	v_dual_mov_b32 v21, 0 :: v_dual_mov_b32 v8, v6
	v_dual_mov_b32 v7, v5 :: v_dual_mov_b32 v22, v0
	v_mov_b32_e32 v9, v14
	s_mov_b32 s41, 0
.LBB452_27:                             ;   Parent Loop BB452_4 Depth=1
                                        ; =>  This Inner Loop Header: Depth=2
	s_delay_alu instid0(VALU_DEP_1) | instskip(NEXT) | instid1(VALU_DEP_3)
	v_ashrrev_i32_e32 v10, 31, v9
	v_add_nc_u32_e32 v22, 0x400, v22
	s_delay_alu instid0(VALU_DEP_2) | instskip(NEXT) | instid1(VALU_DEP_2)
	v_lshlrev_b64_e32 v[23:24], 1, v[9:10]
	v_cmp_le_i32_e64 s5, s30, v22
	v_add_nc_u32_e32 v9, s33, v9
	s_or_b32 s41, s5, s41
	v_add_co_u32 v23, vcc_lo, v3, v23
	s_wait_alu 0xfffd
	v_add_co_ci_u32_e64 v24, null, v4, v24, vcc_lo
	flat_load_u16 v10, v[7:8]
	flat_load_u16 v23, v[23:24]
	v_add_co_u32 v7, vcc_lo, 0x800, v7
	s_wait_alu 0xfffd
	v_add_co_ci_u32_e64 v8, null, 0, v8, vcc_lo
	s_wait_loadcnt_dscnt 0x0
	v_mul_f16_e32 v10, v10, v23
	s_delay_alu instid0(VALU_DEP_1) | instskip(NEXT) | instid1(VALU_DEP_1)
	v_cvt_f32_f16_e32 v10, v10
	v_add_f32_e32 v21, v21, v10
	s_and_not1_b32 exec_lo, exec_lo, s41
	s_cbranch_execnz .LBB452_27
; %bb.28:                               ;   in Loop: Header=BB452_4 Depth=1
	s_or_b32 exec_lo, exec_lo, s41
	s_delay_alu instid0(SALU_CYCLE_1)
	s_or_b32 exec_lo, exec_lo, s40
	s_and_saveexec_b32 s5, s4
	s_cbranch_execz .LBB452_19
.LBB452_29:                             ;   in Loop: Header=BB452_4 Depth=1
	v_add_co_u32 v5, vcc_lo, v5, s38
	s_wait_alu 0xfffd
	v_add_co_ci_u32_e64 v6, null, s39, v6, vcc_lo
	v_add_co_u32 v3, vcc_lo, v3, v1
	s_wait_alu 0xfffd
	v_add_co_ci_u32_e64 v4, null, v4, v2, vcc_lo
	flat_load_u16 v5, v[5:6]
	flat_load_u16 v3, v[3:4]
	s_wait_loadcnt_dscnt 0x0
	v_mul_f16_e32 v3, v5, v3
	s_delay_alu instid0(VALU_DEP_1) | instskip(NEXT) | instid1(VALU_DEP_1)
	v_cvt_f32_f16_e32 v3, v3
	v_add_f32_e32 v21, v21, v3
	s_wait_alu 0xfffe
	s_or_b32 exec_lo, exec_lo, s5
	s_and_saveexec_b32 s5, s1
	s_cbranch_execnz .LBB452_20
	s_branch .LBB452_21
.LBB452_30:                             ;   in Loop: Header=BB452_4 Depth=1
	ds_load_b32 v8, v12
	s_wait_alu 0xfffe
	s_or_b32 exec_lo, exec_lo, s5
	s_and_saveexec_b32 s5, s1
	s_cbranch_execz .LBB452_25
.LBB452_31:                             ;   in Loop: Header=BB452_4 Depth=1
	s_wait_dscnt 0x0
	ds_bpermute_b32 v7, v17, v8
	s_wait_dscnt 0x0
	v_add_f32_e32 v7, v8, v7
	ds_bpermute_b32 v3, v3, v7
	s_wait_dscnt 0x0
	v_add_f32_e32 v3, v7, v3
	;; [unrolled: 3-line block ×5, first 2 shown]
	s_wait_alu 0xfffe
	s_or_b32 exec_lo, exec_lo, s5
                                        ; implicit-def: $vgpr7
	s_and_saveexec_b32 s5, s0
	s_cbranch_execz .LBB452_35
.LBB452_32:                             ;   in Loop: Header=BB452_4 Depth=1
	s_wait_dscnt 0x0
	v_mul_f32_e32 v3, v18, v8
	s_cmp_eq_f32 s31, 0
	s_cbranch_scc1 .LBB452_34
; %bb.33:                               ;   in Loop: Header=BB452_4 Depth=1
	v_add_co_u32 v4, vcc_lo, v19, s34
	s_wait_alu 0xfffd
	v_add_co_ci_u32_e64 v5, null, s35, v20, vcc_lo
	flat_load_u16 v4, v[4:5]
	s_wait_loadcnt_dscnt 0x0
	v_fma_mix_f32 v3, s31, v4, v3 op_sel_hi:[0,1,0]
.LBB452_34:                             ;   in Loop: Header=BB452_4 Depth=1
	s_delay_alu instid0(VALU_DEP_1)
	v_cvt_f16_f32_e32 v7, v3
	s_or_b32 s6, s6, exec_lo
.LBB452_35:                             ;   in Loop: Header=BB452_4 Depth=1
	s_wait_alu 0xfffe
	s_or_b32 exec_lo, exec_lo, s5
.LBB452_36:                             ;   in Loop: Header=BB452_4 Depth=1
	s_wait_alu 0xfffe
	s_and_saveexec_b32 s5, s6
	s_cbranch_execz .LBB452_2
; %bb.37:                               ;   in Loop: Header=BB452_4 Depth=1
	v_add_co_u32 v3, vcc_lo, v19, s34
	s_wait_alu 0xfffd
	v_add_co_ci_u32_e64 v4, null, s35, v20, vcc_lo
	flat_store_b16 v[3:4], v7
	s_branch .LBB452_2
.LBB452_38:
	s_endpgm
	.section	.rodata,"a",@progbits
	.p2align	6, 0x0
	.amdhsa_kernel _ZL32rocblas_gemvt_warp_reduce_kernelILb0ELi1024EiPKDF16_PKfKPDF16_EviiT3_lPKT2_lT1_lS9_lSA_lS6_lPT4_lSA_li
		.amdhsa_group_segment_fixed_size 128
		.amdhsa_private_segment_fixed_size 0
		.amdhsa_kernarg_size 140
		.amdhsa_user_sgpr_count 2
		.amdhsa_user_sgpr_dispatch_ptr 0
		.amdhsa_user_sgpr_queue_ptr 0
		.amdhsa_user_sgpr_kernarg_segment_ptr 1
		.amdhsa_user_sgpr_dispatch_id 0
		.amdhsa_user_sgpr_private_segment_size 0
		.amdhsa_wavefront_size32 1
		.amdhsa_uses_dynamic_stack 0
		.amdhsa_enable_private_segment 0
		.amdhsa_system_sgpr_workgroup_id_x 1
		.amdhsa_system_sgpr_workgroup_id_y 0
		.amdhsa_system_sgpr_workgroup_id_z 1
		.amdhsa_system_sgpr_workgroup_info 0
		.amdhsa_system_vgpr_workitem_id 0
		.amdhsa_next_free_vgpr 25
		.amdhsa_next_free_sgpr 44
		.amdhsa_reserve_vcc 1
		.amdhsa_float_round_mode_32 0
		.amdhsa_float_round_mode_16_64 0
		.amdhsa_float_denorm_mode_32 3
		.amdhsa_float_denorm_mode_16_64 3
		.amdhsa_fp16_overflow 0
		.amdhsa_workgroup_processor_mode 1
		.amdhsa_memory_ordered 1
		.amdhsa_forward_progress 1
		.amdhsa_inst_pref_size 14
		.amdhsa_round_robin_scheduling 0
		.amdhsa_exception_fp_ieee_invalid_op 0
		.amdhsa_exception_fp_denorm_src 0
		.amdhsa_exception_fp_ieee_div_zero 0
		.amdhsa_exception_fp_ieee_overflow 0
		.amdhsa_exception_fp_ieee_underflow 0
		.amdhsa_exception_fp_ieee_inexact 0
		.amdhsa_exception_int_div_zero 0
	.end_amdhsa_kernel
	.section	.text._ZL32rocblas_gemvt_warp_reduce_kernelILb0ELi1024EiPKDF16_PKfKPDF16_EviiT3_lPKT2_lT1_lS9_lSA_lS6_lPT4_lSA_li,"axG",@progbits,_ZL32rocblas_gemvt_warp_reduce_kernelILb0ELi1024EiPKDF16_PKfKPDF16_EviiT3_lPKT2_lT1_lS9_lSA_lS6_lPT4_lSA_li,comdat
.Lfunc_end452:
	.size	_ZL32rocblas_gemvt_warp_reduce_kernelILb0ELi1024EiPKDF16_PKfKPDF16_EviiT3_lPKT2_lT1_lS9_lSA_lS6_lPT4_lSA_li, .Lfunc_end452-_ZL32rocblas_gemvt_warp_reduce_kernelILb0ELi1024EiPKDF16_PKfKPDF16_EviiT3_lPKT2_lT1_lS9_lSA_lS6_lPT4_lSA_li
                                        ; -- End function
	.set _ZL32rocblas_gemvt_warp_reduce_kernelILb0ELi1024EiPKDF16_PKfKPDF16_EviiT3_lPKT2_lT1_lS9_lSA_lS6_lPT4_lSA_li.num_vgpr, 25
	.set _ZL32rocblas_gemvt_warp_reduce_kernelILb0ELi1024EiPKDF16_PKfKPDF16_EviiT3_lPKT2_lT1_lS9_lSA_lS6_lPT4_lSA_li.num_agpr, 0
	.set _ZL32rocblas_gemvt_warp_reduce_kernelILb0ELi1024EiPKDF16_PKfKPDF16_EviiT3_lPKT2_lT1_lS9_lSA_lS6_lPT4_lSA_li.numbered_sgpr, 44
	.set _ZL32rocblas_gemvt_warp_reduce_kernelILb0ELi1024EiPKDF16_PKfKPDF16_EviiT3_lPKT2_lT1_lS9_lSA_lS6_lPT4_lSA_li.num_named_barrier, 0
	.set _ZL32rocblas_gemvt_warp_reduce_kernelILb0ELi1024EiPKDF16_PKfKPDF16_EviiT3_lPKT2_lT1_lS9_lSA_lS6_lPT4_lSA_li.private_seg_size, 0
	.set _ZL32rocblas_gemvt_warp_reduce_kernelILb0ELi1024EiPKDF16_PKfKPDF16_EviiT3_lPKT2_lT1_lS9_lSA_lS6_lPT4_lSA_li.uses_vcc, 1
	.set _ZL32rocblas_gemvt_warp_reduce_kernelILb0ELi1024EiPKDF16_PKfKPDF16_EviiT3_lPKT2_lT1_lS9_lSA_lS6_lPT4_lSA_li.uses_flat_scratch, 0
	.set _ZL32rocblas_gemvt_warp_reduce_kernelILb0ELi1024EiPKDF16_PKfKPDF16_EviiT3_lPKT2_lT1_lS9_lSA_lS6_lPT4_lSA_li.has_dyn_sized_stack, 0
	.set _ZL32rocblas_gemvt_warp_reduce_kernelILb0ELi1024EiPKDF16_PKfKPDF16_EviiT3_lPKT2_lT1_lS9_lSA_lS6_lPT4_lSA_li.has_recursion, 0
	.set _ZL32rocblas_gemvt_warp_reduce_kernelILb0ELi1024EiPKDF16_PKfKPDF16_EviiT3_lPKT2_lT1_lS9_lSA_lS6_lPT4_lSA_li.has_indirect_call, 0
	.section	.AMDGPU.csdata,"",@progbits
; Kernel info:
; codeLenInByte = 1688
; TotalNumSgprs: 46
; NumVgprs: 25
; ScratchSize: 0
; MemoryBound: 0
; FloatMode: 240
; IeeeMode: 1
; LDSByteSize: 128 bytes/workgroup (compile time only)
; SGPRBlocks: 0
; VGPRBlocks: 3
; NumSGPRsForWavesPerEU: 46
; NumVGPRsForWavesPerEU: 25
; Occupancy: 16
; WaveLimiterHint : 1
; COMPUTE_PGM_RSRC2:SCRATCH_EN: 0
; COMPUTE_PGM_RSRC2:USER_SGPR: 2
; COMPUTE_PGM_RSRC2:TRAP_HANDLER: 0
; COMPUTE_PGM_RSRC2:TGID_X_EN: 1
; COMPUTE_PGM_RSRC2:TGID_Y_EN: 0
; COMPUTE_PGM_RSRC2:TGID_Z_EN: 1
; COMPUTE_PGM_RSRC2:TIDIG_COMP_CNT: 0
	.section	.text._ZL32rocblas_gemvt_warp_reduce_kernelILb0ELi1024ElPKDF16_PKfKPDF16_EviiT3_lPKT2_lT1_lS9_lSA_lS6_lPT4_lSA_li,"axG",@progbits,_ZL32rocblas_gemvt_warp_reduce_kernelILb0ELi1024ElPKDF16_PKfKPDF16_EviiT3_lPKT2_lT1_lS9_lSA_lS6_lPT4_lSA_li,comdat
	.globl	_ZL32rocblas_gemvt_warp_reduce_kernelILb0ELi1024ElPKDF16_PKfKPDF16_EviiT3_lPKT2_lT1_lS9_lSA_lS6_lPT4_lSA_li ; -- Begin function _ZL32rocblas_gemvt_warp_reduce_kernelILb0ELi1024ElPKDF16_PKfKPDF16_EviiT3_lPKT2_lT1_lS9_lSA_lS6_lPT4_lSA_li
	.p2align	8
	.type	_ZL32rocblas_gemvt_warp_reduce_kernelILb0ELi1024ElPKDF16_PKfKPDF16_EviiT3_lPKT2_lT1_lS9_lSA_lS6_lPT4_lSA_li,@function
_ZL32rocblas_gemvt_warp_reduce_kernelILb0ELi1024ElPKDF16_PKfKPDF16_EviiT3_lPKT2_lT1_lS9_lSA_lS6_lPT4_lSA_li: ; @_ZL32rocblas_gemvt_warp_reduce_kernelILb0ELi1024ElPKDF16_PKfKPDF16_EviiT3_lPKT2_lT1_lS9_lSA_lS6_lPT4_lSA_li
; %bb.0:
	s_load_b32 s7, s[0:1], 0x88
	s_lshr_b32 s28, ttmp7, 16
	s_wait_kmcnt 0x0
	s_cmp_ge_u32 s28, s7
	s_cbranch_scc1 .LBB453_38
; %bb.1:
	s_clause 0x6
	s_load_b32 s6, s[0:1], 0x0
	s_load_b64 s[36:37], s[0:1], 0x48
	s_load_b256 s[8:15], s[0:1], 0x8
	s_load_b64 s[34:35], s[0:1], 0x78
	s_load_b64 s[38:39], s[0:1], 0x28
	s_load_b128 s[24:27], s[0:1], 0x38
	s_load_b256 s[16:23], s[0:1], 0x58
	v_and_b32_e32 v3, 31, v0
	v_lshrrev_b32_e32 v4, 3, v0
	v_mov_b32_e32 v13, 0
	v_mbcnt_lo_u32_b32 v14, -1, 0
	s_mov_b32 s4, ttmp9
	s_ashr_i32 s5, ttmp9, 31
	v_and_b32_e32 v16, 0x7c, v4
	v_cmp_eq_u32_e64 s0, 0, v0
	v_cmp_gt_u32_e64 s1, 32, v0
	v_lshl_or_b32 v18, v14, 2, 64
	s_mov_b32 s29, 0
	s_wait_kmcnt 0x0
	s_ashr_i32 s2, s6, 31
	v_mad_co_u64_u32 v[1:2], null, s36, v0, 0
	s_lshr_b32 s3, s2, 22
	v_cmp_eq_u32_e64 s2, 0, v3
	s_add_co_i32 s3, s6, s3
	v_cmp_gt_i32_e32 vcc_lo, s6, v0
	s_and_b32 s30, s3, 0xfffffc00
	v_lshlrev_b32_e32 v15, 2, v3
	v_or_b32_e32 v5, s30, v0
	v_mad_co_u64_u32 v[2:3], null, s37, v0, v[2:3]
	s_ashr_i32 s31, s30, 31
	v_cndmask_b32_e32 v6, 0, v0, vcc_lo
	v_mul_lo_u32 v7, s37, v5
	v_mad_co_u64_u32 v[3:4], null, s36, v5, 0
	s_wait_alu 0xfffe
	s_mul_i32 s3, s36, s31
	v_lshlrev_b64_e32 v[1:2], 1, v[1:2]
	s_mul_u64 s[40:41], s[34:35], s[4:5]
	s_mul_u64 s[38:39], s[38:39], s[4:5]
	v_cmp_gt_i32_e64 s4, s6, v5
	v_lshlrev_b32_e32 v17, 1, v6
	v_add3_u32 v4, v4, s3, v7
	v_cmp_gt_i32_e64 s3, s30, v0
	s_lshl_b64 s[34:35], s[36:37], 11
	s_lshl_b64 s[14:15], s[14:15], 1
	;; [unrolled: 1-line block ×3, first 2 shown]
	v_lshlrev_b64_e32 v[3:4], 1, v[3:4]
	s_lshl_b64 s[22:23], s[22:23], 1
	s_lshl_b64 s[36:37], s[40:41], 1
	;; [unrolled: 1-line block ×4, first 2 shown]
	s_branch .LBB453_4
.LBB453_2:                              ;   in Loop: Header=BB453_4 Depth=1
	s_or_b32 exec_lo, exec_lo, s5
.LBB453_3:                              ;   in Loop: Header=BB453_4 Depth=1
	s_add_co_i32 s28, s28, 0x10000
	s_delay_alu instid0(SALU_CYCLE_1)
	s_cmp_lt_u32 s28, s7
	s_cbranch_scc0 .LBB453_38
.LBB453_4:                              ; =>This Loop Header: Depth=1
                                        ;     Child Loop BB453_27 Depth 2
	s_mul_u64 s[42:43], s[10:11], s[28:29]
	s_mul_u64 s[44:45], s[18:19], s[28:29]
	s_lshl_b64 s[42:43], s[42:43], 2
	s_lshl_b64 s[44:45], s[44:45], 2
	s_add_nc_u64 s[42:43], s[8:9], s[42:43]
	s_add_nc_u64 s[44:45], s[16:17], s[44:45]
	s_clause 0x1
	global_load_b32 v19, v13, s[42:43]
	global_load_b32 v5, v13, s[44:45]
	s_wait_loadcnt 0x1
	v_cmp_eq_f32_e64 s5, 0, v19
	s_wait_loadcnt 0x0
	v_cmp_eq_f32_e32 vcc_lo, 1.0, v5
	v_readfirstlane_b32 s31, v5
	s_and_b32 s6, s5, vcc_lo
	s_wait_alu 0xfffe
	s_and_b32 vcc_lo, exec_lo, s6
	s_wait_alu 0xfffe
	s_cbranch_vccnz .LBB453_3
; %bb.5:                                ;   in Loop: Header=BB453_4 Depth=1
	v_mov_b32_e32 v5, 0
	v_dual_mov_b32 v6, 0 :: v_dual_mov_b32 v7, 0
	v_cmp_neq_f32_e64 s6, 0, v19
	v_mov_b32_e32 v8, 0
	s_and_b32 vcc_lo, exec_lo, s5
	s_wait_alu 0xfffe
	s_cbranch_vccnz .LBB453_7
; %bb.6:                                ;   in Loop: Header=BB453_4 Depth=1
	s_lshl_b64 s[42:43], s[28:29], 3
	s_delay_alu instid0(SALU_CYCLE_1)
	s_add_nc_u64 s[42:43], s[12:13], s[42:43]
	global_load_b64 v[7:8], v13, s[42:43]
	s_wait_loadcnt 0x0
	v_add_co_u32 v7, vcc_lo, v7, s14
	s_wait_alu 0xfffd
	v_add_co_ci_u32_e64 v8, null, s15, v8, vcc_lo
.LBB453_7:                              ;   in Loop: Header=BB453_4 Depth=1
	s_and_not1_b32 vcc_lo, exec_lo, s6
	s_wait_alu 0xfffe
	s_cbranch_vccnz .LBB453_9
; %bb.8:                                ;   in Loop: Header=BB453_4 Depth=1
	s_lshl_b64 s[42:43], s[28:29], 3
	s_delay_alu instid0(SALU_CYCLE_1)
	s_add_nc_u64 s[42:43], s[24:25], s[42:43]
	global_load_b64 v[5:6], v13, s[42:43]
	s_wait_loadcnt 0x0
	v_add_co_u32 v5, vcc_lo, v5, s26
	s_wait_alu 0xfffd
	v_add_co_ci_u32_e64 v6, null, s27, v6, vcc_lo
.LBB453_9:                              ;   in Loop: Header=BB453_4 Depth=1
	s_lshl_b64 s[42:43], s[28:29], 3
	s_delay_alu instid0(SALU_CYCLE_1)
	s_add_nc_u64 s[42:43], s[20:21], s[42:43]
	s_wait_dscnt 0x0
	global_load_b64 v[9:10], v13, s[42:43]
	s_wait_loadcnt 0x0
	v_add_co_u32 v20, vcc_lo, v9, s22
	s_wait_alu 0xfffd
	v_add_co_ci_u32_e64 v21, null, s23, v10, vcc_lo
	s_and_not1_b32 vcc_lo, exec_lo, s5
	s_wait_alu 0xfffe
	s_cbranch_vccnz .LBB453_13
; %bb.10:                               ;   in Loop: Header=BB453_4 Depth=1
	s_mov_b32 s5, 0
	s_mov_b32 s6, 0
                                        ; implicit-def: $vgpr9
	s_and_saveexec_b32 s33, s0
	s_cbranch_execz .LBB453_14
; %bb.11:                               ;   in Loop: Header=BB453_4 Depth=1
	s_cmp_eq_f32 s31, 0
	s_cbranch_scc1 .LBB453_15
; %bb.12:                               ;   in Loop: Header=BB453_4 Depth=1
	v_add_co_u32 v9, vcc_lo, v20, s36
	s_wait_alu 0xfffd
	v_add_co_ci_u32_e64 v10, null, s37, v21, vcc_lo
	flat_load_u16 v9, v[9:10]
	s_wait_loadcnt_dscnt 0x0
	v_fma_mixlo_f16 v9, s31, v9, 0 op_sel_hi:[0,1,0]
	s_branch .LBB453_16
.LBB453_13:                             ;   in Loop: Header=BB453_4 Depth=1
	s_mov_b32 s6, 0
                                        ; implicit-def: $vgpr9
	s_cbranch_execnz .LBB453_17
	s_branch .LBB453_36
.LBB453_14:                             ;   in Loop: Header=BB453_4 Depth=1
	s_or_b32 exec_lo, exec_lo, s33
	s_delay_alu instid0(SALU_CYCLE_1)
	s_and_b32 vcc_lo, exec_lo, s5
	s_wait_alu 0xfffe
	s_cbranch_vccnz .LBB453_17
	s_branch .LBB453_36
.LBB453_15:                             ;   in Loop: Header=BB453_4 Depth=1
	v_mov_b32_e32 v9, 0
.LBB453_16:                             ;   in Loop: Header=BB453_4 Depth=1
	s_mov_b32 s6, exec_lo
	s_or_b32 exec_lo, exec_lo, s33
	s_delay_alu instid0(SALU_CYCLE_1)
	s_and_b32 vcc_lo, exec_lo, s5
	s_wait_alu 0xfffe
	s_cbranch_vccz .LBB453_36
.LBB453_17:                             ;   in Loop: Header=BB453_4 Depth=1
	v_add_co_u32 v7, vcc_lo, v7, v17
	s_wait_alu 0xfffd
	v_add_co_ci_u32_e64 v8, null, 0, v8, vcc_lo
	v_mov_b32_e32 v22, 0
	s_delay_alu instid0(VALU_DEP_3) | instskip(SKIP_1) | instid1(VALU_DEP_3)
	v_add_co_u32 v7, vcc_lo, v7, s38
	s_wait_alu 0xfffd
	v_add_co_ci_u32_e64 v8, null, s39, v8, vcc_lo
	s_and_saveexec_b32 s33, s3
	s_cbranch_execnz .LBB453_26
; %bb.18:                               ;   in Loop: Header=BB453_4 Depth=1
	s_or_b32 exec_lo, exec_lo, s33
	s_and_saveexec_b32 s5, s4
	s_cbranch_execnz .LBB453_29
.LBB453_19:                             ;   in Loop: Header=BB453_4 Depth=1
	s_or_b32 exec_lo, exec_lo, s5
	s_and_saveexec_b32 s5, s1
.LBB453_20:                             ;   in Loop: Header=BB453_4 Depth=1
	ds_store_b32 v15, v13
.LBB453_21:                             ;   in Loop: Header=BB453_4 Depth=1
	s_or_b32 exec_lo, exec_lo, s5
	ds_bpermute_b32 v6, v18, v22
	v_cmp_gt_u32_e32 vcc_lo, 24, v14
	s_wait_dscnt 0x0
	s_barrier_signal -1
	s_barrier_wait -1
	global_inv scope:SCOPE_SE
	s_wait_alu 0xfffd
	v_cndmask_b32_e64 v5, 0, 8, vcc_lo
	v_cmp_gt_u32_e32 vcc_lo, 28, v14
	s_delay_alu instid0(VALU_DEP_2)
	v_add_lshl_u32 v5, v5, v14, 2
	v_add_f32_e32 v7, v22, v6
	s_wait_alu 0xfffd
	v_cndmask_b32_e64 v6, 0, 4, vcc_lo
	v_cmp_gt_u32_e32 vcc_lo, 30, v14
	ds_bpermute_b32 v8, v5, v7
	v_add_lshl_u32 v6, v6, v14, 2
	s_wait_dscnt 0x0
	v_add_f32_e32 v8, v7, v8
	s_wait_alu 0xfffd
	v_cndmask_b32_e64 v7, 0, 2, vcc_lo
	v_cmp_ne_u32_e32 vcc_lo, 31, v14
	ds_bpermute_b32 v9, v6, v8
	v_add_lshl_u32 v7, v7, v14, 2
	s_wait_alu 0xfffd
	v_add_co_ci_u32_e64 v10, null, 0, v14, vcc_lo
	s_wait_dscnt 0x0
	v_add_f32_e32 v8, v8, v9
	ds_bpermute_b32 v9, v7, v8
	s_wait_dscnt 0x0
	v_dual_add_f32 v9, v8, v9 :: v_dual_lshlrev_b32 v8, 2, v10
	ds_bpermute_b32 v10, v8, v9
	s_and_saveexec_b32 s5, s2
	s_cbranch_execz .LBB453_23
; %bb.22:                               ;   in Loop: Header=BB453_4 Depth=1
	s_wait_dscnt 0x0
	v_add_f32_e32 v9, v9, v10
	ds_store_b32 v16, v9
.LBB453_23:                             ;   in Loop: Header=BB453_4 Depth=1
	s_or_b32 exec_lo, exec_lo, s5
	s_wait_dscnt 0x0
	v_mov_b32_e32 v10, 0
	s_wait_loadcnt 0x0
	s_barrier_signal -1
	s_barrier_wait -1
	global_inv scope:SCOPE_SE
	s_and_saveexec_b32 s5, s1
	s_cbranch_execnz .LBB453_30
; %bb.24:                               ;   in Loop: Header=BB453_4 Depth=1
	s_or_b32 exec_lo, exec_lo, s5
	s_and_saveexec_b32 s5, s1
	s_cbranch_execnz .LBB453_31
.LBB453_25:                             ;   in Loop: Header=BB453_4 Depth=1
	s_or_b32 exec_lo, exec_lo, s5
                                        ; implicit-def: $vgpr9
	s_and_saveexec_b32 s5, s0
	s_cbranch_execnz .LBB453_32
	s_branch .LBB453_35
.LBB453_26:                             ;   in Loop: Header=BB453_4 Depth=1
	v_add_co_u32 v9, vcc_lo, v5, v1
	v_dual_mov_b32 v12, v8 :: v_dual_mov_b32 v23, v0
	s_wait_alu 0xfffd
	v_add_co_ci_u32_e64 v10, null, v6, v2, vcc_lo
	v_dual_mov_b32 v22, 0 :: v_dual_mov_b32 v11, v7
	s_mov_b32 s42, 0
.LBB453_27:                             ;   Parent Loop BB453_4 Depth=1
                                        ; =>  This Inner Loop Header: Depth=2
	flat_load_u16 v24, v[11:12]
	flat_load_u16 v25, v[9:10]
	v_add_co_u32 v11, vcc_lo, 0x800, v11
	s_wait_alu 0xfffd
	v_add_co_ci_u32_e64 v12, null, 0, v12, vcc_lo
	v_add_co_u32 v9, vcc_lo, v9, s34
	s_wait_alu 0xfffd
	v_add_co_ci_u32_e64 v10, null, s35, v10, vcc_lo
	s_wait_loadcnt_dscnt 0x0
	v_mul_f16_e32 v24, v24, v25
	s_delay_alu instid0(VALU_DEP_1) | instskip(NEXT) | instid1(VALU_DEP_1)
	v_cvt_f32_f16_e32 v24, v24
	v_dual_add_f32 v22, v22, v24 :: v_dual_add_nc_u32 v23, 0x400, v23
	s_delay_alu instid0(VALU_DEP_1) | instskip(SKIP_1) | instid1(SALU_CYCLE_1)
	v_cmp_le_i32_e64 s5, s30, v23
	s_or_b32 s42, s5, s42
	s_and_not1_b32 exec_lo, exec_lo, s42
	s_cbranch_execnz .LBB453_27
; %bb.28:                               ;   in Loop: Header=BB453_4 Depth=1
	s_or_b32 exec_lo, exec_lo, s42
	s_delay_alu instid0(SALU_CYCLE_1)
	s_or_b32 exec_lo, exec_lo, s33
	s_and_saveexec_b32 s5, s4
	s_cbranch_execz .LBB453_19
.LBB453_29:                             ;   in Loop: Header=BB453_4 Depth=1
	v_add_co_u32 v7, vcc_lo, v7, s40
	s_wait_alu 0xfffd
	v_add_co_ci_u32_e64 v8, null, s41, v8, vcc_lo
	v_add_co_u32 v5, vcc_lo, v5, v3
	s_wait_alu 0xfffd
	v_add_co_ci_u32_e64 v6, null, v6, v4, vcc_lo
	flat_load_u16 v7, v[7:8]
	flat_load_u16 v5, v[5:6]
	s_wait_loadcnt_dscnt 0x0
	v_mul_f16_e32 v5, v7, v5
	s_delay_alu instid0(VALU_DEP_1) | instskip(NEXT) | instid1(VALU_DEP_1)
	v_cvt_f32_f16_e32 v5, v5
	v_add_f32_e32 v22, v22, v5
	s_or_b32 exec_lo, exec_lo, s5
	s_and_saveexec_b32 s5, s1
	s_cbranch_execnz .LBB453_20
	s_branch .LBB453_21
.LBB453_30:                             ;   in Loop: Header=BB453_4 Depth=1
	ds_load_b32 v10, v15
	s_or_b32 exec_lo, exec_lo, s5
	s_and_saveexec_b32 s5, s1
	s_cbranch_execz .LBB453_25
.LBB453_31:                             ;   in Loop: Header=BB453_4 Depth=1
	s_wait_dscnt 0x0
	ds_bpermute_b32 v9, v18, v10
	s_wait_dscnt 0x0
	v_add_f32_e32 v9, v10, v9
	ds_bpermute_b32 v5, v5, v9
	s_wait_dscnt 0x0
	v_add_f32_e32 v5, v9, v5
	;; [unrolled: 3-line block ×5, first 2 shown]
	s_or_b32 exec_lo, exec_lo, s5
                                        ; implicit-def: $vgpr9
	s_and_saveexec_b32 s5, s0
	s_cbranch_execz .LBB453_35
.LBB453_32:                             ;   in Loop: Header=BB453_4 Depth=1
	s_wait_dscnt 0x0
	v_mul_f32_e32 v5, v19, v10
	s_cmp_eq_f32 s31, 0
	s_cbranch_scc1 .LBB453_34
; %bb.33:                               ;   in Loop: Header=BB453_4 Depth=1
	v_add_co_u32 v6, vcc_lo, v20, s36
	s_wait_alu 0xfffd
	v_add_co_ci_u32_e64 v7, null, s37, v21, vcc_lo
	flat_load_u16 v6, v[6:7]
	s_wait_loadcnt_dscnt 0x0
	v_fma_mix_f32 v5, s31, v6, v5 op_sel_hi:[0,1,0]
.LBB453_34:                             ;   in Loop: Header=BB453_4 Depth=1
	s_delay_alu instid0(VALU_DEP_1)
	v_cvt_f16_f32_e32 v9, v5
	s_wait_alu 0xfffe
	s_or_b32 s6, s6, exec_lo
.LBB453_35:                             ;   in Loop: Header=BB453_4 Depth=1
	s_or_b32 exec_lo, exec_lo, s5
.LBB453_36:                             ;   in Loop: Header=BB453_4 Depth=1
	s_wait_alu 0xfffe
	s_and_saveexec_b32 s5, s6
	s_cbranch_execz .LBB453_2
; %bb.37:                               ;   in Loop: Header=BB453_4 Depth=1
	v_add_co_u32 v5, vcc_lo, v20, s36
	s_wait_alu 0xfffd
	v_add_co_ci_u32_e64 v6, null, s37, v21, vcc_lo
	flat_store_b16 v[5:6], v9
	s_branch .LBB453_2
.LBB453_38:
	s_endpgm
	.section	.rodata,"a",@progbits
	.p2align	6, 0x0
	.amdhsa_kernel _ZL32rocblas_gemvt_warp_reduce_kernelILb0ELi1024ElPKDF16_PKfKPDF16_EviiT3_lPKT2_lT1_lS9_lSA_lS6_lPT4_lSA_li
		.amdhsa_group_segment_fixed_size 128
		.amdhsa_private_segment_fixed_size 0
		.amdhsa_kernarg_size 140
		.amdhsa_user_sgpr_count 2
		.amdhsa_user_sgpr_dispatch_ptr 0
		.amdhsa_user_sgpr_queue_ptr 0
		.amdhsa_user_sgpr_kernarg_segment_ptr 1
		.amdhsa_user_sgpr_dispatch_id 0
		.amdhsa_user_sgpr_private_segment_size 0
		.amdhsa_wavefront_size32 1
		.amdhsa_uses_dynamic_stack 0
		.amdhsa_enable_private_segment 0
		.amdhsa_system_sgpr_workgroup_id_x 1
		.amdhsa_system_sgpr_workgroup_id_y 0
		.amdhsa_system_sgpr_workgroup_id_z 1
		.amdhsa_system_sgpr_workgroup_info 0
		.amdhsa_system_vgpr_workitem_id 0
		.amdhsa_next_free_vgpr 26
		.amdhsa_next_free_sgpr 46
		.amdhsa_reserve_vcc 1
		.amdhsa_float_round_mode_32 0
		.amdhsa_float_round_mode_16_64 0
		.amdhsa_float_denorm_mode_32 3
		.amdhsa_float_denorm_mode_16_64 3
		.amdhsa_fp16_overflow 0
		.amdhsa_workgroup_processor_mode 1
		.amdhsa_memory_ordered 1
		.amdhsa_forward_progress 1
		.amdhsa_inst_pref_size 14
		.amdhsa_round_robin_scheduling 0
		.amdhsa_exception_fp_ieee_invalid_op 0
		.amdhsa_exception_fp_denorm_src 0
		.amdhsa_exception_fp_ieee_div_zero 0
		.amdhsa_exception_fp_ieee_overflow 0
		.amdhsa_exception_fp_ieee_underflow 0
		.amdhsa_exception_fp_ieee_inexact 0
		.amdhsa_exception_int_div_zero 0
	.end_amdhsa_kernel
	.section	.text._ZL32rocblas_gemvt_warp_reduce_kernelILb0ELi1024ElPKDF16_PKfKPDF16_EviiT3_lPKT2_lT1_lS9_lSA_lS6_lPT4_lSA_li,"axG",@progbits,_ZL32rocblas_gemvt_warp_reduce_kernelILb0ELi1024ElPKDF16_PKfKPDF16_EviiT3_lPKT2_lT1_lS9_lSA_lS6_lPT4_lSA_li,comdat
.Lfunc_end453:
	.size	_ZL32rocblas_gemvt_warp_reduce_kernelILb0ELi1024ElPKDF16_PKfKPDF16_EviiT3_lPKT2_lT1_lS9_lSA_lS6_lPT4_lSA_li, .Lfunc_end453-_ZL32rocblas_gemvt_warp_reduce_kernelILb0ELi1024ElPKDF16_PKfKPDF16_EviiT3_lPKT2_lT1_lS9_lSA_lS6_lPT4_lSA_li
                                        ; -- End function
	.set _ZL32rocblas_gemvt_warp_reduce_kernelILb0ELi1024ElPKDF16_PKfKPDF16_EviiT3_lPKT2_lT1_lS9_lSA_lS6_lPT4_lSA_li.num_vgpr, 26
	.set _ZL32rocblas_gemvt_warp_reduce_kernelILb0ELi1024ElPKDF16_PKfKPDF16_EviiT3_lPKT2_lT1_lS9_lSA_lS6_lPT4_lSA_li.num_agpr, 0
	.set _ZL32rocblas_gemvt_warp_reduce_kernelILb0ELi1024ElPKDF16_PKfKPDF16_EviiT3_lPKT2_lT1_lS9_lSA_lS6_lPT4_lSA_li.numbered_sgpr, 46
	.set _ZL32rocblas_gemvt_warp_reduce_kernelILb0ELi1024ElPKDF16_PKfKPDF16_EviiT3_lPKT2_lT1_lS9_lSA_lS6_lPT4_lSA_li.num_named_barrier, 0
	.set _ZL32rocblas_gemvt_warp_reduce_kernelILb0ELi1024ElPKDF16_PKfKPDF16_EviiT3_lPKT2_lT1_lS9_lSA_lS6_lPT4_lSA_li.private_seg_size, 0
	.set _ZL32rocblas_gemvt_warp_reduce_kernelILb0ELi1024ElPKDF16_PKfKPDF16_EviiT3_lPKT2_lT1_lS9_lSA_lS6_lPT4_lSA_li.uses_vcc, 1
	.set _ZL32rocblas_gemvt_warp_reduce_kernelILb0ELi1024ElPKDF16_PKfKPDF16_EviiT3_lPKT2_lT1_lS9_lSA_lS6_lPT4_lSA_li.uses_flat_scratch, 0
	.set _ZL32rocblas_gemvt_warp_reduce_kernelILb0ELi1024ElPKDF16_PKfKPDF16_EviiT3_lPKT2_lT1_lS9_lSA_lS6_lPT4_lSA_li.has_dyn_sized_stack, 0
	.set _ZL32rocblas_gemvt_warp_reduce_kernelILb0ELi1024ElPKDF16_PKfKPDF16_EviiT3_lPKT2_lT1_lS9_lSA_lS6_lPT4_lSA_li.has_recursion, 0
	.set _ZL32rocblas_gemvt_warp_reduce_kernelILb0ELi1024ElPKDF16_PKfKPDF16_EviiT3_lPKT2_lT1_lS9_lSA_lS6_lPT4_lSA_li.has_indirect_call, 0
	.section	.AMDGPU.csdata,"",@progbits
; Kernel info:
; codeLenInByte = 1680
; TotalNumSgprs: 48
; NumVgprs: 26
; ScratchSize: 0
; MemoryBound: 0
; FloatMode: 240
; IeeeMode: 1
; LDSByteSize: 128 bytes/workgroup (compile time only)
; SGPRBlocks: 0
; VGPRBlocks: 3
; NumSGPRsForWavesPerEU: 48
; NumVGPRsForWavesPerEU: 26
; Occupancy: 16
; WaveLimiterHint : 1
; COMPUTE_PGM_RSRC2:SCRATCH_EN: 0
; COMPUTE_PGM_RSRC2:USER_SGPR: 2
; COMPUTE_PGM_RSRC2:TRAP_HANDLER: 0
; COMPUTE_PGM_RSRC2:TGID_X_EN: 1
; COMPUTE_PGM_RSRC2:TGID_Y_EN: 0
; COMPUTE_PGM_RSRC2:TGID_Z_EN: 1
; COMPUTE_PGM_RSRC2:TIDIG_COMP_CNT: 0
	.section	.text._ZL32rocblas_gemvt_warp_reduce_kernelILb0ELi1024EiPKDF16_fKPDF16_EviiT3_lPKT2_lT1_lS7_lS8_lS4_lPT4_lS8_li,"axG",@progbits,_ZL32rocblas_gemvt_warp_reduce_kernelILb0ELi1024EiPKDF16_fKPDF16_EviiT3_lPKT2_lT1_lS7_lS8_lS4_lPT4_lS8_li,comdat
	.globl	_ZL32rocblas_gemvt_warp_reduce_kernelILb0ELi1024EiPKDF16_fKPDF16_EviiT3_lPKT2_lT1_lS7_lS8_lS4_lPT4_lS8_li ; -- Begin function _ZL32rocblas_gemvt_warp_reduce_kernelILb0ELi1024EiPKDF16_fKPDF16_EviiT3_lPKT2_lT1_lS7_lS8_lS4_lPT4_lS8_li
	.p2align	8
	.type	_ZL32rocblas_gemvt_warp_reduce_kernelILb0ELi1024EiPKDF16_fKPDF16_EviiT3_lPKT2_lT1_lS7_lS8_lS4_lPT4_lS8_li,@function
_ZL32rocblas_gemvt_warp_reduce_kernelILb0ELi1024EiPKDF16_fKPDF16_EviiT3_lPKT2_lT1_lS7_lS8_lS4_lPT4_lS8_li: ; @_ZL32rocblas_gemvt_warp_reduce_kernelILb0ELi1024EiPKDF16_fKPDF16_EviiT3_lPKT2_lT1_lS7_lS8_lS4_lPT4_lS8_li
; %bb.0:
	s_load_b32 s28, s[0:1], 0x88
	s_lshr_b32 s6, ttmp7, 16
	s_wait_kmcnt 0x0
	s_cmp_ge_u32 s6, s28
	s_cbranch_scc1 .LBB454_41
; %bb.1:
	s_clause 0x8
	s_load_b32 s29, s[0:1], 0x8
	s_load_b32 s30, s[0:1], 0x58
	s_load_b128 s[8:11], s[0:1], 0x18
	s_load_b32 s3, s[0:1], 0x28
	s_load_b32 s4, s[0:1], 0x0
	s_load_b128 s[12:15], s[0:1], 0x38
	s_load_b32 s5, s[0:1], 0x48
	s_load_b128 s[16:19], s[0:1], 0x68
	s_load_b32 s20, s[0:1], 0x78
	v_lshrrev_b32_e32 v2, 3, v0
	v_mov_b32_e32 v11, 0
	v_and_b32_e32 v1, 31, v0
	v_mbcnt_lo_u32_b32 v16, -1, 0
	v_cmp_eq_u32_e64 s0, 0, v0
	v_and_b32_e32 v14, 0x7c, v2
	s_mov_b32 s7, 0
	v_lshlrev_b32_e32 v13, 2, v1
	v_lshl_or_b32 v18, v16, 2, 64
	s_wait_kmcnt 0x0
	s_cmp_eq_f32 s29, 0
	v_cmp_gt_i32_e32 vcc_lo, s4, v0
	s_mul_i32 s24, s3, ttmp9
	s_cselect_b32 s31, -1, 0
	s_cmp_neq_f32 s30, 1.0
	s_mul_i32 s22, s20, ttmp9
	v_cndmask_b32_e32 v3, 0, v0, vcc_lo
	v_mul_lo_u32 v15, v0, s5
	s_cselect_b32 s1, -1, 0
	s_cmp_neq_f32 s29, 0
	s_delay_alu instid0(VALU_DEP_2) | instskip(SKIP_1) | instid1(SALU_CYCLE_1)
	v_lshlrev_b32_e32 v17, 1, v3
	s_cselect_b32 s2, -1, 0
	s_or_b32 s33, s2, s1
	s_cmp_neq_f32 s30, 0
	v_cndmask_b32_e64 v12, 0, 1, s2
	v_cmp_eq_u32_e64 s2, 0, v1
	v_cmp_gt_u32_e64 s1, 32, v0
	s_cselect_b32 s34, -1, 0
	s_ashr_i32 s21, s4, 31
	s_ashr_i32 s23, s22, 31
	s_lshr_b32 s21, s21, 22
	s_ashr_i32 s25, s24, 31
	s_add_co_i32 s21, s4, s21
	s_lshl_b32 s35, s5, 10
	s_and_b32 s20, s21, 0xfffffc00
	s_lshl_b64 s[10:11], s[10:11], 1
	v_or_b32_e32 v2, s20, v0
	v_cmp_gt_i32_e64 s3, s20, v0
	s_ashr_i32 s21, s20, 31
	s_lshl_b64 s[14:15], s[14:15], 1
	s_lshl_b64 s[18:19], s[18:19], 1
	v_mul_lo_u32 v1, s5, v2
	v_cmp_gt_i32_e64 s4, s4, v2
	s_lshl_b64 s[22:23], s[22:23], 1
	s_lshl_b64 s[24:25], s[24:25], 1
	s_wait_alu 0xfffe
	s_lshl_b64 s[26:27], s[20:21], 1
	v_ashrrev_i32_e32 v2, 31, v1
	s_delay_alu instid0(VALU_DEP_1)
	v_lshlrev_b64_e32 v[1:2], 1, v[1:2]
	s_branch .LBB454_4
.LBB454_2:                              ;   in Loop: Header=BB454_4 Depth=1
	s_wait_alu 0xfffe
	s_or_b32 exec_lo, exec_lo, s5
.LBB454_3:                              ;   in Loop: Header=BB454_4 Depth=1
	s_add_co_i32 s6, s6, 0x10000
	s_delay_alu instid0(SALU_CYCLE_1)
	s_cmp_lt_u32 s6, s28
	s_cbranch_scc0 .LBB454_41
.LBB454_4:                              ; =>This Loop Header: Depth=1
                                        ;     Child Loop BB454_30 Depth 2
	s_and_not1_b32 vcc_lo, exec_lo, s33
	s_wait_alu 0xfffe
	s_cbranch_vccnz .LBB454_3
; %bb.5:                                ;   in Loop: Header=BB454_4 Depth=1
	s_and_not1_b32 vcc_lo, exec_lo, s31
	s_wait_alu 0xfffe
	s_cbranch_vccnz .LBB454_7
; %bb.6:                                ;   in Loop: Header=BB454_4 Depth=1
	s_mov_b32 s5, 0
	s_branch .LBB454_8
.LBB454_7:                              ;   in Loop: Header=BB454_4 Depth=1
	s_mov_b32 s5, -1
.LBB454_8:                              ;   in Loop: Header=BB454_4 Depth=1
	v_mov_b32_e32 v3, 0
	v_dual_mov_b32 v4, 0 :: v_dual_mov_b32 v5, 0
	v_mov_b32_e32 v6, 0
	s_wait_alu 0xfffe
	s_and_not1_b32 vcc_lo, exec_lo, s5
	s_wait_alu 0xfffe
	s_cbranch_vccnz .LBB454_10
; %bb.9:                                ;   in Loop: Header=BB454_4 Depth=1
	s_lshl_b64 s[36:37], s[6:7], 3
	s_delay_alu instid0(SALU_CYCLE_1)
	s_add_nc_u64 s[36:37], s[8:9], s[36:37]
	global_load_b64 v[5:6], v11, s[36:37]
	s_wait_loadcnt 0x0
	v_add_co_u32 v5, vcc_lo, v5, s10
	s_wait_alu 0xfffd
	v_add_co_ci_u32_e64 v6, null, s11, v6, vcc_lo
.LBB454_10:                             ;   in Loop: Header=BB454_4 Depth=1
	v_cmp_ne_u32_e32 vcc_lo, 1, v12
	s_cbranch_vccnz .LBB454_12
; %bb.11:                               ;   in Loop: Header=BB454_4 Depth=1
	s_lshl_b64 s[36:37], s[6:7], 3
	s_delay_alu instid0(SALU_CYCLE_1)
	s_add_nc_u64 s[36:37], s[12:13], s[36:37]
	global_load_b64 v[3:4], v11, s[36:37]
	s_wait_loadcnt 0x0
	v_add_co_u32 v3, vcc_lo, v3, s14
	s_wait_alu 0xfffd
	v_add_co_ci_u32_e64 v4, null, s15, v4, vcc_lo
.LBB454_12:                             ;   in Loop: Header=BB454_4 Depth=1
	s_lshl_b64 s[36:37], s[6:7], 3
	s_delay_alu instid0(SALU_CYCLE_1)
	s_add_nc_u64 s[36:37], s[16:17], s[36:37]
	s_wait_dscnt 0x0
	global_load_b64 v[7:8], v11, s[36:37]
	s_wait_loadcnt 0x0
	v_add_co_u32 v19, vcc_lo, v7, s18
	s_wait_alu 0xfffd
	v_add_co_ci_u32_e64 v20, null, s19, v8, vcc_lo
	s_and_not1_b32 vcc_lo, exec_lo, s31
	s_wait_alu 0xfffe
	s_cbranch_vccnz .LBB454_16
; %bb.13:                               ;   in Loop: Header=BB454_4 Depth=1
	s_mov_b32 s5, 0
	s_mov_b32 s21, 0
                                        ; implicit-def: $vgpr7
	s_and_saveexec_b32 s36, s0
	s_cbranch_execz .LBB454_17
; %bb.14:                               ;   in Loop: Header=BB454_4 Depth=1
	s_and_not1_b32 vcc_lo, exec_lo, s34
	s_wait_alu 0xfffe
	s_cbranch_vccnz .LBB454_18
; %bb.15:                               ;   in Loop: Header=BB454_4 Depth=1
	v_add_co_u32 v7, vcc_lo, v19, s22
	s_wait_alu 0xfffd
	v_add_co_ci_u32_e64 v8, null, s23, v20, vcc_lo
	flat_load_u16 v7, v[7:8]
	s_wait_loadcnt_dscnt 0x0
	v_fma_mixlo_f16 v7, s30, v7, 0 op_sel_hi:[0,1,0]
	s_branch .LBB454_19
.LBB454_16:                             ;   in Loop: Header=BB454_4 Depth=1
	s_mov_b32 s21, 0
                                        ; implicit-def: $vgpr7
	s_cbranch_execnz .LBB454_20
	s_branch .LBB454_39
.LBB454_17:                             ;   in Loop: Header=BB454_4 Depth=1
	s_or_b32 exec_lo, exec_lo, s36
	s_wait_alu 0xfffe
	s_and_b32 vcc_lo, exec_lo, s5
	s_wait_alu 0xfffe
	s_cbranch_vccnz .LBB454_20
	s_branch .LBB454_39
.LBB454_18:                             ;   in Loop: Header=BB454_4 Depth=1
	v_mov_b32_e32 v7, 0
.LBB454_19:                             ;   in Loop: Header=BB454_4 Depth=1
	s_mov_b32 s21, exec_lo
	s_or_b32 exec_lo, exec_lo, s36
	s_delay_alu instid0(SALU_CYCLE_1)
	s_and_b32 vcc_lo, exec_lo, s5
	s_wait_alu 0xfffe
	s_cbranch_vccz .LBB454_39
.LBB454_20:                             ;   in Loop: Header=BB454_4 Depth=1
	v_add_co_u32 v5, vcc_lo, v5, v17
	s_wait_alu 0xfffd
	v_add_co_ci_u32_e64 v6, null, 0, v6, vcc_lo
	v_mov_b32_e32 v21, 0
	s_delay_alu instid0(VALU_DEP_3) | instskip(SKIP_1) | instid1(VALU_DEP_3)
	v_add_co_u32 v5, vcc_lo, v5, s24
	s_wait_alu 0xfffd
	v_add_co_ci_u32_e64 v6, null, s25, v6, vcc_lo
	s_and_saveexec_b32 s36, s3
	s_cbranch_execnz .LBB454_29
; %bb.21:                               ;   in Loop: Header=BB454_4 Depth=1
	s_or_b32 exec_lo, exec_lo, s36
	s_and_saveexec_b32 s5, s4
	s_cbranch_execnz .LBB454_32
.LBB454_22:                             ;   in Loop: Header=BB454_4 Depth=1
	s_wait_alu 0xfffe
	s_or_b32 exec_lo, exec_lo, s5
	s_and_saveexec_b32 s5, s1
.LBB454_23:                             ;   in Loop: Header=BB454_4 Depth=1
	ds_store_b32 v13, v11
.LBB454_24:                             ;   in Loop: Header=BB454_4 Depth=1
	s_wait_alu 0xfffe
	s_or_b32 exec_lo, exec_lo, s5
	ds_bpermute_b32 v4, v18, v21
	v_cmp_gt_u32_e32 vcc_lo, 24, v16
	s_wait_dscnt 0x0
	s_barrier_signal -1
	s_barrier_wait -1
	global_inv scope:SCOPE_SE
	s_wait_alu 0xfffd
	v_cndmask_b32_e64 v3, 0, 8, vcc_lo
	v_cmp_gt_u32_e32 vcc_lo, 28, v16
	s_delay_alu instid0(VALU_DEP_2)
	v_add_lshl_u32 v3, v3, v16, 2
	v_add_f32_e32 v5, v21, v4
	s_wait_alu 0xfffd
	v_cndmask_b32_e64 v4, 0, 4, vcc_lo
	v_cmp_gt_u32_e32 vcc_lo, 30, v16
	ds_bpermute_b32 v6, v3, v5
	v_add_lshl_u32 v4, v4, v16, 2
	s_wait_dscnt 0x0
	v_add_f32_e32 v6, v5, v6
	s_wait_alu 0xfffd
	v_cndmask_b32_e64 v5, 0, 2, vcc_lo
	v_cmp_ne_u32_e32 vcc_lo, 31, v16
	ds_bpermute_b32 v7, v4, v6
	v_add_lshl_u32 v5, v5, v16, 2
	s_wait_alu 0xfffd
	v_add_co_ci_u32_e64 v8, null, 0, v16, vcc_lo
	s_wait_dscnt 0x0
	v_add_f32_e32 v6, v6, v7
	ds_bpermute_b32 v7, v5, v6
	s_wait_dscnt 0x0
	v_dual_add_f32 v7, v6, v7 :: v_dual_lshlrev_b32 v6, 2, v8
	ds_bpermute_b32 v8, v6, v7
	s_and_saveexec_b32 s5, s2
	s_cbranch_execz .LBB454_26
; %bb.25:                               ;   in Loop: Header=BB454_4 Depth=1
	s_wait_dscnt 0x0
	v_add_f32_e32 v7, v7, v8
	ds_store_b32 v14, v7
.LBB454_26:                             ;   in Loop: Header=BB454_4 Depth=1
	s_wait_alu 0xfffe
	s_or_b32 exec_lo, exec_lo, s5
	s_wait_dscnt 0x0
	v_mov_b32_e32 v8, 0
	s_wait_loadcnt 0x0
	s_barrier_signal -1
	s_barrier_wait -1
	global_inv scope:SCOPE_SE
	s_and_saveexec_b32 s5, s1
	s_cbranch_execnz .LBB454_33
; %bb.27:                               ;   in Loop: Header=BB454_4 Depth=1
	s_wait_alu 0xfffe
	s_or_b32 exec_lo, exec_lo, s5
	s_and_saveexec_b32 s5, s1
	s_cbranch_execnz .LBB454_34
.LBB454_28:                             ;   in Loop: Header=BB454_4 Depth=1
	s_wait_alu 0xfffe
	s_or_b32 exec_lo, exec_lo, s5
                                        ; implicit-def: $vgpr7
	s_and_saveexec_b32 s5, s0
	s_cbranch_execnz .LBB454_35
	s_branch .LBB454_38
.LBB454_29:                             ;   in Loop: Header=BB454_4 Depth=1
	v_dual_mov_b32 v21, 0 :: v_dual_mov_b32 v8, v6
	v_dual_mov_b32 v7, v5 :: v_dual_mov_b32 v22, v0
	v_mov_b32_e32 v9, v15
	s_mov_b32 s37, 0
.LBB454_30:                             ;   Parent Loop BB454_4 Depth=1
                                        ; =>  This Inner Loop Header: Depth=2
	s_delay_alu instid0(VALU_DEP_1) | instskip(NEXT) | instid1(VALU_DEP_3)
	v_ashrrev_i32_e32 v10, 31, v9
	v_add_nc_u32_e32 v22, 0x400, v22
	s_delay_alu instid0(VALU_DEP_2) | instskip(NEXT) | instid1(VALU_DEP_2)
	v_lshlrev_b64_e32 v[23:24], 1, v[9:10]
	v_cmp_le_i32_e64 s5, s20, v22
	v_add_nc_u32_e32 v9, s35, v9
	s_or_b32 s37, s5, s37
	v_add_co_u32 v23, vcc_lo, v3, v23
	s_wait_alu 0xfffd
	v_add_co_ci_u32_e64 v24, null, v4, v24, vcc_lo
	flat_load_u16 v10, v[7:8]
	flat_load_u16 v23, v[23:24]
	v_add_co_u32 v7, vcc_lo, 0x800, v7
	s_wait_alu 0xfffd
	v_add_co_ci_u32_e64 v8, null, 0, v8, vcc_lo
	s_wait_loadcnt_dscnt 0x0
	v_mul_f16_e32 v10, v10, v23
	s_delay_alu instid0(VALU_DEP_1) | instskip(NEXT) | instid1(VALU_DEP_1)
	v_cvt_f32_f16_e32 v10, v10
	v_add_f32_e32 v21, v21, v10
	s_and_not1_b32 exec_lo, exec_lo, s37
	s_cbranch_execnz .LBB454_30
; %bb.31:                               ;   in Loop: Header=BB454_4 Depth=1
	s_or_b32 exec_lo, exec_lo, s37
	s_delay_alu instid0(SALU_CYCLE_1)
	s_or_b32 exec_lo, exec_lo, s36
	s_and_saveexec_b32 s5, s4
	s_cbranch_execz .LBB454_22
.LBB454_32:                             ;   in Loop: Header=BB454_4 Depth=1
	v_add_co_u32 v5, vcc_lo, v5, s26
	s_wait_alu 0xfffd
	v_add_co_ci_u32_e64 v6, null, s27, v6, vcc_lo
	v_add_co_u32 v3, vcc_lo, v3, v1
	s_wait_alu 0xfffd
	v_add_co_ci_u32_e64 v4, null, v4, v2, vcc_lo
	flat_load_u16 v5, v[5:6]
	flat_load_u16 v3, v[3:4]
	s_wait_loadcnt_dscnt 0x0
	v_mul_f16_e32 v3, v5, v3
	s_delay_alu instid0(VALU_DEP_1) | instskip(NEXT) | instid1(VALU_DEP_1)
	v_cvt_f32_f16_e32 v3, v3
	v_add_f32_e32 v21, v21, v3
	s_wait_alu 0xfffe
	s_or_b32 exec_lo, exec_lo, s5
	s_and_saveexec_b32 s5, s1
	s_cbranch_execnz .LBB454_23
	s_branch .LBB454_24
.LBB454_33:                             ;   in Loop: Header=BB454_4 Depth=1
	ds_load_b32 v8, v13
	s_wait_alu 0xfffe
	s_or_b32 exec_lo, exec_lo, s5
	s_and_saveexec_b32 s5, s1
	s_cbranch_execz .LBB454_28
.LBB454_34:                             ;   in Loop: Header=BB454_4 Depth=1
	s_wait_dscnt 0x0
	ds_bpermute_b32 v7, v18, v8
	s_wait_dscnt 0x0
	v_add_f32_e32 v7, v8, v7
	ds_bpermute_b32 v3, v3, v7
	s_wait_dscnt 0x0
	v_add_f32_e32 v3, v7, v3
	;; [unrolled: 3-line block ×5, first 2 shown]
	s_wait_alu 0xfffe
	s_or_b32 exec_lo, exec_lo, s5
                                        ; implicit-def: $vgpr7
	s_and_saveexec_b32 s5, s0
	s_cbranch_execz .LBB454_38
.LBB454_35:                             ;   in Loop: Header=BB454_4 Depth=1
	s_wait_dscnt 0x0
	v_mul_f32_e32 v3, s29, v8
	s_and_not1_b32 vcc_lo, exec_lo, s34
	s_wait_alu 0xfffe
	s_cbranch_vccnz .LBB454_37
; %bb.36:                               ;   in Loop: Header=BB454_4 Depth=1
	v_add_co_u32 v4, vcc_lo, v19, s22
	s_wait_alu 0xfffd
	v_add_co_ci_u32_e64 v5, null, s23, v20, vcc_lo
	flat_load_u16 v4, v[4:5]
	s_wait_loadcnt_dscnt 0x0
	v_fma_mix_f32 v3, s30, v4, v3 op_sel_hi:[0,1,0]
.LBB454_37:                             ;   in Loop: Header=BB454_4 Depth=1
	s_delay_alu instid0(VALU_DEP_1)
	v_cvt_f16_f32_e32 v7, v3
	s_or_b32 s21, s21, exec_lo
.LBB454_38:                             ;   in Loop: Header=BB454_4 Depth=1
	s_wait_alu 0xfffe
	s_or_b32 exec_lo, exec_lo, s5
.LBB454_39:                             ;   in Loop: Header=BB454_4 Depth=1
	s_wait_alu 0xfffe
	s_and_saveexec_b32 s5, s21
	s_cbranch_execz .LBB454_2
; %bb.40:                               ;   in Loop: Header=BB454_4 Depth=1
	v_add_co_u32 v3, vcc_lo, v19, s22
	s_wait_alu 0xfffd
	v_add_co_ci_u32_e64 v4, null, s23, v20, vcc_lo
	flat_store_b16 v[3:4], v7
	s_branch .LBB454_2
.LBB454_41:
	s_endpgm
	.section	.rodata,"a",@progbits
	.p2align	6, 0x0
	.amdhsa_kernel _ZL32rocblas_gemvt_warp_reduce_kernelILb0ELi1024EiPKDF16_fKPDF16_EviiT3_lPKT2_lT1_lS7_lS8_lS4_lPT4_lS8_li
		.amdhsa_group_segment_fixed_size 128
		.amdhsa_private_segment_fixed_size 0
		.amdhsa_kernarg_size 140
		.amdhsa_user_sgpr_count 2
		.amdhsa_user_sgpr_dispatch_ptr 0
		.amdhsa_user_sgpr_queue_ptr 0
		.amdhsa_user_sgpr_kernarg_segment_ptr 1
		.amdhsa_user_sgpr_dispatch_id 0
		.amdhsa_user_sgpr_private_segment_size 0
		.amdhsa_wavefront_size32 1
		.amdhsa_uses_dynamic_stack 0
		.amdhsa_enable_private_segment 0
		.amdhsa_system_sgpr_workgroup_id_x 1
		.amdhsa_system_sgpr_workgroup_id_y 0
		.amdhsa_system_sgpr_workgroup_id_z 1
		.amdhsa_system_sgpr_workgroup_info 0
		.amdhsa_system_vgpr_workitem_id 0
		.amdhsa_next_free_vgpr 25
		.amdhsa_next_free_sgpr 38
		.amdhsa_reserve_vcc 1
		.amdhsa_float_round_mode_32 0
		.amdhsa_float_round_mode_16_64 0
		.amdhsa_float_denorm_mode_32 3
		.amdhsa_float_denorm_mode_16_64 3
		.amdhsa_fp16_overflow 0
		.amdhsa_workgroup_processor_mode 1
		.amdhsa_memory_ordered 1
		.amdhsa_forward_progress 1
		.amdhsa_inst_pref_size 14
		.amdhsa_round_robin_scheduling 0
		.amdhsa_exception_fp_ieee_invalid_op 0
		.amdhsa_exception_fp_denorm_src 0
		.amdhsa_exception_fp_ieee_div_zero 0
		.amdhsa_exception_fp_ieee_overflow 0
		.amdhsa_exception_fp_ieee_underflow 0
		.amdhsa_exception_fp_ieee_inexact 0
		.amdhsa_exception_int_div_zero 0
	.end_amdhsa_kernel
	.section	.text._ZL32rocblas_gemvt_warp_reduce_kernelILb0ELi1024EiPKDF16_fKPDF16_EviiT3_lPKT2_lT1_lS7_lS8_lS4_lPT4_lS8_li,"axG",@progbits,_ZL32rocblas_gemvt_warp_reduce_kernelILb0ELi1024EiPKDF16_fKPDF16_EviiT3_lPKT2_lT1_lS7_lS8_lS4_lPT4_lS8_li,comdat
.Lfunc_end454:
	.size	_ZL32rocblas_gemvt_warp_reduce_kernelILb0ELi1024EiPKDF16_fKPDF16_EviiT3_lPKT2_lT1_lS7_lS8_lS4_lPT4_lS8_li, .Lfunc_end454-_ZL32rocblas_gemvt_warp_reduce_kernelILb0ELi1024EiPKDF16_fKPDF16_EviiT3_lPKT2_lT1_lS7_lS8_lS4_lPT4_lS8_li
                                        ; -- End function
	.set _ZL32rocblas_gemvt_warp_reduce_kernelILb0ELi1024EiPKDF16_fKPDF16_EviiT3_lPKT2_lT1_lS7_lS8_lS4_lPT4_lS8_li.num_vgpr, 25
	.set _ZL32rocblas_gemvt_warp_reduce_kernelILb0ELi1024EiPKDF16_fKPDF16_EviiT3_lPKT2_lT1_lS7_lS8_lS4_lPT4_lS8_li.num_agpr, 0
	.set _ZL32rocblas_gemvt_warp_reduce_kernelILb0ELi1024EiPKDF16_fKPDF16_EviiT3_lPKT2_lT1_lS7_lS8_lS4_lPT4_lS8_li.numbered_sgpr, 38
	.set _ZL32rocblas_gemvt_warp_reduce_kernelILb0ELi1024EiPKDF16_fKPDF16_EviiT3_lPKT2_lT1_lS7_lS8_lS4_lPT4_lS8_li.num_named_barrier, 0
	.set _ZL32rocblas_gemvt_warp_reduce_kernelILb0ELi1024EiPKDF16_fKPDF16_EviiT3_lPKT2_lT1_lS7_lS8_lS4_lPT4_lS8_li.private_seg_size, 0
	.set _ZL32rocblas_gemvt_warp_reduce_kernelILb0ELi1024EiPKDF16_fKPDF16_EviiT3_lPKT2_lT1_lS7_lS8_lS4_lPT4_lS8_li.uses_vcc, 1
	.set _ZL32rocblas_gemvt_warp_reduce_kernelILb0ELi1024EiPKDF16_fKPDF16_EviiT3_lPKT2_lT1_lS7_lS8_lS4_lPT4_lS8_li.uses_flat_scratch, 0
	.set _ZL32rocblas_gemvt_warp_reduce_kernelILb0ELi1024EiPKDF16_fKPDF16_EviiT3_lPKT2_lT1_lS7_lS8_lS4_lPT4_lS8_li.has_dyn_sized_stack, 0
	.set _ZL32rocblas_gemvt_warp_reduce_kernelILb0ELi1024EiPKDF16_fKPDF16_EviiT3_lPKT2_lT1_lS7_lS8_lS4_lPT4_lS8_li.has_recursion, 0
	.set _ZL32rocblas_gemvt_warp_reduce_kernelILb0ELi1024EiPKDF16_fKPDF16_EviiT3_lPKT2_lT1_lS7_lS8_lS4_lPT4_lS8_li.has_indirect_call, 0
	.section	.AMDGPU.csdata,"",@progbits
; Kernel info:
; codeLenInByte = 1696
; TotalNumSgprs: 40
; NumVgprs: 25
; ScratchSize: 0
; MemoryBound: 0
; FloatMode: 240
; IeeeMode: 1
; LDSByteSize: 128 bytes/workgroup (compile time only)
; SGPRBlocks: 0
; VGPRBlocks: 3
; NumSGPRsForWavesPerEU: 40
; NumVGPRsForWavesPerEU: 25
; Occupancy: 16
; WaveLimiterHint : 1
; COMPUTE_PGM_RSRC2:SCRATCH_EN: 0
; COMPUTE_PGM_RSRC2:USER_SGPR: 2
; COMPUTE_PGM_RSRC2:TRAP_HANDLER: 0
; COMPUTE_PGM_RSRC2:TGID_X_EN: 1
; COMPUTE_PGM_RSRC2:TGID_Y_EN: 0
; COMPUTE_PGM_RSRC2:TGID_Z_EN: 1
; COMPUTE_PGM_RSRC2:TIDIG_COMP_CNT: 0
	.section	.text._ZL32rocblas_gemvt_warp_reduce_kernelILb0ELi1024ElPKDF16_fKPDF16_EviiT3_lPKT2_lT1_lS7_lS8_lS4_lPT4_lS8_li,"axG",@progbits,_ZL32rocblas_gemvt_warp_reduce_kernelILb0ELi1024ElPKDF16_fKPDF16_EviiT3_lPKT2_lT1_lS7_lS8_lS4_lPT4_lS8_li,comdat
	.globl	_ZL32rocblas_gemvt_warp_reduce_kernelILb0ELi1024ElPKDF16_fKPDF16_EviiT3_lPKT2_lT1_lS7_lS8_lS4_lPT4_lS8_li ; -- Begin function _ZL32rocblas_gemvt_warp_reduce_kernelILb0ELi1024ElPKDF16_fKPDF16_EviiT3_lPKT2_lT1_lS7_lS8_lS4_lPT4_lS8_li
	.p2align	8
	.type	_ZL32rocblas_gemvt_warp_reduce_kernelILb0ELi1024ElPKDF16_fKPDF16_EviiT3_lPKT2_lT1_lS7_lS8_lS4_lPT4_lS8_li,@function
_ZL32rocblas_gemvt_warp_reduce_kernelILb0ELi1024ElPKDF16_fKPDF16_EviiT3_lPKT2_lT1_lS7_lS8_lS4_lPT4_lS8_li: ; @_ZL32rocblas_gemvt_warp_reduce_kernelILb0ELi1024ElPKDF16_fKPDF16_EviiT3_lPKT2_lT1_lS7_lS8_lS4_lPT4_lS8_li
; %bb.0:
	s_load_b32 s30, s[0:1], 0x88
	s_lshr_b32 s6, ttmp7, 16
	s_wait_kmcnt 0x0
	s_cmp_ge_u32 s6, s30
	s_cbranch_scc1 .LBB455_41
; %bb.1:
	s_clause 0x8
	s_load_b32 s31, s[0:1], 0x8
	s_load_b32 s33, s[0:1], 0x58
	s_load_b64 s[24:25], s[0:1], 0x48
	s_load_b128 s[8:11], s[0:1], 0x38
	s_load_b32 s37, s[0:1], 0x0
	s_load_b128 s[12:15], s[0:1], 0x18
	s_load_b64 s[26:27], s[0:1], 0x28
	s_load_b64 s[28:29], s[0:1], 0x78
	s_load_b128 s[16:19], s[0:1], 0x68
	v_and_b32_e32 v3, 31, v0
	v_lshrrev_b32_e32 v4, 3, v0
	v_mov_b32_e32 v13, 0
	s_mov_b32 s4, ttmp9
	v_mbcnt_lo_u32_b32 v17, -1, 0
	v_lshlrev_b32_e32 v14, 2, v3
	v_and_b32_e32 v16, 0x7c, v4
	v_cmp_eq_u32_e64 s0, 0, v0
	v_cmp_gt_u32_e64 s1, 32, v0
	v_lshl_or_b32 v19, v17, 2, 64
	s_mov_b32 s7, 0
	s_wait_kmcnt 0x0
	s_cmp_eq_f32 s31, 0
	v_mad_co_u64_u32 v[1:2], null, s24, v0, 0
	s_cselect_b32 s34, -1, 0
	s_cmp_neq_f32 s33, 1.0
	v_cmp_gt_i32_e32 vcc_lo, s37, v0
	s_cselect_b32 s2, -1, 0
	s_cmp_neq_f32 s31, 0
	v_cndmask_b32_e32 v5, 0, v0, vcc_lo
	s_cselect_b32 s3, -1, 0
	s_delay_alu instid0(SALU_CYCLE_1)
	s_or_b32 s35, s3, s2
	s_cmp_neq_f32 s33, 0
	v_cndmask_b32_e64 v15, 0, 1, s3
	v_cmp_eq_u32_e64 s2, 0, v3
	v_mad_co_u64_u32 v[2:3], null, s25, v0, v[2:3]
	s_cselect_b32 s36, -1, 0
	s_ashr_i32 s3, s37, 31
	s_ashr_i32 s5, ttmp9, 31
	s_wait_alu 0xfffe
	s_lshr_b32 s3, s3, 22
	s_mul_u64 s[28:29], s[28:29], s[4:5]
	s_wait_alu 0xfffe
	s_add_co_i32 s3, s37, s3
	s_mul_u64 s[26:27], s[26:27], s[4:5]
	s_wait_alu 0xfffe
	s_and_b32 s20, s3, 0xfffffc00
	v_lshlrev_b64_e32 v[1:2], 1, v[1:2]
	v_or_b32_e32 v6, s20, v0
	s_ashr_i32 s21, s20, 31
	v_cmp_gt_i32_e64 s3, s20, v0
	s_wait_alu 0xfffe
	s_mul_i32 s5, s24, s21
	v_lshlrev_b32_e32 v18, 1, v5
	v_mul_lo_u32 v7, s25, v6
	v_mad_co_u64_u32 v[3:4], null, s24, v6, 0
	v_cmp_gt_i32_e64 s4, s37, v6
	s_lshl_b64 s[22:23], s[24:25], 11
	s_lshl_b64 s[14:15], s[14:15], 1
	;; [unrolled: 1-line block ×5, first 2 shown]
	v_add3_u32 v4, v4, s5, v7
	s_lshl_b64 s[26:27], s[26:27], 1
	s_lshl_b64 s[28:29], s[20:21], 1
	s_delay_alu instid0(VALU_DEP_1)
	v_lshlrev_b64_e32 v[3:4], 1, v[3:4]
	s_branch .LBB455_4
.LBB455_2:                              ;   in Loop: Header=BB455_4 Depth=1
	s_wait_alu 0xfffe
	s_or_b32 exec_lo, exec_lo, s5
.LBB455_3:                              ;   in Loop: Header=BB455_4 Depth=1
	s_add_co_i32 s6, s6, 0x10000
	s_delay_alu instid0(SALU_CYCLE_1)
	s_cmp_lt_u32 s6, s30
	s_cbranch_scc0 .LBB455_41
.LBB455_4:                              ; =>This Loop Header: Depth=1
                                        ;     Child Loop BB455_30 Depth 2
	s_and_not1_b32 vcc_lo, exec_lo, s35
	s_wait_alu 0xfffe
	s_cbranch_vccnz .LBB455_3
; %bb.5:                                ;   in Loop: Header=BB455_4 Depth=1
	s_and_not1_b32 vcc_lo, exec_lo, s34
	s_wait_alu 0xfffe
	s_cbranch_vccnz .LBB455_7
; %bb.6:                                ;   in Loop: Header=BB455_4 Depth=1
	s_mov_b32 s5, 0
	s_branch .LBB455_8
.LBB455_7:                              ;   in Loop: Header=BB455_4 Depth=1
	s_mov_b32 s5, -1
.LBB455_8:                              ;   in Loop: Header=BB455_4 Depth=1
	v_mov_b32_e32 v5, 0
	v_dual_mov_b32 v6, 0 :: v_dual_mov_b32 v7, 0
	v_mov_b32_e32 v8, 0
	s_wait_alu 0xfffe
	s_and_not1_b32 vcc_lo, exec_lo, s5
	s_wait_alu 0xfffe
	s_cbranch_vccnz .LBB455_10
; %bb.9:                                ;   in Loop: Header=BB455_4 Depth=1
	s_lshl_b64 s[38:39], s[6:7], 3
	s_delay_alu instid0(SALU_CYCLE_1)
	s_add_nc_u64 s[38:39], s[12:13], s[38:39]
	global_load_b64 v[7:8], v13, s[38:39]
	s_wait_loadcnt 0x0
	v_add_co_u32 v7, vcc_lo, v7, s14
	s_wait_alu 0xfffd
	v_add_co_ci_u32_e64 v8, null, s15, v8, vcc_lo
.LBB455_10:                             ;   in Loop: Header=BB455_4 Depth=1
	v_cmp_ne_u32_e32 vcc_lo, 1, v15
	s_cbranch_vccnz .LBB455_12
; %bb.11:                               ;   in Loop: Header=BB455_4 Depth=1
	s_lshl_b64 s[38:39], s[6:7], 3
	s_delay_alu instid0(SALU_CYCLE_1)
	s_add_nc_u64 s[38:39], s[8:9], s[38:39]
	global_load_b64 v[5:6], v13, s[38:39]
	s_wait_loadcnt 0x0
	v_add_co_u32 v5, vcc_lo, v5, s10
	s_wait_alu 0xfffd
	v_add_co_ci_u32_e64 v6, null, s11, v6, vcc_lo
.LBB455_12:                             ;   in Loop: Header=BB455_4 Depth=1
	s_lshl_b64 s[38:39], s[6:7], 3
	s_delay_alu instid0(SALU_CYCLE_1)
	s_add_nc_u64 s[38:39], s[16:17], s[38:39]
	s_wait_dscnt 0x0
	global_load_b64 v[9:10], v13, s[38:39]
	s_wait_loadcnt 0x0
	v_add_co_u32 v20, vcc_lo, v9, s18
	s_wait_alu 0xfffd
	v_add_co_ci_u32_e64 v21, null, s19, v10, vcc_lo
	s_and_not1_b32 vcc_lo, exec_lo, s34
	s_wait_alu 0xfffe
	s_cbranch_vccnz .LBB455_16
; %bb.13:                               ;   in Loop: Header=BB455_4 Depth=1
	s_mov_b32 s5, 0
	s_mov_b32 s21, 0
                                        ; implicit-def: $vgpr9
	s_and_saveexec_b32 s37, s0
	s_cbranch_execz .LBB455_17
; %bb.14:                               ;   in Loop: Header=BB455_4 Depth=1
	s_and_not1_b32 vcc_lo, exec_lo, s36
	s_wait_alu 0xfffe
	s_cbranch_vccnz .LBB455_18
; %bb.15:                               ;   in Loop: Header=BB455_4 Depth=1
	v_add_co_u32 v9, vcc_lo, v20, s24
	s_wait_alu 0xfffd
	v_add_co_ci_u32_e64 v10, null, s25, v21, vcc_lo
	flat_load_u16 v9, v[9:10]
	s_wait_loadcnt_dscnt 0x0
	v_fma_mixlo_f16 v9, s33, v9, 0 op_sel_hi:[0,1,0]
	s_branch .LBB455_19
.LBB455_16:                             ;   in Loop: Header=BB455_4 Depth=1
	s_mov_b32 s21, 0
                                        ; implicit-def: $vgpr9
	s_cbranch_execnz .LBB455_20
	s_branch .LBB455_39
.LBB455_17:                             ;   in Loop: Header=BB455_4 Depth=1
	s_wait_alu 0xfffe
	s_or_b32 exec_lo, exec_lo, s37
	s_delay_alu instid0(SALU_CYCLE_1)
	s_and_b32 vcc_lo, exec_lo, s5
	s_wait_alu 0xfffe
	s_cbranch_vccnz .LBB455_20
	s_branch .LBB455_39
.LBB455_18:                             ;   in Loop: Header=BB455_4 Depth=1
	v_mov_b32_e32 v9, 0
.LBB455_19:                             ;   in Loop: Header=BB455_4 Depth=1
	s_mov_b32 s21, exec_lo
	s_or_b32 exec_lo, exec_lo, s37
	s_delay_alu instid0(SALU_CYCLE_1)
	s_and_b32 vcc_lo, exec_lo, s5
	s_wait_alu 0xfffe
	s_cbranch_vccz .LBB455_39
.LBB455_20:                             ;   in Loop: Header=BB455_4 Depth=1
	v_add_co_u32 v7, vcc_lo, v7, v18
	s_wait_alu 0xfffd
	v_add_co_ci_u32_e64 v8, null, 0, v8, vcc_lo
	v_mov_b32_e32 v22, 0
	s_delay_alu instid0(VALU_DEP_3) | instskip(SKIP_1) | instid1(VALU_DEP_3)
	v_add_co_u32 v7, vcc_lo, v7, s26
	s_wait_alu 0xfffd
	v_add_co_ci_u32_e64 v8, null, s27, v8, vcc_lo
	s_and_saveexec_b32 s37, s3
	s_cbranch_execnz .LBB455_29
; %bb.21:                               ;   in Loop: Header=BB455_4 Depth=1
	s_wait_alu 0xfffe
	s_or_b32 exec_lo, exec_lo, s37
	s_and_saveexec_b32 s5, s4
	s_cbranch_execnz .LBB455_32
.LBB455_22:                             ;   in Loop: Header=BB455_4 Depth=1
	s_wait_alu 0xfffe
	s_or_b32 exec_lo, exec_lo, s5
	s_and_saveexec_b32 s5, s1
.LBB455_23:                             ;   in Loop: Header=BB455_4 Depth=1
	ds_store_b32 v14, v13
.LBB455_24:                             ;   in Loop: Header=BB455_4 Depth=1
	s_wait_alu 0xfffe
	s_or_b32 exec_lo, exec_lo, s5
	ds_bpermute_b32 v6, v19, v22
	v_cmp_gt_u32_e32 vcc_lo, 24, v17
	s_wait_dscnt 0x0
	s_barrier_signal -1
	s_barrier_wait -1
	global_inv scope:SCOPE_SE
	s_wait_alu 0xfffd
	v_cndmask_b32_e64 v5, 0, 8, vcc_lo
	v_cmp_gt_u32_e32 vcc_lo, 28, v17
	s_delay_alu instid0(VALU_DEP_2)
	v_add_lshl_u32 v5, v5, v17, 2
	v_add_f32_e32 v7, v22, v6
	s_wait_alu 0xfffd
	v_cndmask_b32_e64 v6, 0, 4, vcc_lo
	v_cmp_gt_u32_e32 vcc_lo, 30, v17
	ds_bpermute_b32 v8, v5, v7
	v_add_lshl_u32 v6, v6, v17, 2
	s_wait_dscnt 0x0
	v_add_f32_e32 v8, v7, v8
	s_wait_alu 0xfffd
	v_cndmask_b32_e64 v7, 0, 2, vcc_lo
	v_cmp_ne_u32_e32 vcc_lo, 31, v17
	ds_bpermute_b32 v9, v6, v8
	v_add_lshl_u32 v7, v7, v17, 2
	s_wait_alu 0xfffd
	v_add_co_ci_u32_e64 v10, null, 0, v17, vcc_lo
	s_wait_dscnt 0x0
	v_add_f32_e32 v8, v8, v9
	ds_bpermute_b32 v9, v7, v8
	s_wait_dscnt 0x0
	v_dual_add_f32 v9, v8, v9 :: v_dual_lshlrev_b32 v8, 2, v10
	ds_bpermute_b32 v10, v8, v9
	s_and_saveexec_b32 s5, s2
	s_cbranch_execz .LBB455_26
; %bb.25:                               ;   in Loop: Header=BB455_4 Depth=1
	s_wait_dscnt 0x0
	v_add_f32_e32 v9, v9, v10
	ds_store_b32 v16, v9
.LBB455_26:                             ;   in Loop: Header=BB455_4 Depth=1
	s_wait_alu 0xfffe
	s_or_b32 exec_lo, exec_lo, s5
	s_wait_dscnt 0x0
	v_mov_b32_e32 v10, 0
	s_wait_loadcnt 0x0
	s_barrier_signal -1
	s_barrier_wait -1
	global_inv scope:SCOPE_SE
	s_and_saveexec_b32 s5, s1
	s_cbranch_execnz .LBB455_33
; %bb.27:                               ;   in Loop: Header=BB455_4 Depth=1
	s_wait_alu 0xfffe
	s_or_b32 exec_lo, exec_lo, s5
	s_and_saveexec_b32 s5, s1
	s_cbranch_execnz .LBB455_34
.LBB455_28:                             ;   in Loop: Header=BB455_4 Depth=1
	s_wait_alu 0xfffe
	s_or_b32 exec_lo, exec_lo, s5
                                        ; implicit-def: $vgpr9
	s_and_saveexec_b32 s5, s0
	s_cbranch_execnz .LBB455_35
	s_branch .LBB455_38
.LBB455_29:                             ;   in Loop: Header=BB455_4 Depth=1
	v_add_co_u32 v9, vcc_lo, v5, v1
	v_dual_mov_b32 v12, v8 :: v_dual_mov_b32 v23, v0
	s_wait_alu 0xfffd
	v_add_co_ci_u32_e64 v10, null, v6, v2, vcc_lo
	v_dual_mov_b32 v22, 0 :: v_dual_mov_b32 v11, v7
	s_mov_b32 s38, 0
.LBB455_30:                             ;   Parent Loop BB455_4 Depth=1
                                        ; =>  This Inner Loop Header: Depth=2
	flat_load_u16 v24, v[11:12]
	flat_load_u16 v25, v[9:10]
	v_add_co_u32 v11, vcc_lo, 0x800, v11
	s_wait_alu 0xfffd
	v_add_co_ci_u32_e64 v12, null, 0, v12, vcc_lo
	v_add_co_u32 v9, vcc_lo, v9, s22
	s_wait_alu 0xfffd
	v_add_co_ci_u32_e64 v10, null, s23, v10, vcc_lo
	s_wait_loadcnt_dscnt 0x0
	v_mul_f16_e32 v24, v24, v25
	s_delay_alu instid0(VALU_DEP_1) | instskip(NEXT) | instid1(VALU_DEP_1)
	v_cvt_f32_f16_e32 v24, v24
	v_dual_add_f32 v22, v22, v24 :: v_dual_add_nc_u32 v23, 0x400, v23
	s_delay_alu instid0(VALU_DEP_1) | instskip(SKIP_1) | instid1(SALU_CYCLE_1)
	v_cmp_le_i32_e64 s5, s20, v23
	s_or_b32 s38, s5, s38
	s_and_not1_b32 exec_lo, exec_lo, s38
	s_cbranch_execnz .LBB455_30
; %bb.31:                               ;   in Loop: Header=BB455_4 Depth=1
	s_or_b32 exec_lo, exec_lo, s38
	s_wait_alu 0xfffe
	s_or_b32 exec_lo, exec_lo, s37
	s_and_saveexec_b32 s5, s4
	s_cbranch_execz .LBB455_22
.LBB455_32:                             ;   in Loop: Header=BB455_4 Depth=1
	v_add_co_u32 v7, vcc_lo, v7, s28
	s_wait_alu 0xfffd
	v_add_co_ci_u32_e64 v8, null, s29, v8, vcc_lo
	v_add_co_u32 v5, vcc_lo, v5, v3
	s_wait_alu 0xfffd
	v_add_co_ci_u32_e64 v6, null, v6, v4, vcc_lo
	flat_load_u16 v7, v[7:8]
	flat_load_u16 v5, v[5:6]
	s_wait_loadcnt_dscnt 0x0
	v_mul_f16_e32 v5, v7, v5
	s_delay_alu instid0(VALU_DEP_1) | instskip(NEXT) | instid1(VALU_DEP_1)
	v_cvt_f32_f16_e32 v5, v5
	v_add_f32_e32 v22, v22, v5
	s_wait_alu 0xfffe
	s_or_b32 exec_lo, exec_lo, s5
	s_and_saveexec_b32 s5, s1
	s_cbranch_execnz .LBB455_23
	s_branch .LBB455_24
.LBB455_33:                             ;   in Loop: Header=BB455_4 Depth=1
	ds_load_b32 v10, v14
	s_wait_alu 0xfffe
	s_or_b32 exec_lo, exec_lo, s5
	s_and_saveexec_b32 s5, s1
	s_cbranch_execz .LBB455_28
.LBB455_34:                             ;   in Loop: Header=BB455_4 Depth=1
	s_wait_dscnt 0x0
	ds_bpermute_b32 v9, v19, v10
	s_wait_dscnt 0x0
	v_add_f32_e32 v9, v10, v9
	ds_bpermute_b32 v5, v5, v9
	s_wait_dscnt 0x0
	v_add_f32_e32 v5, v9, v5
	;; [unrolled: 3-line block ×5, first 2 shown]
	s_wait_alu 0xfffe
	s_or_b32 exec_lo, exec_lo, s5
                                        ; implicit-def: $vgpr9
	s_and_saveexec_b32 s5, s0
	s_cbranch_execz .LBB455_38
.LBB455_35:                             ;   in Loop: Header=BB455_4 Depth=1
	s_wait_dscnt 0x0
	v_mul_f32_e32 v5, s31, v10
	s_and_not1_b32 vcc_lo, exec_lo, s36
	s_wait_alu 0xfffe
	s_cbranch_vccnz .LBB455_37
; %bb.36:                               ;   in Loop: Header=BB455_4 Depth=1
	v_add_co_u32 v6, vcc_lo, v20, s24
	s_wait_alu 0xfffd
	v_add_co_ci_u32_e64 v7, null, s25, v21, vcc_lo
	flat_load_u16 v6, v[6:7]
	s_wait_loadcnt_dscnt 0x0
	v_fma_mix_f32 v5, s33, v6, v5 op_sel_hi:[0,1,0]
.LBB455_37:                             ;   in Loop: Header=BB455_4 Depth=1
	s_delay_alu instid0(VALU_DEP_1)
	v_cvt_f16_f32_e32 v9, v5
	s_or_b32 s21, s21, exec_lo
.LBB455_38:                             ;   in Loop: Header=BB455_4 Depth=1
	s_wait_alu 0xfffe
	s_or_b32 exec_lo, exec_lo, s5
.LBB455_39:                             ;   in Loop: Header=BB455_4 Depth=1
	s_wait_alu 0xfffe
	s_and_saveexec_b32 s5, s21
	s_cbranch_execz .LBB455_2
; %bb.40:                               ;   in Loop: Header=BB455_4 Depth=1
	v_add_co_u32 v5, vcc_lo, v20, s24
	s_wait_alu 0xfffd
	v_add_co_ci_u32_e64 v6, null, s25, v21, vcc_lo
	flat_store_b16 v[5:6], v9
	s_branch .LBB455_2
.LBB455_41:
	s_endpgm
	.section	.rodata,"a",@progbits
	.p2align	6, 0x0
	.amdhsa_kernel _ZL32rocblas_gemvt_warp_reduce_kernelILb0ELi1024ElPKDF16_fKPDF16_EviiT3_lPKT2_lT1_lS7_lS8_lS4_lPT4_lS8_li
		.amdhsa_group_segment_fixed_size 128
		.amdhsa_private_segment_fixed_size 0
		.amdhsa_kernarg_size 140
		.amdhsa_user_sgpr_count 2
		.amdhsa_user_sgpr_dispatch_ptr 0
		.amdhsa_user_sgpr_queue_ptr 0
		.amdhsa_user_sgpr_kernarg_segment_ptr 1
		.amdhsa_user_sgpr_dispatch_id 0
		.amdhsa_user_sgpr_private_segment_size 0
		.amdhsa_wavefront_size32 1
		.amdhsa_uses_dynamic_stack 0
		.amdhsa_enable_private_segment 0
		.amdhsa_system_sgpr_workgroup_id_x 1
		.amdhsa_system_sgpr_workgroup_id_y 0
		.amdhsa_system_sgpr_workgroup_id_z 1
		.amdhsa_system_sgpr_workgroup_info 0
		.amdhsa_system_vgpr_workitem_id 0
		.amdhsa_next_free_vgpr 26
		.amdhsa_next_free_sgpr 40
		.amdhsa_reserve_vcc 1
		.amdhsa_float_round_mode_32 0
		.amdhsa_float_round_mode_16_64 0
		.amdhsa_float_denorm_mode_32 3
		.amdhsa_float_denorm_mode_16_64 3
		.amdhsa_fp16_overflow 0
		.amdhsa_workgroup_processor_mode 1
		.amdhsa_memory_ordered 1
		.amdhsa_forward_progress 1
		.amdhsa_inst_pref_size 14
		.amdhsa_round_robin_scheduling 0
		.amdhsa_exception_fp_ieee_invalid_op 0
		.amdhsa_exception_fp_denorm_src 0
		.amdhsa_exception_fp_ieee_div_zero 0
		.amdhsa_exception_fp_ieee_overflow 0
		.amdhsa_exception_fp_ieee_underflow 0
		.amdhsa_exception_fp_ieee_inexact 0
		.amdhsa_exception_int_div_zero 0
	.end_amdhsa_kernel
	.section	.text._ZL32rocblas_gemvt_warp_reduce_kernelILb0ELi1024ElPKDF16_fKPDF16_EviiT3_lPKT2_lT1_lS7_lS8_lS4_lPT4_lS8_li,"axG",@progbits,_ZL32rocblas_gemvt_warp_reduce_kernelILb0ELi1024ElPKDF16_fKPDF16_EviiT3_lPKT2_lT1_lS7_lS8_lS4_lPT4_lS8_li,comdat
.Lfunc_end455:
	.size	_ZL32rocblas_gemvt_warp_reduce_kernelILb0ELi1024ElPKDF16_fKPDF16_EviiT3_lPKT2_lT1_lS7_lS8_lS4_lPT4_lS8_li, .Lfunc_end455-_ZL32rocblas_gemvt_warp_reduce_kernelILb0ELi1024ElPKDF16_fKPDF16_EviiT3_lPKT2_lT1_lS7_lS8_lS4_lPT4_lS8_li
                                        ; -- End function
	.set _ZL32rocblas_gemvt_warp_reduce_kernelILb0ELi1024ElPKDF16_fKPDF16_EviiT3_lPKT2_lT1_lS7_lS8_lS4_lPT4_lS8_li.num_vgpr, 26
	.set _ZL32rocblas_gemvt_warp_reduce_kernelILb0ELi1024ElPKDF16_fKPDF16_EviiT3_lPKT2_lT1_lS7_lS8_lS4_lPT4_lS8_li.num_agpr, 0
	.set _ZL32rocblas_gemvt_warp_reduce_kernelILb0ELi1024ElPKDF16_fKPDF16_EviiT3_lPKT2_lT1_lS7_lS8_lS4_lPT4_lS8_li.numbered_sgpr, 40
	.set _ZL32rocblas_gemvt_warp_reduce_kernelILb0ELi1024ElPKDF16_fKPDF16_EviiT3_lPKT2_lT1_lS7_lS8_lS4_lPT4_lS8_li.num_named_barrier, 0
	.set _ZL32rocblas_gemvt_warp_reduce_kernelILb0ELi1024ElPKDF16_fKPDF16_EviiT3_lPKT2_lT1_lS7_lS8_lS4_lPT4_lS8_li.private_seg_size, 0
	.set _ZL32rocblas_gemvt_warp_reduce_kernelILb0ELi1024ElPKDF16_fKPDF16_EviiT3_lPKT2_lT1_lS7_lS8_lS4_lPT4_lS8_li.uses_vcc, 1
	.set _ZL32rocblas_gemvt_warp_reduce_kernelILb0ELi1024ElPKDF16_fKPDF16_EviiT3_lPKT2_lT1_lS7_lS8_lS4_lPT4_lS8_li.uses_flat_scratch, 0
	.set _ZL32rocblas_gemvt_warp_reduce_kernelILb0ELi1024ElPKDF16_fKPDF16_EviiT3_lPKT2_lT1_lS7_lS8_lS4_lPT4_lS8_li.has_dyn_sized_stack, 0
	.set _ZL32rocblas_gemvt_warp_reduce_kernelILb0ELi1024ElPKDF16_fKPDF16_EviiT3_lPKT2_lT1_lS7_lS8_lS4_lPT4_lS8_li.has_recursion, 0
	.set _ZL32rocblas_gemvt_warp_reduce_kernelILb0ELi1024ElPKDF16_fKPDF16_EviiT3_lPKT2_lT1_lS7_lS8_lS4_lPT4_lS8_li.has_indirect_call, 0
	.section	.AMDGPU.csdata,"",@progbits
; Kernel info:
; codeLenInByte = 1744
; TotalNumSgprs: 42
; NumVgprs: 26
; ScratchSize: 0
; MemoryBound: 0
; FloatMode: 240
; IeeeMode: 1
; LDSByteSize: 128 bytes/workgroup (compile time only)
; SGPRBlocks: 0
; VGPRBlocks: 3
; NumSGPRsForWavesPerEU: 42
; NumVGPRsForWavesPerEU: 26
; Occupancy: 16
; WaveLimiterHint : 1
; COMPUTE_PGM_RSRC2:SCRATCH_EN: 0
; COMPUTE_PGM_RSRC2:USER_SGPR: 2
; COMPUTE_PGM_RSRC2:TRAP_HANDLER: 0
; COMPUTE_PGM_RSRC2:TGID_X_EN: 1
; COMPUTE_PGM_RSRC2:TGID_Y_EN: 0
; COMPUTE_PGM_RSRC2:TGID_Z_EN: 1
; COMPUTE_PGM_RSRC2:TIDIG_COMP_CNT: 0
	.section	.text._ZL22rocblas_gemvtsm_kernelILb1ELi256EPKDF16_PKfKPDF16_EviiT2_lPKT1_lilS9_lilS6_lPT3_lil,"axG",@progbits,_ZL22rocblas_gemvtsm_kernelILb1ELi256EPKDF16_PKfKPDF16_EviiT2_lPKT1_lilS9_lilS6_lPT3_lil,comdat
	.globl	_ZL22rocblas_gemvtsm_kernelILb1ELi256EPKDF16_PKfKPDF16_EviiT2_lPKT1_lilS9_lilS6_lPT3_lil ; -- Begin function _ZL22rocblas_gemvtsm_kernelILb1ELi256EPKDF16_PKfKPDF16_EviiT2_lPKT1_lilS9_lilS6_lPT3_lil
	.p2align	8
	.type	_ZL22rocblas_gemvtsm_kernelILb1ELi256EPKDF16_PKfKPDF16_EviiT2_lPKT1_lilS9_lilS6_lPT3_lil,@function
_ZL22rocblas_gemvtsm_kernelILb1ELi256EPKDF16_PKfKPDF16_EviiT2_lPKT1_lilS9_lilS6_lPT3_lil: ; @_ZL22rocblas_gemvtsm_kernelILb1ELi256EPKDF16_PKfKPDF16_EviiT2_lPKT1_lilS9_lilS6_lPT3_lil
; %bb.0:
	s_clause 0x1
	s_load_b256 s[12:19], s[0:1], 0x8
	s_load_b256 s[4:11], s[0:1], 0x58
	s_mov_b32 s2, ttmp9
	s_mov_b32 s3, 0
	s_wait_kmcnt 0x0
	s_mul_u64 s[14:15], s[14:15], s[2:3]
	s_mul_u64 s[6:7], s[6:7], s[2:3]
	s_lshl_b64 s[14:15], s[14:15], 2
	s_lshl_b64 s[6:7], s[6:7], 2
	s_add_nc_u64 s[12:13], s[12:13], s[14:15]
	s_add_nc_u64 s[4:5], s[4:5], s[6:7]
	s_load_b32 s21, s[12:13], 0x0
	s_load_b32 s20, s[4:5], 0x0
	s_wait_kmcnt 0x0
	s_cmp_eq_f32 s21, 0
	s_cselect_b32 s4, -1, 0
	s_cmp_eq_f32 s20, 1.0
	s_cselect_b32 s5, -1, 0
	s_delay_alu instid0(SALU_CYCLE_1) | instskip(NEXT) | instid1(SALU_CYCLE_1)
	s_and_b32 s4, s4, s5
	s_and_b32 vcc_lo, exec_lo, s4
	s_cbranch_vccnz .LBB456_38
; %bb.1:
	s_cmp_neq_f32 s21, 0
	s_mov_b64 s[12:13], 0
	s_mov_b64 s[6:7], 0
	s_cselect_b32 s4, -1, 0
	s_cmp_eq_f32 s21, 0
	s_cselect_b32 s5, -1, 0
	s_delay_alu instid0(SALU_CYCLE_1)
	s_and_b32 vcc_lo, exec_lo, s5
	s_cbranch_vccnz .LBB456_3
; %bb.2:
	s_lshl_b64 s[6:7], s[2:3], 3
	s_lshl_b64 s[14:15], s[18:19], 1
	s_add_nc_u64 s[6:7], s[16:17], s[6:7]
	s_load_b64 s[6:7], s[6:7], 0x0
	s_wait_kmcnt 0x0
	s_add_nc_u64 s[6:7], s[6:7], s[14:15]
.LBB456_3:
	s_and_not1_b32 vcc_lo, exec_lo, s4
	s_cbranch_vccnz .LBB456_5
; %bb.4:
	s_load_b128 s[12:15], s[0:1], 0x38
	s_lshl_b64 s[16:17], s[2:3], 3
	s_wait_kmcnt 0x0
	s_add_nc_u64 s[12:13], s[12:13], s[16:17]
	s_lshl_b64 s[14:15], s[14:15], 1
	s_load_b64 s[12:13], s[12:13], 0x0
	s_wait_kmcnt 0x0
	s_add_nc_u64 s[12:13], s[12:13], s[14:15]
.LBB456_5:
	s_lshl_b64 s[2:3], s[2:3], 3
	s_and_not1_b32 vcc_lo, exec_lo, s5
	s_add_nc_u64 s[8:9], s[8:9], s[2:3]
	s_clause 0x1
	s_load_b64 s[2:3], s[0:1], 0x0
	s_load_b32 s4, s[0:1], 0x78
	s_load_b64 s[8:9], s[8:9], 0x0
	s_mov_b32 s5, -1
	s_cbranch_vccnz .LBB456_20
; %bb.6:
	s_wait_kmcnt 0x0
	s_cmp_gt_i32 s3, 0
	s_cselect_b32 s16, -1, 0
	s_cmp_neq_f32 s20, 0
	v_cndmask_b32_e64 v1, 0, 1, s16
	s_delay_alu instid0(VALU_DEP_1)
	v_cmp_ne_u32_e32 vcc_lo, 1, v1
	s_cbranch_scc1 .LBB456_13
; %bb.7:
	s_and_b32 vcc_lo, exec_lo, vcc_lo
	s_cbranch_vccnz .LBB456_12
; %bb.8:
	v_mad_co_i64_i32 v[1:2], null, s4, v0, 0
	s_lshl_b64 s[14:15], s[10:11], 1
	v_mov_b32_e32 v3, 0
	s_add_nc_u64 s[14:15], s[8:9], s[14:15]
	s_ashr_i32 s5, s4, 31
	v_lshlrev_b64_e32 v[1:2], 1, v[1:2]
	s_delay_alu instid0(VALU_DEP_1) | instskip(NEXT) | instid1(VALU_DEP_1)
	v_add_co_u32 v1, vcc_lo, s14, v1
	v_add_co_ci_u32_e64 v2, null, s15, v2, vcc_lo
	s_wait_alu 0xfffe
	s_lshl_b64 s[14:15], s[4:5], 9
	s_mov_b32 s5, 0
	s_branch .LBB456_10
.LBB456_9:                              ;   in Loop: Header=BB456_10 Depth=1
	s_wait_alu 0xfffe
	s_or_b32 exec_lo, exec_lo, s17
	v_add_co_u32 v1, vcc_lo, v1, s14
	s_wait_alu 0xfffd
	v_add_co_ci_u32_e64 v2, null, s15, v2, vcc_lo
	s_addk_co_i32 s5, 0x100
	s_wait_alu 0xfffe
	s_cmp_ge_i32 s5, s3
	s_cbranch_scc1 .LBB456_12
.LBB456_10:                             ; =>This Inner Loop Header: Depth=1
	s_wait_alu 0xfffe
	v_add_nc_u32_e32 v4, s5, v0
	s_mov_b32 s17, exec_lo
	s_delay_alu instid0(VALU_DEP_1)
	v_cmpx_gt_i32_e64 s3, v4
	s_cbranch_execz .LBB456_9
; %bb.11:                               ;   in Loop: Header=BB456_10 Depth=1
	flat_store_b16 v[1:2], v3
	s_branch .LBB456_9
.LBB456_12:
	s_mov_b32 s5, 0
.LBB456_13:
	s_wait_alu 0xfffe
	s_and_not1_b32 vcc_lo, exec_lo, s5
	s_wait_alu 0xfffe
	s_cbranch_vccnz .LBB456_19
; %bb.14:
	s_and_not1_b32 vcc_lo, exec_lo, s16
	s_wait_alu 0xfffe
	s_cbranch_vccnz .LBB456_19
; %bb.15:
	v_mad_co_i64_i32 v[1:2], null, s4, v0, 0
	s_lshl_b64 s[14:15], s[10:11], 1
	s_ashr_i32 s5, s4, 31
	s_wait_alu 0xfffe
	s_add_nc_u64 s[14:15], s[8:9], s[14:15]
	v_lshlrev_b64_e32 v[1:2], 1, v[1:2]
	s_wait_alu 0xfffe
	s_delay_alu instid0(VALU_DEP_1) | instskip(SKIP_1) | instid1(VALU_DEP_2)
	v_add_co_u32 v1, vcc_lo, s14, v1
	s_wait_alu 0xfffd
	v_add_co_ci_u32_e64 v2, null, s15, v2, vcc_lo
	s_lshl_b64 s[14:15], s[4:5], 9
	s_mov_b32 s5, 0
	s_branch .LBB456_17
.LBB456_16:                             ;   in Loop: Header=BB456_17 Depth=1
	s_wait_alu 0xfffe
	s_or_b32 exec_lo, exec_lo, s16
	v_add_co_u32 v1, vcc_lo, v1, s14
	s_wait_alu 0xfffd
	v_add_co_ci_u32_e64 v2, null, s15, v2, vcc_lo
	s_addk_co_i32 s5, 0x100
	s_wait_alu 0xfffe
	s_cmp_ge_i32 s5, s3
	s_cbranch_scc1 .LBB456_19
.LBB456_17:                             ; =>This Inner Loop Header: Depth=1
	s_wait_alu 0xfffe
	v_add_nc_u32_e32 v3, s5, v0
	s_mov_b32 s16, exec_lo
	s_delay_alu instid0(VALU_DEP_1)
	v_cmpx_gt_i32_e64 s3, v3
	s_cbranch_execz .LBB456_16
; %bb.18:                               ;   in Loop: Header=BB456_17 Depth=1
	flat_load_u16 v3, v[1:2]
	s_wait_loadcnt_dscnt 0x0
	v_fma_mixlo_f16 v3, s20, v3, 0 op_sel_hi:[0,1,0]
	flat_store_b16 v[1:2], v3
	s_branch .LBB456_16
.LBB456_19:
	s_mov_b32 s5, 0
.LBB456_20:
	s_wait_alu 0xfffe
	s_and_not1_b32 vcc_lo, exec_lo, s5
	s_wait_alu 0xfffe
	s_cbranch_vccnz .LBB456_38
; %bb.21:
	s_mov_b32 s5, exec_lo
	s_wait_kmcnt 0x0
	v_cmpx_gt_i32_e64 s2, v0
	s_cbranch_execz .LBB456_23
; %bb.22:
	s_load_b32 s14, s[0:1], 0x48
	s_wait_kmcnt 0x0
	v_mad_co_i64_i32 v[1:2], null, s14, v0, 0
	s_delay_alu instid0(VALU_DEP_1) | instskip(NEXT) | instid1(VALU_DEP_1)
	v_lshlrev_b64_e32 v[1:2], 1, v[1:2]
	v_add_co_u32 v1, vcc_lo, s12, v1
	s_wait_alu 0xfffd
	s_delay_alu instid0(VALU_DEP_2) | instskip(SKIP_4) | instid1(VALU_DEP_1)
	v_add_co_ci_u32_e64 v2, null, s13, v2, vcc_lo
	flat_load_u16 v1, v[1:2]
	v_lshlrev_b32_e32 v2, 2, v0
	s_wait_loadcnt_dscnt 0x0
	v_cvt_f32_f16_e32 v1, v1
	v_mul_f32_e32 v1, s21, v1
	ds_store_b32 v2, v1
.LBB456_23:
	s_wait_alu 0xfffe
	s_or_b32 exec_lo, exec_lo, s5
	s_cmp_lt_i32 s3, 1
	s_wait_storecnt_dscnt 0x0
	s_barrier_signal -1
	s_barrier_wait -1
	global_inv scope:SCOPE_SE
	s_cbranch_scc1 .LBB456_38
; %bb.24:
	s_load_b32 s16, s[0:1], 0x28
	s_lshl_b64 s[0:1], s[10:11], 1
	s_ashr_i32 s5, s4, 31
	s_add_nc_u64 s[0:1], s[8:9], s[0:1]
	s_mov_b32 s8, 0
	s_wait_kmcnt 0x0
	v_mad_co_i64_i32 v[1:2], null, s16, v0, 0
	s_ashr_i32 s17, s16, 31
	s_cmp_neq_f32 s20, 0
	s_cselect_b32 s10, -1, 0
	v_lshlrev_b64_e32 v[1:2], 1, v[1:2]
	s_cmp_gt_i32 s2, 0
	s_cselect_b32 s11, -1, 0
	s_and_b32 s12, s2, 7
	s_cmp_gt_u32 s2, 7
	s_delay_alu instid0(VALU_DEP_1)
	v_add_co_u32 v7, vcc_lo, s6, v1
	s_wait_alu 0xfffd
	v_add_co_ci_u32_e64 v8, null, s7, v2, vcc_lo
	s_cselect_b32 s13, -1, 0
	v_add_co_u32 v1, vcc_lo, v7, 14
	s_and_b32 s2, s2, 0x7ffffff8
	s_wait_alu 0xfffd
	v_add_co_ci_u32_e64 v2, null, 0, v8, vcc_lo
	s_wait_alu 0xfffe
	s_cmp_lg_u32 s12, 0
	s_cselect_b32 s14, -1, 0
	s_lshl_b64 s[6:7], s[16:17], 9
	s_branch .LBB456_27
.LBB456_25:                             ;   in Loop: Header=BB456_27 Depth=1
	v_add_co_u32 v3, vcc_lo, s0, v3
	s_delay_alu instid0(VALU_DEP_2)
	v_cvt_f16_f32_e32 v5, v9
	s_wait_alu 0xfffd
	v_add_co_ci_u32_e64 v4, null, s1, v4, vcc_lo
	flat_store_b16 v[3:4], v5
.LBB456_26:                             ;   in Loop: Header=BB456_27 Depth=1
	s_wait_alu 0xfffe
	s_or_b32 exec_lo, exec_lo, s9
	v_add_co_u32 v1, vcc_lo, v1, s6
	s_wait_alu 0xfffd
	v_add_co_ci_u32_e64 v2, null, s7, v2, vcc_lo
	v_add_co_u32 v7, vcc_lo, v7, s6
	s_wait_alu 0xfffd
	v_add_co_ci_u32_e64 v8, null, s7, v8, vcc_lo
	s_addk_co_i32 s8, 0x100
	s_wait_alu 0xfffe
	s_cmp_ge_i32 s8, s3
	s_cbranch_scc1 .LBB456_38
.LBB456_27:                             ; =>This Loop Header: Depth=1
                                        ;     Child Loop BB456_33 Depth 2
                                        ;     Child Loop BB456_37 Depth 2
	v_add_nc_u32_e32 v3, s8, v0
	s_mov_b32 s9, exec_lo
	s_delay_alu instid0(VALU_DEP_1)
	v_cmpx_gt_i32_e64 s3, v3
	s_cbranch_execz .LBB456_26
; %bb.28:                               ;   in Loop: Header=BB456_27 Depth=1
	v_mad_co_u64_u32 v[4:5], null, v3, s4, 0
	s_and_not1_b32 vcc_lo, exec_lo, s10
	v_mad_co_u64_u32 v[5:6], null, v3, s5, v[5:6]
	s_delay_alu instid0(VALU_DEP_1)
	v_lshlrev_b64_e32 v[3:4], 1, v[4:5]
	s_wait_alu 0xfffe
	s_cbranch_vccnz .LBB456_30
; %bb.29:                               ;   in Loop: Header=BB456_27 Depth=1
	s_delay_alu instid0(VALU_DEP_1) | instskip(SKIP_1) | instid1(VALU_DEP_2)
	v_add_co_u32 v5, vcc_lo, s0, v3
	s_wait_alu 0xfffd
	v_add_co_ci_u32_e64 v6, null, s1, v4, vcc_lo
	flat_load_u16 v5, v[5:6]
	s_wait_loadcnt_dscnt 0x0
	v_cvt_f32_f16_e32 v5, v5
	s_delay_alu instid0(VALU_DEP_1)
	v_mul_f32_e32 v9, s20, v5
	s_and_not1_b32 vcc_lo, exec_lo, s11
	s_wait_alu 0xfffe
	s_cbranch_vccz .LBB456_31
	s_branch .LBB456_25
.LBB456_30:                             ;   in Loop: Header=BB456_27 Depth=1
	v_mov_b32_e32 v9, 0
	s_and_not1_b32 vcc_lo, exec_lo, s11
	s_wait_alu 0xfffe
	s_cbranch_vccnz .LBB456_25
.LBB456_31:                             ;   in Loop: Header=BB456_27 Depth=1
	s_and_not1_b32 vcc_lo, exec_lo, s13
	s_mov_b32 s15, 0
	s_wait_alu 0xfffe
	s_cbranch_vccnz .LBB456_35
; %bb.32:                               ;   in Loop: Header=BB456_27 Depth=1
	v_dual_mov_b32 v6, v2 :: v_dual_mov_b32 v5, v1
	s_mov_b32 s16, 0
.LBB456_33:                             ;   Parent Loop BB456_27 Depth=1
                                        ; =>  This Inner Loop Header: Depth=2
	flat_load_b128 v[10:13], v[5:6] offset:-14
	v_mov_b32_e32 v18, s15
	v_add_co_u32 v5, vcc_lo, v5, 16
	s_wait_alu 0xfffd
	v_add_co_ci_u32_e64 v6, null, 0, v6, vcc_lo
	ds_load_b128 v[14:17], v18
	ds_load_b128 v[18:21], v18 offset:16
	s_wait_alu 0xfffe
	s_add_co_i32 s16, s16, 8
	s_add_co_i32 s15, s15, 32
	s_wait_alu 0xfffe
	s_cmp_eq_u32 s2, s16
	s_wait_loadcnt_dscnt 0x1
	v_fma_mix_f32 v9, v14, v10, v9 op_sel_hi:[0,1,0]
	s_delay_alu instid0(VALU_DEP_1) | instskip(NEXT) | instid1(VALU_DEP_1)
	v_fma_mix_f32 v9, v15, v10, v9 op_sel:[0,1,0] op_sel_hi:[0,1,0]
	v_fma_mix_f32 v9, v16, v11, v9 op_sel_hi:[0,1,0]
	s_delay_alu instid0(VALU_DEP_1) | instskip(SKIP_1) | instid1(VALU_DEP_1)
	v_fma_mix_f32 v9, v17, v11, v9 op_sel:[0,1,0] op_sel_hi:[0,1,0]
	s_wait_dscnt 0x0
	v_fma_mix_f32 v9, v18, v12, v9 op_sel_hi:[0,1,0]
	s_delay_alu instid0(VALU_DEP_1) | instskip(NEXT) | instid1(VALU_DEP_1)
	v_fma_mix_f32 v9, v19, v12, v9 op_sel:[0,1,0] op_sel_hi:[0,1,0]
	v_fma_mix_f32 v9, v20, v13, v9 op_sel_hi:[0,1,0]
	s_delay_alu instid0(VALU_DEP_1)
	v_fma_mix_f32 v9, v21, v13, v9 op_sel:[0,1,0] op_sel_hi:[0,1,0]
	s_cbranch_scc0 .LBB456_33
; %bb.34:                               ;   in Loop: Header=BB456_27 Depth=1
	s_mov_b32 s15, s2
.LBB456_35:                             ;   in Loop: Header=BB456_27 Depth=1
	s_and_not1_b32 vcc_lo, exec_lo, s14
	s_wait_alu 0xfffe
	s_cbranch_vccnz .LBB456_25
; %bb.36:                               ;   in Loop: Header=BB456_27 Depth=1
	s_lshl_b32 s16, s15, 1
	s_lshl_b32 s15, s15, 2
	s_wait_alu 0xfffe
	v_add_co_u32 v5, vcc_lo, v7, s16
	s_wait_alu 0xfffd
	v_add_co_ci_u32_e64 v6, null, 0, v8, vcc_lo
	s_mov_b32 s16, s12
.LBB456_37:                             ;   Parent Loop BB456_27 Depth=1
                                        ; =>  This Inner Loop Header: Depth=2
	flat_load_u16 v10, v[5:6]
	v_mov_b32_e32 v11, s15
	v_add_co_u32 v5, vcc_lo, v5, 2
	s_wait_alu 0xfffd
	v_add_co_ci_u32_e64 v6, null, 0, v6, vcc_lo
	ds_load_b32 v11, v11
	s_wait_alu 0xfffe
	s_add_co_i32 s16, s16, -1
	s_add_co_i32 s15, s15, 4
	s_wait_alu 0xfffe
	s_cmp_lg_u32 s16, 0
	s_wait_loadcnt_dscnt 0x0
	v_fma_mix_f32 v9, v11, v10, v9 op_sel_hi:[0,1,0]
	s_cbranch_scc1 .LBB456_37
	s_branch .LBB456_25
.LBB456_38:
	s_endpgm
	.section	.rodata,"a",@progbits
	.p2align	6, 0x0
	.amdhsa_kernel _ZL22rocblas_gemvtsm_kernelILb1ELi256EPKDF16_PKfKPDF16_EviiT2_lPKT1_lilS9_lilS6_lPT3_lil
		.amdhsa_group_segment_fixed_size 256
		.amdhsa_private_segment_fixed_size 0
		.amdhsa_kernarg_size 136
		.amdhsa_user_sgpr_count 2
		.amdhsa_user_sgpr_dispatch_ptr 0
		.amdhsa_user_sgpr_queue_ptr 0
		.amdhsa_user_sgpr_kernarg_segment_ptr 1
		.amdhsa_user_sgpr_dispatch_id 0
		.amdhsa_user_sgpr_private_segment_size 0
		.amdhsa_wavefront_size32 1
		.amdhsa_uses_dynamic_stack 0
		.amdhsa_enable_private_segment 0
		.amdhsa_system_sgpr_workgroup_id_x 1
		.amdhsa_system_sgpr_workgroup_id_y 0
		.amdhsa_system_sgpr_workgroup_id_z 0
		.amdhsa_system_sgpr_workgroup_info 0
		.amdhsa_system_vgpr_workitem_id 0
		.amdhsa_next_free_vgpr 22
		.amdhsa_next_free_sgpr 22
		.amdhsa_reserve_vcc 1
		.amdhsa_float_round_mode_32 0
		.amdhsa_float_round_mode_16_64 0
		.amdhsa_float_denorm_mode_32 3
		.amdhsa_float_denorm_mode_16_64 3
		.amdhsa_fp16_overflow 0
		.amdhsa_workgroup_processor_mode 1
		.amdhsa_memory_ordered 1
		.amdhsa_forward_progress 1
		.amdhsa_inst_pref_size 13
		.amdhsa_round_robin_scheduling 0
		.amdhsa_exception_fp_ieee_invalid_op 0
		.amdhsa_exception_fp_denorm_src 0
		.amdhsa_exception_fp_ieee_div_zero 0
		.amdhsa_exception_fp_ieee_overflow 0
		.amdhsa_exception_fp_ieee_underflow 0
		.amdhsa_exception_fp_ieee_inexact 0
		.amdhsa_exception_int_div_zero 0
	.end_amdhsa_kernel
	.section	.text._ZL22rocblas_gemvtsm_kernelILb1ELi256EPKDF16_PKfKPDF16_EviiT2_lPKT1_lilS9_lilS6_lPT3_lil,"axG",@progbits,_ZL22rocblas_gemvtsm_kernelILb1ELi256EPKDF16_PKfKPDF16_EviiT2_lPKT1_lilS9_lilS6_lPT3_lil,comdat
.Lfunc_end456:
	.size	_ZL22rocblas_gemvtsm_kernelILb1ELi256EPKDF16_PKfKPDF16_EviiT2_lPKT1_lilS9_lilS6_lPT3_lil, .Lfunc_end456-_ZL22rocblas_gemvtsm_kernelILb1ELi256EPKDF16_PKfKPDF16_EviiT2_lPKT1_lilS9_lilS6_lPT3_lil
                                        ; -- End function
	.set _ZL22rocblas_gemvtsm_kernelILb1ELi256EPKDF16_PKfKPDF16_EviiT2_lPKT1_lilS9_lilS6_lPT3_lil.num_vgpr, 22
	.set _ZL22rocblas_gemvtsm_kernelILb1ELi256EPKDF16_PKfKPDF16_EviiT2_lPKT1_lilS9_lilS6_lPT3_lil.num_agpr, 0
	.set _ZL22rocblas_gemvtsm_kernelILb1ELi256EPKDF16_PKfKPDF16_EviiT2_lPKT1_lilS9_lilS6_lPT3_lil.numbered_sgpr, 22
	.set _ZL22rocblas_gemvtsm_kernelILb1ELi256EPKDF16_PKfKPDF16_EviiT2_lPKT1_lilS9_lilS6_lPT3_lil.num_named_barrier, 0
	.set _ZL22rocblas_gemvtsm_kernelILb1ELi256EPKDF16_PKfKPDF16_EviiT2_lPKT1_lilS9_lilS6_lPT3_lil.private_seg_size, 0
	.set _ZL22rocblas_gemvtsm_kernelILb1ELi256EPKDF16_PKfKPDF16_EviiT2_lPKT1_lilS9_lilS6_lPT3_lil.uses_vcc, 1
	.set _ZL22rocblas_gemvtsm_kernelILb1ELi256EPKDF16_PKfKPDF16_EviiT2_lPKT1_lilS9_lilS6_lPT3_lil.uses_flat_scratch, 0
	.set _ZL22rocblas_gemvtsm_kernelILb1ELi256EPKDF16_PKfKPDF16_EviiT2_lPKT1_lilS9_lilS6_lPT3_lil.has_dyn_sized_stack, 0
	.set _ZL22rocblas_gemvtsm_kernelILb1ELi256EPKDF16_PKfKPDF16_EviiT2_lPKT1_lilS9_lilS6_lPT3_lil.has_recursion, 0
	.set _ZL22rocblas_gemvtsm_kernelILb1ELi256EPKDF16_PKfKPDF16_EviiT2_lPKT1_lilS9_lilS6_lPT3_lil.has_indirect_call, 0
	.section	.AMDGPU.csdata,"",@progbits
; Kernel info:
; codeLenInByte = 1568
; TotalNumSgprs: 24
; NumVgprs: 22
; ScratchSize: 0
; MemoryBound: 0
; FloatMode: 240
; IeeeMode: 1
; LDSByteSize: 256 bytes/workgroup (compile time only)
; SGPRBlocks: 0
; VGPRBlocks: 2
; NumSGPRsForWavesPerEU: 24
; NumVGPRsForWavesPerEU: 22
; Occupancy: 16
; WaveLimiterHint : 1
; COMPUTE_PGM_RSRC2:SCRATCH_EN: 0
; COMPUTE_PGM_RSRC2:USER_SGPR: 2
; COMPUTE_PGM_RSRC2:TRAP_HANDLER: 0
; COMPUTE_PGM_RSRC2:TGID_X_EN: 1
; COMPUTE_PGM_RSRC2:TGID_Y_EN: 0
; COMPUTE_PGM_RSRC2:TGID_Z_EN: 0
; COMPUTE_PGM_RSRC2:TIDIG_COMP_CNT: 0
	.section	.text._ZL22rocblas_gemvtsm_kernelILb1ELi256EPKDF16_fKPDF16_EviiT2_lPKT1_lilS7_lilS4_lPT3_lil,"axG",@progbits,_ZL22rocblas_gemvtsm_kernelILb1ELi256EPKDF16_fKPDF16_EviiT2_lPKT1_lilS7_lilS4_lPT3_lil,comdat
	.globl	_ZL22rocblas_gemvtsm_kernelILb1ELi256EPKDF16_fKPDF16_EviiT2_lPKT1_lilS7_lilS4_lPT3_lil ; -- Begin function _ZL22rocblas_gemvtsm_kernelILb1ELi256EPKDF16_fKPDF16_EviiT2_lPKT1_lilS7_lilS4_lPT3_lil
	.p2align	8
	.type	_ZL22rocblas_gemvtsm_kernelILb1ELi256EPKDF16_fKPDF16_EviiT2_lPKT1_lilS7_lilS4_lPT3_lil,@function
_ZL22rocblas_gemvtsm_kernelILb1ELi256EPKDF16_fKPDF16_EviiT2_lPKT1_lilS7_lilS4_lPT3_lil: ; @_ZL22rocblas_gemvtsm_kernelILb1ELi256EPKDF16_fKPDF16_EviiT2_lPKT1_lilS7_lilS4_lPT3_lil
; %bb.0:
	s_clause 0x1
	s_load_b96 s[8:10], s[0:1], 0x0
	s_load_b32 s11, s[0:1], 0x58
	s_mov_b32 s5, 0
	s_wait_kmcnt 0x0
	s_cmp_eq_f32 s10, 0
	s_cselect_b32 s2, -1, 0
	s_cmp_eq_f32 s11, 1.0
	s_cselect_b32 s3, -1, 0
	s_delay_alu instid0(SALU_CYCLE_1) | instskip(NEXT) | instid1(SALU_CYCLE_1)
	s_and_b32 s2, s2, s3
	s_and_b32 vcc_lo, exec_lo, s2
	s_cbranch_vccnz .LBB457_40
; %bb.1:
	s_cmp_neq_f32 s10, 0
	s_mov_b32 s4, ttmp9
	s_cselect_b32 s6, -1, 0
	s_cmp_eq_f32 s10, 0
	s_cselect_b32 s16, -1, 0
	s_and_b32 vcc_lo, exec_lo, s6
	s_cbranch_vccnz .LBB457_3
; %bb.2:
	s_mov_b32 s3, 0
	s_mov_b32 s2, ttmp9
	s_mov_b32 s7, s3
	s_mov_b64 s[14:15], 0
	s_and_not1_b32 vcc_lo, exec_lo, s7
	s_mov_b64 s[12:13], 0
	s_cbranch_vccz .LBB457_4
	s_branch .LBB457_5
.LBB457_3:
	s_mov_b64 s[2:3], s[4:5]
	s_mov_b64 s[14:15], 0
	;; [unrolled: 1-line block ×3, first 2 shown]
.LBB457_4:
	s_load_b128 s[20:23], s[0:1], 0x18
	s_lshl_b64 s[4:5], s[4:5], 3
	s_wait_kmcnt 0x0
	s_add_nc_u64 s[4:5], s[20:21], s[4:5]
	s_lshl_b64 s[12:13], s[22:23], 1
	s_load_b64 s[4:5], s[4:5], 0x0
	s_wait_kmcnt 0x0
	s_add_nc_u64 s[12:13], s[4:5], s[12:13]
.LBB457_5:
	s_and_not1_b32 vcc_lo, exec_lo, s6
	s_cbranch_vccnz .LBB457_7
; %bb.6:
	s_load_b128 s[4:7], s[0:1], 0x38
	s_lshl_b64 s[14:15], s[2:3], 3
	s_wait_kmcnt 0x0
	s_add_nc_u64 s[4:5], s[4:5], s[14:15]
	s_lshl_b64 s[6:7], s[6:7], 1
	s_load_b64 s[4:5], s[4:5], 0x0
	s_wait_kmcnt 0x0
	s_add_nc_u64 s[14:15], s[4:5], s[6:7]
.LBB457_7:
	s_load_b128 s[4:7], s[0:1], 0x68
	s_lshl_b64 s[18:19], s[2:3], 3
	s_load_b32 s2, s[0:1], 0x78
	s_and_not1_b32 vcc_lo, exec_lo, s16
	s_mov_b32 s3, -1
	s_wait_kmcnt 0x0
	s_add_nc_u64 s[4:5], s[4:5], s[18:19]
	s_load_b64 s[4:5], s[4:5], 0x0
	s_cbranch_vccnz .LBB457_22
; %bb.8:
	s_cmp_gt_i32 s9, 0
	s_cselect_b32 s18, -1, 0
	s_cmp_neq_f32 s11, 0
	v_cndmask_b32_e64 v1, 0, 1, s18
	s_delay_alu instid0(VALU_DEP_1)
	v_cmp_ne_u32_e32 vcc_lo, 1, v1
	s_cbranch_scc1 .LBB457_15
; %bb.9:
	s_and_b32 vcc_lo, exec_lo, vcc_lo
	s_cbranch_vccnz .LBB457_14
; %bb.10:
	v_mad_co_i64_i32 v[1:2], null, s2, v0, 0
	s_lshl_b64 s[16:17], s[6:7], 1
	v_mov_b32_e32 v3, 0
	s_wait_kmcnt 0x0
	s_add_nc_u64 s[16:17], s[4:5], s[16:17]
	s_ashr_i32 s3, s2, 31
	v_lshlrev_b64_e32 v[1:2], 1, v[1:2]
	s_delay_alu instid0(VALU_DEP_1) | instskip(NEXT) | instid1(VALU_DEP_1)
	v_add_co_u32 v1, vcc_lo, s16, v1
	v_add_co_ci_u32_e64 v2, null, s17, v2, vcc_lo
	s_wait_alu 0xfffe
	s_lshl_b64 s[16:17], s[2:3], 9
	s_mov_b32 s3, 0
	s_branch .LBB457_12
.LBB457_11:                             ;   in Loop: Header=BB457_12 Depth=1
	s_wait_alu 0xfffe
	s_or_b32 exec_lo, exec_lo, s19
	v_add_co_u32 v1, vcc_lo, v1, s16
	s_wait_alu 0xfffd
	v_add_co_ci_u32_e64 v2, null, s17, v2, vcc_lo
	s_addk_co_i32 s3, 0x100
	s_wait_alu 0xfffe
	s_cmp_ge_i32 s3, s9
	s_cbranch_scc1 .LBB457_14
.LBB457_12:                             ; =>This Inner Loop Header: Depth=1
	s_wait_alu 0xfffe
	v_add_nc_u32_e32 v4, s3, v0
	s_mov_b32 s19, exec_lo
	s_delay_alu instid0(VALU_DEP_1)
	v_cmpx_gt_i32_e64 s9, v4
	s_cbranch_execz .LBB457_11
; %bb.13:                               ;   in Loop: Header=BB457_12 Depth=1
	flat_store_b16 v[1:2], v3
	s_branch .LBB457_11
.LBB457_14:
	s_mov_b32 s3, 0
.LBB457_15:
	s_wait_alu 0xfffe
	s_and_not1_b32 vcc_lo, exec_lo, s3
	s_wait_alu 0xfffe
	s_cbranch_vccnz .LBB457_21
; %bb.16:
	s_and_not1_b32 vcc_lo, exec_lo, s18
	s_wait_alu 0xfffe
	s_cbranch_vccnz .LBB457_21
; %bb.17:
	v_mad_co_i64_i32 v[1:2], null, s2, v0, 0
	s_lshl_b64 s[16:17], s[6:7], 1
	s_ashr_i32 s3, s2, 31
	s_wait_kmcnt 0x0
	s_wait_alu 0xfffe
	s_add_nc_u64 s[16:17], s[4:5], s[16:17]
	v_lshlrev_b64_e32 v[1:2], 1, v[1:2]
	s_wait_alu 0xfffe
	s_delay_alu instid0(VALU_DEP_1) | instskip(SKIP_1) | instid1(VALU_DEP_2)
	v_add_co_u32 v1, vcc_lo, s16, v1
	s_wait_alu 0xfffd
	v_add_co_ci_u32_e64 v2, null, s17, v2, vcc_lo
	s_lshl_b64 s[16:17], s[2:3], 9
	s_mov_b32 s3, 0
	s_branch .LBB457_19
.LBB457_18:                             ;   in Loop: Header=BB457_19 Depth=1
	s_wait_alu 0xfffe
	s_or_b32 exec_lo, exec_lo, s18
	v_add_co_u32 v1, vcc_lo, v1, s16
	s_wait_alu 0xfffd
	v_add_co_ci_u32_e64 v2, null, s17, v2, vcc_lo
	s_addk_co_i32 s3, 0x100
	s_wait_alu 0xfffe
	s_cmp_ge_i32 s3, s9
	s_cbranch_scc1 .LBB457_21
.LBB457_19:                             ; =>This Inner Loop Header: Depth=1
	s_wait_alu 0xfffe
	v_add_nc_u32_e32 v3, s3, v0
	s_mov_b32 s18, exec_lo
	s_delay_alu instid0(VALU_DEP_1)
	v_cmpx_gt_i32_e64 s9, v3
	s_cbranch_execz .LBB457_18
; %bb.20:                               ;   in Loop: Header=BB457_19 Depth=1
	flat_load_u16 v3, v[1:2]
	s_wait_loadcnt_dscnt 0x0
	v_fma_mixlo_f16 v3, s11, v3, 0 op_sel_hi:[0,1,0]
	flat_store_b16 v[1:2], v3
	s_branch .LBB457_18
.LBB457_21:
	s_mov_b32 s3, 0
.LBB457_22:
	s_wait_alu 0xfffe
	s_and_not1_b32 vcc_lo, exec_lo, s3
	s_wait_alu 0xfffe
	s_cbranch_vccnz .LBB457_40
; %bb.23:
	s_mov_b32 s3, exec_lo
	v_cmpx_gt_i32_e64 s8, v0
	s_cbranch_execz .LBB457_25
; %bb.24:
	s_load_b32 s16, s[0:1], 0x48
	s_wait_kmcnt 0x0
	v_mad_co_i64_i32 v[1:2], null, s16, v0, 0
	s_delay_alu instid0(VALU_DEP_1) | instskip(NEXT) | instid1(VALU_DEP_1)
	v_lshlrev_b64_e32 v[1:2], 1, v[1:2]
	v_add_co_u32 v1, vcc_lo, s14, v1
	s_wait_alu 0xfffd
	s_delay_alu instid0(VALU_DEP_2) | instskip(SKIP_4) | instid1(VALU_DEP_1)
	v_add_co_ci_u32_e64 v2, null, s15, v2, vcc_lo
	flat_load_u16 v1, v[1:2]
	v_lshlrev_b32_e32 v2, 2, v0
	s_wait_loadcnt_dscnt 0x0
	v_cvt_f32_f16_e32 v1, v1
	v_mul_f32_e32 v1, s10, v1
	ds_store_b32 v2, v1
.LBB457_25:
	s_wait_alu 0xfffe
	s_or_b32 exec_lo, exec_lo, s3
	s_cmp_lt_i32 s9, 1
	s_wait_storecnt_dscnt 0x0
	s_barrier_signal -1
	s_barrier_wait -1
	global_inv scope:SCOPE_SE
	s_cbranch_scc1 .LBB457_40
; %bb.26:
	s_load_b32 s16, s[0:1], 0x28
	s_lshl_b64 s[0:1], s[6:7], 1
	s_ashr_i32 s3, s2, 31
	s_wait_kmcnt 0x0
	s_add_nc_u64 s[0:1], s[4:5], s[0:1]
	v_mad_co_i64_i32 v[1:2], null, s16, v0, 0
	s_ashr_i32 s17, s16, 31
	s_cmp_neq_f32 s11, 0
	s_cselect_b32 s6, -1, 0
	v_lshlrev_b64_e32 v[1:2], 1, v[1:2]
	s_cmp_gt_i32 s8, 0
	s_cselect_b32 s7, -1, 0
	s_and_b32 s10, s8, 7
	s_cmp_gt_u32 s8, 7
	s_delay_alu instid0(VALU_DEP_1)
	v_add_co_u32 v7, vcc_lo, s12, v1
	s_wait_alu 0xfffd
	v_add_co_ci_u32_e64 v8, null, s13, v2, vcc_lo
	s_cselect_b32 s14, -1, 0
	v_add_co_u32 v1, vcc_lo, v7, 14
	s_and_b32 s8, s8, 0x7ffffff8
	s_wait_alu 0xfffd
	v_add_co_ci_u32_e64 v2, null, 0, v8, vcc_lo
	s_wait_alu 0xfffe
	s_cmp_lg_u32 s10, 0
	s_mov_b32 s13, 0
	s_cselect_b32 s12, -1, 0
	s_lshl_b64 s[4:5], s[16:17], 9
	s_branch .LBB457_29
.LBB457_27:                             ;   in Loop: Header=BB457_29 Depth=1
	v_add_co_u32 v3, vcc_lo, s0, v3
	s_delay_alu instid0(VALU_DEP_2)
	v_cvt_f16_f32_e32 v5, v9
	s_wait_alu 0xfffd
	v_add_co_ci_u32_e64 v4, null, s1, v4, vcc_lo
	flat_store_b16 v[3:4], v5
.LBB457_28:                             ;   in Loop: Header=BB457_29 Depth=1
	s_wait_alu 0xfffe
	s_or_b32 exec_lo, exec_lo, s15
	v_add_co_u32 v1, vcc_lo, v1, s4
	s_wait_alu 0xfffd
	v_add_co_ci_u32_e64 v2, null, s5, v2, vcc_lo
	v_add_co_u32 v7, vcc_lo, v7, s4
	s_wait_alu 0xfffd
	v_add_co_ci_u32_e64 v8, null, s5, v8, vcc_lo
	s_addk_co_i32 s13, 0x100
	s_wait_alu 0xfffe
	s_cmp_ge_i32 s13, s9
	s_cbranch_scc1 .LBB457_40
.LBB457_29:                             ; =>This Loop Header: Depth=1
                                        ;     Child Loop BB457_35 Depth 2
                                        ;     Child Loop BB457_39 Depth 2
	s_wait_alu 0xfffe
	v_add_nc_u32_e32 v3, s13, v0
	s_mov_b32 s15, exec_lo
	s_delay_alu instid0(VALU_DEP_1)
	v_cmpx_gt_i32_e64 s9, v3
	s_cbranch_execz .LBB457_28
; %bb.30:                               ;   in Loop: Header=BB457_29 Depth=1
	v_mad_co_u64_u32 v[4:5], null, v3, s2, 0
	s_and_not1_b32 vcc_lo, exec_lo, s6
	v_mad_co_u64_u32 v[5:6], null, v3, s3, v[5:6]
	s_delay_alu instid0(VALU_DEP_1)
	v_lshlrev_b64_e32 v[3:4], 1, v[4:5]
	s_wait_alu 0xfffe
	s_cbranch_vccnz .LBB457_32
; %bb.31:                               ;   in Loop: Header=BB457_29 Depth=1
	s_delay_alu instid0(VALU_DEP_1) | instskip(SKIP_1) | instid1(VALU_DEP_2)
	v_add_co_u32 v5, vcc_lo, s0, v3
	s_wait_alu 0xfffd
	v_add_co_ci_u32_e64 v6, null, s1, v4, vcc_lo
	flat_load_u16 v5, v[5:6]
	s_wait_loadcnt_dscnt 0x0
	v_cvt_f32_f16_e32 v5, v5
	s_delay_alu instid0(VALU_DEP_1)
	v_mul_f32_e32 v9, s11, v5
	s_and_not1_b32 vcc_lo, exec_lo, s7
	s_wait_alu 0xfffe
	s_cbranch_vccz .LBB457_33
	s_branch .LBB457_27
.LBB457_32:                             ;   in Loop: Header=BB457_29 Depth=1
	v_mov_b32_e32 v9, 0
	s_and_not1_b32 vcc_lo, exec_lo, s7
	s_wait_alu 0xfffe
	s_cbranch_vccnz .LBB457_27
.LBB457_33:                             ;   in Loop: Header=BB457_29 Depth=1
	s_and_not1_b32 vcc_lo, exec_lo, s14
	s_mov_b32 s16, 0
	s_wait_alu 0xfffe
	s_cbranch_vccnz .LBB457_37
; %bb.34:                               ;   in Loop: Header=BB457_29 Depth=1
	v_dual_mov_b32 v6, v2 :: v_dual_mov_b32 v5, v1
	s_mov_b32 s17, 0
.LBB457_35:                             ;   Parent Loop BB457_29 Depth=1
                                        ; =>  This Inner Loop Header: Depth=2
	flat_load_b128 v[10:13], v[5:6] offset:-14
	v_mov_b32_e32 v18, s16
	v_add_co_u32 v5, vcc_lo, v5, 16
	s_wait_alu 0xfffd
	v_add_co_ci_u32_e64 v6, null, 0, v6, vcc_lo
	ds_load_b128 v[14:17], v18
	ds_load_b128 v[18:21], v18 offset:16
	s_wait_alu 0xfffe
	s_add_co_i32 s17, s17, 8
	s_add_co_i32 s16, s16, 32
	s_wait_alu 0xfffe
	s_cmp_eq_u32 s8, s17
	s_wait_loadcnt_dscnt 0x1
	v_fma_mix_f32 v9, v14, v10, v9 op_sel_hi:[0,1,0]
	s_delay_alu instid0(VALU_DEP_1) | instskip(NEXT) | instid1(VALU_DEP_1)
	v_fma_mix_f32 v9, v15, v10, v9 op_sel:[0,1,0] op_sel_hi:[0,1,0]
	v_fma_mix_f32 v9, v16, v11, v9 op_sel_hi:[0,1,0]
	s_delay_alu instid0(VALU_DEP_1) | instskip(SKIP_1) | instid1(VALU_DEP_1)
	v_fma_mix_f32 v9, v17, v11, v9 op_sel:[0,1,0] op_sel_hi:[0,1,0]
	s_wait_dscnt 0x0
	v_fma_mix_f32 v9, v18, v12, v9 op_sel_hi:[0,1,0]
	s_delay_alu instid0(VALU_DEP_1) | instskip(NEXT) | instid1(VALU_DEP_1)
	v_fma_mix_f32 v9, v19, v12, v9 op_sel:[0,1,0] op_sel_hi:[0,1,0]
	v_fma_mix_f32 v9, v20, v13, v9 op_sel_hi:[0,1,0]
	s_delay_alu instid0(VALU_DEP_1)
	v_fma_mix_f32 v9, v21, v13, v9 op_sel:[0,1,0] op_sel_hi:[0,1,0]
	s_cbranch_scc0 .LBB457_35
; %bb.36:                               ;   in Loop: Header=BB457_29 Depth=1
	s_mov_b32 s16, s8
.LBB457_37:                             ;   in Loop: Header=BB457_29 Depth=1
	s_and_not1_b32 vcc_lo, exec_lo, s12
	s_wait_alu 0xfffe
	s_cbranch_vccnz .LBB457_27
; %bb.38:                               ;   in Loop: Header=BB457_29 Depth=1
	s_lshl_b32 s17, s16, 1
	s_lshl_b32 s16, s16, 2
	s_wait_alu 0xfffe
	v_add_co_u32 v5, vcc_lo, v7, s17
	s_wait_alu 0xfffd
	v_add_co_ci_u32_e64 v6, null, 0, v8, vcc_lo
	s_mov_b32 s17, s10
.LBB457_39:                             ;   Parent Loop BB457_29 Depth=1
                                        ; =>  This Inner Loop Header: Depth=2
	flat_load_u16 v10, v[5:6]
	v_mov_b32_e32 v11, s16
	v_add_co_u32 v5, vcc_lo, v5, 2
	s_wait_alu 0xfffd
	v_add_co_ci_u32_e64 v6, null, 0, v6, vcc_lo
	ds_load_b32 v11, v11
	s_wait_alu 0xfffe
	s_add_co_i32 s17, s17, -1
	s_add_co_i32 s16, s16, 4
	s_wait_alu 0xfffe
	s_cmp_lg_u32 s17, 0
	s_wait_loadcnt_dscnt 0x0
	v_fma_mix_f32 v9, v11, v10, v9 op_sel_hi:[0,1,0]
	s_cbranch_scc1 .LBB457_39
	s_branch .LBB457_27
.LBB457_40:
	s_endpgm
	.section	.rodata,"a",@progbits
	.p2align	6, 0x0
	.amdhsa_kernel _ZL22rocblas_gemvtsm_kernelILb1ELi256EPKDF16_fKPDF16_EviiT2_lPKT1_lilS7_lilS4_lPT3_lil
		.amdhsa_group_segment_fixed_size 256
		.amdhsa_private_segment_fixed_size 0
		.amdhsa_kernarg_size 136
		.amdhsa_user_sgpr_count 2
		.amdhsa_user_sgpr_dispatch_ptr 0
		.amdhsa_user_sgpr_queue_ptr 0
		.amdhsa_user_sgpr_kernarg_segment_ptr 1
		.amdhsa_user_sgpr_dispatch_id 0
		.amdhsa_user_sgpr_private_segment_size 0
		.amdhsa_wavefront_size32 1
		.amdhsa_uses_dynamic_stack 0
		.amdhsa_enable_private_segment 0
		.amdhsa_system_sgpr_workgroup_id_x 1
		.amdhsa_system_sgpr_workgroup_id_y 0
		.amdhsa_system_sgpr_workgroup_id_z 0
		.amdhsa_system_sgpr_workgroup_info 0
		.amdhsa_system_vgpr_workitem_id 0
		.amdhsa_next_free_vgpr 22
		.amdhsa_next_free_sgpr 24
		.amdhsa_reserve_vcc 1
		.amdhsa_float_round_mode_32 0
		.amdhsa_float_round_mode_16_64 0
		.amdhsa_float_denorm_mode_32 3
		.amdhsa_float_denorm_mode_16_64 3
		.amdhsa_fp16_overflow 0
		.amdhsa_workgroup_processor_mode 1
		.amdhsa_memory_ordered 1
		.amdhsa_forward_progress 1
		.amdhsa_inst_pref_size 13
		.amdhsa_round_robin_scheduling 0
		.amdhsa_exception_fp_ieee_invalid_op 0
		.amdhsa_exception_fp_denorm_src 0
		.amdhsa_exception_fp_ieee_div_zero 0
		.amdhsa_exception_fp_ieee_overflow 0
		.amdhsa_exception_fp_ieee_underflow 0
		.amdhsa_exception_fp_ieee_inexact 0
		.amdhsa_exception_int_div_zero 0
	.end_amdhsa_kernel
	.section	.text._ZL22rocblas_gemvtsm_kernelILb1ELi256EPKDF16_fKPDF16_EviiT2_lPKT1_lilS7_lilS4_lPT3_lil,"axG",@progbits,_ZL22rocblas_gemvtsm_kernelILb1ELi256EPKDF16_fKPDF16_EviiT2_lPKT1_lilS7_lilS4_lPT3_lil,comdat
.Lfunc_end457:
	.size	_ZL22rocblas_gemvtsm_kernelILb1ELi256EPKDF16_fKPDF16_EviiT2_lPKT1_lilS7_lilS4_lPT3_lil, .Lfunc_end457-_ZL22rocblas_gemvtsm_kernelILb1ELi256EPKDF16_fKPDF16_EviiT2_lPKT1_lilS7_lilS4_lPT3_lil
                                        ; -- End function
	.set _ZL22rocblas_gemvtsm_kernelILb1ELi256EPKDF16_fKPDF16_EviiT2_lPKT1_lilS7_lilS4_lPT3_lil.num_vgpr, 22
	.set _ZL22rocblas_gemvtsm_kernelILb1ELi256EPKDF16_fKPDF16_EviiT2_lPKT1_lilS7_lilS4_lPT3_lil.num_agpr, 0
	.set _ZL22rocblas_gemvtsm_kernelILb1ELi256EPKDF16_fKPDF16_EviiT2_lPKT1_lilS7_lilS4_lPT3_lil.numbered_sgpr, 24
	.set _ZL22rocblas_gemvtsm_kernelILb1ELi256EPKDF16_fKPDF16_EviiT2_lPKT1_lilS7_lilS4_lPT3_lil.num_named_barrier, 0
	.set _ZL22rocblas_gemvtsm_kernelILb1ELi256EPKDF16_fKPDF16_EviiT2_lPKT1_lilS7_lilS4_lPT3_lil.private_seg_size, 0
	.set _ZL22rocblas_gemvtsm_kernelILb1ELi256EPKDF16_fKPDF16_EviiT2_lPKT1_lilS7_lilS4_lPT3_lil.uses_vcc, 1
	.set _ZL22rocblas_gemvtsm_kernelILb1ELi256EPKDF16_fKPDF16_EviiT2_lPKT1_lilS7_lilS4_lPT3_lil.uses_flat_scratch, 0
	.set _ZL22rocblas_gemvtsm_kernelILb1ELi256EPKDF16_fKPDF16_EviiT2_lPKT1_lilS7_lilS4_lPT3_lil.has_dyn_sized_stack, 0
	.set _ZL22rocblas_gemvtsm_kernelILb1ELi256EPKDF16_fKPDF16_EviiT2_lPKT1_lilS7_lilS4_lPT3_lil.has_recursion, 0
	.set _ZL22rocblas_gemvtsm_kernelILb1ELi256EPKDF16_fKPDF16_EviiT2_lPKT1_lilS7_lilS4_lPT3_lil.has_indirect_call, 0
	.section	.AMDGPU.csdata,"",@progbits
; Kernel info:
; codeLenInByte = 1572
; TotalNumSgprs: 26
; NumVgprs: 22
; ScratchSize: 0
; MemoryBound: 0
; FloatMode: 240
; IeeeMode: 1
; LDSByteSize: 256 bytes/workgroup (compile time only)
; SGPRBlocks: 0
; VGPRBlocks: 2
; NumSGPRsForWavesPerEU: 26
; NumVGPRsForWavesPerEU: 22
; Occupancy: 16
; WaveLimiterHint : 1
; COMPUTE_PGM_RSRC2:SCRATCH_EN: 0
; COMPUTE_PGM_RSRC2:USER_SGPR: 2
; COMPUTE_PGM_RSRC2:TRAP_HANDLER: 0
; COMPUTE_PGM_RSRC2:TGID_X_EN: 1
; COMPUTE_PGM_RSRC2:TGID_Y_EN: 0
; COMPUTE_PGM_RSRC2:TGID_Z_EN: 0
; COMPUTE_PGM_RSRC2:TIDIG_COMP_CNT: 0
	.section	.text._ZL23rocblas_gemvt_sn_kernelILb1ELi256ELi4EiPKDF16_PKffEviiT4_lPKT3_lilS7_lilPT5_i,"axG",@progbits,_ZL23rocblas_gemvt_sn_kernelILb1ELi256ELi4EiPKDF16_PKffEviiT4_lPKT3_lilS7_lilPT5_i,comdat
	.globl	_ZL23rocblas_gemvt_sn_kernelILb1ELi256ELi4EiPKDF16_PKffEviiT4_lPKT3_lilS7_lilPT5_i ; -- Begin function _ZL23rocblas_gemvt_sn_kernelILb1ELi256ELi4EiPKDF16_PKffEviiT4_lPKT3_lilS7_lilPT5_i
	.p2align	8
	.type	_ZL23rocblas_gemvt_sn_kernelILb1ELi256ELi4EiPKDF16_PKffEviiT4_lPKT3_lilS7_lilPT5_i,@function
_ZL23rocblas_gemvt_sn_kernelILb1ELi256ELi4EiPKDF16_PKffEviiT4_lPKT3_lilS7_lilPT5_i: ; @_ZL23rocblas_gemvt_sn_kernelILb1ELi256ELi4EiPKDF16_PKffEviiT4_lPKT3_lilS7_lilPT5_i
; %bb.0:
	s_load_b32 s33, s[0:1], 0x60
	s_lshr_b32 s10, ttmp7, 16
	s_wait_kmcnt 0x0
	s_cmp_ge_u32 s10, s33
	s_cbranch_scc1 .LBB458_87
; %bb.1:
	s_clause 0x6
	s_load_b64 s[26:27], s[0:1], 0x0
	s_load_b256 s[12:19], s[0:1], 0x8
	s_load_b32 s28, s[0:1], 0x68
	s_load_b32 s30, s[0:1], 0x28
	s_load_b128 s[20:23], s[0:1], 0x38
	s_load_b32 s64, s[0:1], 0x48
	s_load_b64 s[34:35], s[0:1], 0x58
	v_cmp_eq_u32_e64 s0, 0, v0
	v_and_b32_e32 v1, 31, v0
	v_cmp_gt_u32_e64 s1, 32, v0
	v_cmp_gt_u32_e64 s2, 8, v0
	v_lshrrev_b32_e32 v2, 3, v0
	s_mov_b32 s37, 0
	v_cmp_eq_u32_e64 s3, 0, v1
	s_mov_b32 s29, s37
	v_lshlrev_b32_e32 v29, 2, v1
	v_and_b32_e32 v30, 28, v2
	v_mbcnt_lo_u32_b32 v31, -1, 0
	s_mov_b32 s24, ttmp9
	s_mov_b32 s25, s37
	s_wait_kmcnt 0x0
	s_ashr_i32 s5, s27, 31
	s_cmp_gt_i32 s27, 0
	s_mov_b32 s4, s27
	s_cselect_b32 s6, -1, 0
	s_lshl_b32 s7, ttmp9, 10
	s_mul_u64 s[38:39], s[4:5], s[28:29]
	v_lshl_or_b32 v0, v0, 2, s7
	s_lshr_b32 s4, s5, 30
	s_ashr_i32 s5, s26, 31
	s_add_co_i32 s4, s27, s4
	s_lshr_b32 s5, s5, 30
	v_mul_lo_u32 v5, s64, v0
	s_add_co_i32 s5, s26, s5
	v_add_nc_u32_e32 v3, 4, v0
	s_and_b32 s66, s4, -4
	s_and_b32 s4, s5, -4
	s_and_b32 s65, s0, s6
	s_sub_co_i32 s67, s26, s4
	v_ashrrev_i32_e32 v1, 31, v0
	v_add_nc_u32_e32 v2, s64, v5
	v_cmp_ge_i32_e64 s4, s26, v3
	v_ashrrev_i32_e32 v6, 31, v5
	s_cmp_gt_i32 s66, 0
	v_add_nc_u32_e32 v4, s67, v0
	v_add_nc_u32_e32 v13, s64, v2
	v_ashrrev_i32_e32 v3, 31, v2
	s_cselect_b32 s68, -1, 0
	s_cmp_gt_i32 s67, 0
	v_lshlrev_b64_e32 v[7:8], 1, v[0:1]
	v_add_nc_u32_e32 v15, s64, v13
	v_ashrrev_i32_e32 v14, 31, v13
	s_cselect_b32 s69, -1, 0
	s_lshl_b32 s36, s30, 1
	v_lshlrev_b64_e32 v[9:10], 1, v[5:6]
	v_ashrrev_i32_e32 v16, 31, v15
	v_lshlrev_b64_e32 v[11:12], 1, v[2:3]
	v_lshlrev_b64_e32 v[13:14], 1, v[13:14]
	v_cmp_ge_i32_e64 s5, s26, v4
	v_mov_b32_e32 v0, 0
	v_lshlrev_b64_e32 v[15:16], 1, v[15:16]
	v_lshl_or_b32 v6, v31, 2, 64
	s_lshl_b64 s[40:41], s[24:25], 2
	s_mov_b64 s[50:51], s[36:37]
	s_mul_i32 s36, s30, 3
	s_add_nc_u64 s[42:43], s[34:35], s[40:41]
	s_lshl_b64 s[44:45], s[38:39], 2
	s_lshl_b64 s[46:47], s[28:29], 2
	s_mov_b32 s31, s37
	s_lshl_b32 s48, s30, 2
	s_mov_b32 s49, s37
	s_mov_b64 s[52:53], s[36:37]
	s_lshl_b64 s[18:19], s[18:19], 1
	s_lshl_b64 s[22:23], s[22:23], 1
	s_branch .LBB458_3
.LBB458_2:                              ;   in Loop: Header=BB458_3 Depth=1
	s_add_co_i32 s10, s10, 0x10000
	s_delay_alu instid0(SALU_CYCLE_1)
	s_cmp_lt_u32 s10, s33
	s_cbranch_scc0 .LBB458_87
.LBB458_3:                              ; =>This Loop Header: Depth=1
                                        ;     Child Loop BB458_10 Depth 2
                                        ;     Child Loop BB458_16 Depth 2
                                        ;       Child Loop BB458_47 Depth 3
                                        ;       Child Loop BB458_50 Depth 3
                                        ;     Child Loop BB458_66 Depth 2
                                        ;       Child Loop BB458_79 Depth 3
                                        ;       Child Loop BB458_82 Depth 3
	s_mov_b32 s11, s37
	v_mov_b32_e32 v17, 0
	s_mul_u64 s[6:7], s[14:15], s[10:11]
	v_dual_mov_b32 v18, 0 :: v_dual_mov_b32 v1, 0
	s_wait_alu 0xfffe
	s_lshl_b64 s[6:7], s[6:7], 2
	v_mov_b32_e32 v2, 0
	s_wait_alu 0xfffe
	s_add_nc_u64 s[6:7], s[12:13], s[6:7]
	global_load_b32 v32, v0, s[6:7]
	s_wait_loadcnt 0x0
	v_cmp_eq_f32_e64 s6, 0, v32
	v_cmp_neq_f32_e64 s7, 0, v32
	s_wait_alu 0xfffe
	s_and_b32 vcc_lo, exec_lo, s6
	s_wait_alu 0xfffe
	s_cbranch_vccnz .LBB458_5
; %bb.4:                                ;   in Loop: Header=BB458_3 Depth=1
	s_lshl_b64 s[8:9], s[10:11], 3
	s_wait_alu 0xfffe
	s_add_nc_u64 s[8:9], s[16:17], s[8:9]
	global_load_b64 v[1:2], v0, s[8:9]
	s_wait_loadcnt 0x0
	v_add_co_u32 v1, vcc_lo, v1, s18
	s_wait_alu 0xfffd
	v_add_co_ci_u32_e64 v2, null, s19, v2, vcc_lo
.LBB458_5:                              ;   in Loop: Header=BB458_3 Depth=1
	s_and_not1_b32 vcc_lo, exec_lo, s7
	s_wait_alu 0xfffe
	s_cbranch_vccnz .LBB458_7
; %bb.6:                                ;   in Loop: Header=BB458_3 Depth=1
	s_lshl_b64 s[8:9], s[10:11], 3
	s_wait_alu 0xfffe
	s_add_nc_u64 s[8:9], s[20:21], s[8:9]
	global_load_b64 v[3:4], v0, s[8:9]
	s_wait_loadcnt 0x0
	v_add_co_u32 v17, vcc_lo, v3, s22
	s_wait_alu 0xfffd
	v_add_co_ci_u32_e64 v18, null, s23, v4, vcc_lo
.LBB458_7:                              ;   in Loop: Header=BB458_3 Depth=1
	s_and_not1_b32 vcc_lo, exec_lo, s6
	s_mov_b32 s6, -1
	s_wait_alu 0xfffe
	s_cbranch_vccnz .LBB458_12
; %bb.8:                                ;   in Loop: Header=BB458_3 Depth=1
	s_and_saveexec_b32 s8, s65
	s_cbranch_execz .LBB458_11
; %bb.9:                                ;   in Loop: Header=BB458_3 Depth=1
	s_mul_u64 s[6:7], s[44:45], s[10:11]
	s_mov_b32 s9, s27
	s_wait_alu 0xfffe
	s_add_nc_u64 s[6:7], s[42:43], s[6:7]
.LBB458_10:                             ;   Parent Loop BB458_3 Depth=1
                                        ; =>  This Inner Loop Header: Depth=2
	s_add_co_i32 s9, s9, -1
	global_store_b32 v0, v0, s[6:7]
	s_wait_alu 0xfffe
	s_cmp_eq_u32 s9, 0
	s_add_nc_u64 s[6:7], s[6:7], s[46:47]
	s_cbranch_scc0 .LBB458_10
.LBB458_11:                             ;   in Loop: Header=BB458_3 Depth=1
	s_wait_alu 0xfffe
	s_or_b32 exec_lo, exec_lo, s8
	s_mov_b32 s6, 0
.LBB458_12:                             ;   in Loop: Header=BB458_3 Depth=1
	s_wait_alu 0xfffe
	s_and_not1_b32 vcc_lo, exec_lo, s6
	s_wait_alu 0xfffe
	s_cbranch_vccnz .LBB458_2
; %bb.13:                               ;   in Loop: Header=BB458_3 Depth=1
	v_add_co_u32 v33, vcc_lo, v1, v7
	s_mul_u64 s[54:55], s[38:39], s[10:11]
	s_wait_alu 0xfffd
	v_add_co_ci_u32_e64 v34, null, v2, v8, vcc_lo
	v_cmp_gt_u32_e64 s9, 24, v31
	v_cmp_gt_u32_e64 s8, 28, v31
	;; [unrolled: 1-line block ×3, first 2 shown]
	v_cmp_ne_u32_e64 s6, 31, v31
	s_lshl_b64 s[54:55], s[54:55], 2
	s_and_not1_b32 vcc_lo, exec_lo, s68
	s_add_nc_u64 s[54:55], s[34:35], s[54:55]
	s_wait_alu 0xfffe
	s_cbranch_vccnz .LBB458_62
; %bb.14:                               ;   in Loop: Header=BB458_3 Depth=1
	s_wait_alu 0xf1ff
	v_cndmask_b32_e64 v2, 0, 4, s8
	v_cndmask_b32_e64 v3, 0, 2, s7
	v_add_co_u32 v19, vcc_lo, v17, v9
	v_cndmask_b32_e64 v1, 0, 8, s9
	v_add_co_ci_u32_e64 v4, null, 0, v31, s6
	v_add_lshl_u32 v36, v2, v31, 2
	v_add_lshl_u32 v37, v3, v31, 2
	s_wait_alu 0xfffd
	v_add_co_ci_u32_e64 v20, null, v18, v10, vcc_lo
	v_add_co_u32 v21, vcc_lo, v17, v11
	v_dual_mov_b32 v2, v0 :: v_dual_mov_b32 v3, v0
	s_wait_alu 0xfffd
	v_add_co_ci_u32_e64 v22, null, v18, v12, vcc_lo
	v_add_co_u32 v23, vcc_lo, v17, v13
	v_add_lshl_u32 v35, v1, v31, 2
	v_dual_mov_b32 v1, v0 :: v_dual_lshlrev_b32 v38, 2, v4
	s_wait_alu 0xfffd
	v_add_co_ci_u32_e64 v24, null, v18, v14, vcc_lo
	v_add_co_u32 v25, vcc_lo, v17, v15
	v_mov_b32_e32 v4, v3
	s_wait_alu 0xfffd
	v_add_co_ci_u32_e64 v26, null, v18, v16, vcc_lo
	v_mov_b32_e32 v3, v2
	v_mov_b32_e32 v2, v1
	;; [unrolled: 1-line block ×3, first 2 shown]
	s_mov_b32 s8, 0
	s_mov_b64 s[56:57], s[52:53]
	s_mov_b64 s[58:59], s[50:51]
	;; [unrolled: 1-line block ×3, first 2 shown]
	s_mov_b32 s11, 0
	s_branch .LBB458_16
.LBB458_15:                             ;   in Loop: Header=BB458_16 Depth=2
	s_wait_alu 0xfffe
	s_or_b32 exec_lo, exec_lo, s6
	s_add_co_i32 s11, s11, 4
	s_add_co_i32 s8, s8, s48
	s_add_nc_u64 s[60:61], s[60:61], s[48:49]
	s_add_nc_u64 s[58:59], s[58:59], s[48:49]
	s_cmp_ge_i32 s11, s66
	s_add_nc_u64 s[56:57], s[56:57], s[48:49]
	s_cbranch_scc1 .LBB458_63
.LBB458_16:                             ;   Parent Loop BB458_3 Depth=1
                                        ; =>  This Loop Header: Depth=2
                                        ;       Child Loop BB458_47 Depth 3
                                        ;       Child Loop BB458_50 Depth 3
                                        ; implicit-def: $vgpr39
                                        ; implicit-def: $vgpr40
                                        ; implicit-def: $vgpr41
                                        ; implicit-def: $vgpr42
	s_and_saveexec_b32 s6, s4
	s_wait_alu 0xfffe
	s_xor_b32 s6, exec_lo, s6
	s_cbranch_execnz .LBB458_43
; %bb.17:                               ;   in Loop: Header=BB458_16 Depth=2
	s_wait_alu 0xfffe
	s_and_not1_saveexec_b32 s25, s6
	s_cbranch_execnz .LBB458_44
.LBB458_18:                             ;   in Loop: Header=BB458_16 Depth=2
	s_or_b32 exec_lo, exec_lo, s25
	s_and_saveexec_b32 s6, s1
.LBB458_19:                             ;   in Loop: Header=BB458_16 Depth=2
	ds_store_b32 v29, v0
.LBB458_20:                             ;   in Loop: Header=BB458_16 Depth=2
	s_wait_alu 0xfffe
	s_or_b32 exec_lo, exec_lo, s6
	s_wait_dscnt 0x0
	ds_bpermute_b32 v27, v6, v42
	s_wait_storecnt_dscnt 0x0
	s_barrier_signal -1
	s_barrier_wait -1
	global_inv scope:SCOPE_SE
	v_add_f32_e32 v27, v42, v27
	ds_bpermute_b32 v28, v35, v27
	s_wait_dscnt 0x0
	v_add_f32_e32 v27, v27, v28
	ds_bpermute_b32 v28, v36, v27
	s_wait_dscnt 0x0
	;; [unrolled: 3-line block ×3, first 2 shown]
	v_add_f32_e32 v27, v27, v28
	ds_bpermute_b32 v28, v38, v27
	s_and_saveexec_b32 s6, s3
	s_cbranch_execz .LBB458_22
; %bb.21:                               ;   in Loop: Header=BB458_16 Depth=2
	s_wait_dscnt 0x0
	v_add_f32_e32 v27, v27, v28
	ds_store_b32 v30, v27
.LBB458_22:                             ;   in Loop: Header=BB458_16 Depth=2
	s_wait_alu 0xfffe
	s_or_b32 exec_lo, exec_lo, s6
	v_mov_b32_e32 v27, 0
	s_wait_loadcnt_dscnt 0x0
	s_barrier_signal -1
	s_barrier_wait -1
	global_inv scope:SCOPE_SE
	s_and_saveexec_b32 s6, s2
	s_cbranch_execnz .LBB458_51
; %bb.23:                               ;   in Loop: Header=BB458_16 Depth=2
	s_wait_alu 0xfffe
	s_or_b32 exec_lo, exec_lo, s6
	s_and_saveexec_b32 s6, s1
	s_cbranch_execnz .LBB458_52
.LBB458_24:                             ;   in Loop: Header=BB458_16 Depth=2
	s_wait_alu 0xfffe
	s_or_b32 exec_lo, exec_lo, s6
	s_and_saveexec_b32 s6, s1
.LBB458_25:                             ;   in Loop: Header=BB458_16 Depth=2
	ds_store_b32 v29, v0
.LBB458_26:                             ;   in Loop: Header=BB458_16 Depth=2
	s_wait_alu 0xfffe
	s_or_b32 exec_lo, exec_lo, s6
	ds_bpermute_b32 v28, v6, v41
	s_wait_loadcnt_dscnt 0x0
	s_barrier_signal -1
	s_barrier_wait -1
	global_inv scope:SCOPE_SE
	v_add_f32_e32 v28, v41, v28
	ds_bpermute_b32 v41, v35, v28
	s_wait_dscnt 0x0
	v_add_f32_e32 v28, v28, v41
	ds_bpermute_b32 v41, v36, v28
	s_wait_dscnt 0x0
	;; [unrolled: 3-line block ×3, first 2 shown]
	v_add_f32_e32 v28, v28, v41
	ds_bpermute_b32 v41, v38, v28
	s_and_saveexec_b32 s6, s3
	s_cbranch_execz .LBB458_28
; %bb.27:                               ;   in Loop: Header=BB458_16 Depth=2
	s_wait_dscnt 0x0
	v_add_f32_e32 v28, v28, v41
	ds_store_b32 v30, v28
.LBB458_28:                             ;   in Loop: Header=BB458_16 Depth=2
	s_wait_alu 0xfffe
	s_or_b32 exec_lo, exec_lo, s6
	v_mov_b32_e32 v28, 0
	s_wait_loadcnt_dscnt 0x0
	s_barrier_signal -1
	s_barrier_wait -1
	global_inv scope:SCOPE_SE
	s_and_saveexec_b32 s6, s2
	s_cbranch_execnz .LBB458_53
; %bb.29:                               ;   in Loop: Header=BB458_16 Depth=2
	s_wait_alu 0xfffe
	s_or_b32 exec_lo, exec_lo, s6
	s_and_saveexec_b32 s6, s1
	s_cbranch_execnz .LBB458_54
.LBB458_30:                             ;   in Loop: Header=BB458_16 Depth=2
	s_wait_alu 0xfffe
	s_or_b32 exec_lo, exec_lo, s6
	s_and_saveexec_b32 s6, s1
.LBB458_31:                             ;   in Loop: Header=BB458_16 Depth=2
	ds_store_b32 v29, v0
.LBB458_32:                             ;   in Loop: Header=BB458_16 Depth=2
	s_wait_alu 0xfffe
	s_or_b32 exec_lo, exec_lo, s6
	ds_bpermute_b32 v41, v6, v40
	s_wait_loadcnt_dscnt 0x0
	s_barrier_signal -1
	s_barrier_wait -1
	global_inv scope:SCOPE_SE
	v_add_f32_e32 v40, v40, v41
	ds_bpermute_b32 v41, v35, v40
	s_wait_dscnt 0x0
	v_add_f32_e32 v40, v40, v41
	ds_bpermute_b32 v41, v36, v40
	s_wait_dscnt 0x0
	;; [unrolled: 3-line block ×3, first 2 shown]
	v_add_f32_e32 v40, v40, v41
	ds_bpermute_b32 v41, v38, v40
	s_and_saveexec_b32 s6, s3
	s_cbranch_execz .LBB458_34
; %bb.33:                               ;   in Loop: Header=BB458_16 Depth=2
	s_wait_dscnt 0x0
	v_add_f32_e32 v40, v40, v41
	ds_store_b32 v30, v40
.LBB458_34:                             ;   in Loop: Header=BB458_16 Depth=2
	s_wait_alu 0xfffe
	s_or_b32 exec_lo, exec_lo, s6
	v_mov_b32_e32 v40, 0
	s_wait_loadcnt_dscnt 0x0
	s_barrier_signal -1
	s_barrier_wait -1
	global_inv scope:SCOPE_SE
	s_and_saveexec_b32 s6, s2
	s_cbranch_execnz .LBB458_55
; %bb.35:                               ;   in Loop: Header=BB458_16 Depth=2
	s_wait_alu 0xfffe
	s_or_b32 exec_lo, exec_lo, s6
	s_and_saveexec_b32 s6, s1
	s_cbranch_execnz .LBB458_56
.LBB458_36:                             ;   in Loop: Header=BB458_16 Depth=2
	s_wait_alu 0xfffe
	s_or_b32 exec_lo, exec_lo, s6
	s_and_saveexec_b32 s6, s1
.LBB458_37:                             ;   in Loop: Header=BB458_16 Depth=2
	ds_store_b32 v29, v0
.LBB458_38:                             ;   in Loop: Header=BB458_16 Depth=2
	s_wait_alu 0xfffe
	s_or_b32 exec_lo, exec_lo, s6
	ds_bpermute_b32 v41, v6, v39
	s_wait_loadcnt_dscnt 0x0
	s_barrier_signal -1
	s_barrier_wait -1
	global_inv scope:SCOPE_SE
	v_add_f32_e32 v39, v39, v41
	ds_bpermute_b32 v41, v35, v39
	s_wait_dscnt 0x0
	v_add_f32_e32 v39, v39, v41
	ds_bpermute_b32 v41, v36, v39
	s_wait_dscnt 0x0
	;; [unrolled: 3-line block ×3, first 2 shown]
	v_add_f32_e32 v39, v39, v41
	ds_bpermute_b32 v41, v38, v39
	s_and_saveexec_b32 s6, s3
	s_cbranch_execz .LBB458_40
; %bb.39:                               ;   in Loop: Header=BB458_16 Depth=2
	s_wait_dscnt 0x0
	v_add_f32_e32 v39, v39, v41
	ds_store_b32 v30, v39
.LBB458_40:                             ;   in Loop: Header=BB458_16 Depth=2
	s_wait_alu 0xfffe
	s_or_b32 exec_lo, exec_lo, s6
	v_mov_b32_e32 v39, 0
	s_wait_loadcnt_dscnt 0x0
	s_barrier_signal -1
	s_barrier_wait -1
	global_inv scope:SCOPE_SE
	s_and_saveexec_b32 s6, s2
	s_cbranch_execnz .LBB458_57
; %bb.41:                               ;   in Loop: Header=BB458_16 Depth=2
	s_wait_alu 0xfffe
	s_or_b32 exec_lo, exec_lo, s6
	s_and_saveexec_b32 s6, s1
	s_cbranch_execnz .LBB458_58
.LBB458_42:                             ;   in Loop: Header=BB458_16 Depth=2
	s_wait_alu 0xfffe
	s_or_b32 exec_lo, exec_lo, s6
	s_and_saveexec_b32 s6, s0
	s_cbranch_execz .LBB458_15
	s_branch .LBB458_59
.LBB458_43:                             ;   in Loop: Header=BB458_16 Depth=2
	s_mul_i32 s62, s11, s30
	s_wait_alu 0xfffe
	s_ashr_i32 s63, s62, 31
	s_add_co_i32 s70, s62, s30
	s_wait_alu 0xfffe
	s_lshl_b64 s[62:63], s[62:63], 1
	s_ashr_i32 s71, s70, 31
	s_wait_alu 0xfffe
	v_add_co_u32 v1, vcc_lo, v33, s62
	s_wait_alu 0xfffd
	v_add_co_ci_u32_e64 v2, null, s63, v34, vcc_lo
	s_lshl_b64 s[62:63], s[70:71], 1
	s_add_co_i32 s70, s70, s30
	s_wait_alu 0xfffe
	v_add_co_u32 v3, vcc_lo, v33, s62
	s_ashr_i32 s71, s70, 31
	s_add_co_i32 s62, s70, s30
	s_wait_alu 0xfffd
	v_add_co_ci_u32_e64 v4, null, s63, v34, vcc_lo
	s_wait_alu 0xfffe
	s_lshl_b64 s[70:71], s[70:71], 1
	s_ashr_i32 s63, s62, 31
	s_wait_dscnt 0x0
	s_wait_alu 0xfffe
	v_add_co_u32 v27, vcc_lo, v33, s70
	s_lshl_b64 s[62:63], s[62:63], 1
	s_wait_alu 0xfffd
	v_add_co_ci_u32_e64 v28, null, s71, v34, vcc_lo
	s_wait_alu 0xfffe
	v_add_co_u32 v39, vcc_lo, v33, s62
	s_wait_alu 0xfffd
	v_add_co_ci_u32_e64 v40, null, s63, v34, vcc_lo
	flat_load_u16 v47, v[19:20]
	s_clause 0x3
	flat_load_b64 v[41:42], v[1:2]
	flat_load_b64 v[43:44], v[3:4]
	;; [unrolled: 1-line block ×4, first 2 shown]
	s_clause 0x2
	flat_load_u16 v3, v[21:22]
	flat_load_u16 v4, v[23:24]
	;; [unrolled: 1-line block ×3, first 2 shown]
	s_wait_loadcnt_dscnt 0x707
	v_cvt_f32_f16_e32 v1, v47
	s_wait_loadcnt_dscnt 0x606
	v_fma_mix_f32 v40, v47, v41, 0 op_sel_hi:[1,1,0]
	s_wait_loadcnt_dscnt 0x505
	v_fma_mix_f32 v48, v47, v43, 0 op_sel_hi:[1,1,0]
	;; [unrolled: 2-line block ×4, first 2 shown]
	s_wait_loadcnt_dscnt 0x202
	v_cvt_f32_f16_e32 v2, v3
	v_fma_mix_f32 v40, v3, v41, v40 op_sel:[0,1,0] op_sel_hi:[1,1,0]
	v_fma_mix_f32 v41, v3, v43, v48 op_sel:[0,1,0] op_sel_hi:[1,1,0]
	;; [unrolled: 1-line block ×4, first 2 shown]
	s_wait_loadcnt_dscnt 0x101
	v_cvt_f32_f16_e32 v3, v4
	v_fma_mix_f32 v40, v4, v42, v40 op_sel_hi:[1,1,0]
	v_fma_mix_f32 v41, v4, v44, v41 op_sel_hi:[1,1,0]
	;; [unrolled: 1-line block ×4, first 2 shown]
	s_wait_loadcnt_dscnt 0x0
	v_cvt_f32_f16_e32 v4, v39
	v_fma_mix_f32 v42, v39, v42, v40 op_sel:[0,1,0] op_sel_hi:[1,1,0]
	v_fma_mix_f32 v41, v39, v44, v41 op_sel:[0,1,0] op_sel_hi:[1,1,0]
	;; [unrolled: 1-line block ×4, first 2 shown]
	s_and_not1_saveexec_b32 s25, s6
	s_cbranch_execz .LBB458_18
.LBB458_44:                             ;   in Loop: Header=BB458_16 Depth=2
	s_wait_dscnt 0x0
	v_dual_mov_b32 v39, 0 :: v_dual_mov_b32 v40, 0
	v_dual_mov_b32 v41, 0 :: v_dual_mov_b32 v42, 0
	s_and_saveexec_b32 s26, s5
	s_cbranch_execz .LBB458_61
; %bb.45:                               ;   in Loop: Header=BB458_16 Depth=2
	s_and_not1_b32 vcc_lo, exec_lo, s69
	s_wait_alu 0xfffe
	s_cbranch_vccnz .LBB458_48
; %bb.46:                               ;   in Loop: Header=BB458_16 Depth=2
	v_mov_b32_e32 v27, v5
	s_mov_b64 s[62:63], 0
.LBB458_47:                             ;   Parent Loop BB458_3 Depth=1
                                        ;     Parent Loop BB458_16 Depth=2
                                        ; =>    This Inner Loop Header: Depth=3
	s_delay_alu instid0(VALU_DEP_1) | instskip(SKIP_2) | instid1(VALU_DEP_1)
	v_ashrrev_i32_e32 v28, 31, v27
	s_wait_alu 0xfffe
	s_cmp_eq_u32 s62, 3
	v_lshlrev_b64_e32 v[39:40], 1, v[27:28]
	s_delay_alu instid0(VALU_DEP_1) | instskip(SKIP_1) | instid1(VALU_DEP_2)
	v_add_co_u32 v39, vcc_lo, v17, v39
	s_wait_alu 0xfffd
	v_add_co_ci_u32_e64 v40, null, v18, v40, vcc_lo
	s_cselect_b32 vcc_lo, -1, 0
	s_cmp_eq_u32 s62, 2
	s_cselect_b32 s6, -1, 0
	flat_load_u16 v28, v[39:40]
	s_cmp_eq_u32 s62, 1
	s_cselect_b32 s7, -1, 0
	s_cmp_eq_u32 s62, 0
	s_add_nc_u64 s[62:63], s[62:63], 1
	s_wait_loadcnt_dscnt 0x0
	v_cvt_f32_f16_e32 v28, v28
	s_wait_alu 0xfffe
	s_delay_alu instid0(VALU_DEP_1)
	v_dual_cndmask_b32 v4, v4, v28 :: v_dual_add_nc_u32 v27, s64, v27
	s_cselect_b32 vcc_lo, -1, 0
	v_cndmask_b32_e64 v3, v3, v28, s6
	v_cndmask_b32_e64 v2, v2, v28, s7
	s_wait_alu 0xfffe
	v_cndmask_b32_e32 v1, v1, v28, vcc_lo
	s_cmp_eq_u32 s67, s62
	s_cbranch_scc0 .LBB458_47
.LBB458_48:                             ;   in Loop: Header=BB458_16 Depth=2
	s_and_not1_b32 vcc_lo, exec_lo, s69
	s_wait_alu 0xfffe
	s_cbranch_vccnz .LBB458_60
; %bb.49:                               ;   in Loop: Header=BB458_16 Depth=2
	s_ashr_i32 s9, s8, 31
	v_dual_mov_b32 v42, 0 :: v_dual_mov_b32 v41, 0
	s_wait_alu 0xfffe
	s_lshl_b64 s[6:7], s[8:9], 1
	v_dual_mov_b32 v40, 0 :: v_dual_mov_b32 v39, 0
	s_wait_alu 0xfffe
	v_add_co_u32 v27, vcc_lo, v33, s6
	s_wait_alu 0xfffd
	v_add_co_ci_u32_e64 v28, null, s7, v34, vcc_lo
	s_mov_b64 s[62:63], 0
.LBB458_50:                             ;   Parent Loop BB458_3 Depth=1
                                        ;     Parent Loop BB458_16 Depth=2
                                        ; =>    This Inner Loop Header: Depth=3
	s_wait_alu 0xfffe
	s_cmp_eq_u32 s62, 1
	s_cselect_b32 vcc_lo, -1, 0
	s_cmp_eq_u32 s62, 2
	s_wait_alu 0xfffe
	v_cndmask_b32_e32 v43, v1, v2, vcc_lo
	s_cselect_b32 vcc_lo, -1, 0
	s_cmp_eq_u32 s62, 3
	s_wait_alu 0xfffe
	s_delay_alu instid0(VALU_DEP_1)
	v_cndmask_b32_e32 v49, v43, v3, vcc_lo
	s_cselect_b32 vcc_lo, -1, 0
	s_add_co_i32 s6, s60, s62
	s_add_co_i32 s70, s58, s62
	s_wait_alu 0xfffe
	s_ashr_i32 s7, s6, 31
	s_add_co_i32 s72, s56, s62
	s_ashr_i32 s71, s70, 31
	s_wait_alu 0xfffe
	s_lshl_b64 s[6:7], s[6:7], 1
	s_ashr_i32 s73, s72, 31
	s_lshl_b64 s[70:71], s[70:71], 1
	s_wait_alu 0xfffe
	v_add_co_u32 v43, s6, v33, s6
	s_lshl_b64 s[72:73], s[72:73], 1
	v_add_co_ci_u32_e64 v44, null, s7, v34, s6
	v_add_co_u32 v45, s6, v33, s70
	s_wait_alu 0xf1ff
	v_add_co_ci_u32_e64 v46, null, s71, v34, s6
	s_wait_alu 0xfffe
	v_add_co_u32 v47, s6, v33, s72
	s_wait_alu 0xf1ff
	v_add_co_ci_u32_e64 v48, null, s73, v34, s6
	flat_load_u16 v50, v[27:28]
	s_clause 0x2
	flat_load_u16 v43, v[43:44]
	flat_load_u16 v44, v[45:46]
	;; [unrolled: 1-line block ×3, first 2 shown]
	v_cndmask_b32_e32 v46, v49, v4, vcc_lo
	v_add_co_u32 v27, s6, v27, 2
	s_wait_alu 0xf1ff
	v_add_co_ci_u32_e64 v28, null, 0, v28, s6
	s_add_nc_u64 s[62:63], s[62:63], 1
	s_wait_alu 0xfffe
	s_cmp_lg_u32 s67, s62
	s_wait_loadcnt_dscnt 0x303
	v_fma_mix_f32 v42, v46, v50, v42 op_sel_hi:[0,1,0]
	s_wait_loadcnt_dscnt 0x202
	v_fma_mix_f32 v41, v46, v43, v41 op_sel_hi:[0,1,0]
	;; [unrolled: 2-line block ×4, first 2 shown]
	s_cbranch_scc1 .LBB458_50
	s_branch .LBB458_61
.LBB458_51:                             ;   in Loop: Header=BB458_16 Depth=2
	ds_load_b32 v27, v29
	s_wait_alu 0xfffe
	s_or_b32 exec_lo, exec_lo, s6
	s_and_saveexec_b32 s6, s1
	s_cbranch_execz .LBB458_24
.LBB458_52:                             ;   in Loop: Header=BB458_16 Depth=2
	s_wait_dscnt 0x0
	ds_bpermute_b32 v28, v36, v27
	s_wait_dscnt 0x0
	v_add_f32_e32 v27, v27, v28
	ds_bpermute_b32 v28, v37, v27
	s_wait_dscnt 0x0
	v_add_f32_e32 v27, v27, v28
	;; [unrolled: 3-line block ×3, first 2 shown]
	s_wait_alu 0xfffe
	s_or_b32 exec_lo, exec_lo, s6
	s_and_saveexec_b32 s6, s1
	s_cbranch_execnz .LBB458_25
	s_branch .LBB458_26
.LBB458_53:                             ;   in Loop: Header=BB458_16 Depth=2
	ds_load_b32 v28, v29
	s_wait_alu 0xfffe
	s_or_b32 exec_lo, exec_lo, s6
	s_and_saveexec_b32 s6, s1
	s_cbranch_execz .LBB458_30
.LBB458_54:                             ;   in Loop: Header=BB458_16 Depth=2
	s_wait_dscnt 0x0
	ds_bpermute_b32 v41, v36, v28
	s_wait_dscnt 0x0
	v_add_f32_e32 v28, v28, v41
	ds_bpermute_b32 v41, v37, v28
	s_wait_dscnt 0x0
	v_add_f32_e32 v28, v28, v41
	;; [unrolled: 3-line block ×3, first 2 shown]
	s_wait_alu 0xfffe
	s_or_b32 exec_lo, exec_lo, s6
	s_and_saveexec_b32 s6, s1
	s_cbranch_execnz .LBB458_31
	s_branch .LBB458_32
.LBB458_55:                             ;   in Loop: Header=BB458_16 Depth=2
	ds_load_b32 v40, v29
	s_wait_alu 0xfffe
	s_or_b32 exec_lo, exec_lo, s6
	s_and_saveexec_b32 s6, s1
	s_cbranch_execz .LBB458_36
.LBB458_56:                             ;   in Loop: Header=BB458_16 Depth=2
	s_wait_dscnt 0x0
	ds_bpermute_b32 v41, v36, v40
	s_wait_dscnt 0x0
	v_add_f32_e32 v40, v40, v41
	ds_bpermute_b32 v41, v37, v40
	s_wait_dscnt 0x0
	v_add_f32_e32 v40, v40, v41
	;; [unrolled: 3-line block ×3, first 2 shown]
	s_wait_alu 0xfffe
	s_or_b32 exec_lo, exec_lo, s6
	s_and_saveexec_b32 s6, s1
	s_cbranch_execnz .LBB458_37
	s_branch .LBB458_38
.LBB458_57:                             ;   in Loop: Header=BB458_16 Depth=2
	ds_load_b32 v39, v29
	s_wait_alu 0xfffe
	s_or_b32 exec_lo, exec_lo, s6
	s_and_saveexec_b32 s6, s1
	s_cbranch_execz .LBB458_42
.LBB458_58:                             ;   in Loop: Header=BB458_16 Depth=2
	s_wait_dscnt 0x0
	ds_bpermute_b32 v41, v36, v39
	s_wait_dscnt 0x0
	v_add_f32_e32 v39, v39, v41
	ds_bpermute_b32 v41, v37, v39
	s_wait_dscnt 0x0
	v_add_f32_e32 v39, v39, v41
	;; [unrolled: 3-line block ×3, first 2 shown]
	s_wait_alu 0xfffe
	s_or_b32 exec_lo, exec_lo, s6
	s_and_saveexec_b32 s6, s0
	s_cbranch_execz .LBB458_15
.LBB458_59:                             ;   in Loop: Header=BB458_16 Depth=2
	s_mul_i32 s7, s11, s28
	v_mul_f32_e32 v27, v32, v27
	s_wait_alu 0xfffe
	s_add_co_i32 s36, s7, s24
	v_mul_f32_e32 v28, v32, v28
	s_wait_alu 0xfffe
	s_lshl_b64 s[62:63], s[36:37], 2
	s_add_co_i32 s36, s36, s28
	s_wait_alu 0xfffe
	s_add_nc_u64 s[62:63], s[54:55], s[62:63]
	s_lshl_b64 s[70:71], s[36:37], 2
	s_add_co_i32 s36, s36, s28
	s_wait_alu 0xfffe
	s_add_nc_u64 s[70:71], s[54:55], s[70:71]
	s_clause 0x1
	global_store_b32 v0, v27, s[62:63]
	global_store_b32 v0, v28, s[70:71]
	v_mul_f32_e32 v27, v32, v40
	s_lshl_b64 s[62:63], s[36:37], 2
	s_add_co_i32 s36, s36, s28
	s_wait_dscnt 0x0
	v_mul_f32_e32 v28, v32, v39
	s_wait_alu 0xfffe
	s_lshl_b64 s[70:71], s[36:37], 2
	s_add_nc_u64 s[62:63], s[54:55], s[62:63]
	s_wait_alu 0xfffe
	s_add_nc_u64 s[70:71], s[54:55], s[70:71]
	s_clause 0x1
	global_store_b32 v0, v27, s[62:63]
	global_store_b32 v0, v28, s[70:71]
	s_branch .LBB458_15
.LBB458_60:                             ;   in Loop: Header=BB458_16 Depth=2
	v_dual_mov_b32 v39, 0 :: v_dual_mov_b32 v40, 0
	v_dual_mov_b32 v41, 0 :: v_dual_mov_b32 v42, 0
.LBB458_61:                             ;   in Loop: Header=BB458_16 Depth=2
	s_wait_alu 0xfffe
	s_or_b32 exec_lo, exec_lo, s26
	s_delay_alu instid0(SALU_CYCLE_1)
	s_or_b32 exec_lo, exec_lo, s25
	s_and_saveexec_b32 s6, s1
	s_cbranch_execnz .LBB458_19
	s_branch .LBB458_20
.LBB458_62:                             ;   in Loop: Header=BB458_3 Depth=1
	v_mov_b32_e32 v3, v0
	v_dual_mov_b32 v1, v0 :: v_dual_mov_b32 v2, v0
	s_mov_b32 s11, 0
	s_delay_alu instid0(VALU_DEP_2) | instskip(NEXT) | instid1(VALU_DEP_2)
	v_mov_b32_e32 v4, v3
	v_mov_b32_e32 v3, v2
	s_delay_alu instid0(VALU_DEP_3)
	v_mov_b32_e32 v2, v1
	v_mov_b32_e32 v1, v0
.LBB458_63:                             ;   in Loop: Header=BB458_3 Depth=1
	s_cmp_ge_i32 s11, s27
	s_cbranch_scc1 .LBB458_2
; %bb.64:                               ;   in Loop: Header=BB458_3 Depth=1
	v_cmp_gt_u32_e32 vcc_lo, 24, v31
	s_add_nc_u64 s[8:9], s[54:55], s[40:41]
	s_mul_i32 s54, s30, s11
	s_mov_b32 s36, s11
	s_wait_alu 0xfffd
	v_cndmask_b32_e64 v19, 0, 8, vcc_lo
	v_cmp_gt_u32_e32 vcc_lo, 28, v31
	s_delay_alu instid0(VALU_DEP_2) | instskip(SKIP_3) | instid1(VALU_DEP_2)
	v_add_lshl_u32 v35, v19, v31, 2
	s_wait_alu 0xfffd
	v_cndmask_b32_e64 v20, 0, 4, vcc_lo
	v_cmp_gt_u32_e32 vcc_lo, 30, v31
	v_add_lshl_u32 v36, v20, v31, 2
	s_wait_alu 0xfffd
	v_cndmask_b32_e64 v21, 0, 2, vcc_lo
	v_cmp_ne_u32_e32 vcc_lo, 31, v31
	s_delay_alu instid0(VALU_DEP_2)
	v_add_lshl_u32 v37, v21, v31, 2
	s_wait_alu 0xfffd
	v_add_co_ci_u32_e64 v22, null, 0, v31, vcc_lo
	v_add_co_u32 v19, vcc_lo, v17, v9
	s_wait_alu 0xfffd
	v_add_co_ci_u32_e64 v20, null, v18, v10, vcc_lo
	v_add_co_u32 v21, vcc_lo, v17, v11
	v_lshlrev_b32_e32 v38, 2, v22
	s_wait_alu 0xfffd
	v_add_co_ci_u32_e64 v22, null, v18, v12, vcc_lo
	v_add_co_u32 v23, vcc_lo, v17, v13
	s_wait_alu 0xfffd
	v_add_co_ci_u32_e64 v24, null, v18, v14, vcc_lo
	v_add_co_u32 v25, vcc_lo, v17, v15
	s_wait_alu 0xfffd
	v_add_co_ci_u32_e64 v26, null, v18, v16, vcc_lo
	s_branch .LBB458_66
.LBB458_65:                             ;   in Loop: Header=BB458_66 Depth=2
	s_wait_alu 0xfffe
	s_or_b32 exec_lo, exec_lo, s6
	s_add_co_i32 s36, s36, 1
	s_add_co_i32 s54, s54, s30
	s_wait_alu 0xfffe
	s_cmp_ge_i32 s36, s27
	s_cbranch_scc1 .LBB458_2
.LBB458_66:                             ;   Parent Loop BB458_3 Depth=1
                                        ; =>  This Loop Header: Depth=2
                                        ;       Child Loop BB458_79 Depth 3
                                        ;       Child Loop BB458_82 Depth 3
	s_wait_dscnt 0x0
	v_mov_b32_e32 v39, s37
	s_and_saveexec_b32 s6, s4
	s_wait_alu 0xfffe
	s_xor_b32 s6, exec_lo, s6
	s_cbranch_execnz .LBB458_75
; %bb.67:                               ;   in Loop: Header=BB458_66 Depth=2
	s_wait_alu 0xfffe
	s_and_not1_saveexec_b32 s11, s6
	s_cbranch_execnz .LBB458_76
.LBB458_68:                             ;   in Loop: Header=BB458_66 Depth=2
	s_or_b32 exec_lo, exec_lo, s11
	s_and_saveexec_b32 s6, s1
.LBB458_69:                             ;   in Loop: Header=BB458_66 Depth=2
	ds_store_b32 v29, v0
.LBB458_70:                             ;   in Loop: Header=BB458_66 Depth=2
	s_wait_alu 0xfffe
	s_or_b32 exec_lo, exec_lo, s6
	ds_bpermute_b32 v27, v6, v39
	s_wait_storecnt 0x0
	s_wait_loadcnt_dscnt 0x0
	s_barrier_signal -1
	s_barrier_wait -1
	global_inv scope:SCOPE_SE
	v_add_f32_e32 v27, v39, v27
	ds_bpermute_b32 v28, v35, v27
	s_wait_dscnt 0x0
	v_add_f32_e32 v27, v27, v28
	ds_bpermute_b32 v28, v36, v27
	s_wait_dscnt 0x0
	;; [unrolled: 3-line block ×3, first 2 shown]
	v_add_f32_e32 v27, v27, v28
	ds_bpermute_b32 v28, v38, v27
	s_and_saveexec_b32 s6, s3
	s_cbranch_execz .LBB458_72
; %bb.71:                               ;   in Loop: Header=BB458_66 Depth=2
	s_wait_dscnt 0x0
	v_add_f32_e32 v27, v27, v28
	ds_store_b32 v30, v27
.LBB458_72:                             ;   in Loop: Header=BB458_66 Depth=2
	s_wait_alu 0xfffe
	s_or_b32 exec_lo, exec_lo, s6
	v_mov_b32_e32 v27, 0
	s_wait_loadcnt_dscnt 0x0
	s_barrier_signal -1
	s_barrier_wait -1
	global_inv scope:SCOPE_SE
	s_and_saveexec_b32 s6, s2
	s_cbranch_execnz .LBB458_84
; %bb.73:                               ;   in Loop: Header=BB458_66 Depth=2
	s_wait_alu 0xfffe
	s_or_b32 exec_lo, exec_lo, s6
	s_and_saveexec_b32 s6, s1
	s_cbranch_execnz .LBB458_85
.LBB458_74:                             ;   in Loop: Header=BB458_66 Depth=2
	s_wait_alu 0xfffe
	s_or_b32 exec_lo, exec_lo, s6
	s_and_saveexec_b32 s6, s0
	s_cbranch_execz .LBB458_65
	s_branch .LBB458_86
.LBB458_75:                             ;   in Loop: Header=BB458_66 Depth=2
	s_mul_i32 s56, s36, s30
	s_wait_alu 0xfffe
	s_ashr_i32 s57, s56, 31
	s_wait_alu 0xfffe
	s_lshl_b64 s[56:57], s[56:57], 1
	s_wait_alu 0xfffe
	v_add_co_u32 v1, vcc_lo, v33, s56
	s_wait_alu 0xfffd
	v_add_co_ci_u32_e64 v2, null, s57, v34, vcc_lo
	flat_load_b64 v[27:28], v[1:2]
	s_clause 0x3
	flat_load_u16 v1, v[19:20]
	flat_load_u16 v2, v[21:22]
	;; [unrolled: 1-line block ×4, first 2 shown]
	s_wait_loadcnt_dscnt 0x303
	v_fma_mix_f32 v4, v1, v27, 0 op_sel_hi:[1,1,0]
	v_cvt_f32_f16_e32 v1, v1
	s_wait_loadcnt_dscnt 0x202
	s_delay_alu instid0(VALU_DEP_2) | instskip(SKIP_2) | instid1(VALU_DEP_2)
	v_fma_mix_f32 v4, v2, v27, v4 op_sel:[0,1,0] op_sel_hi:[1,1,0]
	v_cvt_f32_f16_e32 v2, v2
	s_wait_loadcnt_dscnt 0x101
	v_fma_mix_f32 v27, v3, v28, v4 op_sel_hi:[1,1,0]
	v_cvt_f32_f16_e32 v3, v3
	s_wait_loadcnt_dscnt 0x0
	v_cvt_f32_f16_e32 v4, v39
	s_delay_alu instid0(VALU_DEP_3)
	v_fma_mix_f32 v39, v39, v28, v27 op_sel:[0,1,0] op_sel_hi:[1,1,0]
	s_and_not1_saveexec_b32 s11, s6
	s_cbranch_execz .LBB458_68
.LBB458_76:                             ;   in Loop: Header=BB458_66 Depth=2
	s_and_saveexec_b32 s25, s5
	s_cbranch_execz .LBB458_83
; %bb.77:                               ;   in Loop: Header=BB458_66 Depth=2
	s_and_not1_b32 vcc_lo, exec_lo, s69
	s_wait_alu 0xfffe
	s_cbranch_vccnz .LBB458_80
; %bb.78:                               ;   in Loop: Header=BB458_66 Depth=2
	v_mov_b32_e32 v27, v5
	s_mov_b64 s[56:57], 0
.LBB458_79:                             ;   Parent Loop BB458_3 Depth=1
                                        ;     Parent Loop BB458_66 Depth=2
                                        ; =>    This Inner Loop Header: Depth=3
	s_delay_alu instid0(VALU_DEP_1) | instskip(SKIP_2) | instid1(VALU_DEP_1)
	v_ashrrev_i32_e32 v28, 31, v27
	s_wait_alu 0xfffe
	s_cmp_eq_u32 s56, 3
	v_lshlrev_b64_e32 v[40:41], 1, v[27:28]
	s_delay_alu instid0(VALU_DEP_1) | instskip(SKIP_1) | instid1(VALU_DEP_2)
	v_add_co_u32 v40, vcc_lo, v17, v40
	s_wait_alu 0xfffd
	v_add_co_ci_u32_e64 v41, null, v18, v41, vcc_lo
	s_cselect_b32 vcc_lo, -1, 0
	s_cmp_eq_u32 s56, 2
	s_cselect_b32 s6, -1, 0
	flat_load_u16 v28, v[40:41]
	s_cmp_eq_u32 s56, 1
	s_cselect_b32 s7, -1, 0
	s_cmp_eq_u32 s56, 0
	s_add_nc_u64 s[56:57], s[56:57], 1
	s_wait_loadcnt_dscnt 0x0
	v_cvt_f32_f16_e32 v28, v28
	s_wait_alu 0xfffe
	s_delay_alu instid0(VALU_DEP_1)
	v_dual_cndmask_b32 v4, v4, v28 :: v_dual_add_nc_u32 v27, s64, v27
	s_cselect_b32 vcc_lo, -1, 0
	v_cndmask_b32_e64 v3, v3, v28, s6
	v_cndmask_b32_e64 v2, v2, v28, s7
	s_wait_alu 0xfffe
	v_cndmask_b32_e32 v1, v1, v28, vcc_lo
	s_cmp_eq_u32 s67, s56
	s_cbranch_scc0 .LBB458_79
.LBB458_80:                             ;   in Loop: Header=BB458_66 Depth=2
	s_and_not1_b32 vcc_lo, exec_lo, s69
	s_wait_alu 0xfffe
	s_cbranch_vccnz .LBB458_83
; %bb.81:                               ;   in Loop: Header=BB458_66 Depth=2
	s_ashr_i32 s55, s54, 31
	s_delay_alu instid0(SALU_CYCLE_1)
	s_lshl_b64 s[6:7], s[54:55], 1
	s_wait_alu 0xfffe
	v_add_co_u32 v27, vcc_lo, v33, s6
	s_wait_alu 0xfffd
	v_add_co_ci_u32_e64 v28, null, s7, v34, vcc_lo
	s_mov_b64 s[6:7], 0
.LBB458_82:                             ;   Parent Loop BB458_3 Depth=1
                                        ;     Parent Loop BB458_66 Depth=2
                                        ; =>    This Inner Loop Header: Depth=3
	flat_load_u16 v40, v[27:28]
	s_wait_alu 0xfffe
	s_cmp_eq_u32 s6, 1
	s_cselect_b32 vcc_lo, -1, 0
	s_cmp_eq_u32 s6, 2
	s_wait_alu 0xfffe
	v_cndmask_b32_e32 v41, v1, v2, vcc_lo
	s_cselect_b32 vcc_lo, -1, 0
	s_cmp_eq_u32 s6, 3
	s_add_nc_u64 s[6:7], s[6:7], 1
	s_wait_alu 0xfffe
	v_cndmask_b32_e32 v41, v41, v3, vcc_lo
	s_cselect_b32 vcc_lo, -1, 0
	s_cmp_lg_u32 s67, s6
	s_wait_alu 0xfffe
	s_delay_alu instid0(VALU_DEP_1)
	v_cndmask_b32_e32 v41, v41, v4, vcc_lo
	v_add_co_u32 v27, vcc_lo, v27, 2
	s_wait_alu 0xfffd
	v_add_co_ci_u32_e64 v28, null, 0, v28, vcc_lo
	s_wait_loadcnt_dscnt 0x0
	v_fma_mix_f32 v39, v41, v40, v39 op_sel_hi:[0,1,0]
	s_cbranch_scc1 .LBB458_82
.LBB458_83:                             ;   in Loop: Header=BB458_66 Depth=2
	s_or_b32 exec_lo, exec_lo, s25
	s_delay_alu instid0(SALU_CYCLE_1)
	s_or_b32 exec_lo, exec_lo, s11
	s_and_saveexec_b32 s6, s1
	s_cbranch_execnz .LBB458_69
	s_branch .LBB458_70
.LBB458_84:                             ;   in Loop: Header=BB458_66 Depth=2
	ds_load_b32 v27, v29
	s_wait_alu 0xfffe
	s_or_b32 exec_lo, exec_lo, s6
	s_and_saveexec_b32 s6, s1
	s_cbranch_execz .LBB458_74
.LBB458_85:                             ;   in Loop: Header=BB458_66 Depth=2
	s_wait_dscnt 0x0
	ds_bpermute_b32 v28, v36, v27
	s_wait_dscnt 0x0
	v_add_f32_e32 v27, v27, v28
	ds_bpermute_b32 v28, v37, v27
	s_wait_dscnt 0x0
	v_add_f32_e32 v27, v27, v28
	;; [unrolled: 3-line block ×3, first 2 shown]
	s_wait_alu 0xfffe
	s_or_b32 exec_lo, exec_lo, s6
	s_and_saveexec_b32 s6, s0
	s_cbranch_execz .LBB458_65
.LBB458_86:                             ;   in Loop: Header=BB458_66 Depth=2
	s_mul_u64 s[56:57], s[36:37], s[28:29]
	s_wait_dscnt 0x0
	v_mul_f32_e32 v27, v32, v27
	s_wait_alu 0xfffe
	s_lshl_b64 s[56:57], s[56:57], 2
	s_wait_alu 0xfffe
	s_add_nc_u64 s[56:57], s[8:9], s[56:57]
	global_store_b32 v0, v27, s[56:57]
	s_branch .LBB458_65
.LBB458_87:
	s_endpgm
	.section	.rodata,"a",@progbits
	.p2align	6, 0x0
	.amdhsa_kernel _ZL23rocblas_gemvt_sn_kernelILb1ELi256ELi4EiPKDF16_PKffEviiT4_lPKT3_lilS7_lilPT5_i
		.amdhsa_group_segment_fixed_size 128
		.amdhsa_private_segment_fixed_size 0
		.amdhsa_kernarg_size 360
		.amdhsa_user_sgpr_count 2
		.amdhsa_user_sgpr_dispatch_ptr 0
		.amdhsa_user_sgpr_queue_ptr 0
		.amdhsa_user_sgpr_kernarg_segment_ptr 1
		.amdhsa_user_sgpr_dispatch_id 0
		.amdhsa_user_sgpr_private_segment_size 0
		.amdhsa_wavefront_size32 1
		.amdhsa_uses_dynamic_stack 0
		.amdhsa_enable_private_segment 0
		.amdhsa_system_sgpr_workgroup_id_x 1
		.amdhsa_system_sgpr_workgroup_id_y 0
		.amdhsa_system_sgpr_workgroup_id_z 1
		.amdhsa_system_sgpr_workgroup_info 0
		.amdhsa_system_vgpr_workitem_id 0
		.amdhsa_next_free_vgpr 51
		.amdhsa_next_free_sgpr 74
		.amdhsa_reserve_vcc 1
		.amdhsa_float_round_mode_32 0
		.amdhsa_float_round_mode_16_64 0
		.amdhsa_float_denorm_mode_32 3
		.amdhsa_float_denorm_mode_16_64 3
		.amdhsa_fp16_overflow 0
		.amdhsa_workgroup_processor_mode 1
		.amdhsa_memory_ordered 1
		.amdhsa_forward_progress 1
		.amdhsa_inst_pref_size 37
		.amdhsa_round_robin_scheduling 0
		.amdhsa_exception_fp_ieee_invalid_op 0
		.amdhsa_exception_fp_denorm_src 0
		.amdhsa_exception_fp_ieee_div_zero 0
		.amdhsa_exception_fp_ieee_overflow 0
		.amdhsa_exception_fp_ieee_underflow 0
		.amdhsa_exception_fp_ieee_inexact 0
		.amdhsa_exception_int_div_zero 0
	.end_amdhsa_kernel
	.section	.text._ZL23rocblas_gemvt_sn_kernelILb1ELi256ELi4EiPKDF16_PKffEviiT4_lPKT3_lilS7_lilPT5_i,"axG",@progbits,_ZL23rocblas_gemvt_sn_kernelILb1ELi256ELi4EiPKDF16_PKffEviiT4_lPKT3_lilS7_lilPT5_i,comdat
.Lfunc_end458:
	.size	_ZL23rocblas_gemvt_sn_kernelILb1ELi256ELi4EiPKDF16_PKffEviiT4_lPKT3_lilS7_lilPT5_i, .Lfunc_end458-_ZL23rocblas_gemvt_sn_kernelILb1ELi256ELi4EiPKDF16_PKffEviiT4_lPKT3_lilS7_lilPT5_i
                                        ; -- End function
	.set _ZL23rocblas_gemvt_sn_kernelILb1ELi256ELi4EiPKDF16_PKffEviiT4_lPKT3_lilS7_lilPT5_i.num_vgpr, 51
	.set _ZL23rocblas_gemvt_sn_kernelILb1ELi256ELi4EiPKDF16_PKffEviiT4_lPKT3_lilS7_lilPT5_i.num_agpr, 0
	.set _ZL23rocblas_gemvt_sn_kernelILb1ELi256ELi4EiPKDF16_PKffEviiT4_lPKT3_lilS7_lilPT5_i.numbered_sgpr, 74
	.set _ZL23rocblas_gemvt_sn_kernelILb1ELi256ELi4EiPKDF16_PKffEviiT4_lPKT3_lilS7_lilPT5_i.num_named_barrier, 0
	.set _ZL23rocblas_gemvt_sn_kernelILb1ELi256ELi4EiPKDF16_PKffEviiT4_lPKT3_lilS7_lilPT5_i.private_seg_size, 0
	.set _ZL23rocblas_gemvt_sn_kernelILb1ELi256ELi4EiPKDF16_PKffEviiT4_lPKT3_lilS7_lilPT5_i.uses_vcc, 1
	.set _ZL23rocblas_gemvt_sn_kernelILb1ELi256ELi4EiPKDF16_PKffEviiT4_lPKT3_lilS7_lilPT5_i.uses_flat_scratch, 1
	.set _ZL23rocblas_gemvt_sn_kernelILb1ELi256ELi4EiPKDF16_PKffEviiT4_lPKT3_lilS7_lilPT5_i.has_dyn_sized_stack, 0
	.set _ZL23rocblas_gemvt_sn_kernelILb1ELi256ELi4EiPKDF16_PKffEviiT4_lPKT3_lilS7_lilPT5_i.has_recursion, 0
	.set _ZL23rocblas_gemvt_sn_kernelILb1ELi256ELi4EiPKDF16_PKffEviiT4_lPKT3_lilS7_lilPT5_i.has_indirect_call, 0
	.section	.AMDGPU.csdata,"",@progbits
; Kernel info:
; codeLenInByte = 4692
; TotalNumSgprs: 76
; NumVgprs: 51
; ScratchSize: 0
; MemoryBound: 0
; FloatMode: 240
; IeeeMode: 1
; LDSByteSize: 128 bytes/workgroup (compile time only)
; SGPRBlocks: 0
; VGPRBlocks: 6
; NumSGPRsForWavesPerEU: 76
; NumVGPRsForWavesPerEU: 51
; Occupancy: 16
; WaveLimiterHint : 0
; COMPUTE_PGM_RSRC2:SCRATCH_EN: 0
; COMPUTE_PGM_RSRC2:USER_SGPR: 2
; COMPUTE_PGM_RSRC2:TRAP_HANDLER: 0
; COMPUTE_PGM_RSRC2:TGID_X_EN: 1
; COMPUTE_PGM_RSRC2:TGID_Y_EN: 0
; COMPUTE_PGM_RSRC2:TGID_Z_EN: 1
; COMPUTE_PGM_RSRC2:TIDIG_COMP_CNT: 0
	.section	.text._ZL23rocblas_gemvt_sn_kernelILb1ELi256ELi4ElPKDF16_PKffEviiT4_lPKT3_lilS7_lilPT5_i,"axG",@progbits,_ZL23rocblas_gemvt_sn_kernelILb1ELi256ELi4ElPKDF16_PKffEviiT4_lPKT3_lilS7_lilPT5_i,comdat
	.globl	_ZL23rocblas_gemvt_sn_kernelILb1ELi256ELi4ElPKDF16_PKffEviiT4_lPKT3_lilS7_lilPT5_i ; -- Begin function _ZL23rocblas_gemvt_sn_kernelILb1ELi256ELi4ElPKDF16_PKffEviiT4_lPKT3_lilS7_lilPT5_i
	.p2align	8
	.type	_ZL23rocblas_gemvt_sn_kernelILb1ELi256ELi4ElPKDF16_PKffEviiT4_lPKT3_lilS7_lilPT5_i,@function
_ZL23rocblas_gemvt_sn_kernelILb1ELi256ELi4ElPKDF16_PKffEviiT4_lPKT3_lilS7_lilPT5_i: ; @_ZL23rocblas_gemvt_sn_kernelILb1ELi256ELi4ElPKDF16_PKffEviiT4_lPKT3_lilS7_lilPT5_i
; %bb.0:
	s_load_b32 s33, s[0:1], 0x60
	s_lshr_b32 s10, ttmp7, 16
	s_wait_kmcnt 0x0
	s_cmp_ge_u32 s10, s33
	s_cbranch_scc1 .LBB459_87
; %bb.1:
	s_clause 0x6
	s_load_b32 s26, s[0:1], 0x28
	s_load_b32 s6, s[0:1], 0x48
	s_load_b64 s[28:29], s[0:1], 0x0
	s_load_b32 s30, s[0:1], 0x68
	s_load_b256 s[12:19], s[0:1], 0x8
	s_load_b128 s[20:23], s[0:1], 0x38
	s_load_b64 s[34:35], s[0:1], 0x58
	s_mov_b32 s25, 0
	v_cmp_eq_u32_e64 s0, 0, v0
	s_mov_b32 s31, s25
	v_and_b32_e32 v3, 31, v0
	v_cmp_gt_u32_e64 s5, 8, v0
	v_mbcnt_lo_u32_b32 v33, -1, 0
	s_mov_b32 s24, ttmp9
	s_delay_alu instid0(VALU_DEP_1)
	v_lshl_or_b32 v34, v33, 2, 64
	s_wait_kmcnt 0x0
	s_ashr_i32 s27, s26, 31
	s_ashr_i32 s7, s6, 31
	;; [unrolled: 1-line block ×3, first 2 shown]
	s_mov_b32 s2, s29
	s_cmp_gt_i32 s29, 0
	s_mul_u64 s[36:37], s[2:3], s[30:31]
	s_cselect_b32 s1, -1, 0
	s_lshl_b32 s2, ttmp9, 10
	s_ashr_i32 s4, s28, 31
	v_lshl_or_b32 v1, v0, 2, s2
	s_and_b32 s58, s0, s1
	s_lshr_b32 s1, s4, 30
	s_lshr_b32 s3, s3, 30
	s_add_co_i32 s1, s28, s1
	v_add_nc_u32_e32 v4, 4, v1
	s_and_b32 s1, s1, -4
	s_wait_alu 0xfffe
	s_add_co_i32 s2, s29, s3
	s_sub_co_i32 s60, s28, s1
	v_cmp_gt_u32_e64 s3, 32, v0
	v_add_nc_u32_e32 v5, s60, v1
	v_cmp_ge_i32_e64 s1, s28, v4
	v_lshrrev_b32_e32 v4, 3, v0
	v_or_b32_e32 v0, 1, v1
	s_wait_alu 0xfffe
	s_and_b32 s59, s2, -4
	v_cmp_ge_i32_e64 s2, s28, v5
	v_or_b32_e32 v5, 2, v1
	v_and_b32_e32 v32, 28, v4
	v_mad_co_i64_i32 v[9:10], null, s6, v0, 0
	v_or_b32_e32 v0, 3, v1
	s_delay_alu instid0(VALU_DEP_4) | instskip(SKIP_2) | instid1(VALU_DEP_3)
	v_mad_co_i64_i32 v[11:12], null, s6, v5, 0
	v_ashrrev_i32_e32 v2, 31, v1
	s_cmp_gt_i32 s59, 0
	v_mad_co_i64_i32 v[13:14], null, s6, v0, 0
	v_mov_b32_e32 v0, 0
	v_cmp_eq_u32_e64 s4, 0, v3
	v_lshlrev_b32_e32 v31, 2, v3
	v_mad_co_i64_i32 v[3:4], null, s6, v1, 0
	s_cselect_b32 s61, -1, 0
	s_cmp_gt_i32 s60, 0
	v_lshlrev_b64_e32 v[7:8], 1, v[1:2]
	v_lshlrev_b64_e32 v[9:10], 1, v[9:10]
	;; [unrolled: 1-line block ×5, first 2 shown]
	s_cselect_b32 s62, -1, 0
	s_lshl_b64 s[38:39], s[24:25], 2
	s_lshl_b64 s[42:43], s[36:37], 2
	s_add_nc_u64 s[40:41], s[34:35], s[38:39]
	s_lshl_b64 s[44:45], s[30:31], 2
	s_lshl_b64 s[46:47], s[6:7], 1
	s_mul_u64 s[48:49], s[26:27], 6
	s_lshl_b64 s[50:51], s[26:27], 3
	s_lshl_b64 s[52:53], s[26:27], 2
	;; [unrolled: 1-line block ×5, first 2 shown]
	s_branch .LBB459_3
.LBB459_2:                              ;   in Loop: Header=BB459_3 Depth=1
	s_add_co_i32 s10, s10, 0x10000
	s_delay_alu instid0(SALU_CYCLE_1)
	s_cmp_lt_u32 s10, s33
	s_cbranch_scc0 .LBB459_87
.LBB459_3:                              ; =>This Loop Header: Depth=1
                                        ;     Child Loop BB459_10 Depth 2
                                        ;     Child Loop BB459_16 Depth 2
                                        ;       Child Loop BB459_47 Depth 3
                                        ;       Child Loop BB459_50 Depth 3
                                        ;     Child Loop BB459_66 Depth 2
                                        ;       Child Loop BB459_79 Depth 3
                                        ;       Child Loop BB459_82 Depth 3
	s_mov_b32 s11, s25
	v_mov_b32_e32 v17, 0
	s_mul_u64 s[6:7], s[14:15], s[10:11]
	v_dual_mov_b32 v18, 0 :: v_dual_mov_b32 v1, 0
	s_wait_alu 0xfffe
	s_lshl_b64 s[6:7], s[6:7], 2
	v_mov_b32_e32 v2, 0
	s_wait_alu 0xfffe
	s_add_nc_u64 s[6:7], s[12:13], s[6:7]
	global_load_b32 v35, v0, s[6:7]
	s_wait_loadcnt 0x0
	v_cmp_eq_f32_e64 s6, 0, v35
	v_cmp_neq_f32_e64 s7, 0, v35
	s_wait_alu 0xfffe
	s_and_b32 vcc_lo, exec_lo, s6
	s_wait_alu 0xfffe
	s_cbranch_vccnz .LBB459_5
; %bb.4:                                ;   in Loop: Header=BB459_3 Depth=1
	s_lshl_b64 s[8:9], s[10:11], 3
	s_wait_alu 0xfffe
	s_add_nc_u64 s[8:9], s[16:17], s[8:9]
	global_load_b64 v[1:2], v0, s[8:9]
	s_wait_loadcnt 0x0
	v_add_co_u32 v1, vcc_lo, v1, s18
	s_wait_alu 0xfffd
	v_add_co_ci_u32_e64 v2, null, s19, v2, vcc_lo
.LBB459_5:                              ;   in Loop: Header=BB459_3 Depth=1
	s_and_not1_b32 vcc_lo, exec_lo, s7
	s_wait_alu 0xfffe
	s_cbranch_vccnz .LBB459_7
; %bb.6:                                ;   in Loop: Header=BB459_3 Depth=1
	s_lshl_b64 s[8:9], s[10:11], 3
	s_wait_alu 0xfffe
	s_add_nc_u64 s[8:9], s[20:21], s[8:9]
	global_load_b64 v[3:4], v0, s[8:9]
	s_wait_loadcnt 0x0
	v_add_co_u32 v17, vcc_lo, v3, s22
	s_wait_alu 0xfffd
	v_add_co_ci_u32_e64 v18, null, s23, v4, vcc_lo
.LBB459_7:                              ;   in Loop: Header=BB459_3 Depth=1
	s_and_not1_b32 vcc_lo, exec_lo, s6
	s_mov_b32 s6, -1
	s_wait_alu 0xfffe
	s_cbranch_vccnz .LBB459_12
; %bb.8:                                ;   in Loop: Header=BB459_3 Depth=1
	s_and_saveexec_b32 s8, s58
	s_cbranch_execz .LBB459_11
; %bb.9:                                ;   in Loop: Header=BB459_3 Depth=1
	s_mul_u64 s[6:7], s[42:43], s[10:11]
	s_mov_b32 s9, s29
	s_wait_alu 0xfffe
	s_add_nc_u64 s[6:7], s[40:41], s[6:7]
.LBB459_10:                             ;   Parent Loop BB459_3 Depth=1
                                        ; =>  This Inner Loop Header: Depth=2
	s_add_co_i32 s9, s9, -1
	global_store_b32 v0, v0, s[6:7]
	s_wait_alu 0xfffe
	s_cmp_eq_u32 s9, 0
	s_add_nc_u64 s[6:7], s[6:7], s[44:45]
	s_cbranch_scc0 .LBB459_10
.LBB459_11:                             ;   in Loop: Header=BB459_3 Depth=1
	s_wait_alu 0xfffe
	s_or_b32 exec_lo, exec_lo, s8
	s_mov_b32 s6, 0
.LBB459_12:                             ;   in Loop: Header=BB459_3 Depth=1
	s_wait_alu 0xfffe
	s_and_not1_b32 vcc_lo, exec_lo, s6
	s_wait_alu 0xfffe
	s_cbranch_vccnz .LBB459_2
; %bb.13:                               ;   in Loop: Header=BB459_3 Depth=1
	s_mul_u64 s[6:7], s[36:37], s[10:11]
	v_add_co_u32 v15, vcc_lo, v1, v7
	s_wait_alu 0xfffe
	s_lshl_b64 s[56:57], s[6:7], 2
	s_wait_alu 0xfffd
	v_add_co_ci_u32_e64 v16, null, v2, v8, vcc_lo
	v_cmp_gt_u32_e64 s9, 24, v33
	v_cmp_gt_u32_e64 s8, 28, v33
	;; [unrolled: 1-line block ×3, first 2 shown]
	v_cmp_ne_u32_e64 s6, 31, v33
	s_add_nc_u64 s[56:57], s[34:35], s[56:57]
	s_and_not1_b32 vcc_lo, exec_lo, s61
	s_add_nc_u64 s[56:57], s[56:57], s[38:39]
	s_wait_alu 0xfffe
	s_cbranch_vccnz .LBB459_62
; %bb.14:                               ;   in Loop: Header=BB459_3 Depth=1
	v_cndmask_b32_e64 v3, 0, 2, s7
	v_add_co_u32 v19, vcc_lo, v17, v5
	v_cndmask_b32_e64 v1, 0, 8, s9
	v_cndmask_b32_e64 v2, 0, 4, s8
	v_add_co_ci_u32_e64 v4, null, 0, v33, s6
	v_add_lshl_u32 v38, v3, v33, 2
	s_wait_alu 0xfffd
	v_add_co_ci_u32_e64 v20, null, v18, v6, vcc_lo
	v_add_co_u32 v21, vcc_lo, v17, v9
	v_mov_b32_e32 v3, v0
	s_wait_alu 0xfffd
	v_add_co_ci_u32_e64 v22, null, v18, v10, vcc_lo
	v_add_co_u32 v23, vcc_lo, v17, v11
	v_add_lshl_u32 v36, v1, v33, 2
	v_add_lshl_u32 v37, v2, v33, 2
	v_dual_mov_b32 v2, v0 :: v_dual_lshlrev_b32 v39, 2, v4
	s_wait_alu 0xfffd
	v_add_co_ci_u32_e64 v24, null, v18, v12, vcc_lo
	s_wait_dscnt 0x0
	v_dual_mov_b32 v1, v0 :: v_dual_mov_b32 v28, v16
	v_add_co_u32 v25, vcc_lo, v17, v13
	v_dual_mov_b32 v27, v15 :: v_dual_mov_b32 v4, v3
	s_wait_alu 0xfffd
	v_add_co_ci_u32_e64 v26, null, v18, v14, vcc_lo
	v_mov_b32_e32 v3, v2
	v_mov_b32_e32 v2, v1
	;; [unrolled: 1-line block ×3, first 2 shown]
	s_mov_b32 s24, 0
	s_branch .LBB459_16
.LBB459_15:                             ;   in Loop: Header=BB459_16 Depth=2
	s_wait_alu 0xfffe
	s_or_b32 exec_lo, exec_lo, s6
	v_add_co_u32 v27, vcc_lo, v27, s50
	s_wait_alu 0xfffd
	v_add_co_ci_u32_e64 v28, null, s51, v28, vcc_lo
	s_add_co_i32 s24, s24, 4
	s_wait_alu 0xfffe
	s_cmp_ge_i32 s24, s59
	s_cbranch_scc1 .LBB459_63
.LBB459_16:                             ;   Parent Loop BB459_3 Depth=1
                                        ; =>  This Loop Header: Depth=2
                                        ;       Child Loop BB459_47 Depth 3
                                        ;       Child Loop BB459_50 Depth 3
                                        ; implicit-def: $vgpr40
                                        ; implicit-def: $vgpr41
                                        ; implicit-def: $vgpr42
                                        ; implicit-def: $vgpr43
	s_and_saveexec_b32 s6, s1
	s_wait_alu 0xfffe
	s_xor_b32 s6, exec_lo, s6
	s_cbranch_execnz .LBB459_43
; %bb.17:                               ;   in Loop: Header=BB459_16 Depth=2
	s_wait_alu 0xfffe
	s_and_not1_saveexec_b32 s11, s6
	s_cbranch_execnz .LBB459_44
.LBB459_18:                             ;   in Loop: Header=BB459_16 Depth=2
	s_or_b32 exec_lo, exec_lo, s11
	s_and_saveexec_b32 s6, s3
.LBB459_19:                             ;   in Loop: Header=BB459_16 Depth=2
	ds_store_b32 v31, v0
.LBB459_20:                             ;   in Loop: Header=BB459_16 Depth=2
	s_wait_alu 0xfffe
	s_or_b32 exec_lo, exec_lo, s6
	ds_bpermute_b32 v29, v34, v43
	s_wait_storecnt_dscnt 0x0
	s_barrier_signal -1
	s_barrier_wait -1
	global_inv scope:SCOPE_SE
	v_add_f32_e32 v29, v43, v29
	ds_bpermute_b32 v30, v36, v29
	s_wait_dscnt 0x0
	v_add_f32_e32 v29, v29, v30
	ds_bpermute_b32 v30, v37, v29
	s_wait_dscnt 0x0
	;; [unrolled: 3-line block ×3, first 2 shown]
	v_add_f32_e32 v29, v29, v30
	ds_bpermute_b32 v30, v39, v29
	s_and_saveexec_b32 s6, s4
	s_cbranch_execz .LBB459_22
; %bb.21:                               ;   in Loop: Header=BB459_16 Depth=2
	s_wait_dscnt 0x0
	v_add_f32_e32 v29, v29, v30
	ds_store_b32 v32, v29
.LBB459_22:                             ;   in Loop: Header=BB459_16 Depth=2
	s_wait_alu 0xfffe
	s_or_b32 exec_lo, exec_lo, s6
	v_mov_b32_e32 v29, 0
	s_wait_loadcnt_dscnt 0x0
	s_barrier_signal -1
	s_barrier_wait -1
	global_inv scope:SCOPE_SE
	s_and_saveexec_b32 s6, s5
	s_cbranch_execnz .LBB459_51
; %bb.23:                               ;   in Loop: Header=BB459_16 Depth=2
	s_wait_alu 0xfffe
	s_or_b32 exec_lo, exec_lo, s6
	s_and_saveexec_b32 s6, s3
	s_cbranch_execnz .LBB459_52
.LBB459_24:                             ;   in Loop: Header=BB459_16 Depth=2
	s_wait_alu 0xfffe
	s_or_b32 exec_lo, exec_lo, s6
	s_and_saveexec_b32 s6, s3
.LBB459_25:                             ;   in Loop: Header=BB459_16 Depth=2
	ds_store_b32 v31, v0
.LBB459_26:                             ;   in Loop: Header=BB459_16 Depth=2
	s_wait_alu 0xfffe
	s_or_b32 exec_lo, exec_lo, s6
	ds_bpermute_b32 v30, v34, v42
	s_wait_loadcnt_dscnt 0x0
	s_barrier_signal -1
	s_barrier_wait -1
	global_inv scope:SCOPE_SE
	v_add_f32_e32 v30, v42, v30
	ds_bpermute_b32 v42, v36, v30
	s_wait_dscnt 0x0
	v_add_f32_e32 v30, v30, v42
	ds_bpermute_b32 v42, v37, v30
	s_wait_dscnt 0x0
	;; [unrolled: 3-line block ×3, first 2 shown]
	v_add_f32_e32 v30, v30, v42
	ds_bpermute_b32 v42, v39, v30
	s_and_saveexec_b32 s6, s4
	s_cbranch_execz .LBB459_28
; %bb.27:                               ;   in Loop: Header=BB459_16 Depth=2
	s_wait_dscnt 0x0
	v_add_f32_e32 v30, v30, v42
	ds_store_b32 v32, v30
.LBB459_28:                             ;   in Loop: Header=BB459_16 Depth=2
	s_wait_alu 0xfffe
	s_or_b32 exec_lo, exec_lo, s6
	v_mov_b32_e32 v30, 0
	s_wait_loadcnt_dscnt 0x0
	s_barrier_signal -1
	s_barrier_wait -1
	global_inv scope:SCOPE_SE
	s_and_saveexec_b32 s6, s5
	s_cbranch_execnz .LBB459_53
; %bb.29:                               ;   in Loop: Header=BB459_16 Depth=2
	s_wait_alu 0xfffe
	s_or_b32 exec_lo, exec_lo, s6
	s_and_saveexec_b32 s6, s3
	s_cbranch_execnz .LBB459_54
.LBB459_30:                             ;   in Loop: Header=BB459_16 Depth=2
	s_wait_alu 0xfffe
	s_or_b32 exec_lo, exec_lo, s6
	s_and_saveexec_b32 s6, s3
.LBB459_31:                             ;   in Loop: Header=BB459_16 Depth=2
	ds_store_b32 v31, v0
.LBB459_32:                             ;   in Loop: Header=BB459_16 Depth=2
	s_wait_alu 0xfffe
	s_or_b32 exec_lo, exec_lo, s6
	ds_bpermute_b32 v42, v34, v41
	s_wait_loadcnt_dscnt 0x0
	s_barrier_signal -1
	s_barrier_wait -1
	global_inv scope:SCOPE_SE
	v_add_f32_e32 v41, v41, v42
	ds_bpermute_b32 v42, v36, v41
	s_wait_dscnt 0x0
	v_add_f32_e32 v41, v41, v42
	ds_bpermute_b32 v42, v37, v41
	s_wait_dscnt 0x0
	;; [unrolled: 3-line block ×3, first 2 shown]
	v_add_f32_e32 v41, v41, v42
	ds_bpermute_b32 v42, v39, v41
	s_and_saveexec_b32 s6, s4
	s_cbranch_execz .LBB459_34
; %bb.33:                               ;   in Loop: Header=BB459_16 Depth=2
	s_wait_dscnt 0x0
	v_add_f32_e32 v41, v41, v42
	ds_store_b32 v32, v41
.LBB459_34:                             ;   in Loop: Header=BB459_16 Depth=2
	s_wait_alu 0xfffe
	s_or_b32 exec_lo, exec_lo, s6
	v_mov_b32_e32 v41, 0
	s_wait_loadcnt_dscnt 0x0
	s_barrier_signal -1
	s_barrier_wait -1
	global_inv scope:SCOPE_SE
	s_and_saveexec_b32 s6, s5
	s_cbranch_execnz .LBB459_55
; %bb.35:                               ;   in Loop: Header=BB459_16 Depth=2
	s_wait_alu 0xfffe
	s_or_b32 exec_lo, exec_lo, s6
	s_and_saveexec_b32 s6, s3
	s_cbranch_execnz .LBB459_56
.LBB459_36:                             ;   in Loop: Header=BB459_16 Depth=2
	s_wait_alu 0xfffe
	s_or_b32 exec_lo, exec_lo, s6
	s_and_saveexec_b32 s6, s3
.LBB459_37:                             ;   in Loop: Header=BB459_16 Depth=2
	ds_store_b32 v31, v0
.LBB459_38:                             ;   in Loop: Header=BB459_16 Depth=2
	s_wait_alu 0xfffe
	s_or_b32 exec_lo, exec_lo, s6
	ds_bpermute_b32 v42, v34, v40
	s_wait_loadcnt_dscnt 0x0
	s_barrier_signal -1
	s_barrier_wait -1
	global_inv scope:SCOPE_SE
	v_add_f32_e32 v40, v40, v42
	ds_bpermute_b32 v42, v36, v40
	s_wait_dscnt 0x0
	v_add_f32_e32 v40, v40, v42
	ds_bpermute_b32 v42, v37, v40
	s_wait_dscnt 0x0
	;; [unrolled: 3-line block ×3, first 2 shown]
	v_add_f32_e32 v40, v40, v42
	ds_bpermute_b32 v42, v39, v40
	s_and_saveexec_b32 s6, s4
	s_cbranch_execz .LBB459_40
; %bb.39:                               ;   in Loop: Header=BB459_16 Depth=2
	s_wait_dscnt 0x0
	v_add_f32_e32 v40, v40, v42
	ds_store_b32 v32, v40
.LBB459_40:                             ;   in Loop: Header=BB459_16 Depth=2
	s_wait_alu 0xfffe
	s_or_b32 exec_lo, exec_lo, s6
	v_mov_b32_e32 v40, 0
	s_wait_loadcnt_dscnt 0x0
	s_barrier_signal -1
	s_barrier_wait -1
	global_inv scope:SCOPE_SE
	s_and_saveexec_b32 s6, s5
	s_cbranch_execnz .LBB459_57
; %bb.41:                               ;   in Loop: Header=BB459_16 Depth=2
	s_wait_alu 0xfffe
	s_or_b32 exec_lo, exec_lo, s6
	s_and_saveexec_b32 s6, s3
	s_cbranch_execnz .LBB459_58
.LBB459_42:                             ;   in Loop: Header=BB459_16 Depth=2
	s_wait_alu 0xfffe
	s_or_b32 exec_lo, exec_lo, s6
	s_and_saveexec_b32 s6, s0
	s_cbranch_execz .LBB459_15
	s_branch .LBB459_59
.LBB459_43:                             ;   in Loop: Header=BB459_16 Depth=2
	s_mul_u64 s[8:9], s[24:25], s[26:27]
	s_or_b32 s64, s24, 1
	s_mov_b32 s65, s25
	s_wait_alu 0xfffe
	s_lshl_b64 s[8:9], s[8:9], 1
	s_mul_u64 s[64:65], s[64:65], s[26:27]
	s_wait_alu 0xfffe
	v_add_co_u32 v1, vcc_lo, v15, s8
	s_wait_alu 0xfffd
	v_add_co_ci_u32_e64 v2, null, s9, v16, vcc_lo
	s_lshl_b64 s[8:9], s[64:65], 1
	s_or_b32 s64, s24, 2
	s_mov_b32 s65, s25
	s_wait_alu 0xfffe
	v_add_co_u32 v3, vcc_lo, v15, s8
	s_wait_alu 0xfffd
	v_add_co_ci_u32_e64 v4, null, s9, v16, vcc_lo
	s_mul_u64 s[8:9], s[64:65], s[26:27]
	s_or_b32 s64, s24, 3
	s_wait_alu 0xfffe
	s_lshl_b64 s[8:9], s[8:9], 1
	s_mul_u64 s[64:65], s[64:65], s[26:27]
	s_wait_alu 0xfffe
	v_add_co_u32 v29, vcc_lo, v15, s8
	s_wait_alu 0xfffd
	v_add_co_ci_u32_e64 v30, null, s9, v16, vcc_lo
	s_lshl_b64 s[8:9], s[64:65], 1
	s_wait_dscnt 0x0
	s_wait_alu 0xfffe
	v_add_co_u32 v40, vcc_lo, v15, s8
	s_wait_alu 0xfffd
	v_add_co_ci_u32_e64 v41, null, s9, v16, vcc_lo
	flat_load_u16 v48, v[19:20]
	s_clause 0x3
	flat_load_b64 v[42:43], v[1:2]
	flat_load_b64 v[44:45], v[3:4]
	;; [unrolled: 1-line block ×4, first 2 shown]
	s_clause 0x2
	flat_load_u16 v3, v[21:22]
	flat_load_u16 v4, v[23:24]
	;; [unrolled: 1-line block ×3, first 2 shown]
	s_wait_loadcnt_dscnt 0x707
	v_cvt_f32_f16_e32 v1, v48
	s_wait_loadcnt_dscnt 0x606
	v_fma_mix_f32 v41, v48, v42, 0 op_sel_hi:[1,1,0]
	s_wait_loadcnt_dscnt 0x505
	v_fma_mix_f32 v49, v48, v44, 0 op_sel_hi:[1,1,0]
	;; [unrolled: 2-line block ×4, first 2 shown]
	s_wait_loadcnt_dscnt 0x202
	v_cvt_f32_f16_e32 v2, v3
	v_fma_mix_f32 v41, v3, v42, v41 op_sel:[0,1,0] op_sel_hi:[1,1,0]
	v_fma_mix_f32 v42, v3, v44, v49 op_sel:[0,1,0] op_sel_hi:[1,1,0]
	;; [unrolled: 1-line block ×4, first 2 shown]
	s_wait_loadcnt_dscnt 0x101
	v_cvt_f32_f16_e32 v3, v4
	v_fma_mix_f32 v41, v4, v43, v41 op_sel_hi:[1,1,0]
	v_fma_mix_f32 v42, v4, v45, v42 op_sel_hi:[1,1,0]
	;; [unrolled: 1-line block ×4, first 2 shown]
	s_wait_loadcnt_dscnt 0x0
	v_cvt_f32_f16_e32 v4, v40
	v_fma_mix_f32 v43, v40, v43, v41 op_sel:[0,1,0] op_sel_hi:[1,1,0]
	v_fma_mix_f32 v42, v40, v45, v42 op_sel:[0,1,0] op_sel_hi:[1,1,0]
	;; [unrolled: 1-line block ×4, first 2 shown]
	s_and_not1_saveexec_b32 s11, s6
	s_cbranch_execz .LBB459_18
.LBB459_44:                             ;   in Loop: Header=BB459_16 Depth=2
	s_wait_dscnt 0x0
	v_dual_mov_b32 v40, 0 :: v_dual_mov_b32 v41, 0
	v_dual_mov_b32 v42, 0 :: v_dual_mov_b32 v43, 0
	s_and_saveexec_b32 s28, s2
	s_cbranch_execz .LBB459_61
; %bb.45:                               ;   in Loop: Header=BB459_16 Depth=2
	s_and_not1_b32 vcc_lo, exec_lo, s62
	s_wait_alu 0xfffe
	s_cbranch_vccnz .LBB459_48
; %bb.46:                               ;   in Loop: Header=BB459_16 Depth=2
	v_dual_mov_b32 v30, v20 :: v_dual_mov_b32 v29, v19
	s_mov_b64 s[8:9], 0
.LBB459_47:                             ;   Parent Loop BB459_3 Depth=1
                                        ;     Parent Loop BB459_16 Depth=2
                                        ; =>    This Inner Loop Header: Depth=3
	flat_load_u16 v40, v[29:30]
	s_wait_alu 0xfffe
	s_cmp_eq_u32 s8, 3
	v_add_co_u32 v29, vcc_lo, v29, s46
	s_wait_alu 0xfffd
	v_add_co_ci_u32_e64 v30, null, s47, v30, vcc_lo
	s_cselect_b32 vcc_lo, -1, 0
	s_cmp_eq_u32 s8, 2
	s_cselect_b32 s6, -1, 0
	s_cmp_eq_u32 s8, 1
	s_cselect_b32 s7, -1, 0
	s_cmp_eq_u32 s8, 0
	s_add_nc_u64 s[8:9], s[8:9], 1
	s_wait_loadcnt_dscnt 0x0
	v_cvt_f32_f16_e32 v40, v40
	s_wait_alu 0xfffe
	s_delay_alu instid0(VALU_DEP_1)
	v_cndmask_b32_e32 v4, v4, v40, vcc_lo
	s_cselect_b32 vcc_lo, -1, 0
	v_cndmask_b32_e64 v3, v3, v40, s6
	v_cndmask_b32_e64 v2, v2, v40, s7
	s_wait_alu 0xfffe
	v_cndmask_b32_e32 v1, v1, v40, vcc_lo
	s_cmp_eq_u32 s60, s8
	s_cbranch_scc0 .LBB459_47
.LBB459_48:                             ;   in Loop: Header=BB459_16 Depth=2
	s_and_not1_b32 vcc_lo, exec_lo, s62
	s_wait_alu 0xfffe
	s_cbranch_vccnz .LBB459_60
; %bb.49:                               ;   in Loop: Header=BB459_16 Depth=2
	v_dual_mov_b32 v43, 0 :: v_dual_mov_b32 v30, v28
	v_dual_mov_b32 v29, v27 :: v_dual_mov_b32 v42, 0
	;; [unrolled: 1-line block ×3, first 2 shown]
	s_mov_b64 s[8:9], 0
.LBB459_50:                             ;   Parent Loop BB459_3 Depth=1
                                        ;     Parent Loop BB459_16 Depth=2
                                        ; =>    This Inner Loop Header: Depth=3
	s_delay_alu instid0(VALU_DEP_2)
	v_add_co_u32 v44, vcc_lo, v29, s54
	s_wait_alu 0xfffd
	v_add_co_ci_u32_e64 v45, null, s55, v30, vcc_lo
	v_add_co_u32 v46, vcc_lo, v29, s52
	s_wait_alu 0xfffd
	v_add_co_ci_u32_e64 v47, null, s53, v30, vcc_lo
	;; [unrolled: 3-line block ×3, first 2 shown]
	s_clause 0x3
	flat_load_u16 v50, v[29:30]
	flat_load_u16 v44, v[44:45]
	;; [unrolled: 1-line block ×4, first 2 shown]
	s_wait_alu 0xfffe
	s_cmp_eq_u32 s8, 1
	v_add_co_u32 v29, s6, v29, 2
	s_cselect_b32 vcc_lo, -1, 0
	s_cmp_eq_u32 s8, 2
	s_wait_alu 0xfffe
	v_cndmask_b32_e32 v47, v1, v2, vcc_lo
	s_cselect_b32 vcc_lo, -1, 0
	s_cmp_eq_u32 s8, 3
	v_add_co_ci_u32_e64 v30, null, 0, v30, s6
	s_wait_alu 0xfffe
	v_cndmask_b32_e32 v47, v47, v3, vcc_lo
	s_cselect_b32 vcc_lo, -1, 0
	s_add_nc_u64 s[8:9], s[8:9], 1
	s_wait_alu 0xfffe
	s_cmp_lg_u32 s60, s8
	v_cndmask_b32_e32 v47, v47, v4, vcc_lo
	s_wait_loadcnt_dscnt 0x303
	s_delay_alu instid0(VALU_DEP_1)
	v_fma_mix_f32 v43, v47, v50, v43 op_sel_hi:[0,1,0]
	s_wait_loadcnt_dscnt 0x202
	v_fma_mix_f32 v42, v47, v44, v42 op_sel_hi:[0,1,0]
	s_wait_loadcnt_dscnt 0x101
	;; [unrolled: 2-line block ×3, first 2 shown]
	v_fma_mix_f32 v40, v47, v46, v40 op_sel_hi:[0,1,0]
	s_cbranch_scc1 .LBB459_50
	s_branch .LBB459_61
.LBB459_51:                             ;   in Loop: Header=BB459_16 Depth=2
	ds_load_b32 v29, v31
	s_wait_alu 0xfffe
	s_or_b32 exec_lo, exec_lo, s6
	s_and_saveexec_b32 s6, s3
	s_cbranch_execz .LBB459_24
.LBB459_52:                             ;   in Loop: Header=BB459_16 Depth=2
	s_wait_dscnt 0x0
	ds_bpermute_b32 v30, v37, v29
	s_wait_dscnt 0x0
	v_add_f32_e32 v29, v29, v30
	ds_bpermute_b32 v30, v38, v29
	s_wait_dscnt 0x0
	v_add_f32_e32 v29, v29, v30
	;; [unrolled: 3-line block ×3, first 2 shown]
	s_wait_alu 0xfffe
	s_or_b32 exec_lo, exec_lo, s6
	s_and_saveexec_b32 s6, s3
	s_cbranch_execnz .LBB459_25
	s_branch .LBB459_26
.LBB459_53:                             ;   in Loop: Header=BB459_16 Depth=2
	ds_load_b32 v30, v31
	s_wait_alu 0xfffe
	s_or_b32 exec_lo, exec_lo, s6
	s_and_saveexec_b32 s6, s3
	s_cbranch_execz .LBB459_30
.LBB459_54:                             ;   in Loop: Header=BB459_16 Depth=2
	s_wait_dscnt 0x0
	ds_bpermute_b32 v42, v37, v30
	s_wait_dscnt 0x0
	v_add_f32_e32 v30, v30, v42
	ds_bpermute_b32 v42, v38, v30
	s_wait_dscnt 0x0
	v_add_f32_e32 v30, v30, v42
	ds_bpermute_b32 v42, v39, v30
	s_wait_dscnt 0x0
	v_add_f32_e32 v30, v30, v42
	s_wait_alu 0xfffe
	s_or_b32 exec_lo, exec_lo, s6
	s_and_saveexec_b32 s6, s3
	s_cbranch_execnz .LBB459_31
	s_branch .LBB459_32
.LBB459_55:                             ;   in Loop: Header=BB459_16 Depth=2
	ds_load_b32 v41, v31
	s_wait_alu 0xfffe
	s_or_b32 exec_lo, exec_lo, s6
	s_and_saveexec_b32 s6, s3
	s_cbranch_execz .LBB459_36
.LBB459_56:                             ;   in Loop: Header=BB459_16 Depth=2
	s_wait_dscnt 0x0
	ds_bpermute_b32 v42, v37, v41
	s_wait_dscnt 0x0
	v_add_f32_e32 v41, v41, v42
	ds_bpermute_b32 v42, v38, v41
	s_wait_dscnt 0x0
	v_add_f32_e32 v41, v41, v42
	;; [unrolled: 3-line block ×3, first 2 shown]
	s_wait_alu 0xfffe
	s_or_b32 exec_lo, exec_lo, s6
	s_and_saveexec_b32 s6, s3
	s_cbranch_execnz .LBB459_37
	s_branch .LBB459_38
.LBB459_57:                             ;   in Loop: Header=BB459_16 Depth=2
	ds_load_b32 v40, v31
	s_wait_alu 0xfffe
	s_or_b32 exec_lo, exec_lo, s6
	s_and_saveexec_b32 s6, s3
	s_cbranch_execz .LBB459_42
.LBB459_58:                             ;   in Loop: Header=BB459_16 Depth=2
	s_wait_dscnt 0x0
	ds_bpermute_b32 v42, v37, v40
	s_wait_dscnt 0x0
	v_add_f32_e32 v40, v40, v42
	ds_bpermute_b32 v42, v38, v40
	s_wait_dscnt 0x0
	v_add_f32_e32 v40, v40, v42
	ds_bpermute_b32 v42, v39, v40
	s_wait_dscnt 0x0
	v_add_f32_e32 v40, v40, v42
	s_wait_alu 0xfffe
	s_or_b32 exec_lo, exec_lo, s6
	s_and_saveexec_b32 s6, s0
	s_cbranch_execz .LBB459_15
.LBB459_59:                             ;   in Loop: Header=BB459_16 Depth=2
	s_mul_u64 s[8:9], s[24:25], s[30:31]
	v_mul_f32_e32 v29, v35, v29
	s_or_b32 s64, s24, 1
	s_mov_b32 s65, s25
	s_wait_alu 0xfffe
	s_lshl_b64 s[8:9], s[8:9], 2
	s_mul_u64 s[64:65], s[64:65], s[30:31]
	s_wait_alu 0xfffe
	s_add_nc_u64 s[8:9], s[56:57], s[8:9]
	v_mul_f32_e32 v30, v35, v30
	s_or_b32 s66, s24, 2
	s_mov_b32 s67, s25
	global_store_b32 v0, v29, s[8:9]
	s_lshl_b64 s[8:9], s[64:65], 2
	s_mul_u64 s[64:65], s[66:67], s[30:31]
	s_or_b32 s66, s24, 3
	s_wait_alu 0xfffe
	s_add_nc_u64 s[8:9], s[56:57], s[8:9]
	s_mul_u64 s[66:67], s[66:67], s[30:31]
	v_mul_f32_e32 v29, v35, v41
	global_store_b32 v0, v30, s[8:9]
	s_lshl_b64 s[8:9], s[64:65], 2
	s_wait_dscnt 0x0
	v_mul_f32_e32 v30, v35, v40
	s_lshl_b64 s[64:65], s[66:67], 2
	s_wait_alu 0xfffe
	s_add_nc_u64 s[8:9], s[56:57], s[8:9]
	s_add_nc_u64 s[64:65], s[56:57], s[64:65]
	s_clause 0x1
	global_store_b32 v0, v29, s[8:9]
	global_store_b32 v0, v30, s[64:65]
	s_branch .LBB459_15
.LBB459_60:                             ;   in Loop: Header=BB459_16 Depth=2
	v_dual_mov_b32 v40, 0 :: v_dual_mov_b32 v41, 0
	v_dual_mov_b32 v42, 0 :: v_dual_mov_b32 v43, 0
.LBB459_61:                             ;   in Loop: Header=BB459_16 Depth=2
	s_wait_alu 0xfffe
	s_or_b32 exec_lo, exec_lo, s28
	s_delay_alu instid0(SALU_CYCLE_1)
	s_or_b32 exec_lo, exec_lo, s11
	s_and_saveexec_b32 s6, s3
	s_cbranch_execnz .LBB459_19
	s_branch .LBB459_20
.LBB459_62:                             ;   in Loop: Header=BB459_3 Depth=1
	v_mov_b32_e32 v3, v0
	v_dual_mov_b32 v1, v0 :: v_dual_mov_b32 v2, v0
	s_mov_b32 s24, 0
	s_delay_alu instid0(VALU_DEP_2) | instskip(NEXT) | instid1(VALU_DEP_2)
	v_mov_b32_e32 v4, v3
	v_mov_b32_e32 v3, v2
	s_delay_alu instid0(VALU_DEP_3)
	v_mov_b32_e32 v2, v1
	v_mov_b32_e32 v1, v0
.LBB459_63:                             ;   in Loop: Header=BB459_3 Depth=1
	s_wait_alu 0xfffe
	s_cmp_ge_i32 s24, s29
	s_cbranch_scc1 .LBB459_2
; %bb.64:                               ;   in Loop: Header=BB459_3 Depth=1
	v_cmp_gt_u32_e32 vcc_lo, 24, v33
	s_wait_alu 0xfffd
	v_cndmask_b32_e64 v19, 0, 8, vcc_lo
	v_cmp_gt_u32_e32 vcc_lo, 28, v33
	s_delay_alu instid0(VALU_DEP_2) | instskip(SKIP_4) | instid1(VALU_DEP_3)
	v_add_lshl_u32 v29, v19, v33, 2
	s_wait_alu 0xfffd
	v_cndmask_b32_e64 v21, 0, 4, vcc_lo
	v_cmp_gt_u32_e32 vcc_lo, 30, v33
	v_mad_co_u64_u32 v[19:20], null, s54, s24, v[15:16]
	v_add_lshl_u32 v30, v21, v33, 2
	s_wait_alu 0xfffd
	v_cndmask_b32_e64 v22, 0, 2, vcc_lo
	v_cmp_ne_u32_e32 vcc_lo, 31, v33
	s_delay_alu instid0(VALU_DEP_2)
	v_add_lshl_u32 v36, v22, v33, 2
	s_wait_alu 0xfffd
	v_add_co_ci_u32_e64 v23, null, 0, v33, vcc_lo
	v_add_co_u32 v21, vcc_lo, v17, v5
	s_wait_alu 0xfffd
	v_add_co_ci_u32_e64 v22, null, v18, v6, vcc_lo
	s_wait_dscnt 0x0
	s_delay_alu instid0(VALU_DEP_2)
	v_mad_co_u64_u32 v[27:28], null, s55, s24, v[20:21]
	v_lshlrev_b32_e32 v37, 2, v23
	v_add_co_u32 v23, vcc_lo, v17, v9
	s_wait_alu 0xfffd
	v_add_co_ci_u32_e64 v24, null, v18, v10, vcc_lo
	v_add_co_u32 v25, vcc_lo, v17, v11
	s_wait_alu 0xfffd
	v_add_co_ci_u32_e64 v26, null, v18, v12, vcc_lo
	;; [unrolled: 3-line block ×3, first 2 shown]
	v_mov_b32_e32 v20, v27
	s_branch .LBB459_66
.LBB459_65:                             ;   in Loop: Header=BB459_66 Depth=2
	s_wait_alu 0xfffe
	s_or_b32 exec_lo, exec_lo, s6
	v_add_co_u32 v19, vcc_lo, v19, s54
	s_wait_alu 0xfffd
	v_add_co_ci_u32_e64 v20, null, s55, v20, vcc_lo
	s_add_co_i32 s24, s24, 1
	s_wait_alu 0xfffe
	s_cmp_ge_i32 s24, s29
	s_cbranch_scc1 .LBB459_2
.LBB459_66:                             ;   Parent Loop BB459_3 Depth=1
                                        ; =>  This Loop Header: Depth=2
                                        ;       Child Loop BB459_79 Depth 3
                                        ;       Child Loop BB459_82 Depth 3
	v_mov_b32_e32 v38, s25
	s_and_saveexec_b32 s6, s1
	s_wait_alu 0xfffe
	s_xor_b32 s6, exec_lo, s6
	s_cbranch_execnz .LBB459_75
; %bb.67:                               ;   in Loop: Header=BB459_66 Depth=2
	s_wait_alu 0xfffe
	s_and_not1_saveexec_b32 s11, s6
	s_cbranch_execnz .LBB459_76
.LBB459_68:                             ;   in Loop: Header=BB459_66 Depth=2
	s_or_b32 exec_lo, exec_lo, s11
	s_and_saveexec_b32 s6, s3
.LBB459_69:                             ;   in Loop: Header=BB459_66 Depth=2
	ds_store_b32 v31, v0
.LBB459_70:                             ;   in Loop: Header=BB459_66 Depth=2
	s_wait_alu 0xfffe
	s_or_b32 exec_lo, exec_lo, s6
	s_wait_dscnt 0x0
	ds_bpermute_b32 v27, v34, v38
	s_wait_storecnt 0x0
	s_wait_loadcnt_dscnt 0x0
	s_barrier_signal -1
	s_barrier_wait -1
	global_inv scope:SCOPE_SE
	v_add_f32_e32 v27, v38, v27
	ds_bpermute_b32 v28, v29, v27
	s_wait_dscnt 0x0
	v_add_f32_e32 v27, v27, v28
	ds_bpermute_b32 v28, v30, v27
	s_wait_dscnt 0x0
	;; [unrolled: 3-line block ×3, first 2 shown]
	v_add_f32_e32 v27, v27, v28
	ds_bpermute_b32 v28, v37, v27
	s_and_saveexec_b32 s6, s4
	s_cbranch_execz .LBB459_72
; %bb.71:                               ;   in Loop: Header=BB459_66 Depth=2
	s_wait_dscnt 0x0
	v_add_f32_e32 v27, v27, v28
	ds_store_b32 v32, v27
.LBB459_72:                             ;   in Loop: Header=BB459_66 Depth=2
	s_wait_alu 0xfffe
	s_or_b32 exec_lo, exec_lo, s6
	v_mov_b32_e32 v27, 0
	s_wait_loadcnt_dscnt 0x0
	s_barrier_signal -1
	s_barrier_wait -1
	global_inv scope:SCOPE_SE
	s_and_saveexec_b32 s6, s5
	s_cbranch_execnz .LBB459_84
; %bb.73:                               ;   in Loop: Header=BB459_66 Depth=2
	s_wait_alu 0xfffe
	s_or_b32 exec_lo, exec_lo, s6
	s_and_saveexec_b32 s6, s3
	s_cbranch_execnz .LBB459_85
.LBB459_74:                             ;   in Loop: Header=BB459_66 Depth=2
	s_wait_alu 0xfffe
	s_or_b32 exec_lo, exec_lo, s6
	s_and_saveexec_b32 s6, s0
	s_cbranch_execz .LBB459_65
	s_branch .LBB459_86
.LBB459_75:                             ;   in Loop: Header=BB459_66 Depth=2
	s_mul_u64 s[8:9], s[24:25], s[26:27]
	s_wait_alu 0xfffe
	s_lshl_b64 s[8:9], s[8:9], 1
	s_wait_alu 0xfffe
	v_add_co_u32 v1, vcc_lo, v15, s8
	s_wait_alu 0xfffd
	v_add_co_ci_u32_e64 v2, null, s9, v16, vcc_lo
	s_wait_dscnt 0x0
	flat_load_b64 v[27:28], v[1:2]
	s_clause 0x3
	flat_load_u16 v1, v[21:22]
	flat_load_u16 v2, v[23:24]
	;; [unrolled: 1-line block ×4, first 2 shown]
	s_wait_loadcnt_dscnt 0x303
	v_fma_mix_f32 v4, v1, v27, 0 op_sel_hi:[1,1,0]
	v_cvt_f32_f16_e32 v1, v1
	s_wait_loadcnt_dscnt 0x202
	s_delay_alu instid0(VALU_DEP_2) | instskip(SKIP_2) | instid1(VALU_DEP_2)
	v_fma_mix_f32 v4, v2, v27, v4 op_sel:[0,1,0] op_sel_hi:[1,1,0]
	v_cvt_f32_f16_e32 v2, v2
	s_wait_loadcnt_dscnt 0x101
	v_fma_mix_f32 v27, v3, v28, v4 op_sel_hi:[1,1,0]
	v_cvt_f32_f16_e32 v3, v3
	s_wait_loadcnt_dscnt 0x0
	v_cvt_f32_f16_e32 v4, v38
	s_delay_alu instid0(VALU_DEP_3)
	v_fma_mix_f32 v38, v38, v28, v27 op_sel:[0,1,0] op_sel_hi:[1,1,0]
	s_and_not1_saveexec_b32 s11, s6
	s_cbranch_execz .LBB459_68
.LBB459_76:                             ;   in Loop: Header=BB459_66 Depth=2
	s_and_saveexec_b32 s28, s2
	s_cbranch_execz .LBB459_83
; %bb.77:                               ;   in Loop: Header=BB459_66 Depth=2
	s_and_not1_b32 vcc_lo, exec_lo, s62
	s_wait_alu 0xfffe
	s_cbranch_vccnz .LBB459_80
; %bb.78:                               ;   in Loop: Header=BB459_66 Depth=2
	s_wait_dscnt 0x0
	v_dual_mov_b32 v28, v22 :: v_dual_mov_b32 v27, v21
	s_mov_b64 s[8:9], 0
.LBB459_79:                             ;   Parent Loop BB459_3 Depth=1
                                        ;     Parent Loop BB459_66 Depth=2
                                        ; =>    This Inner Loop Header: Depth=3
	flat_load_u16 v39, v[27:28]
	s_wait_alu 0xfffe
	s_cmp_eq_u32 s8, 3
	v_add_co_u32 v27, vcc_lo, v27, s46
	s_wait_alu 0xfffd
	v_add_co_ci_u32_e64 v28, null, s47, v28, vcc_lo
	s_cselect_b32 vcc_lo, -1, 0
	s_cmp_eq_u32 s8, 2
	s_cselect_b32 s6, -1, 0
	s_cmp_eq_u32 s8, 1
	s_cselect_b32 s7, -1, 0
	s_cmp_eq_u32 s8, 0
	s_add_nc_u64 s[8:9], s[8:9], 1
	s_wait_loadcnt_dscnt 0x0
	v_cvt_f32_f16_e32 v39, v39
	s_wait_alu 0xfffe
	s_delay_alu instid0(VALU_DEP_1)
	v_cndmask_b32_e32 v4, v4, v39, vcc_lo
	s_cselect_b32 vcc_lo, -1, 0
	v_cndmask_b32_e64 v3, v3, v39, s6
	v_cndmask_b32_e64 v2, v2, v39, s7
	s_wait_alu 0xfffe
	v_cndmask_b32_e32 v1, v1, v39, vcc_lo
	s_cmp_eq_u32 s60, s8
	s_cbranch_scc0 .LBB459_79
.LBB459_80:                             ;   in Loop: Header=BB459_66 Depth=2
	s_and_not1_b32 vcc_lo, exec_lo, s62
	s_wait_alu 0xfffe
	s_cbranch_vccnz .LBB459_83
; %bb.81:                               ;   in Loop: Header=BB459_66 Depth=2
	s_wait_dscnt 0x0
	v_dual_mov_b32 v28, v20 :: v_dual_mov_b32 v27, v19
	s_mov_b64 s[6:7], 0
.LBB459_82:                             ;   Parent Loop BB459_3 Depth=1
                                        ;     Parent Loop BB459_66 Depth=2
                                        ; =>    This Inner Loop Header: Depth=3
	flat_load_u16 v39, v[27:28]
	s_wait_alu 0xfffe
	s_cmp_eq_u32 s6, 1
	s_cselect_b32 vcc_lo, -1, 0
	s_cmp_eq_u32 s6, 2
	s_wait_dscnt 0x1
	s_wait_alu 0xfffe
	v_cndmask_b32_e32 v40, v1, v2, vcc_lo
	s_cselect_b32 vcc_lo, -1, 0
	s_cmp_eq_u32 s6, 3
	s_add_nc_u64 s[6:7], s[6:7], 1
	s_wait_alu 0xfffe
	v_cndmask_b32_e32 v40, v40, v3, vcc_lo
	s_cselect_b32 vcc_lo, -1, 0
	s_cmp_lg_u32 s60, s6
	s_wait_alu 0xfffe
	s_delay_alu instid0(VALU_DEP_1)
	v_cndmask_b32_e32 v40, v40, v4, vcc_lo
	v_add_co_u32 v27, vcc_lo, v27, 2
	s_wait_alu 0xfffd
	v_add_co_ci_u32_e64 v28, null, 0, v28, vcc_lo
	s_wait_loadcnt_dscnt 0x0
	v_fma_mix_f32 v38, v40, v39, v38 op_sel_hi:[0,1,0]
	s_cbranch_scc1 .LBB459_82
.LBB459_83:                             ;   in Loop: Header=BB459_66 Depth=2
	s_wait_alu 0xfffe
	s_or_b32 exec_lo, exec_lo, s28
	s_delay_alu instid0(SALU_CYCLE_1)
	s_or_b32 exec_lo, exec_lo, s11
	s_and_saveexec_b32 s6, s3
	s_cbranch_execnz .LBB459_69
	s_branch .LBB459_70
.LBB459_84:                             ;   in Loop: Header=BB459_66 Depth=2
	ds_load_b32 v27, v31
	s_wait_alu 0xfffe
	s_or_b32 exec_lo, exec_lo, s6
	s_and_saveexec_b32 s6, s3
	s_cbranch_execz .LBB459_74
.LBB459_85:                             ;   in Loop: Header=BB459_66 Depth=2
	s_wait_dscnt 0x0
	ds_bpermute_b32 v28, v30, v27
	s_wait_dscnt 0x0
	v_add_f32_e32 v27, v27, v28
	ds_bpermute_b32 v28, v36, v27
	s_wait_dscnt 0x0
	v_add_f32_e32 v27, v27, v28
	ds_bpermute_b32 v28, v37, v27
	s_wait_dscnt 0x0
	v_add_f32_e32 v27, v27, v28
	s_wait_alu 0xfffe
	s_or_b32 exec_lo, exec_lo, s6
	s_and_saveexec_b32 s6, s0
	s_cbranch_execz .LBB459_65
.LBB459_86:                             ;   in Loop: Header=BB459_66 Depth=2
	s_mul_u64 s[8:9], s[24:25], s[30:31]
	s_wait_dscnt 0x0
	v_mul_f32_e32 v27, v35, v27
	s_wait_alu 0xfffe
	s_lshl_b64 s[8:9], s[8:9], 2
	s_wait_alu 0xfffe
	s_add_nc_u64 s[8:9], s[56:57], s[8:9]
	global_store_b32 v0, v27, s[8:9]
	s_branch .LBB459_65
.LBB459_87:
	s_endpgm
	.section	.rodata,"a",@progbits
	.p2align	6, 0x0
	.amdhsa_kernel _ZL23rocblas_gemvt_sn_kernelILb1ELi256ELi4ElPKDF16_PKffEviiT4_lPKT3_lilS7_lilPT5_i
		.amdhsa_group_segment_fixed_size 128
		.amdhsa_private_segment_fixed_size 0
		.amdhsa_kernarg_size 360
		.amdhsa_user_sgpr_count 2
		.amdhsa_user_sgpr_dispatch_ptr 0
		.amdhsa_user_sgpr_queue_ptr 0
		.amdhsa_user_sgpr_kernarg_segment_ptr 1
		.amdhsa_user_sgpr_dispatch_id 0
		.amdhsa_user_sgpr_private_segment_size 0
		.amdhsa_wavefront_size32 1
		.amdhsa_uses_dynamic_stack 0
		.amdhsa_enable_private_segment 0
		.amdhsa_system_sgpr_workgroup_id_x 1
		.amdhsa_system_sgpr_workgroup_id_y 0
		.amdhsa_system_sgpr_workgroup_id_z 1
		.amdhsa_system_sgpr_workgroup_info 0
		.amdhsa_system_vgpr_workitem_id 0
		.amdhsa_next_free_vgpr 51
		.amdhsa_next_free_sgpr 68
		.amdhsa_reserve_vcc 1
		.amdhsa_float_round_mode_32 0
		.amdhsa_float_round_mode_16_64 0
		.amdhsa_float_denorm_mode_32 3
		.amdhsa_float_denorm_mode_16_64 3
		.amdhsa_fp16_overflow 0
		.amdhsa_workgroup_processor_mode 1
		.amdhsa_memory_ordered 1
		.amdhsa_forward_progress 1
		.amdhsa_inst_pref_size 37
		.amdhsa_round_robin_scheduling 0
		.amdhsa_exception_fp_ieee_invalid_op 0
		.amdhsa_exception_fp_denorm_src 0
		.amdhsa_exception_fp_ieee_div_zero 0
		.amdhsa_exception_fp_ieee_overflow 0
		.amdhsa_exception_fp_ieee_underflow 0
		.amdhsa_exception_fp_ieee_inexact 0
		.amdhsa_exception_int_div_zero 0
	.end_amdhsa_kernel
	.section	.text._ZL23rocblas_gemvt_sn_kernelILb1ELi256ELi4ElPKDF16_PKffEviiT4_lPKT3_lilS7_lilPT5_i,"axG",@progbits,_ZL23rocblas_gemvt_sn_kernelILb1ELi256ELi4ElPKDF16_PKffEviiT4_lPKT3_lilS7_lilPT5_i,comdat
.Lfunc_end459:
	.size	_ZL23rocblas_gemvt_sn_kernelILb1ELi256ELi4ElPKDF16_PKffEviiT4_lPKT3_lilS7_lilPT5_i, .Lfunc_end459-_ZL23rocblas_gemvt_sn_kernelILb1ELi256ELi4ElPKDF16_PKffEviiT4_lPKT3_lilS7_lilPT5_i
                                        ; -- End function
	.set _ZL23rocblas_gemvt_sn_kernelILb1ELi256ELi4ElPKDF16_PKffEviiT4_lPKT3_lilS7_lilPT5_i.num_vgpr, 51
	.set _ZL23rocblas_gemvt_sn_kernelILb1ELi256ELi4ElPKDF16_PKffEviiT4_lPKT3_lilS7_lilPT5_i.num_agpr, 0
	.set _ZL23rocblas_gemvt_sn_kernelILb1ELi256ELi4ElPKDF16_PKffEviiT4_lPKT3_lilS7_lilPT5_i.numbered_sgpr, 68
	.set _ZL23rocblas_gemvt_sn_kernelILb1ELi256ELi4ElPKDF16_PKffEviiT4_lPKT3_lilS7_lilPT5_i.num_named_barrier, 0
	.set _ZL23rocblas_gemvt_sn_kernelILb1ELi256ELi4ElPKDF16_PKffEviiT4_lPKT3_lilS7_lilPT5_i.private_seg_size, 0
	.set _ZL23rocblas_gemvt_sn_kernelILb1ELi256ELi4ElPKDF16_PKffEviiT4_lPKT3_lilS7_lilPT5_i.uses_vcc, 1
	.set _ZL23rocblas_gemvt_sn_kernelILb1ELi256ELi4ElPKDF16_PKffEviiT4_lPKT3_lilS7_lilPT5_i.uses_flat_scratch, 1
	.set _ZL23rocblas_gemvt_sn_kernelILb1ELi256ELi4ElPKDF16_PKffEviiT4_lPKT3_lilS7_lilPT5_i.has_dyn_sized_stack, 0
	.set _ZL23rocblas_gemvt_sn_kernelILb1ELi256ELi4ElPKDF16_PKffEviiT4_lPKT3_lilS7_lilPT5_i.has_recursion, 0
	.set _ZL23rocblas_gemvt_sn_kernelILb1ELi256ELi4ElPKDF16_PKffEviiT4_lPKT3_lilS7_lilPT5_i.has_indirect_call, 0
	.section	.AMDGPU.csdata,"",@progbits
; Kernel info:
; codeLenInByte = 4632
; TotalNumSgprs: 70
; NumVgprs: 51
; ScratchSize: 0
; MemoryBound: 0
; FloatMode: 240
; IeeeMode: 1
; LDSByteSize: 128 bytes/workgroup (compile time only)
; SGPRBlocks: 0
; VGPRBlocks: 6
; NumSGPRsForWavesPerEU: 70
; NumVGPRsForWavesPerEU: 51
; Occupancy: 16
; WaveLimiterHint : 0
; COMPUTE_PGM_RSRC2:SCRATCH_EN: 0
; COMPUTE_PGM_RSRC2:USER_SGPR: 2
; COMPUTE_PGM_RSRC2:TRAP_HANDLER: 0
; COMPUTE_PGM_RSRC2:TGID_X_EN: 1
; COMPUTE_PGM_RSRC2:TGID_Y_EN: 0
; COMPUTE_PGM_RSRC2:TGID_Z_EN: 1
; COMPUTE_PGM_RSRC2:TIDIG_COMP_CNT: 0
	.section	.text._ZL23rocblas_gemvt_sn_kernelILb1ELi256ELi4EiPKDF16_ffEviiT4_lPKT3_lilS5_lilPT5_i,"axG",@progbits,_ZL23rocblas_gemvt_sn_kernelILb1ELi256ELi4EiPKDF16_ffEviiT4_lPKT3_lilS5_lilPT5_i,comdat
	.globl	_ZL23rocblas_gemvt_sn_kernelILb1ELi256ELi4EiPKDF16_ffEviiT4_lPKT3_lilS5_lilPT5_i ; -- Begin function _ZL23rocblas_gemvt_sn_kernelILb1ELi256ELi4EiPKDF16_ffEviiT4_lPKT3_lilS5_lilPT5_i
	.p2align	8
	.type	_ZL23rocblas_gemvt_sn_kernelILb1ELi256ELi4EiPKDF16_ffEviiT4_lPKT3_lilS5_lilPT5_i,@function
_ZL23rocblas_gemvt_sn_kernelILb1ELi256ELi4EiPKDF16_ffEviiT4_lPKT3_lilS5_lilPT5_i: ; @_ZL23rocblas_gemvt_sn_kernelILb1ELi256ELi4EiPKDF16_ffEviiT4_lPKT3_lilS5_lilPT5_i
; %bb.0:
	s_load_b32 s23, s[0:1], 0x60
	s_lshr_b32 s10, ttmp7, 16
	s_wait_kmcnt 0x0
	s_cmp_ge_u32 s10, s23
	s_cbranch_scc1 .LBB460_89
; %bb.1:
	s_clause 0x6
	s_load_b96 s[20:22], s[0:1], 0x0
	s_load_b128 s[12:15], s[0:1], 0x18
	s_load_b32 s26, s[0:1], 0x28
	s_load_b128 s[16:19], s[0:1], 0x38
	s_load_b32 s33, s[0:1], 0x48
	s_load_b64 s[28:29], s[0:1], 0x58
	s_load_b32 s30, s[0:1], 0x68
	s_mov_b32 s35, 0
	v_cmp_eq_u32_e64 s0, 0, v0
	s_mov_b32 s31, s35
	v_and_b32_e32 v1, 31, v0
	v_cmp_gt_u32_e64 s1, 32, v0
	v_cmp_gt_u32_e64 s2, 8, v0
	v_lshrrev_b32_e32 v2, 3, v0
	v_mbcnt_lo_u32_b32 v31, -1, 0
	v_cmp_eq_u32_e64 s3, 0, v1
	v_lshlrev_b32_e32 v29, 2, v1
	s_mov_b32 s24, ttmp9
	v_and_b32_e32 v30, 28, v2
	s_mov_b32 s25, s35
	s_wait_kmcnt 0x0
	s_cmp_neq_f32 s22, 0
	s_mov_b32 s4, s21
	s_mov_b32 s27, s35
	;; [unrolled: 1-line block ×3, first 2 shown]
	s_cselect_b32 s58, -1, 0
	s_cmp_eq_f32 s22, 0
	s_cselect_b32 s59, -1, 0
	s_ashr_i32 s5, s21, 31
	s_cmp_gt_i32 s21, 0
	s_mul_u64 s[36:37], s[4:5], s[30:31]
	s_cselect_b32 s4, -1, 0
	s_lshl_b32 s6, ttmp9, 10
	s_lshr_b32 s5, s5, 30
	v_lshl_or_b32 v0, v0, 2, s6
	s_ashr_i32 s7, s20, 31
	s_and_b32 s60, s0, s4
	s_add_co_i32 s4, s21, s5
	s_wait_alu 0xfffe
	s_lshr_b32 s5, s7, 30
	v_mul_lo_u32 v5, s33, v0
	s_and_b32 s61, s4, -4
	s_add_co_i32 s4, s20, s5
	v_add_nc_u32_e32 v3, 4, v0
	s_and_b32 s4, s4, -4
	v_ashrrev_i32_e32 v1, 31, v0
	s_sub_co_i32 s62, s20, s4
	s_cmp_gt_i32 s61, 0
	v_add_nc_u32_e32 v2, s33, v5
	v_cmp_ge_i32_e64 s4, s20, v3
	v_ashrrev_i32_e32 v6, 31, v5
	v_add_nc_u32_e32 v4, s62, v0
	s_cselect_b32 s63, -1, 0
	v_add_nc_u32_e32 v13, s33, v2
	v_ashrrev_i32_e32 v3, 31, v2
	s_cmp_gt_i32 s62, 0
	v_lshlrev_b64_e32 v[7:8], 1, v[0:1]
	s_cselect_b32 s64, -1, 0
	v_add_nc_u32_e32 v15, s33, v13
	v_ashrrev_i32_e32 v14, 31, v13
	s_lshl_b32 s34, s26, 1
	v_lshlrev_b64_e32 v[9:10], 1, v[5:6]
	v_lshlrev_b64_e32 v[11:12], 1, v[2:3]
	v_ashrrev_i32_e32 v16, 31, v15
	v_lshlrev_b64_e32 v[13:14], 1, v[13:14]
	v_cmp_ge_i32_e64 s5, s20, v4
	v_mov_b32_e32 v0, 0
	v_lshl_or_b32 v6, v31, 2, 64
	v_lshlrev_b64_e32 v[15:16], 1, v[15:16]
	s_mov_b64 s[42:43], s[34:35]
	s_mul_i32 s34, s26, 3
	s_lshl_b64 s[38:39], s[30:31], 2
	s_lshl_b32 s40, s26, 2
	s_mov_b64 s[44:45], s[34:35]
	s_lshl_b64 s[14:15], s[14:15], 1
	s_lshl_b64 s[18:19], s[18:19], 1
	;; [unrolled: 1-line block ×3, first 2 shown]
	s_branch .LBB460_3
.LBB460_2:                              ;   in Loop: Header=BB460_3 Depth=1
	s_add_co_i32 s10, s10, 0x10000
	s_delay_alu instid0(SALU_CYCLE_1)
	s_cmp_lt_u32 s10, s23
	s_cbranch_scc0 .LBB460_89
.LBB460_3:                              ; =>This Loop Header: Depth=1
                                        ;     Child Loop BB460_12 Depth 2
                                        ;     Child Loop BB460_18 Depth 2
                                        ;       Child Loop BB460_49 Depth 3
                                        ;       Child Loop BB460_52 Depth 3
                                        ;     Child Loop BB460_68 Depth 2
                                        ;       Child Loop BB460_81 Depth 3
                                        ;       Child Loop BB460_84 Depth 3
	s_mov_b32 s11, s35
	s_and_not1_b32 vcc_lo, exec_lo, s59
	s_mov_b32 s6, -1
	s_wait_alu 0xfffe
	s_cbranch_vccnz .LBB460_5
; %bb.4:                                ;   in Loop: Header=BB460_3 Depth=1
	s_mov_b32 s6, 0
.LBB460_5:                              ;   in Loop: Header=BB460_3 Depth=1
	v_mov_b32_e32 v17, 0
	v_dual_mov_b32 v18, 0 :: v_dual_mov_b32 v1, 0
	v_mov_b32_e32 v2, 0
	s_wait_alu 0xfffe
	s_and_not1_b32 vcc_lo, exec_lo, s6
	s_wait_alu 0xfffe
	s_cbranch_vccnz .LBB460_7
; %bb.6:                                ;   in Loop: Header=BB460_3 Depth=1
	s_lshl_b64 s[6:7], s[10:11], 3
	s_wait_alu 0xfffe
	s_add_nc_u64 s[6:7], s[12:13], s[6:7]
	global_load_b64 v[1:2], v0, s[6:7]
	s_wait_loadcnt 0x0
	v_add_co_u32 v1, vcc_lo, v1, s14
	s_wait_alu 0xfffd
	v_add_co_ci_u32_e64 v2, null, s15, v2, vcc_lo
.LBB460_7:                              ;   in Loop: Header=BB460_3 Depth=1
	s_and_not1_b32 vcc_lo, exec_lo, s58
	s_wait_alu 0xfffe
	s_cbranch_vccnz .LBB460_9
; %bb.8:                                ;   in Loop: Header=BB460_3 Depth=1
	s_lshl_b64 s[6:7], s[10:11], 3
	s_wait_alu 0xfffe
	s_add_nc_u64 s[6:7], s[16:17], s[6:7]
	global_load_b64 v[3:4], v0, s[6:7]
	s_wait_loadcnt 0x0
	v_add_co_u32 v17, vcc_lo, v3, s18
	s_wait_alu 0xfffd
	v_add_co_ci_u32_e64 v18, null, s19, v4, vcc_lo
.LBB460_9:                              ;   in Loop: Header=BB460_3 Depth=1
	s_mul_u64 s[6:7], s[36:37], s[10:11]
	s_and_not1_b32 vcc_lo, exec_lo, s59
	s_wait_alu 0xfffe
	s_lshl_b64 s[6:7], s[6:7], 2
	s_wait_alu 0xfffe
	s_add_nc_u64 s[48:49], s[28:29], s[6:7]
	s_mov_b32 s6, -1
	s_cbranch_vccnz .LBB460_14
; %bb.10:                               ;   in Loop: Header=BB460_3 Depth=1
	s_and_saveexec_b32 s8, s60
	s_cbranch_execz .LBB460_13
; %bb.11:                               ;   in Loop: Header=BB460_3 Depth=1
	s_add_nc_u64 s[6:7], s[48:49], s[46:47]
	s_mov_b32 s9, s21
.LBB460_12:                             ;   Parent Loop BB460_3 Depth=1
                                        ; =>  This Inner Loop Header: Depth=2
	s_wait_alu 0xfffe
	s_add_co_i32 s9, s9, -1
	global_store_b32 v0, v0, s[6:7]
	s_wait_alu 0xfffe
	s_cmp_eq_u32 s9, 0
	s_add_nc_u64 s[6:7], s[6:7], s[38:39]
	s_cbranch_scc0 .LBB460_12
.LBB460_13:                             ;   in Loop: Header=BB460_3 Depth=1
	s_wait_alu 0xfffe
	s_or_b32 exec_lo, exec_lo, s8
	s_mov_b32 s6, 0
.LBB460_14:                             ;   in Loop: Header=BB460_3 Depth=1
	s_wait_alu 0xfffe
	s_and_not1_b32 vcc_lo, exec_lo, s6
	s_wait_alu 0xfffe
	s_cbranch_vccnz .LBB460_2
; %bb.15:                               ;   in Loop: Header=BB460_3 Depth=1
	v_add_co_u32 v32, vcc_lo, v1, v7
	s_wait_alu 0xfffd
	v_add_co_ci_u32_e64 v33, null, v2, v8, vcc_lo
	v_cmp_gt_u32_e64 s9, 24, v31
	v_cmp_gt_u32_e64 s8, 28, v31
	;; [unrolled: 1-line block ×3, first 2 shown]
	v_cmp_ne_u32_e64 s6, 31, v31
	s_and_not1_b32 vcc_lo, exec_lo, s63
	s_wait_alu 0xfffe
	s_cbranch_vccnz .LBB460_64
; %bb.16:                               ;   in Loop: Header=BB460_3 Depth=1
	v_cndmask_b32_e64 v3, 0, 2, s7
	v_add_co_u32 v19, vcc_lo, v17, v9
	v_cndmask_b32_e64 v1, 0, 8, s9
	v_cndmask_b32_e64 v2, 0, 4, s8
	v_add_co_ci_u32_e64 v4, null, 0, v31, s6
	v_add_lshl_u32 v36, v3, v31, 2
	s_wait_alu 0xfffd
	v_add_co_ci_u32_e64 v20, null, v18, v10, vcc_lo
	v_add_co_u32 v21, vcc_lo, v17, v11
	v_mov_b32_e32 v3, v0
	s_wait_alu 0xfffd
	v_add_co_ci_u32_e64 v22, null, v18, v12, vcc_lo
	v_add_co_u32 v23, vcc_lo, v17, v13
	v_add_lshl_u32 v34, v1, v31, 2
	v_add_lshl_u32 v35, v2, v31, 2
	v_dual_mov_b32 v2, v0 :: v_dual_lshlrev_b32 v37, 2, v4
	s_wait_alu 0xfffd
	v_add_co_ci_u32_e64 v24, null, v18, v14, vcc_lo
	v_mov_b32_e32 v1, v0
	v_add_co_u32 v25, vcc_lo, v17, v15
	v_mov_b32_e32 v4, v3
	s_wait_alu 0xfffd
	v_add_co_ci_u32_e64 v26, null, v18, v16, vcc_lo
	v_mov_b32_e32 v3, v2
	v_mov_b32_e32 v2, v1
	;; [unrolled: 1-line block ×3, first 2 shown]
	s_mov_b32 s8, 0
	s_mov_b64 s[50:51], s[44:45]
	s_mov_b64 s[52:53], s[42:43]
	;; [unrolled: 1-line block ×3, first 2 shown]
	s_mov_b32 s11, 0
	s_branch .LBB460_18
.LBB460_17:                             ;   in Loop: Header=BB460_18 Depth=2
	s_wait_alu 0xfffe
	s_or_b32 exec_lo, exec_lo, s6
	s_add_co_i32 s11, s11, 4
	s_add_co_i32 s8, s8, s40
	s_add_nc_u64 s[54:55], s[54:55], s[40:41]
	s_add_nc_u64 s[52:53], s[52:53], s[40:41]
	s_cmp_ge_i32 s11, s61
	s_add_nc_u64 s[50:51], s[50:51], s[40:41]
	s_cbranch_scc1 .LBB460_65
.LBB460_18:                             ;   Parent Loop BB460_3 Depth=1
                                        ; =>  This Loop Header: Depth=2
                                        ;       Child Loop BB460_49 Depth 3
                                        ;       Child Loop BB460_52 Depth 3
                                        ; implicit-def: $vgpr38
                                        ; implicit-def: $vgpr39
                                        ; implicit-def: $vgpr40
                                        ; implicit-def: $vgpr41
	s_and_saveexec_b32 s6, s4
	s_wait_alu 0xfffe
	s_xor_b32 s6, exec_lo, s6
	s_cbranch_execnz .LBB460_45
; %bb.19:                               ;   in Loop: Header=BB460_18 Depth=2
	s_wait_alu 0xfffe
	s_and_not1_saveexec_b32 s20, s6
	s_cbranch_execnz .LBB460_46
.LBB460_20:                             ;   in Loop: Header=BB460_18 Depth=2
	s_wait_alu 0xfffe
	s_or_b32 exec_lo, exec_lo, s20
	s_and_saveexec_b32 s6, s1
.LBB460_21:                             ;   in Loop: Header=BB460_18 Depth=2
	ds_store_b32 v29, v0
.LBB460_22:                             ;   in Loop: Header=BB460_18 Depth=2
	s_wait_alu 0xfffe
	s_or_b32 exec_lo, exec_lo, s6
	s_wait_dscnt 0x0
	ds_bpermute_b32 v27, v6, v41
	s_wait_storecnt_dscnt 0x0
	s_barrier_signal -1
	s_barrier_wait -1
	global_inv scope:SCOPE_SE
	v_add_f32_e32 v27, v41, v27
	ds_bpermute_b32 v28, v34, v27
	s_wait_dscnt 0x0
	v_add_f32_e32 v27, v27, v28
	ds_bpermute_b32 v28, v35, v27
	s_wait_dscnt 0x0
	;; [unrolled: 3-line block ×3, first 2 shown]
	v_add_f32_e32 v27, v27, v28
	ds_bpermute_b32 v28, v37, v27
	s_and_saveexec_b32 s6, s3
	s_cbranch_execz .LBB460_24
; %bb.23:                               ;   in Loop: Header=BB460_18 Depth=2
	s_wait_dscnt 0x0
	v_add_f32_e32 v27, v27, v28
	ds_store_b32 v30, v27
.LBB460_24:                             ;   in Loop: Header=BB460_18 Depth=2
	s_wait_alu 0xfffe
	s_or_b32 exec_lo, exec_lo, s6
	v_mov_b32_e32 v27, 0
	s_wait_loadcnt_dscnt 0x0
	s_barrier_signal -1
	s_barrier_wait -1
	global_inv scope:SCOPE_SE
	s_and_saveexec_b32 s6, s2
	s_cbranch_execnz .LBB460_53
; %bb.25:                               ;   in Loop: Header=BB460_18 Depth=2
	s_wait_alu 0xfffe
	s_or_b32 exec_lo, exec_lo, s6
	s_and_saveexec_b32 s6, s1
	s_cbranch_execnz .LBB460_54
.LBB460_26:                             ;   in Loop: Header=BB460_18 Depth=2
	s_wait_alu 0xfffe
	s_or_b32 exec_lo, exec_lo, s6
	s_and_saveexec_b32 s6, s1
.LBB460_27:                             ;   in Loop: Header=BB460_18 Depth=2
	ds_store_b32 v29, v0
.LBB460_28:                             ;   in Loop: Header=BB460_18 Depth=2
	s_wait_alu 0xfffe
	s_or_b32 exec_lo, exec_lo, s6
	ds_bpermute_b32 v28, v6, v40
	s_wait_loadcnt_dscnt 0x0
	s_barrier_signal -1
	s_barrier_wait -1
	global_inv scope:SCOPE_SE
	v_add_f32_e32 v28, v40, v28
	ds_bpermute_b32 v40, v34, v28
	s_wait_dscnt 0x0
	v_add_f32_e32 v28, v28, v40
	ds_bpermute_b32 v40, v35, v28
	s_wait_dscnt 0x0
	;; [unrolled: 3-line block ×3, first 2 shown]
	v_add_f32_e32 v28, v28, v40
	ds_bpermute_b32 v40, v37, v28
	s_and_saveexec_b32 s6, s3
	s_cbranch_execz .LBB460_30
; %bb.29:                               ;   in Loop: Header=BB460_18 Depth=2
	s_wait_dscnt 0x0
	v_add_f32_e32 v28, v28, v40
	ds_store_b32 v30, v28
.LBB460_30:                             ;   in Loop: Header=BB460_18 Depth=2
	s_wait_alu 0xfffe
	s_or_b32 exec_lo, exec_lo, s6
	v_mov_b32_e32 v28, 0
	s_wait_loadcnt_dscnt 0x0
	s_barrier_signal -1
	s_barrier_wait -1
	global_inv scope:SCOPE_SE
	s_and_saveexec_b32 s6, s2
	s_cbranch_execnz .LBB460_55
; %bb.31:                               ;   in Loop: Header=BB460_18 Depth=2
	s_wait_alu 0xfffe
	s_or_b32 exec_lo, exec_lo, s6
	s_and_saveexec_b32 s6, s1
	s_cbranch_execnz .LBB460_56
.LBB460_32:                             ;   in Loop: Header=BB460_18 Depth=2
	s_wait_alu 0xfffe
	s_or_b32 exec_lo, exec_lo, s6
	s_and_saveexec_b32 s6, s1
.LBB460_33:                             ;   in Loop: Header=BB460_18 Depth=2
	ds_store_b32 v29, v0
.LBB460_34:                             ;   in Loop: Header=BB460_18 Depth=2
	s_wait_alu 0xfffe
	s_or_b32 exec_lo, exec_lo, s6
	ds_bpermute_b32 v40, v6, v39
	s_wait_loadcnt_dscnt 0x0
	s_barrier_signal -1
	s_barrier_wait -1
	global_inv scope:SCOPE_SE
	v_add_f32_e32 v39, v39, v40
	ds_bpermute_b32 v40, v34, v39
	s_wait_dscnt 0x0
	v_add_f32_e32 v39, v39, v40
	ds_bpermute_b32 v40, v35, v39
	s_wait_dscnt 0x0
	;; [unrolled: 3-line block ×3, first 2 shown]
	v_add_f32_e32 v39, v39, v40
	ds_bpermute_b32 v40, v37, v39
	s_and_saveexec_b32 s6, s3
	s_cbranch_execz .LBB460_36
; %bb.35:                               ;   in Loop: Header=BB460_18 Depth=2
	s_wait_dscnt 0x0
	v_add_f32_e32 v39, v39, v40
	ds_store_b32 v30, v39
.LBB460_36:                             ;   in Loop: Header=BB460_18 Depth=2
	s_wait_alu 0xfffe
	s_or_b32 exec_lo, exec_lo, s6
	v_mov_b32_e32 v39, 0
	s_wait_loadcnt_dscnt 0x0
	s_barrier_signal -1
	s_barrier_wait -1
	global_inv scope:SCOPE_SE
	s_and_saveexec_b32 s6, s2
	s_cbranch_execnz .LBB460_57
; %bb.37:                               ;   in Loop: Header=BB460_18 Depth=2
	s_wait_alu 0xfffe
	s_or_b32 exec_lo, exec_lo, s6
	s_and_saveexec_b32 s6, s1
	s_cbranch_execnz .LBB460_58
.LBB460_38:                             ;   in Loop: Header=BB460_18 Depth=2
	s_wait_alu 0xfffe
	s_or_b32 exec_lo, exec_lo, s6
	s_and_saveexec_b32 s6, s1
.LBB460_39:                             ;   in Loop: Header=BB460_18 Depth=2
	ds_store_b32 v29, v0
.LBB460_40:                             ;   in Loop: Header=BB460_18 Depth=2
	s_wait_alu 0xfffe
	s_or_b32 exec_lo, exec_lo, s6
	ds_bpermute_b32 v40, v6, v38
	s_wait_loadcnt_dscnt 0x0
	s_barrier_signal -1
	s_barrier_wait -1
	global_inv scope:SCOPE_SE
	v_add_f32_e32 v38, v38, v40
	ds_bpermute_b32 v40, v34, v38
	s_wait_dscnt 0x0
	v_add_f32_e32 v38, v38, v40
	ds_bpermute_b32 v40, v35, v38
	s_wait_dscnt 0x0
	;; [unrolled: 3-line block ×3, first 2 shown]
	v_add_f32_e32 v38, v38, v40
	ds_bpermute_b32 v40, v37, v38
	s_and_saveexec_b32 s6, s3
	s_cbranch_execz .LBB460_42
; %bb.41:                               ;   in Loop: Header=BB460_18 Depth=2
	s_wait_dscnt 0x0
	v_add_f32_e32 v38, v38, v40
	ds_store_b32 v30, v38
.LBB460_42:                             ;   in Loop: Header=BB460_18 Depth=2
	s_wait_alu 0xfffe
	s_or_b32 exec_lo, exec_lo, s6
	v_mov_b32_e32 v38, 0
	s_wait_loadcnt_dscnt 0x0
	s_barrier_signal -1
	s_barrier_wait -1
	global_inv scope:SCOPE_SE
	s_and_saveexec_b32 s6, s2
	s_cbranch_execnz .LBB460_59
; %bb.43:                               ;   in Loop: Header=BB460_18 Depth=2
	s_wait_alu 0xfffe
	s_or_b32 exec_lo, exec_lo, s6
	s_and_saveexec_b32 s6, s1
	s_cbranch_execnz .LBB460_60
.LBB460_44:                             ;   in Loop: Header=BB460_18 Depth=2
	s_wait_alu 0xfffe
	s_or_b32 exec_lo, exec_lo, s6
	s_and_saveexec_b32 s6, s0
	s_cbranch_execz .LBB460_17
	s_branch .LBB460_61
.LBB460_45:                             ;   in Loop: Header=BB460_18 Depth=2
	s_mul_i32 s56, s11, s26
	s_wait_alu 0xfffe
	s_ashr_i32 s57, s56, 31
	s_add_co_i32 s66, s56, s26
	s_wait_alu 0xfffe
	s_lshl_b64 s[56:57], s[56:57], 1
	s_ashr_i32 s67, s66, 31
	s_wait_alu 0xfffe
	v_add_co_u32 v1, vcc_lo, v32, s56
	s_wait_alu 0xfffd
	v_add_co_ci_u32_e64 v2, null, s57, v33, vcc_lo
	s_lshl_b64 s[56:57], s[66:67], 1
	s_add_co_i32 s66, s66, s26
	s_wait_alu 0xfffe
	v_add_co_u32 v3, vcc_lo, v32, s56
	s_ashr_i32 s67, s66, 31
	s_add_co_i32 s56, s66, s26
	s_wait_alu 0xfffd
	v_add_co_ci_u32_e64 v4, null, s57, v33, vcc_lo
	s_wait_alu 0xfffe
	s_lshl_b64 s[66:67], s[66:67], 1
	s_ashr_i32 s57, s56, 31
	s_wait_dscnt 0x0
	s_wait_alu 0xfffe
	v_add_co_u32 v27, vcc_lo, v32, s66
	s_lshl_b64 s[56:57], s[56:57], 1
	s_wait_alu 0xfffd
	v_add_co_ci_u32_e64 v28, null, s67, v33, vcc_lo
	s_wait_alu 0xfffe
	v_add_co_u32 v38, vcc_lo, v32, s56
	s_wait_alu 0xfffd
	v_add_co_ci_u32_e64 v39, null, s57, v33, vcc_lo
	flat_load_u16 v46, v[19:20]
	s_clause 0x3
	flat_load_b64 v[40:41], v[1:2]
	flat_load_b64 v[42:43], v[3:4]
	;; [unrolled: 1-line block ×4, first 2 shown]
	s_clause 0x2
	flat_load_u16 v3, v[21:22]
	flat_load_u16 v4, v[23:24]
	;; [unrolled: 1-line block ×3, first 2 shown]
	s_wait_loadcnt_dscnt 0x707
	v_cvt_f32_f16_e32 v1, v46
	s_wait_loadcnt_dscnt 0x606
	v_fma_mix_f32 v39, v46, v40, 0 op_sel_hi:[1,1,0]
	s_wait_loadcnt_dscnt 0x505
	v_fma_mix_f32 v47, v46, v42, 0 op_sel_hi:[1,1,0]
	s_wait_loadcnt_dscnt 0x404
	v_fma_mix_f32 v48, v46, v27, 0 op_sel_hi:[1,1,0]
	s_wait_loadcnt_dscnt 0x303
	v_fma_mix_f32 v46, v46, v44, 0 op_sel_hi:[1,1,0]
	s_wait_loadcnt_dscnt 0x202
	v_cvt_f32_f16_e32 v2, v3
	v_fma_mix_f32 v39, v3, v40, v39 op_sel:[0,1,0] op_sel_hi:[1,1,0]
	v_fma_mix_f32 v40, v3, v42, v47 op_sel:[0,1,0] op_sel_hi:[1,1,0]
	;; [unrolled: 1-line block ×4, first 2 shown]
	s_wait_loadcnt_dscnt 0x101
	v_cvt_f32_f16_e32 v3, v4
	v_fma_mix_f32 v39, v4, v41, v39 op_sel_hi:[1,1,0]
	v_fma_mix_f32 v40, v4, v43, v40 op_sel_hi:[1,1,0]
	;; [unrolled: 1-line block ×4, first 2 shown]
	s_wait_loadcnt_dscnt 0x0
	v_cvt_f32_f16_e32 v4, v38
	v_fma_mix_f32 v41, v38, v41, v39 op_sel:[0,1,0] op_sel_hi:[1,1,0]
	v_fma_mix_f32 v40, v38, v43, v40 op_sel:[0,1,0] op_sel_hi:[1,1,0]
	;; [unrolled: 1-line block ×4, first 2 shown]
	s_and_not1_saveexec_b32 s20, s6
	s_cbranch_execz .LBB460_20
.LBB460_46:                             ;   in Loop: Header=BB460_18 Depth=2
	s_wait_dscnt 0x0
	v_dual_mov_b32 v38, 0 :: v_dual_mov_b32 v39, 0
	v_dual_mov_b32 v40, 0 :: v_dual_mov_b32 v41, 0
	s_and_saveexec_b32 s25, s5
	s_cbranch_execz .LBB460_63
; %bb.47:                               ;   in Loop: Header=BB460_18 Depth=2
	s_and_not1_b32 vcc_lo, exec_lo, s64
	s_wait_alu 0xfffe
	s_cbranch_vccnz .LBB460_50
; %bb.48:                               ;   in Loop: Header=BB460_18 Depth=2
	v_mov_b32_e32 v27, v5
	s_mov_b64 s[56:57], 0
.LBB460_49:                             ;   Parent Loop BB460_3 Depth=1
                                        ;     Parent Loop BB460_18 Depth=2
                                        ; =>    This Inner Loop Header: Depth=3
	s_delay_alu instid0(VALU_DEP_1) | instskip(SKIP_2) | instid1(VALU_DEP_1)
	v_ashrrev_i32_e32 v28, 31, v27
	s_wait_alu 0xfffe
	s_cmp_eq_u32 s56, 3
	v_lshlrev_b64_e32 v[38:39], 1, v[27:28]
	s_delay_alu instid0(VALU_DEP_1) | instskip(SKIP_1) | instid1(VALU_DEP_2)
	v_add_co_u32 v38, vcc_lo, v17, v38
	s_wait_alu 0xfffd
	v_add_co_ci_u32_e64 v39, null, v18, v39, vcc_lo
	s_cselect_b32 vcc_lo, -1, 0
	s_cmp_eq_u32 s56, 2
	s_cselect_b32 s6, -1, 0
	flat_load_u16 v28, v[38:39]
	s_cmp_eq_u32 s56, 1
	s_cselect_b32 s7, -1, 0
	s_cmp_eq_u32 s56, 0
	s_add_nc_u64 s[56:57], s[56:57], 1
	s_wait_loadcnt_dscnt 0x0
	v_cvt_f32_f16_e32 v28, v28
	s_wait_alu 0xfffe
	s_delay_alu instid0(VALU_DEP_1)
	v_dual_cndmask_b32 v4, v4, v28 :: v_dual_add_nc_u32 v27, s33, v27
	s_cselect_b32 vcc_lo, -1, 0
	v_cndmask_b32_e64 v3, v3, v28, s6
	v_cndmask_b32_e64 v2, v2, v28, s7
	s_wait_alu 0xfffe
	v_cndmask_b32_e32 v1, v1, v28, vcc_lo
	s_cmp_eq_u32 s62, s56
	s_cbranch_scc0 .LBB460_49
.LBB460_50:                             ;   in Loop: Header=BB460_18 Depth=2
	s_and_not1_b32 vcc_lo, exec_lo, s64
	s_wait_alu 0xfffe
	s_cbranch_vccnz .LBB460_62
; %bb.51:                               ;   in Loop: Header=BB460_18 Depth=2
	s_ashr_i32 s9, s8, 31
	v_dual_mov_b32 v41, 0 :: v_dual_mov_b32 v40, 0
	s_wait_alu 0xfffe
	s_lshl_b64 s[6:7], s[8:9], 1
	v_dual_mov_b32 v39, 0 :: v_dual_mov_b32 v38, 0
	s_wait_alu 0xfffe
	v_add_co_u32 v27, vcc_lo, v32, s6
	s_wait_alu 0xfffd
	v_add_co_ci_u32_e64 v28, null, s7, v33, vcc_lo
	s_mov_b64 s[56:57], 0
.LBB460_52:                             ;   Parent Loop BB460_3 Depth=1
                                        ;     Parent Loop BB460_18 Depth=2
                                        ; =>    This Inner Loop Header: Depth=3
	s_wait_alu 0xfffe
	s_cmp_eq_u32 s56, 1
	s_cselect_b32 vcc_lo, -1, 0
	s_cmp_eq_u32 s56, 2
	s_wait_alu 0xfffe
	v_cndmask_b32_e32 v42, v1, v2, vcc_lo
	s_cselect_b32 vcc_lo, -1, 0
	s_cmp_eq_u32 s56, 3
	s_wait_alu 0xfffe
	s_delay_alu instid0(VALU_DEP_1)
	v_cndmask_b32_e32 v48, v42, v3, vcc_lo
	s_cselect_b32 vcc_lo, -1, 0
	s_add_co_i32 s6, s54, s56
	s_add_co_i32 s66, s52, s56
	s_wait_alu 0xfffe
	s_ashr_i32 s7, s6, 31
	s_add_co_i32 s68, s50, s56
	s_ashr_i32 s67, s66, 31
	s_wait_alu 0xfffe
	s_lshl_b64 s[6:7], s[6:7], 1
	s_ashr_i32 s69, s68, 31
	s_lshl_b64 s[66:67], s[66:67], 1
	s_wait_alu 0xfffe
	v_add_co_u32 v42, s6, v32, s6
	s_lshl_b64 s[68:69], s[68:69], 1
	v_add_co_ci_u32_e64 v43, null, s7, v33, s6
	v_add_co_u32 v44, s6, v32, s66
	s_wait_alu 0xf1ff
	v_add_co_ci_u32_e64 v45, null, s67, v33, s6
	s_wait_alu 0xfffe
	v_add_co_u32 v46, s6, v32, s68
	s_wait_alu 0xf1ff
	v_add_co_ci_u32_e64 v47, null, s69, v33, s6
	flat_load_u16 v49, v[27:28]
	s_clause 0x2
	flat_load_u16 v42, v[42:43]
	flat_load_u16 v43, v[44:45]
	;; [unrolled: 1-line block ×3, first 2 shown]
	v_cndmask_b32_e32 v45, v48, v4, vcc_lo
	v_add_co_u32 v27, s6, v27, 2
	s_wait_alu 0xf1ff
	v_add_co_ci_u32_e64 v28, null, 0, v28, s6
	s_add_nc_u64 s[56:57], s[56:57], 1
	s_wait_alu 0xfffe
	s_cmp_lg_u32 s62, s56
	s_wait_loadcnt_dscnt 0x303
	v_fma_mix_f32 v41, v45, v49, v41 op_sel_hi:[0,1,0]
	s_wait_loadcnt_dscnt 0x202
	v_fma_mix_f32 v40, v45, v42, v40 op_sel_hi:[0,1,0]
	s_wait_loadcnt_dscnt 0x101
	v_fma_mix_f32 v39, v45, v43, v39 op_sel_hi:[0,1,0]
	s_wait_loadcnt_dscnt 0x0
	v_fma_mix_f32 v38, v45, v44, v38 op_sel_hi:[0,1,0]
	s_cbranch_scc1 .LBB460_52
	s_branch .LBB460_63
.LBB460_53:                             ;   in Loop: Header=BB460_18 Depth=2
	ds_load_b32 v27, v29
	s_wait_alu 0xfffe
	s_or_b32 exec_lo, exec_lo, s6
	s_and_saveexec_b32 s6, s1
	s_cbranch_execz .LBB460_26
.LBB460_54:                             ;   in Loop: Header=BB460_18 Depth=2
	s_wait_dscnt 0x0
	ds_bpermute_b32 v28, v35, v27
	s_wait_dscnt 0x0
	v_add_f32_e32 v27, v27, v28
	ds_bpermute_b32 v28, v36, v27
	s_wait_dscnt 0x0
	v_add_f32_e32 v27, v27, v28
	;; [unrolled: 3-line block ×3, first 2 shown]
	s_wait_alu 0xfffe
	s_or_b32 exec_lo, exec_lo, s6
	s_and_saveexec_b32 s6, s1
	s_cbranch_execnz .LBB460_27
	s_branch .LBB460_28
.LBB460_55:                             ;   in Loop: Header=BB460_18 Depth=2
	ds_load_b32 v28, v29
	s_wait_alu 0xfffe
	s_or_b32 exec_lo, exec_lo, s6
	s_and_saveexec_b32 s6, s1
	s_cbranch_execz .LBB460_32
.LBB460_56:                             ;   in Loop: Header=BB460_18 Depth=2
	s_wait_dscnt 0x0
	ds_bpermute_b32 v40, v35, v28
	s_wait_dscnt 0x0
	v_add_f32_e32 v28, v28, v40
	ds_bpermute_b32 v40, v36, v28
	s_wait_dscnt 0x0
	v_add_f32_e32 v28, v28, v40
	;; [unrolled: 3-line block ×3, first 2 shown]
	s_wait_alu 0xfffe
	s_or_b32 exec_lo, exec_lo, s6
	s_and_saveexec_b32 s6, s1
	s_cbranch_execnz .LBB460_33
	s_branch .LBB460_34
.LBB460_57:                             ;   in Loop: Header=BB460_18 Depth=2
	ds_load_b32 v39, v29
	s_wait_alu 0xfffe
	s_or_b32 exec_lo, exec_lo, s6
	s_and_saveexec_b32 s6, s1
	s_cbranch_execz .LBB460_38
.LBB460_58:                             ;   in Loop: Header=BB460_18 Depth=2
	s_wait_dscnt 0x0
	ds_bpermute_b32 v40, v35, v39
	s_wait_dscnt 0x0
	v_add_f32_e32 v39, v39, v40
	ds_bpermute_b32 v40, v36, v39
	s_wait_dscnt 0x0
	v_add_f32_e32 v39, v39, v40
	;; [unrolled: 3-line block ×3, first 2 shown]
	s_wait_alu 0xfffe
	s_or_b32 exec_lo, exec_lo, s6
	s_and_saveexec_b32 s6, s1
	s_cbranch_execnz .LBB460_39
	s_branch .LBB460_40
.LBB460_59:                             ;   in Loop: Header=BB460_18 Depth=2
	ds_load_b32 v38, v29
	s_wait_alu 0xfffe
	s_or_b32 exec_lo, exec_lo, s6
	s_and_saveexec_b32 s6, s1
	s_cbranch_execz .LBB460_44
.LBB460_60:                             ;   in Loop: Header=BB460_18 Depth=2
	s_wait_dscnt 0x0
	ds_bpermute_b32 v40, v35, v38
	s_wait_dscnt 0x0
	v_add_f32_e32 v38, v38, v40
	ds_bpermute_b32 v40, v36, v38
	s_wait_dscnt 0x0
	v_add_f32_e32 v38, v38, v40
	;; [unrolled: 3-line block ×3, first 2 shown]
	s_wait_alu 0xfffe
	s_or_b32 exec_lo, exec_lo, s6
	s_and_saveexec_b32 s6, s0
	s_cbranch_execz .LBB460_17
.LBB460_61:                             ;   in Loop: Header=BB460_18 Depth=2
	s_mul_i32 s7, s11, s30
	v_dual_mul_f32 v27, s22, v27 :: v_dual_mul_f32 v28, s22, v28
	s_wait_alu 0xfffe
	s_add_co_i32 s34, s7, s24
	s_wait_alu 0xfffe
	s_lshl_b64 s[56:57], s[34:35], 2
	s_add_co_i32 s34, s34, s30
	s_wait_alu 0xfffe
	s_add_nc_u64 s[56:57], s[48:49], s[56:57]
	s_lshl_b64 s[66:67], s[34:35], 2
	s_add_co_i32 s34, s34, s30
	s_wait_alu 0xfffe
	s_add_nc_u64 s[66:67], s[48:49], s[66:67]
	s_clause 0x1
	global_store_b32 v0, v27, s[56:57]
	global_store_b32 v0, v28, s[66:67]
	s_wait_dscnt 0x0
	v_dual_mul_f32 v27, s22, v39 :: v_dual_mul_f32 v28, s22, v38
	s_lshl_b64 s[56:57], s[34:35], 2
	s_add_co_i32 s34, s34, s30
	s_wait_alu 0xfffe
	s_add_nc_u64 s[56:57], s[48:49], s[56:57]
	s_lshl_b64 s[66:67], s[34:35], 2
	s_wait_alu 0xfffe
	s_add_nc_u64 s[66:67], s[48:49], s[66:67]
	s_clause 0x1
	global_store_b32 v0, v27, s[56:57]
	global_store_b32 v0, v28, s[66:67]
	s_branch .LBB460_17
.LBB460_62:                             ;   in Loop: Header=BB460_18 Depth=2
	v_dual_mov_b32 v38, 0 :: v_dual_mov_b32 v39, 0
	v_dual_mov_b32 v40, 0 :: v_dual_mov_b32 v41, 0
.LBB460_63:                             ;   in Loop: Header=BB460_18 Depth=2
	s_or_b32 exec_lo, exec_lo, s25
	s_wait_alu 0xfffe
	s_or_b32 exec_lo, exec_lo, s20
	s_and_saveexec_b32 s6, s1
	s_cbranch_execnz .LBB460_21
	s_branch .LBB460_22
.LBB460_64:                             ;   in Loop: Header=BB460_3 Depth=1
	v_mov_b32_e32 v3, v0
	v_dual_mov_b32 v1, v0 :: v_dual_mov_b32 v2, v0
	s_mov_b32 s11, 0
	s_delay_alu instid0(VALU_DEP_2) | instskip(NEXT) | instid1(VALU_DEP_2)
	v_mov_b32_e32 v4, v3
	v_mov_b32_e32 v3, v2
	s_delay_alu instid0(VALU_DEP_3)
	v_mov_b32_e32 v2, v1
	v_mov_b32_e32 v1, v0
.LBB460_65:                             ;   in Loop: Header=BB460_3 Depth=1
	s_cmp_ge_i32 s11, s21
	s_cbranch_scc1 .LBB460_2
; %bb.66:                               ;   in Loop: Header=BB460_3 Depth=1
	v_cmp_gt_u32_e32 vcc_lo, 24, v31
	s_add_nc_u64 s[8:9], s[48:49], s[46:47]
	s_mul_i32 s48, s26, s11
	s_mov_b32 s34, s11
	s_wait_alu 0xfffd
	v_cndmask_b32_e64 v19, 0, 8, vcc_lo
	v_cmp_gt_u32_e32 vcc_lo, 28, v31
	s_delay_alu instid0(VALU_DEP_2) | instskip(SKIP_3) | instid1(VALU_DEP_2)
	v_add_lshl_u32 v34, v19, v31, 2
	s_wait_alu 0xfffd
	v_cndmask_b32_e64 v20, 0, 4, vcc_lo
	v_cmp_gt_u32_e32 vcc_lo, 30, v31
	v_add_lshl_u32 v35, v20, v31, 2
	s_wait_alu 0xfffd
	v_cndmask_b32_e64 v21, 0, 2, vcc_lo
	v_cmp_ne_u32_e32 vcc_lo, 31, v31
	s_delay_alu instid0(VALU_DEP_2)
	v_add_lshl_u32 v36, v21, v31, 2
	s_wait_alu 0xfffd
	v_add_co_ci_u32_e64 v22, null, 0, v31, vcc_lo
	v_add_co_u32 v19, vcc_lo, v17, v9
	s_wait_alu 0xfffd
	v_add_co_ci_u32_e64 v20, null, v18, v10, vcc_lo
	v_add_co_u32 v21, vcc_lo, v17, v11
	v_lshlrev_b32_e32 v37, 2, v22
	s_wait_alu 0xfffd
	v_add_co_ci_u32_e64 v22, null, v18, v12, vcc_lo
	v_add_co_u32 v23, vcc_lo, v17, v13
	s_wait_alu 0xfffd
	v_add_co_ci_u32_e64 v24, null, v18, v14, vcc_lo
	v_add_co_u32 v25, vcc_lo, v17, v15
	s_wait_alu 0xfffd
	v_add_co_ci_u32_e64 v26, null, v18, v16, vcc_lo
	s_branch .LBB460_68
.LBB460_67:                             ;   in Loop: Header=BB460_68 Depth=2
	s_wait_alu 0xfffe
	s_or_b32 exec_lo, exec_lo, s6
	s_add_co_i32 s34, s34, 1
	s_add_co_i32 s48, s48, s26
	s_wait_alu 0xfffe
	s_cmp_ge_i32 s34, s21
	s_cbranch_scc1 .LBB460_2
.LBB460_68:                             ;   Parent Loop BB460_3 Depth=1
                                        ; =>  This Loop Header: Depth=2
                                        ;       Child Loop BB460_81 Depth 3
                                        ;       Child Loop BB460_84 Depth 3
	s_wait_dscnt 0x0
	v_mov_b32_e32 v38, s35
	s_and_saveexec_b32 s6, s4
	s_wait_alu 0xfffe
	s_xor_b32 s6, exec_lo, s6
	s_cbranch_execnz .LBB460_77
; %bb.69:                               ;   in Loop: Header=BB460_68 Depth=2
	s_wait_alu 0xfffe
	s_and_not1_saveexec_b32 s11, s6
	s_cbranch_execnz .LBB460_78
.LBB460_70:                             ;   in Loop: Header=BB460_68 Depth=2
	s_or_b32 exec_lo, exec_lo, s11
	s_and_saveexec_b32 s6, s1
.LBB460_71:                             ;   in Loop: Header=BB460_68 Depth=2
	ds_store_b32 v29, v0
.LBB460_72:                             ;   in Loop: Header=BB460_68 Depth=2
	s_wait_alu 0xfffe
	s_or_b32 exec_lo, exec_lo, s6
	ds_bpermute_b32 v27, v6, v38
	s_wait_storecnt 0x0
	s_wait_loadcnt_dscnt 0x0
	s_barrier_signal -1
	s_barrier_wait -1
	global_inv scope:SCOPE_SE
	v_add_f32_e32 v27, v38, v27
	ds_bpermute_b32 v28, v34, v27
	s_wait_dscnt 0x0
	v_add_f32_e32 v27, v27, v28
	ds_bpermute_b32 v28, v35, v27
	s_wait_dscnt 0x0
	;; [unrolled: 3-line block ×3, first 2 shown]
	v_add_f32_e32 v27, v27, v28
	ds_bpermute_b32 v28, v37, v27
	s_and_saveexec_b32 s6, s3
	s_cbranch_execz .LBB460_74
; %bb.73:                               ;   in Loop: Header=BB460_68 Depth=2
	s_wait_dscnt 0x0
	v_add_f32_e32 v27, v27, v28
	ds_store_b32 v30, v27
.LBB460_74:                             ;   in Loop: Header=BB460_68 Depth=2
	s_wait_alu 0xfffe
	s_or_b32 exec_lo, exec_lo, s6
	v_mov_b32_e32 v27, 0
	s_wait_loadcnt_dscnt 0x0
	s_barrier_signal -1
	s_barrier_wait -1
	global_inv scope:SCOPE_SE
	s_and_saveexec_b32 s6, s2
	s_cbranch_execnz .LBB460_86
; %bb.75:                               ;   in Loop: Header=BB460_68 Depth=2
	s_wait_alu 0xfffe
	s_or_b32 exec_lo, exec_lo, s6
	s_and_saveexec_b32 s6, s1
	s_cbranch_execnz .LBB460_87
.LBB460_76:                             ;   in Loop: Header=BB460_68 Depth=2
	s_wait_alu 0xfffe
	s_or_b32 exec_lo, exec_lo, s6
	s_and_saveexec_b32 s6, s0
	s_cbranch_execz .LBB460_67
	s_branch .LBB460_88
.LBB460_77:                             ;   in Loop: Header=BB460_68 Depth=2
	s_mul_i32 s50, s34, s26
	s_wait_alu 0xfffe
	s_ashr_i32 s51, s50, 31
	s_wait_alu 0xfffe
	s_lshl_b64 s[50:51], s[50:51], 1
	s_wait_alu 0xfffe
	v_add_co_u32 v1, vcc_lo, v32, s50
	s_wait_alu 0xfffd
	v_add_co_ci_u32_e64 v2, null, s51, v33, vcc_lo
	flat_load_b64 v[27:28], v[1:2]
	s_clause 0x3
	flat_load_u16 v1, v[19:20]
	flat_load_u16 v2, v[21:22]
	;; [unrolled: 1-line block ×4, first 2 shown]
	s_wait_loadcnt_dscnt 0x303
	v_fma_mix_f32 v4, v1, v27, 0 op_sel_hi:[1,1,0]
	v_cvt_f32_f16_e32 v1, v1
	s_wait_loadcnt_dscnt 0x202
	s_delay_alu instid0(VALU_DEP_2) | instskip(SKIP_2) | instid1(VALU_DEP_2)
	v_fma_mix_f32 v4, v2, v27, v4 op_sel:[0,1,0] op_sel_hi:[1,1,0]
	v_cvt_f32_f16_e32 v2, v2
	s_wait_loadcnt_dscnt 0x101
	v_fma_mix_f32 v27, v3, v28, v4 op_sel_hi:[1,1,0]
	v_cvt_f32_f16_e32 v3, v3
	s_wait_loadcnt_dscnt 0x0
	v_cvt_f32_f16_e32 v4, v38
	s_delay_alu instid0(VALU_DEP_3)
	v_fma_mix_f32 v38, v38, v28, v27 op_sel:[0,1,0] op_sel_hi:[1,1,0]
	s_and_not1_saveexec_b32 s11, s6
	s_cbranch_execz .LBB460_70
.LBB460_78:                             ;   in Loop: Header=BB460_68 Depth=2
	s_and_saveexec_b32 s20, s5
	s_cbranch_execz .LBB460_85
; %bb.79:                               ;   in Loop: Header=BB460_68 Depth=2
	s_and_not1_b32 vcc_lo, exec_lo, s64
	s_wait_alu 0xfffe
	s_cbranch_vccnz .LBB460_82
; %bb.80:                               ;   in Loop: Header=BB460_68 Depth=2
	v_mov_b32_e32 v27, v5
	s_mov_b64 s[50:51], 0
.LBB460_81:                             ;   Parent Loop BB460_3 Depth=1
                                        ;     Parent Loop BB460_68 Depth=2
                                        ; =>    This Inner Loop Header: Depth=3
	s_delay_alu instid0(VALU_DEP_1) | instskip(SKIP_2) | instid1(VALU_DEP_1)
	v_ashrrev_i32_e32 v28, 31, v27
	s_wait_alu 0xfffe
	s_cmp_eq_u32 s50, 3
	v_lshlrev_b64_e32 v[39:40], 1, v[27:28]
	s_delay_alu instid0(VALU_DEP_1) | instskip(SKIP_1) | instid1(VALU_DEP_2)
	v_add_co_u32 v39, vcc_lo, v17, v39
	s_wait_alu 0xfffd
	v_add_co_ci_u32_e64 v40, null, v18, v40, vcc_lo
	s_cselect_b32 vcc_lo, -1, 0
	s_cmp_eq_u32 s50, 2
	s_cselect_b32 s6, -1, 0
	flat_load_u16 v28, v[39:40]
	s_cmp_eq_u32 s50, 1
	s_cselect_b32 s7, -1, 0
	s_cmp_eq_u32 s50, 0
	s_add_nc_u64 s[50:51], s[50:51], 1
	s_wait_loadcnt_dscnt 0x0
	v_cvt_f32_f16_e32 v28, v28
	s_wait_alu 0xfffe
	s_delay_alu instid0(VALU_DEP_1)
	v_dual_cndmask_b32 v4, v4, v28 :: v_dual_add_nc_u32 v27, s33, v27
	s_cselect_b32 vcc_lo, -1, 0
	v_cndmask_b32_e64 v3, v3, v28, s6
	v_cndmask_b32_e64 v2, v2, v28, s7
	s_wait_alu 0xfffe
	v_cndmask_b32_e32 v1, v1, v28, vcc_lo
	s_cmp_eq_u32 s62, s50
	s_cbranch_scc0 .LBB460_81
.LBB460_82:                             ;   in Loop: Header=BB460_68 Depth=2
	s_and_not1_b32 vcc_lo, exec_lo, s64
	s_wait_alu 0xfffe
	s_cbranch_vccnz .LBB460_85
; %bb.83:                               ;   in Loop: Header=BB460_68 Depth=2
	s_ashr_i32 s49, s48, 31
	s_delay_alu instid0(SALU_CYCLE_1)
	s_lshl_b64 s[6:7], s[48:49], 1
	s_wait_alu 0xfffe
	v_add_co_u32 v27, vcc_lo, v32, s6
	s_wait_alu 0xfffd
	v_add_co_ci_u32_e64 v28, null, s7, v33, vcc_lo
	s_mov_b64 s[6:7], 0
.LBB460_84:                             ;   Parent Loop BB460_3 Depth=1
                                        ;     Parent Loop BB460_68 Depth=2
                                        ; =>    This Inner Loop Header: Depth=3
	flat_load_u16 v39, v[27:28]
	s_wait_alu 0xfffe
	s_cmp_eq_u32 s6, 1
	s_cselect_b32 vcc_lo, -1, 0
	s_cmp_eq_u32 s6, 2
	s_wait_alu 0xfffe
	v_cndmask_b32_e32 v40, v1, v2, vcc_lo
	s_cselect_b32 vcc_lo, -1, 0
	s_cmp_eq_u32 s6, 3
	s_add_nc_u64 s[6:7], s[6:7], 1
	s_wait_alu 0xfffe
	v_cndmask_b32_e32 v40, v40, v3, vcc_lo
	s_cselect_b32 vcc_lo, -1, 0
	s_cmp_lg_u32 s62, s6
	s_wait_alu 0xfffe
	s_delay_alu instid0(VALU_DEP_1)
	v_cndmask_b32_e32 v40, v40, v4, vcc_lo
	v_add_co_u32 v27, vcc_lo, v27, 2
	s_wait_alu 0xfffd
	v_add_co_ci_u32_e64 v28, null, 0, v28, vcc_lo
	s_wait_loadcnt_dscnt 0x0
	v_fma_mix_f32 v38, v40, v39, v38 op_sel_hi:[0,1,0]
	s_cbranch_scc1 .LBB460_84
.LBB460_85:                             ;   in Loop: Header=BB460_68 Depth=2
	s_wait_alu 0xfffe
	s_or_b32 exec_lo, exec_lo, s20
	s_delay_alu instid0(SALU_CYCLE_1)
	s_or_b32 exec_lo, exec_lo, s11
	s_and_saveexec_b32 s6, s1
	s_cbranch_execnz .LBB460_71
	s_branch .LBB460_72
.LBB460_86:                             ;   in Loop: Header=BB460_68 Depth=2
	ds_load_b32 v27, v29
	s_wait_alu 0xfffe
	s_or_b32 exec_lo, exec_lo, s6
	s_and_saveexec_b32 s6, s1
	s_cbranch_execz .LBB460_76
.LBB460_87:                             ;   in Loop: Header=BB460_68 Depth=2
	s_wait_dscnt 0x0
	ds_bpermute_b32 v28, v35, v27
	s_wait_dscnt 0x0
	v_add_f32_e32 v27, v27, v28
	ds_bpermute_b32 v28, v36, v27
	s_wait_dscnt 0x0
	v_add_f32_e32 v27, v27, v28
	;; [unrolled: 3-line block ×3, first 2 shown]
	s_wait_alu 0xfffe
	s_or_b32 exec_lo, exec_lo, s6
	s_and_saveexec_b32 s6, s0
	s_cbranch_execz .LBB460_67
.LBB460_88:                             ;   in Loop: Header=BB460_68 Depth=2
	s_mul_u64 s[50:51], s[34:35], s[30:31]
	s_wait_dscnt 0x0
	v_mul_f32_e32 v27, s22, v27
	s_wait_alu 0xfffe
	s_lshl_b64 s[50:51], s[50:51], 2
	s_wait_alu 0xfffe
	s_add_nc_u64 s[50:51], s[8:9], s[50:51]
	global_store_b32 v0, v27, s[50:51]
	s_branch .LBB460_67
.LBB460_89:
	s_endpgm
	.section	.rodata,"a",@progbits
	.p2align	6, 0x0
	.amdhsa_kernel _ZL23rocblas_gemvt_sn_kernelILb1ELi256ELi4EiPKDF16_ffEviiT4_lPKT3_lilS5_lilPT5_i
		.amdhsa_group_segment_fixed_size 128
		.amdhsa_private_segment_fixed_size 0
		.amdhsa_kernarg_size 360
		.amdhsa_user_sgpr_count 2
		.amdhsa_user_sgpr_dispatch_ptr 0
		.amdhsa_user_sgpr_queue_ptr 0
		.amdhsa_user_sgpr_kernarg_segment_ptr 1
		.amdhsa_user_sgpr_dispatch_id 0
		.amdhsa_user_sgpr_private_segment_size 0
		.amdhsa_wavefront_size32 1
		.amdhsa_uses_dynamic_stack 0
		.amdhsa_enable_private_segment 0
		.amdhsa_system_sgpr_workgroup_id_x 1
		.amdhsa_system_sgpr_workgroup_id_y 0
		.amdhsa_system_sgpr_workgroup_id_z 1
		.amdhsa_system_sgpr_workgroup_info 0
		.amdhsa_system_vgpr_workitem_id 0
		.amdhsa_next_free_vgpr 50
		.amdhsa_next_free_sgpr 70
		.amdhsa_reserve_vcc 1
		.amdhsa_float_round_mode_32 0
		.amdhsa_float_round_mode_16_64 0
		.amdhsa_float_denorm_mode_32 3
		.amdhsa_float_denorm_mode_16_64 3
		.amdhsa_fp16_overflow 0
		.amdhsa_workgroup_processor_mode 1
		.amdhsa_memory_ordered 1
		.amdhsa_forward_progress 1
		.amdhsa_inst_pref_size 37
		.amdhsa_round_robin_scheduling 0
		.amdhsa_exception_fp_ieee_invalid_op 0
		.amdhsa_exception_fp_denorm_src 0
		.amdhsa_exception_fp_ieee_div_zero 0
		.amdhsa_exception_fp_ieee_overflow 0
		.amdhsa_exception_fp_ieee_underflow 0
		.amdhsa_exception_fp_ieee_inexact 0
		.amdhsa_exception_int_div_zero 0
	.end_amdhsa_kernel
	.section	.text._ZL23rocblas_gemvt_sn_kernelILb1ELi256ELi4EiPKDF16_ffEviiT4_lPKT3_lilS5_lilPT5_i,"axG",@progbits,_ZL23rocblas_gemvt_sn_kernelILb1ELi256ELi4EiPKDF16_ffEviiT4_lPKT3_lilS5_lilPT5_i,comdat
.Lfunc_end460:
	.size	_ZL23rocblas_gemvt_sn_kernelILb1ELi256ELi4EiPKDF16_ffEviiT4_lPKT3_lilS5_lilPT5_i, .Lfunc_end460-_ZL23rocblas_gemvt_sn_kernelILb1ELi256ELi4EiPKDF16_ffEviiT4_lPKT3_lilS5_lilPT5_i
                                        ; -- End function
	.set _ZL23rocblas_gemvt_sn_kernelILb1ELi256ELi4EiPKDF16_ffEviiT4_lPKT3_lilS5_lilPT5_i.num_vgpr, 50
	.set _ZL23rocblas_gemvt_sn_kernelILb1ELi256ELi4EiPKDF16_ffEviiT4_lPKT3_lilS5_lilPT5_i.num_agpr, 0
	.set _ZL23rocblas_gemvt_sn_kernelILb1ELi256ELi4EiPKDF16_ffEviiT4_lPKT3_lilS5_lilPT5_i.numbered_sgpr, 70
	.set _ZL23rocblas_gemvt_sn_kernelILb1ELi256ELi4EiPKDF16_ffEviiT4_lPKT3_lilS5_lilPT5_i.num_named_barrier, 0
	.set _ZL23rocblas_gemvt_sn_kernelILb1ELi256ELi4EiPKDF16_ffEviiT4_lPKT3_lilS5_lilPT5_i.private_seg_size, 0
	.set _ZL23rocblas_gemvt_sn_kernelILb1ELi256ELi4EiPKDF16_ffEviiT4_lPKT3_lilS5_lilPT5_i.uses_vcc, 1
	.set _ZL23rocblas_gemvt_sn_kernelILb1ELi256ELi4EiPKDF16_ffEviiT4_lPKT3_lilS5_lilPT5_i.uses_flat_scratch, 1
	.set _ZL23rocblas_gemvt_sn_kernelILb1ELi256ELi4EiPKDF16_ffEviiT4_lPKT3_lilS5_lilPT5_i.has_dyn_sized_stack, 0
	.set _ZL23rocblas_gemvt_sn_kernelILb1ELi256ELi4EiPKDF16_ffEviiT4_lPKT3_lilS5_lilPT5_i.has_recursion, 0
	.set _ZL23rocblas_gemvt_sn_kernelILb1ELi256ELi4EiPKDF16_ffEviiT4_lPKT3_lilS5_lilPT5_i.has_indirect_call, 0
	.section	.AMDGPU.csdata,"",@progbits
; Kernel info:
; codeLenInByte = 4672
; TotalNumSgprs: 72
; NumVgprs: 50
; ScratchSize: 0
; MemoryBound: 0
; FloatMode: 240
; IeeeMode: 1
; LDSByteSize: 128 bytes/workgroup (compile time only)
; SGPRBlocks: 0
; VGPRBlocks: 6
; NumSGPRsForWavesPerEU: 72
; NumVGPRsForWavesPerEU: 50
; Occupancy: 16
; WaveLimiterHint : 0
; COMPUTE_PGM_RSRC2:SCRATCH_EN: 0
; COMPUTE_PGM_RSRC2:USER_SGPR: 2
; COMPUTE_PGM_RSRC2:TRAP_HANDLER: 0
; COMPUTE_PGM_RSRC2:TGID_X_EN: 1
; COMPUTE_PGM_RSRC2:TGID_Y_EN: 0
; COMPUTE_PGM_RSRC2:TGID_Z_EN: 1
; COMPUTE_PGM_RSRC2:TIDIG_COMP_CNT: 0
	.section	.text._ZL23rocblas_gemvt_sn_kernelILb1ELi256ELi4ElPKDF16_ffEviiT4_lPKT3_lilS5_lilPT5_i,"axG",@progbits,_ZL23rocblas_gemvt_sn_kernelILb1ELi256ELi4ElPKDF16_ffEviiT4_lPKT3_lilS5_lilPT5_i,comdat
	.globl	_ZL23rocblas_gemvt_sn_kernelILb1ELi256ELi4ElPKDF16_ffEviiT4_lPKT3_lilS5_lilPT5_i ; -- Begin function _ZL23rocblas_gemvt_sn_kernelILb1ELi256ELi4ElPKDF16_ffEviiT4_lPKT3_lilS5_lilPT5_i
	.p2align	8
	.type	_ZL23rocblas_gemvt_sn_kernelILb1ELi256ELi4ElPKDF16_ffEviiT4_lPKT3_lilS5_lilPT5_i,@function
_ZL23rocblas_gemvt_sn_kernelILb1ELi256ELi4ElPKDF16_ffEviiT4_lPKT3_lilS5_lilPT5_i: ; @_ZL23rocblas_gemvt_sn_kernelILb1ELi256ELi4ElPKDF16_ffEviiT4_lPKT3_lilS5_lilPT5_i
; %bb.0:
	s_load_b32 s23, s[0:1], 0x60
	s_lshr_b32 s10, ttmp7, 16
	s_wait_kmcnt 0x0
	s_cmp_ge_u32 s10, s23
	s_cbranch_scc1 .LBB461_89
; %bb.1:
	s_clause 0x6
	s_load_b32 s26, s[0:1], 0x28
	s_load_b32 s6, s[0:1], 0x48
	s_load_b96 s[20:22], s[0:1], 0x0
	s_load_b128 s[12:15], s[0:1], 0x18
	s_load_b32 s28, s[0:1], 0x68
	s_load_b128 s[16:19], s[0:1], 0x38
	s_load_b64 s[30:31], s[0:1], 0x58
	s_mov_b32 s25, 0
	v_cmp_eq_u32_e64 s0, 0, v0
	s_mov_b32 s29, s25
	v_and_b32_e32 v1, 31, v0
	v_cmp_gt_u32_e64 s1, 32, v0
	v_cmp_gt_u32_e64 s2, 8, v0
	v_lshrrev_b32_e32 v2, 3, v0
	v_mbcnt_lo_u32_b32 v33, -1, 0
	v_cmp_eq_u32_e64 s3, 0, v1
	v_lshlrev_b32_e32 v31, 2, v1
	s_mov_b32 s24, ttmp9
	v_and_b32_e32 v32, 28, v2
	v_lshl_or_b32 v34, v33, 2, 64
	s_wait_kmcnt 0x0
	s_ashr_i32 s27, s26, 31
	s_ashr_i32 s7, s6, 31
	s_cmp_neq_f32 s22, 0
	s_mov_b32 s4, s21
	s_mul_u64 s[40:41], s[26:27], 6
	s_cselect_b32 s33, -1, 0
	s_cmp_eq_f32 s22, 0
	s_cselect_b32 s52, -1, 0
	s_ashr_i32 s5, s21, 31
	s_cmp_gt_i32 s21, 0
	s_mul_u64 s[34:35], s[4:5], s[28:29]
	s_cselect_b32 s4, -1, 0
	s_ashr_i32 s9, s20, 31
	s_and_b32 s53, s0, s4
	s_lshr_b32 s4, s9, 30
	s_lshl_b32 s8, ttmp9, 10
	s_add_co_i32 s4, s20, s4
	v_lshl_or_b32 v0, v0, 2, s8
	s_and_b32 s4, s4, -4
	s_lshr_b32 s5, s5, 30
	s_sub_co_i32 s55, s20, s4
	s_add_co_i32 s5, s21, s5
	v_add_nc_u32_e32 v4, s55, v0
	s_and_b32 s54, s5, -4
	v_add_nc_u32_e32 v3, 4, v0
	v_or_b32_e32 v5, 2, v0
	v_or_b32_e32 v6, 3, v0
	v_cmp_ge_i32_e64 s5, s20, v4
	v_or_b32_e32 v4, 1, v0
	v_cmp_ge_i32_e64 s4, s20, v3
	v_mad_co_i64_i32 v[2:3], null, s6, v0, 0
	v_mad_co_i64_i32 v[11:12], null, s6, v5, 0
	s_delay_alu instid0(VALU_DEP_4)
	v_mad_co_i64_i32 v[9:10], null, s6, v4, 0
	v_mad_co_i64_i32 v[13:14], null, s6, v6, 0
	v_ashrrev_i32_e32 v1, 31, v0
	s_wait_alu 0xfffe
	s_cmp_gt_i32 s54, 0
	v_lshlrev_b64_e32 v[5:6], 1, v[2:3]
	v_lshlrev_b64_e32 v[11:12], 1, v[11:12]
	;; [unrolled: 1-line block ×5, first 2 shown]
	v_mov_b32_e32 v0, 0
	s_cselect_b32 s56, -1, 0
	s_cmp_gt_i32 s55, 0
	s_cselect_b32 s57, -1, 0
	s_lshl_b64 s[36:37], s[28:29], 2
	s_lshl_b64 s[38:39], s[6:7], 1
	s_lshl_b64 s[42:43], s[26:27], 3
	s_lshl_b64 s[44:45], s[26:27], 2
	s_lshl_b64 s[46:47], s[26:27], 1
	s_lshl_b64 s[14:15], s[14:15], 1
	s_lshl_b64 s[18:19], s[18:19], 1
	s_lshl_b64 s[48:49], s[24:25], 2
	s_branch .LBB461_3
.LBB461_2:                              ;   in Loop: Header=BB461_3 Depth=1
	s_add_co_i32 s10, s10, 0x10000
	s_delay_alu instid0(SALU_CYCLE_1)
	s_cmp_lt_u32 s10, s23
	s_cbranch_scc0 .LBB461_89
.LBB461_3:                              ; =>This Loop Header: Depth=1
                                        ;     Child Loop BB461_12 Depth 2
                                        ;     Child Loop BB461_18 Depth 2
                                        ;       Child Loop BB461_49 Depth 3
                                        ;       Child Loop BB461_52 Depth 3
                                        ;     Child Loop BB461_68 Depth 2
                                        ;       Child Loop BB461_81 Depth 3
                                        ;       Child Loop BB461_84 Depth 3
	s_mov_b32 s11, s25
	s_and_not1_b32 vcc_lo, exec_lo, s52
	s_mov_b32 s6, -1
	s_wait_alu 0xfffe
	s_cbranch_vccnz .LBB461_5
; %bb.4:                                ;   in Loop: Header=BB461_3 Depth=1
	s_mov_b32 s6, 0
.LBB461_5:                              ;   in Loop: Header=BB461_3 Depth=1
	v_mov_b32_e32 v17, 0
	v_dual_mov_b32 v18, 0 :: v_dual_mov_b32 v1, 0
	v_mov_b32_e32 v2, 0
	s_wait_alu 0xfffe
	s_and_not1_b32 vcc_lo, exec_lo, s6
	s_wait_alu 0xfffe
	s_cbranch_vccnz .LBB461_7
; %bb.6:                                ;   in Loop: Header=BB461_3 Depth=1
	s_lshl_b64 s[6:7], s[10:11], 3
	s_wait_alu 0xfffe
	s_add_nc_u64 s[6:7], s[12:13], s[6:7]
	global_load_b64 v[1:2], v0, s[6:7]
	s_wait_loadcnt 0x0
	v_add_co_u32 v1, vcc_lo, v1, s14
	s_wait_alu 0xfffd
	v_add_co_ci_u32_e64 v2, null, s15, v2, vcc_lo
.LBB461_7:                              ;   in Loop: Header=BB461_3 Depth=1
	s_and_not1_b32 vcc_lo, exec_lo, s33
	s_wait_alu 0xfffe
	s_cbranch_vccnz .LBB461_9
; %bb.8:                                ;   in Loop: Header=BB461_3 Depth=1
	s_lshl_b64 s[6:7], s[10:11], 3
	s_wait_alu 0xfffe
	s_add_nc_u64 s[6:7], s[16:17], s[6:7]
	global_load_b64 v[3:4], v0, s[6:7]
	s_wait_loadcnt 0x0
	v_add_co_u32 v17, vcc_lo, v3, s18
	s_wait_alu 0xfffd
	v_add_co_ci_u32_e64 v18, null, s19, v4, vcc_lo
.LBB461_9:                              ;   in Loop: Header=BB461_3 Depth=1
	s_mul_u64 s[6:7], s[34:35], s[10:11]
	s_and_not1_b32 vcc_lo, exec_lo, s52
	s_wait_alu 0xfffe
	s_lshl_b64 s[6:7], s[6:7], 2
	s_wait_alu 0xfffe
	s_add_nc_u64 s[50:51], s[30:31], s[6:7]
	s_mov_b32 s6, -1
	s_cbranch_vccnz .LBB461_14
; %bb.10:                               ;   in Loop: Header=BB461_3 Depth=1
	s_and_saveexec_b32 s8, s53
	s_cbranch_execz .LBB461_13
; %bb.11:                               ;   in Loop: Header=BB461_3 Depth=1
	s_add_nc_u64 s[6:7], s[50:51], s[48:49]
	s_mov_b32 s9, s21
.LBB461_12:                             ;   Parent Loop BB461_3 Depth=1
                                        ; =>  This Inner Loop Header: Depth=2
	s_wait_alu 0xfffe
	s_add_co_i32 s9, s9, -1
	global_store_b32 v0, v0, s[6:7]
	s_wait_alu 0xfffe
	s_cmp_eq_u32 s9, 0
	s_add_nc_u64 s[6:7], s[6:7], s[36:37]
	s_cbranch_scc0 .LBB461_12
.LBB461_13:                             ;   in Loop: Header=BB461_3 Depth=1
	s_wait_alu 0xfffe
	s_or_b32 exec_lo, exec_lo, s8
	s_mov_b32 s6, 0
.LBB461_14:                             ;   in Loop: Header=BB461_3 Depth=1
	s_wait_alu 0xfffe
	s_and_not1_b32 vcc_lo, exec_lo, s6
	s_wait_alu 0xfffe
	s_cbranch_vccnz .LBB461_2
; %bb.15:                               ;   in Loop: Header=BB461_3 Depth=1
	v_add_co_u32 v15, vcc_lo, v1, v7
	s_wait_alu 0xfffd
	v_add_co_ci_u32_e64 v16, null, v2, v8, vcc_lo
	v_cmp_gt_u32_e64 s9, 24, v33
	v_cmp_gt_u32_e64 s8, 28, v33
	;; [unrolled: 1-line block ×3, first 2 shown]
	v_cmp_ne_u32_e64 s6, 31, v33
	s_and_not1_b32 vcc_lo, exec_lo, s56
	s_add_nc_u64 s[50:51], s[50:51], s[48:49]
	s_wait_alu 0xfffe
	s_cbranch_vccnz .LBB461_64
; %bb.16:                               ;   in Loop: Header=BB461_3 Depth=1
	s_wait_alu 0xf1ff
	v_cndmask_b32_e64 v2, 0, 4, s8
	v_cndmask_b32_e64 v3, 0, 2, s7
	v_add_co_u32 v19, vcc_lo, v17, v5
	v_cndmask_b32_e64 v1, 0, 8, s9
	v_add_co_ci_u32_e64 v4, null, 0, v33, s6
	v_add_lshl_u32 v36, v2, v33, 2
	v_add_lshl_u32 v37, v3, v33, 2
	s_wait_alu 0xfffd
	v_add_co_ci_u32_e64 v20, null, v18, v6, vcc_lo
	v_add_co_u32 v21, vcc_lo, v17, v9
	v_dual_mov_b32 v2, v0 :: v_dual_mov_b32 v3, v0
	s_wait_alu 0xfffd
	v_add_co_ci_u32_e64 v22, null, v18, v10, vcc_lo
	v_add_co_u32 v23, vcc_lo, v17, v11
	v_add_lshl_u32 v35, v1, v33, 2
	v_dual_mov_b32 v1, v0 :: v_dual_lshlrev_b32 v38, 2, v4
	s_wait_alu 0xfffd
	v_add_co_ci_u32_e64 v24, null, v18, v12, vcc_lo
	v_add_co_u32 v25, vcc_lo, v17, v13
	v_mov_b32_e32 v4, v3
	s_wait_alu 0xfffd
	v_add_co_ci_u32_e64 v26, null, v18, v14, vcc_lo
	s_wait_dscnt 0x0
	v_dual_mov_b32 v28, v16 :: v_dual_mov_b32 v27, v15
	v_mov_b32_e32 v3, v2
	v_mov_b32_e32 v2, v1
	;; [unrolled: 1-line block ×3, first 2 shown]
	s_mov_b32 s24, 0
	s_branch .LBB461_18
.LBB461_17:                             ;   in Loop: Header=BB461_18 Depth=2
	s_wait_alu 0xfffe
	s_or_b32 exec_lo, exec_lo, s6
	v_add_co_u32 v27, vcc_lo, v27, s42
	s_wait_alu 0xfffd
	v_add_co_ci_u32_e64 v28, null, s43, v28, vcc_lo
	s_add_co_i32 s24, s24, 4
	s_wait_alu 0xfffe
	s_cmp_ge_i32 s24, s54
	s_cbranch_scc1 .LBB461_65
.LBB461_18:                             ;   Parent Loop BB461_3 Depth=1
                                        ; =>  This Loop Header: Depth=2
                                        ;       Child Loop BB461_49 Depth 3
                                        ;       Child Loop BB461_52 Depth 3
                                        ; implicit-def: $vgpr39
                                        ; implicit-def: $vgpr40
                                        ; implicit-def: $vgpr41
                                        ; implicit-def: $vgpr42
	s_and_saveexec_b32 s6, s4
	s_wait_alu 0xfffe
	s_xor_b32 s6, exec_lo, s6
	s_cbranch_execnz .LBB461_45
; %bb.19:                               ;   in Loop: Header=BB461_18 Depth=2
	s_wait_alu 0xfffe
	s_and_not1_saveexec_b32 s11, s6
	s_cbranch_execnz .LBB461_46
.LBB461_20:                             ;   in Loop: Header=BB461_18 Depth=2
	s_or_b32 exec_lo, exec_lo, s11
	s_and_saveexec_b32 s6, s1
.LBB461_21:                             ;   in Loop: Header=BB461_18 Depth=2
	ds_store_b32 v31, v0
.LBB461_22:                             ;   in Loop: Header=BB461_18 Depth=2
	s_wait_alu 0xfffe
	s_or_b32 exec_lo, exec_lo, s6
	ds_bpermute_b32 v29, v34, v42
	s_wait_storecnt_dscnt 0x0
	s_barrier_signal -1
	s_barrier_wait -1
	global_inv scope:SCOPE_SE
	v_add_f32_e32 v29, v42, v29
	ds_bpermute_b32 v30, v35, v29
	s_wait_dscnt 0x0
	v_add_f32_e32 v29, v29, v30
	ds_bpermute_b32 v30, v36, v29
	s_wait_dscnt 0x0
	;; [unrolled: 3-line block ×3, first 2 shown]
	v_add_f32_e32 v29, v29, v30
	ds_bpermute_b32 v30, v38, v29
	s_and_saveexec_b32 s6, s3
	s_cbranch_execz .LBB461_24
; %bb.23:                               ;   in Loop: Header=BB461_18 Depth=2
	s_wait_dscnt 0x0
	v_add_f32_e32 v29, v29, v30
	ds_store_b32 v32, v29
.LBB461_24:                             ;   in Loop: Header=BB461_18 Depth=2
	s_wait_alu 0xfffe
	s_or_b32 exec_lo, exec_lo, s6
	v_mov_b32_e32 v29, 0
	s_wait_loadcnt_dscnt 0x0
	s_barrier_signal -1
	s_barrier_wait -1
	global_inv scope:SCOPE_SE
	s_and_saveexec_b32 s6, s2
	s_cbranch_execnz .LBB461_53
; %bb.25:                               ;   in Loop: Header=BB461_18 Depth=2
	s_wait_alu 0xfffe
	s_or_b32 exec_lo, exec_lo, s6
	s_and_saveexec_b32 s6, s1
	s_cbranch_execnz .LBB461_54
.LBB461_26:                             ;   in Loop: Header=BB461_18 Depth=2
	s_wait_alu 0xfffe
	s_or_b32 exec_lo, exec_lo, s6
	s_and_saveexec_b32 s6, s1
.LBB461_27:                             ;   in Loop: Header=BB461_18 Depth=2
	ds_store_b32 v31, v0
.LBB461_28:                             ;   in Loop: Header=BB461_18 Depth=2
	s_wait_alu 0xfffe
	s_or_b32 exec_lo, exec_lo, s6
	ds_bpermute_b32 v30, v34, v41
	s_wait_loadcnt_dscnt 0x0
	s_barrier_signal -1
	s_barrier_wait -1
	global_inv scope:SCOPE_SE
	v_add_f32_e32 v30, v41, v30
	ds_bpermute_b32 v41, v35, v30
	s_wait_dscnt 0x0
	v_add_f32_e32 v30, v30, v41
	ds_bpermute_b32 v41, v36, v30
	s_wait_dscnt 0x0
	;; [unrolled: 3-line block ×3, first 2 shown]
	v_add_f32_e32 v30, v30, v41
	ds_bpermute_b32 v41, v38, v30
	s_and_saveexec_b32 s6, s3
	s_cbranch_execz .LBB461_30
; %bb.29:                               ;   in Loop: Header=BB461_18 Depth=2
	s_wait_dscnt 0x0
	v_add_f32_e32 v30, v30, v41
	ds_store_b32 v32, v30
.LBB461_30:                             ;   in Loop: Header=BB461_18 Depth=2
	s_wait_alu 0xfffe
	s_or_b32 exec_lo, exec_lo, s6
	v_mov_b32_e32 v30, 0
	s_wait_loadcnt_dscnt 0x0
	s_barrier_signal -1
	s_barrier_wait -1
	global_inv scope:SCOPE_SE
	s_and_saveexec_b32 s6, s2
	s_cbranch_execnz .LBB461_55
; %bb.31:                               ;   in Loop: Header=BB461_18 Depth=2
	s_wait_alu 0xfffe
	s_or_b32 exec_lo, exec_lo, s6
	s_and_saveexec_b32 s6, s1
	s_cbranch_execnz .LBB461_56
.LBB461_32:                             ;   in Loop: Header=BB461_18 Depth=2
	s_wait_alu 0xfffe
	s_or_b32 exec_lo, exec_lo, s6
	s_and_saveexec_b32 s6, s1
.LBB461_33:                             ;   in Loop: Header=BB461_18 Depth=2
	ds_store_b32 v31, v0
.LBB461_34:                             ;   in Loop: Header=BB461_18 Depth=2
	s_wait_alu 0xfffe
	s_or_b32 exec_lo, exec_lo, s6
	ds_bpermute_b32 v41, v34, v40
	s_wait_loadcnt_dscnt 0x0
	s_barrier_signal -1
	s_barrier_wait -1
	global_inv scope:SCOPE_SE
	v_add_f32_e32 v40, v40, v41
	ds_bpermute_b32 v41, v35, v40
	s_wait_dscnt 0x0
	v_add_f32_e32 v40, v40, v41
	ds_bpermute_b32 v41, v36, v40
	s_wait_dscnt 0x0
	;; [unrolled: 3-line block ×3, first 2 shown]
	v_add_f32_e32 v40, v40, v41
	ds_bpermute_b32 v41, v38, v40
	s_and_saveexec_b32 s6, s3
	s_cbranch_execz .LBB461_36
; %bb.35:                               ;   in Loop: Header=BB461_18 Depth=2
	s_wait_dscnt 0x0
	v_add_f32_e32 v40, v40, v41
	ds_store_b32 v32, v40
.LBB461_36:                             ;   in Loop: Header=BB461_18 Depth=2
	s_wait_alu 0xfffe
	s_or_b32 exec_lo, exec_lo, s6
	v_mov_b32_e32 v40, 0
	s_wait_loadcnt_dscnt 0x0
	s_barrier_signal -1
	s_barrier_wait -1
	global_inv scope:SCOPE_SE
	s_and_saveexec_b32 s6, s2
	s_cbranch_execnz .LBB461_57
; %bb.37:                               ;   in Loop: Header=BB461_18 Depth=2
	s_wait_alu 0xfffe
	s_or_b32 exec_lo, exec_lo, s6
	s_and_saveexec_b32 s6, s1
	s_cbranch_execnz .LBB461_58
.LBB461_38:                             ;   in Loop: Header=BB461_18 Depth=2
	s_wait_alu 0xfffe
	s_or_b32 exec_lo, exec_lo, s6
	s_and_saveexec_b32 s6, s1
.LBB461_39:                             ;   in Loop: Header=BB461_18 Depth=2
	ds_store_b32 v31, v0
.LBB461_40:                             ;   in Loop: Header=BB461_18 Depth=2
	s_wait_alu 0xfffe
	s_or_b32 exec_lo, exec_lo, s6
	ds_bpermute_b32 v41, v34, v39
	s_wait_loadcnt_dscnt 0x0
	s_barrier_signal -1
	s_barrier_wait -1
	global_inv scope:SCOPE_SE
	v_add_f32_e32 v39, v39, v41
	ds_bpermute_b32 v41, v35, v39
	s_wait_dscnt 0x0
	v_add_f32_e32 v39, v39, v41
	ds_bpermute_b32 v41, v36, v39
	s_wait_dscnt 0x0
	;; [unrolled: 3-line block ×3, first 2 shown]
	v_add_f32_e32 v39, v39, v41
	ds_bpermute_b32 v41, v38, v39
	s_and_saveexec_b32 s6, s3
	s_cbranch_execz .LBB461_42
; %bb.41:                               ;   in Loop: Header=BB461_18 Depth=2
	s_wait_dscnt 0x0
	v_add_f32_e32 v39, v39, v41
	ds_store_b32 v32, v39
.LBB461_42:                             ;   in Loop: Header=BB461_18 Depth=2
	s_wait_alu 0xfffe
	s_or_b32 exec_lo, exec_lo, s6
	v_mov_b32_e32 v39, 0
	s_wait_loadcnt_dscnt 0x0
	s_barrier_signal -1
	s_barrier_wait -1
	global_inv scope:SCOPE_SE
	s_and_saveexec_b32 s6, s2
	s_cbranch_execnz .LBB461_59
; %bb.43:                               ;   in Loop: Header=BB461_18 Depth=2
	s_wait_alu 0xfffe
	s_or_b32 exec_lo, exec_lo, s6
	s_and_saveexec_b32 s6, s1
	s_cbranch_execnz .LBB461_60
.LBB461_44:                             ;   in Loop: Header=BB461_18 Depth=2
	s_wait_alu 0xfffe
	s_or_b32 exec_lo, exec_lo, s6
	s_and_saveexec_b32 s6, s0
	s_cbranch_execz .LBB461_17
	s_branch .LBB461_61
.LBB461_45:                             ;   in Loop: Header=BB461_18 Depth=2
	s_mul_u64 s[8:9], s[24:25], s[26:27]
	s_or_b32 s58, s24, 1
	s_mov_b32 s59, s25
	s_wait_alu 0xfffe
	s_lshl_b64 s[8:9], s[8:9], 1
	s_mul_u64 s[58:59], s[58:59], s[26:27]
	s_wait_alu 0xfffe
	v_add_co_u32 v1, vcc_lo, v15, s8
	s_wait_alu 0xfffd
	v_add_co_ci_u32_e64 v2, null, s9, v16, vcc_lo
	s_lshl_b64 s[8:9], s[58:59], 1
	s_or_b32 s58, s24, 2
	s_mov_b32 s59, s25
	s_wait_alu 0xfffe
	v_add_co_u32 v3, vcc_lo, v15, s8
	s_wait_alu 0xfffd
	v_add_co_ci_u32_e64 v4, null, s9, v16, vcc_lo
	s_mul_u64 s[8:9], s[58:59], s[26:27]
	s_or_b32 s58, s24, 3
	s_wait_alu 0xfffe
	s_lshl_b64 s[8:9], s[8:9], 1
	s_mul_u64 s[58:59], s[58:59], s[26:27]
	s_wait_alu 0xfffe
	v_add_co_u32 v29, vcc_lo, v15, s8
	s_wait_alu 0xfffd
	v_add_co_ci_u32_e64 v30, null, s9, v16, vcc_lo
	s_lshl_b64 s[8:9], s[58:59], 1
	s_wait_dscnt 0x0
	s_wait_alu 0xfffe
	v_add_co_u32 v39, vcc_lo, v15, s8
	s_wait_alu 0xfffd
	v_add_co_ci_u32_e64 v40, null, s9, v16, vcc_lo
	flat_load_u16 v47, v[19:20]
	s_clause 0x3
	flat_load_b64 v[41:42], v[1:2]
	flat_load_b64 v[43:44], v[3:4]
	;; [unrolled: 1-line block ×4, first 2 shown]
	s_clause 0x2
	flat_load_u16 v3, v[21:22]
	flat_load_u16 v4, v[23:24]
	;; [unrolled: 1-line block ×3, first 2 shown]
	s_wait_loadcnt_dscnt 0x707
	v_cvt_f32_f16_e32 v1, v47
	s_wait_loadcnt_dscnt 0x606
	v_fma_mix_f32 v40, v47, v41, 0 op_sel_hi:[1,1,0]
	s_wait_loadcnt_dscnt 0x505
	v_fma_mix_f32 v48, v47, v43, 0 op_sel_hi:[1,1,0]
	;; [unrolled: 2-line block ×4, first 2 shown]
	s_wait_loadcnt_dscnt 0x202
	v_cvt_f32_f16_e32 v2, v3
	v_fma_mix_f32 v40, v3, v41, v40 op_sel:[0,1,0] op_sel_hi:[1,1,0]
	v_fma_mix_f32 v41, v3, v43, v48 op_sel:[0,1,0] op_sel_hi:[1,1,0]
	;; [unrolled: 1-line block ×4, first 2 shown]
	s_wait_loadcnt_dscnt 0x101
	v_cvt_f32_f16_e32 v3, v4
	v_fma_mix_f32 v40, v4, v42, v40 op_sel_hi:[1,1,0]
	v_fma_mix_f32 v41, v4, v44, v41 op_sel_hi:[1,1,0]
	;; [unrolled: 1-line block ×4, first 2 shown]
	s_wait_loadcnt_dscnt 0x0
	v_cvt_f32_f16_e32 v4, v39
	v_fma_mix_f32 v42, v39, v42, v40 op_sel:[0,1,0] op_sel_hi:[1,1,0]
	v_fma_mix_f32 v41, v39, v44, v41 op_sel:[0,1,0] op_sel_hi:[1,1,0]
	;; [unrolled: 1-line block ×4, first 2 shown]
	s_and_not1_saveexec_b32 s11, s6
	s_cbranch_execz .LBB461_20
.LBB461_46:                             ;   in Loop: Header=BB461_18 Depth=2
	s_wait_dscnt 0x0
	v_dual_mov_b32 v39, 0 :: v_dual_mov_b32 v40, 0
	v_dual_mov_b32 v41, 0 :: v_dual_mov_b32 v42, 0
	s_and_saveexec_b32 s20, s5
	s_cbranch_execz .LBB461_63
; %bb.47:                               ;   in Loop: Header=BB461_18 Depth=2
	s_and_not1_b32 vcc_lo, exec_lo, s57
	s_wait_alu 0xfffe
	s_cbranch_vccnz .LBB461_50
; %bb.48:                               ;   in Loop: Header=BB461_18 Depth=2
	v_dual_mov_b32 v30, v20 :: v_dual_mov_b32 v29, v19
	s_mov_b64 s[8:9], 0
.LBB461_49:                             ;   Parent Loop BB461_3 Depth=1
                                        ;     Parent Loop BB461_18 Depth=2
                                        ; =>    This Inner Loop Header: Depth=3
	flat_load_u16 v39, v[29:30]
	s_wait_alu 0xfffe
	s_cmp_eq_u32 s8, 3
	v_add_co_u32 v29, vcc_lo, v29, s38
	s_wait_alu 0xfffd
	v_add_co_ci_u32_e64 v30, null, s39, v30, vcc_lo
	s_cselect_b32 vcc_lo, -1, 0
	s_cmp_eq_u32 s8, 2
	s_cselect_b32 s6, -1, 0
	s_cmp_eq_u32 s8, 1
	s_cselect_b32 s7, -1, 0
	s_cmp_eq_u32 s8, 0
	s_add_nc_u64 s[8:9], s[8:9], 1
	s_wait_loadcnt_dscnt 0x0
	v_cvt_f32_f16_e32 v39, v39
	s_wait_alu 0xfffe
	s_delay_alu instid0(VALU_DEP_1)
	v_cndmask_b32_e32 v4, v4, v39, vcc_lo
	s_cselect_b32 vcc_lo, -1, 0
	v_cndmask_b32_e64 v3, v3, v39, s6
	v_cndmask_b32_e64 v2, v2, v39, s7
	s_wait_alu 0xfffe
	v_cndmask_b32_e32 v1, v1, v39, vcc_lo
	s_cmp_eq_u32 s55, s8
	s_cbranch_scc0 .LBB461_49
.LBB461_50:                             ;   in Loop: Header=BB461_18 Depth=2
	s_and_not1_b32 vcc_lo, exec_lo, s57
	s_wait_alu 0xfffe
	s_cbranch_vccnz .LBB461_62
; %bb.51:                               ;   in Loop: Header=BB461_18 Depth=2
	v_dual_mov_b32 v30, v28 :: v_dual_mov_b32 v41, 0
	v_dual_mov_b32 v42, 0 :: v_dual_mov_b32 v29, v27
	;; [unrolled: 1-line block ×3, first 2 shown]
	s_mov_b64 s[8:9], 0
.LBB461_52:                             ;   Parent Loop BB461_3 Depth=1
                                        ;     Parent Loop BB461_18 Depth=2
                                        ; =>    This Inner Loop Header: Depth=3
	s_delay_alu instid0(VALU_DEP_2)
	v_add_co_u32 v43, vcc_lo, v29, s46
	s_wait_alu 0xfffd
	v_add_co_ci_u32_e64 v44, null, s47, v30, vcc_lo
	v_add_co_u32 v45, vcc_lo, v29, s44
	s_wait_alu 0xfffd
	v_add_co_ci_u32_e64 v46, null, s45, v30, vcc_lo
	;; [unrolled: 3-line block ×3, first 2 shown]
	s_clause 0x3
	flat_load_u16 v49, v[29:30]
	flat_load_u16 v43, v[43:44]
	;; [unrolled: 1-line block ×4, first 2 shown]
	s_wait_alu 0xfffe
	s_cmp_eq_u32 s8, 1
	v_add_co_u32 v29, s6, v29, 2
	s_cselect_b32 vcc_lo, -1, 0
	s_cmp_eq_u32 s8, 2
	s_wait_alu 0xfffe
	v_cndmask_b32_e32 v46, v1, v2, vcc_lo
	s_cselect_b32 vcc_lo, -1, 0
	s_cmp_eq_u32 s8, 3
	v_add_co_ci_u32_e64 v30, null, 0, v30, s6
	s_wait_alu 0xfffe
	v_cndmask_b32_e32 v46, v46, v3, vcc_lo
	s_cselect_b32 vcc_lo, -1, 0
	s_add_nc_u64 s[8:9], s[8:9], 1
	s_wait_alu 0xfffe
	s_cmp_lg_u32 s55, s8
	v_cndmask_b32_e32 v46, v46, v4, vcc_lo
	s_wait_loadcnt_dscnt 0x303
	s_delay_alu instid0(VALU_DEP_1)
	v_fma_mix_f32 v42, v46, v49, v42 op_sel_hi:[0,1,0]
	s_wait_loadcnt_dscnt 0x202
	v_fma_mix_f32 v41, v46, v43, v41 op_sel_hi:[0,1,0]
	s_wait_loadcnt_dscnt 0x101
	;; [unrolled: 2-line block ×3, first 2 shown]
	v_fma_mix_f32 v39, v46, v45, v39 op_sel_hi:[0,1,0]
	s_cbranch_scc1 .LBB461_52
	s_branch .LBB461_63
.LBB461_53:                             ;   in Loop: Header=BB461_18 Depth=2
	ds_load_b32 v29, v31
	s_wait_alu 0xfffe
	s_or_b32 exec_lo, exec_lo, s6
	s_and_saveexec_b32 s6, s1
	s_cbranch_execz .LBB461_26
.LBB461_54:                             ;   in Loop: Header=BB461_18 Depth=2
	s_wait_dscnt 0x0
	ds_bpermute_b32 v30, v36, v29
	s_wait_dscnt 0x0
	v_add_f32_e32 v29, v29, v30
	ds_bpermute_b32 v30, v37, v29
	s_wait_dscnt 0x0
	v_add_f32_e32 v29, v29, v30
	;; [unrolled: 3-line block ×3, first 2 shown]
	s_wait_alu 0xfffe
	s_or_b32 exec_lo, exec_lo, s6
	s_and_saveexec_b32 s6, s1
	s_cbranch_execnz .LBB461_27
	s_branch .LBB461_28
.LBB461_55:                             ;   in Loop: Header=BB461_18 Depth=2
	ds_load_b32 v30, v31
	s_wait_alu 0xfffe
	s_or_b32 exec_lo, exec_lo, s6
	s_and_saveexec_b32 s6, s1
	s_cbranch_execz .LBB461_32
.LBB461_56:                             ;   in Loop: Header=BB461_18 Depth=2
	s_wait_dscnt 0x0
	ds_bpermute_b32 v41, v36, v30
	s_wait_dscnt 0x0
	v_add_f32_e32 v30, v30, v41
	ds_bpermute_b32 v41, v37, v30
	s_wait_dscnt 0x0
	v_add_f32_e32 v30, v30, v41
	;; [unrolled: 3-line block ×3, first 2 shown]
	s_wait_alu 0xfffe
	s_or_b32 exec_lo, exec_lo, s6
	s_and_saveexec_b32 s6, s1
	s_cbranch_execnz .LBB461_33
	s_branch .LBB461_34
.LBB461_57:                             ;   in Loop: Header=BB461_18 Depth=2
	ds_load_b32 v40, v31
	s_wait_alu 0xfffe
	s_or_b32 exec_lo, exec_lo, s6
	s_and_saveexec_b32 s6, s1
	s_cbranch_execz .LBB461_38
.LBB461_58:                             ;   in Loop: Header=BB461_18 Depth=2
	s_wait_dscnt 0x0
	ds_bpermute_b32 v41, v36, v40
	s_wait_dscnt 0x0
	v_add_f32_e32 v40, v40, v41
	ds_bpermute_b32 v41, v37, v40
	s_wait_dscnt 0x0
	v_add_f32_e32 v40, v40, v41
	ds_bpermute_b32 v41, v38, v40
	s_wait_dscnt 0x0
	v_add_f32_e32 v40, v40, v41
	s_wait_alu 0xfffe
	s_or_b32 exec_lo, exec_lo, s6
	s_and_saveexec_b32 s6, s1
	s_cbranch_execnz .LBB461_39
	s_branch .LBB461_40
.LBB461_59:                             ;   in Loop: Header=BB461_18 Depth=2
	ds_load_b32 v39, v31
	s_wait_alu 0xfffe
	s_or_b32 exec_lo, exec_lo, s6
	s_and_saveexec_b32 s6, s1
	s_cbranch_execz .LBB461_44
.LBB461_60:                             ;   in Loop: Header=BB461_18 Depth=2
	s_wait_dscnt 0x0
	ds_bpermute_b32 v41, v36, v39
	s_wait_dscnt 0x0
	v_add_f32_e32 v39, v39, v41
	ds_bpermute_b32 v41, v37, v39
	s_wait_dscnt 0x0
	v_add_f32_e32 v39, v39, v41
	ds_bpermute_b32 v41, v38, v39
	s_wait_dscnt 0x0
	v_add_f32_e32 v39, v39, v41
	s_wait_alu 0xfffe
	s_or_b32 exec_lo, exec_lo, s6
	s_and_saveexec_b32 s6, s0
	s_cbranch_execz .LBB461_17
.LBB461_61:                             ;   in Loop: Header=BB461_18 Depth=2
	s_mul_u64 s[8:9], s[24:25], s[28:29]
	v_dual_mul_f32 v29, s22, v29 :: v_dual_mul_f32 v30, s22, v30
	s_or_b32 s58, s24, 1
	s_mov_b32 s59, s25
	s_wait_alu 0xfffe
	s_lshl_b64 s[8:9], s[8:9], 2
	s_mul_u64 s[58:59], s[58:59], s[28:29]
	s_wait_alu 0xfffe
	s_add_nc_u64 s[8:9], s[50:51], s[8:9]
	s_or_b32 s60, s24, 2
	s_mov_b32 s61, s25
	global_store_b32 v0, v29, s[8:9]
	s_lshl_b64 s[8:9], s[58:59], 2
	s_mul_u64 s[58:59], s[60:61], s[28:29]
	s_or_b32 s60, s24, 3
	s_wait_alu 0xfffe
	s_add_nc_u64 s[8:9], s[50:51], s[8:9]
	s_mul_u64 s[60:61], s[60:61], s[28:29]
	v_mul_f32_e32 v29, s22, v40
	global_store_b32 v0, v30, s[8:9]
	s_lshl_b64 s[8:9], s[58:59], 2
	s_wait_dscnt 0x0
	v_mul_f32_e32 v30, s22, v39
	s_lshl_b64 s[58:59], s[60:61], 2
	s_wait_alu 0xfffe
	s_add_nc_u64 s[8:9], s[50:51], s[8:9]
	s_add_nc_u64 s[58:59], s[50:51], s[58:59]
	s_clause 0x1
	global_store_b32 v0, v29, s[8:9]
	global_store_b32 v0, v30, s[58:59]
	s_branch .LBB461_17
.LBB461_62:                             ;   in Loop: Header=BB461_18 Depth=2
	v_dual_mov_b32 v39, 0 :: v_dual_mov_b32 v40, 0
	v_dual_mov_b32 v41, 0 :: v_dual_mov_b32 v42, 0
.LBB461_63:                             ;   in Loop: Header=BB461_18 Depth=2
	s_wait_alu 0xfffe
	s_or_b32 exec_lo, exec_lo, s20
	s_delay_alu instid0(SALU_CYCLE_1)
	s_or_b32 exec_lo, exec_lo, s11
	s_and_saveexec_b32 s6, s1
	s_cbranch_execnz .LBB461_21
	s_branch .LBB461_22
.LBB461_64:                             ;   in Loop: Header=BB461_3 Depth=1
	v_mov_b32_e32 v3, v0
	v_dual_mov_b32 v1, v0 :: v_dual_mov_b32 v2, v0
	s_mov_b32 s24, 0
	s_delay_alu instid0(VALU_DEP_2) | instskip(NEXT) | instid1(VALU_DEP_2)
	v_mov_b32_e32 v4, v3
	v_mov_b32_e32 v3, v2
	s_delay_alu instid0(VALU_DEP_3)
	v_mov_b32_e32 v2, v1
	v_mov_b32_e32 v1, v0
.LBB461_65:                             ;   in Loop: Header=BB461_3 Depth=1
	s_wait_alu 0xfffe
	s_cmp_ge_i32 s24, s21
	s_cbranch_scc1 .LBB461_2
; %bb.66:                               ;   in Loop: Header=BB461_3 Depth=1
	v_cmp_gt_u32_e32 vcc_lo, 24, v33
	s_wait_alu 0xfffd
	v_cndmask_b32_e64 v19, 0, 8, vcc_lo
	v_cmp_gt_u32_e32 vcc_lo, 28, v33
	s_delay_alu instid0(VALU_DEP_2) | instskip(SKIP_4) | instid1(VALU_DEP_3)
	v_add_lshl_u32 v29, v19, v33, 2
	s_wait_alu 0xfffd
	v_cndmask_b32_e64 v21, 0, 4, vcc_lo
	v_cmp_gt_u32_e32 vcc_lo, 30, v33
	v_mad_co_u64_u32 v[19:20], null, s46, s24, v[15:16]
	v_add_lshl_u32 v30, v21, v33, 2
	s_wait_alu 0xfffd
	v_cndmask_b32_e64 v22, 0, 2, vcc_lo
	v_cmp_ne_u32_e32 vcc_lo, 31, v33
	s_delay_alu instid0(VALU_DEP_2)
	v_add_lshl_u32 v35, v22, v33, 2
	s_wait_alu 0xfffd
	v_add_co_ci_u32_e64 v23, null, 0, v33, vcc_lo
	v_add_co_u32 v21, vcc_lo, v17, v5
	s_wait_alu 0xfffd
	v_add_co_ci_u32_e64 v22, null, v18, v6, vcc_lo
	s_delay_alu instid0(VALU_DEP_3)
	v_lshlrev_b32_e32 v36, 2, v23
	s_wait_dscnt 0x0
	v_mad_co_u64_u32 v[27:28], null, s47, s24, v[20:21]
	v_add_co_u32 v23, vcc_lo, v17, v9
	s_wait_alu 0xfffd
	v_add_co_ci_u32_e64 v24, null, v18, v10, vcc_lo
	v_add_co_u32 v25, vcc_lo, v17, v11
	s_wait_alu 0xfffd
	v_add_co_ci_u32_e64 v26, null, v18, v12, vcc_lo
	;; [unrolled: 3-line block ×3, first 2 shown]
	v_mov_b32_e32 v20, v27
	s_branch .LBB461_68
.LBB461_67:                             ;   in Loop: Header=BB461_68 Depth=2
	s_wait_alu 0xfffe
	s_or_b32 exec_lo, exec_lo, s6
	v_add_co_u32 v19, vcc_lo, v19, s46
	s_wait_alu 0xfffd
	v_add_co_ci_u32_e64 v20, null, s47, v20, vcc_lo
	s_add_co_i32 s24, s24, 1
	s_wait_alu 0xfffe
	s_cmp_ge_i32 s24, s21
	s_cbranch_scc1 .LBB461_2
.LBB461_68:                             ;   Parent Loop BB461_3 Depth=1
                                        ; =>  This Loop Header: Depth=2
                                        ;       Child Loop BB461_81 Depth 3
                                        ;       Child Loop BB461_84 Depth 3
	v_mov_b32_e32 v37, s25
	s_and_saveexec_b32 s6, s4
	s_wait_alu 0xfffe
	s_xor_b32 s6, exec_lo, s6
	s_cbranch_execnz .LBB461_77
; %bb.69:                               ;   in Loop: Header=BB461_68 Depth=2
	s_wait_alu 0xfffe
	s_and_not1_saveexec_b32 s11, s6
	s_cbranch_execnz .LBB461_78
.LBB461_70:                             ;   in Loop: Header=BB461_68 Depth=2
	s_or_b32 exec_lo, exec_lo, s11
	s_and_saveexec_b32 s6, s1
.LBB461_71:                             ;   in Loop: Header=BB461_68 Depth=2
	ds_store_b32 v31, v0
.LBB461_72:                             ;   in Loop: Header=BB461_68 Depth=2
	s_wait_alu 0xfffe
	s_or_b32 exec_lo, exec_lo, s6
	s_wait_dscnt 0x0
	ds_bpermute_b32 v27, v34, v37
	s_wait_storecnt 0x0
	s_wait_loadcnt_dscnt 0x0
	s_barrier_signal -1
	s_barrier_wait -1
	global_inv scope:SCOPE_SE
	v_add_f32_e32 v27, v37, v27
	ds_bpermute_b32 v28, v29, v27
	s_wait_dscnt 0x0
	v_add_f32_e32 v27, v27, v28
	ds_bpermute_b32 v28, v30, v27
	s_wait_dscnt 0x0
	;; [unrolled: 3-line block ×3, first 2 shown]
	v_add_f32_e32 v27, v27, v28
	ds_bpermute_b32 v28, v36, v27
	s_and_saveexec_b32 s6, s3
	s_cbranch_execz .LBB461_74
; %bb.73:                               ;   in Loop: Header=BB461_68 Depth=2
	s_wait_dscnt 0x0
	v_add_f32_e32 v27, v27, v28
	ds_store_b32 v32, v27
.LBB461_74:                             ;   in Loop: Header=BB461_68 Depth=2
	s_wait_alu 0xfffe
	s_or_b32 exec_lo, exec_lo, s6
	v_mov_b32_e32 v27, 0
	s_wait_loadcnt_dscnt 0x0
	s_barrier_signal -1
	s_barrier_wait -1
	global_inv scope:SCOPE_SE
	s_and_saveexec_b32 s6, s2
	s_cbranch_execnz .LBB461_86
; %bb.75:                               ;   in Loop: Header=BB461_68 Depth=2
	s_wait_alu 0xfffe
	s_or_b32 exec_lo, exec_lo, s6
	s_and_saveexec_b32 s6, s1
	s_cbranch_execnz .LBB461_87
.LBB461_76:                             ;   in Loop: Header=BB461_68 Depth=2
	s_wait_alu 0xfffe
	s_or_b32 exec_lo, exec_lo, s6
	s_and_saveexec_b32 s6, s0
	s_cbranch_execz .LBB461_67
	s_branch .LBB461_88
.LBB461_77:                             ;   in Loop: Header=BB461_68 Depth=2
	s_mul_u64 s[8:9], s[24:25], s[26:27]
	s_wait_alu 0xfffe
	s_lshl_b64 s[8:9], s[8:9], 1
	s_wait_alu 0xfffe
	v_add_co_u32 v1, vcc_lo, v15, s8
	s_wait_alu 0xfffd
	v_add_co_ci_u32_e64 v2, null, s9, v16, vcc_lo
	s_wait_dscnt 0x0
	flat_load_b64 v[27:28], v[1:2]
	s_clause 0x3
	flat_load_u16 v1, v[21:22]
	flat_load_u16 v2, v[23:24]
	;; [unrolled: 1-line block ×4, first 2 shown]
	s_wait_loadcnt_dscnt 0x303
	v_fma_mix_f32 v4, v1, v27, 0 op_sel_hi:[1,1,0]
	v_cvt_f32_f16_e32 v1, v1
	s_wait_loadcnt_dscnt 0x202
	s_delay_alu instid0(VALU_DEP_2) | instskip(SKIP_2) | instid1(VALU_DEP_2)
	v_fma_mix_f32 v4, v2, v27, v4 op_sel:[0,1,0] op_sel_hi:[1,1,0]
	v_cvt_f32_f16_e32 v2, v2
	s_wait_loadcnt_dscnt 0x101
	v_fma_mix_f32 v27, v3, v28, v4 op_sel_hi:[1,1,0]
	v_cvt_f32_f16_e32 v3, v3
	s_wait_loadcnt_dscnt 0x0
	v_cvt_f32_f16_e32 v4, v37
	s_delay_alu instid0(VALU_DEP_3)
	v_fma_mix_f32 v37, v37, v28, v27 op_sel:[0,1,0] op_sel_hi:[1,1,0]
	s_and_not1_saveexec_b32 s11, s6
	s_cbranch_execz .LBB461_70
.LBB461_78:                             ;   in Loop: Header=BB461_68 Depth=2
	s_and_saveexec_b32 s20, s5
	s_cbranch_execz .LBB461_85
; %bb.79:                               ;   in Loop: Header=BB461_68 Depth=2
	s_and_not1_b32 vcc_lo, exec_lo, s57
	s_wait_alu 0xfffe
	s_cbranch_vccnz .LBB461_82
; %bb.80:                               ;   in Loop: Header=BB461_68 Depth=2
	s_wait_dscnt 0x0
	v_dual_mov_b32 v28, v22 :: v_dual_mov_b32 v27, v21
	s_mov_b64 s[8:9], 0
.LBB461_81:                             ;   Parent Loop BB461_3 Depth=1
                                        ;     Parent Loop BB461_68 Depth=2
                                        ; =>    This Inner Loop Header: Depth=3
	flat_load_u16 v38, v[27:28]
	s_wait_alu 0xfffe
	s_cmp_eq_u32 s8, 3
	v_add_co_u32 v27, vcc_lo, v27, s38
	s_wait_alu 0xfffd
	v_add_co_ci_u32_e64 v28, null, s39, v28, vcc_lo
	s_cselect_b32 vcc_lo, -1, 0
	s_cmp_eq_u32 s8, 2
	s_cselect_b32 s6, -1, 0
	s_cmp_eq_u32 s8, 1
	s_cselect_b32 s7, -1, 0
	s_cmp_eq_u32 s8, 0
	s_add_nc_u64 s[8:9], s[8:9], 1
	s_wait_loadcnt_dscnt 0x0
	v_cvt_f32_f16_e32 v38, v38
	s_wait_alu 0xfffe
	s_delay_alu instid0(VALU_DEP_1)
	v_cndmask_b32_e32 v4, v4, v38, vcc_lo
	s_cselect_b32 vcc_lo, -1, 0
	v_cndmask_b32_e64 v3, v3, v38, s6
	v_cndmask_b32_e64 v2, v2, v38, s7
	s_wait_alu 0xfffe
	v_cndmask_b32_e32 v1, v1, v38, vcc_lo
	s_cmp_eq_u32 s55, s8
	s_cbranch_scc0 .LBB461_81
.LBB461_82:                             ;   in Loop: Header=BB461_68 Depth=2
	s_and_not1_b32 vcc_lo, exec_lo, s57
	s_wait_alu 0xfffe
	s_cbranch_vccnz .LBB461_85
; %bb.83:                               ;   in Loop: Header=BB461_68 Depth=2
	s_wait_dscnt 0x0
	v_dual_mov_b32 v28, v20 :: v_dual_mov_b32 v27, v19
	s_mov_b64 s[6:7], 0
.LBB461_84:                             ;   Parent Loop BB461_3 Depth=1
                                        ;     Parent Loop BB461_68 Depth=2
                                        ; =>    This Inner Loop Header: Depth=3
	flat_load_u16 v38, v[27:28]
	s_wait_alu 0xfffe
	s_cmp_eq_u32 s6, 1
	s_cselect_b32 vcc_lo, -1, 0
	s_cmp_eq_u32 s6, 2
	s_wait_dscnt 0x1
	s_wait_alu 0xfffe
	v_cndmask_b32_e32 v39, v1, v2, vcc_lo
	s_cselect_b32 vcc_lo, -1, 0
	s_cmp_eq_u32 s6, 3
	s_add_nc_u64 s[6:7], s[6:7], 1
	s_wait_alu 0xfffe
	v_cndmask_b32_e32 v39, v39, v3, vcc_lo
	s_cselect_b32 vcc_lo, -1, 0
	s_cmp_lg_u32 s55, s6
	s_wait_alu 0xfffe
	s_delay_alu instid0(VALU_DEP_1)
	v_cndmask_b32_e32 v39, v39, v4, vcc_lo
	v_add_co_u32 v27, vcc_lo, v27, 2
	s_wait_alu 0xfffd
	v_add_co_ci_u32_e64 v28, null, 0, v28, vcc_lo
	s_wait_loadcnt_dscnt 0x0
	v_fma_mix_f32 v37, v39, v38, v37 op_sel_hi:[0,1,0]
	s_cbranch_scc1 .LBB461_84
.LBB461_85:                             ;   in Loop: Header=BB461_68 Depth=2
	s_wait_alu 0xfffe
	s_or_b32 exec_lo, exec_lo, s20
	s_delay_alu instid0(SALU_CYCLE_1)
	s_or_b32 exec_lo, exec_lo, s11
	s_and_saveexec_b32 s6, s1
	s_cbranch_execnz .LBB461_71
	s_branch .LBB461_72
.LBB461_86:                             ;   in Loop: Header=BB461_68 Depth=2
	ds_load_b32 v27, v31
	s_wait_alu 0xfffe
	s_or_b32 exec_lo, exec_lo, s6
	s_and_saveexec_b32 s6, s1
	s_cbranch_execz .LBB461_76
.LBB461_87:                             ;   in Loop: Header=BB461_68 Depth=2
	s_wait_dscnt 0x0
	ds_bpermute_b32 v28, v30, v27
	s_wait_dscnt 0x0
	v_add_f32_e32 v27, v27, v28
	ds_bpermute_b32 v28, v35, v27
	s_wait_dscnt 0x0
	v_add_f32_e32 v27, v27, v28
	;; [unrolled: 3-line block ×3, first 2 shown]
	s_wait_alu 0xfffe
	s_or_b32 exec_lo, exec_lo, s6
	s_and_saveexec_b32 s6, s0
	s_cbranch_execz .LBB461_67
.LBB461_88:                             ;   in Loop: Header=BB461_68 Depth=2
	s_mul_u64 s[8:9], s[24:25], s[28:29]
	s_wait_dscnt 0x0
	v_mul_f32_e32 v27, s22, v27
	s_wait_alu 0xfffe
	s_lshl_b64 s[8:9], s[8:9], 2
	s_wait_alu 0xfffe
	s_add_nc_u64 s[8:9], s[50:51], s[8:9]
	global_store_b32 v0, v27, s[8:9]
	s_branch .LBB461_67
.LBB461_89:
	s_endpgm
	.section	.rodata,"a",@progbits
	.p2align	6, 0x0
	.amdhsa_kernel _ZL23rocblas_gemvt_sn_kernelILb1ELi256ELi4ElPKDF16_ffEviiT4_lPKT3_lilS5_lilPT5_i
		.amdhsa_group_segment_fixed_size 128
		.amdhsa_private_segment_fixed_size 0
		.amdhsa_kernarg_size 360
		.amdhsa_user_sgpr_count 2
		.amdhsa_user_sgpr_dispatch_ptr 0
		.amdhsa_user_sgpr_queue_ptr 0
		.amdhsa_user_sgpr_kernarg_segment_ptr 1
		.amdhsa_user_sgpr_dispatch_id 0
		.amdhsa_user_sgpr_private_segment_size 0
		.amdhsa_wavefront_size32 1
		.amdhsa_uses_dynamic_stack 0
		.amdhsa_enable_private_segment 0
		.amdhsa_system_sgpr_workgroup_id_x 1
		.amdhsa_system_sgpr_workgroup_id_y 0
		.amdhsa_system_sgpr_workgroup_id_z 1
		.amdhsa_system_sgpr_workgroup_info 0
		.amdhsa_system_vgpr_workitem_id 0
		.amdhsa_next_free_vgpr 50
		.amdhsa_next_free_sgpr 62
		.amdhsa_reserve_vcc 1
		.amdhsa_float_round_mode_32 0
		.amdhsa_float_round_mode_16_64 0
		.amdhsa_float_denorm_mode_32 3
		.amdhsa_float_denorm_mode_16_64 3
		.amdhsa_fp16_overflow 0
		.amdhsa_workgroup_processor_mode 1
		.amdhsa_memory_ordered 1
		.amdhsa_forward_progress 1
		.amdhsa_inst_pref_size 36
		.amdhsa_round_robin_scheduling 0
		.amdhsa_exception_fp_ieee_invalid_op 0
		.amdhsa_exception_fp_denorm_src 0
		.amdhsa_exception_fp_ieee_div_zero 0
		.amdhsa_exception_fp_ieee_overflow 0
		.amdhsa_exception_fp_ieee_underflow 0
		.amdhsa_exception_fp_ieee_inexact 0
		.amdhsa_exception_int_div_zero 0
	.end_amdhsa_kernel
	.section	.text._ZL23rocblas_gemvt_sn_kernelILb1ELi256ELi4ElPKDF16_ffEviiT4_lPKT3_lilS5_lilPT5_i,"axG",@progbits,_ZL23rocblas_gemvt_sn_kernelILb1ELi256ELi4ElPKDF16_ffEviiT4_lPKT3_lilS5_lilPT5_i,comdat
.Lfunc_end461:
	.size	_ZL23rocblas_gemvt_sn_kernelILb1ELi256ELi4ElPKDF16_ffEviiT4_lPKT3_lilS5_lilPT5_i, .Lfunc_end461-_ZL23rocblas_gemvt_sn_kernelILb1ELi256ELi4ElPKDF16_ffEviiT4_lPKT3_lilS5_lilPT5_i
                                        ; -- End function
	.set _ZL23rocblas_gemvt_sn_kernelILb1ELi256ELi4ElPKDF16_ffEviiT4_lPKT3_lilS5_lilPT5_i.num_vgpr, 50
	.set _ZL23rocblas_gemvt_sn_kernelILb1ELi256ELi4ElPKDF16_ffEviiT4_lPKT3_lilS5_lilPT5_i.num_agpr, 0
	.set _ZL23rocblas_gemvt_sn_kernelILb1ELi256ELi4ElPKDF16_ffEviiT4_lPKT3_lilS5_lilPT5_i.numbered_sgpr, 62
	.set _ZL23rocblas_gemvt_sn_kernelILb1ELi256ELi4ElPKDF16_ffEviiT4_lPKT3_lilS5_lilPT5_i.num_named_barrier, 0
	.set _ZL23rocblas_gemvt_sn_kernelILb1ELi256ELi4ElPKDF16_ffEviiT4_lPKT3_lilS5_lilPT5_i.private_seg_size, 0
	.set _ZL23rocblas_gemvt_sn_kernelILb1ELi256ELi4ElPKDF16_ffEviiT4_lPKT3_lilS5_lilPT5_i.uses_vcc, 1
	.set _ZL23rocblas_gemvt_sn_kernelILb1ELi256ELi4ElPKDF16_ffEviiT4_lPKT3_lilS5_lilPT5_i.uses_flat_scratch, 1
	.set _ZL23rocblas_gemvt_sn_kernelILb1ELi256ELi4ElPKDF16_ffEviiT4_lPKT3_lilS5_lilPT5_i.has_dyn_sized_stack, 0
	.set _ZL23rocblas_gemvt_sn_kernelILb1ELi256ELi4ElPKDF16_ffEviiT4_lPKT3_lilS5_lilPT5_i.has_recursion, 0
	.set _ZL23rocblas_gemvt_sn_kernelILb1ELi256ELi4ElPKDF16_ffEviiT4_lPKT3_lilS5_lilPT5_i.has_indirect_call, 0
	.section	.AMDGPU.csdata,"",@progbits
; Kernel info:
; codeLenInByte = 4600
; TotalNumSgprs: 64
; NumVgprs: 50
; ScratchSize: 0
; MemoryBound: 0
; FloatMode: 240
; IeeeMode: 1
; LDSByteSize: 128 bytes/workgroup (compile time only)
; SGPRBlocks: 0
; VGPRBlocks: 6
; NumSGPRsForWavesPerEU: 64
; NumVGPRsForWavesPerEU: 50
; Occupancy: 16
; WaveLimiterHint : 0
; COMPUTE_PGM_RSRC2:SCRATCH_EN: 0
; COMPUTE_PGM_RSRC2:USER_SGPR: 2
; COMPUTE_PGM_RSRC2:TRAP_HANDLER: 0
; COMPUTE_PGM_RSRC2:TGID_X_EN: 1
; COMPUTE_PGM_RSRC2:TGID_Y_EN: 0
; COMPUTE_PGM_RSRC2:TGID_Z_EN: 1
; COMPUTE_PGM_RSRC2:TIDIG_COMP_CNT: 0
	.section	.text._ZL20rocblas_gemvt_kernelILb1ELi256EPKDF16_PKfKPDF16_EviiT2_lPKT1_lilS9_lilS6_lPT3_lili,"axG",@progbits,_ZL20rocblas_gemvt_kernelILb1ELi256EPKDF16_PKfKPDF16_EviiT2_lPKT1_lilS9_lilS6_lPT3_lili,comdat
	.globl	_ZL20rocblas_gemvt_kernelILb1ELi256EPKDF16_PKfKPDF16_EviiT2_lPKT1_lilS9_lilS6_lPT3_lili ; -- Begin function _ZL20rocblas_gemvt_kernelILb1ELi256EPKDF16_PKfKPDF16_EviiT2_lPKT1_lilS9_lilS6_lPT3_lili
	.p2align	8
	.type	_ZL20rocblas_gemvt_kernelILb1ELi256EPKDF16_PKfKPDF16_EviiT2_lPKT1_lilS9_lilS6_lPT3_lili,@function
_ZL20rocblas_gemvt_kernelILb1ELi256EPKDF16_PKfKPDF16_EviiT2_lPKT1_lilS9_lilS6_lPT3_lili: ; @_ZL20rocblas_gemvt_kernelILb1ELi256EPKDF16_PKfKPDF16_EviiT2_lPKT1_lilS9_lilS6_lPT3_lili
; %bb.0:
	s_load_b32 s11, s[0:1], 0x88
	s_lshr_b32 s34, ttmp7, 16
	s_wait_kmcnt 0x0
	s_cmp_ge_u32 s34, s11
	s_cbranch_scc1 .LBB462_45
; %bb.1:
	s_clause 0x6
	s_load_b32 s4, s[0:1], 0x28
	s_load_b32 s38, s[0:1], 0x48
	;; [unrolled: 1-line block ×4, first 2 shown]
	s_load_b128 s[28:31], s[0:1], 0x38
	s_load_b256 s[12:19], s[0:1], 0x8
	s_load_b256 s[20:27], s[0:1], 0x58
	s_mov_b32 s2, ttmp9
	s_ashr_i32 s3, ttmp9, 31
	v_cmp_eq_u32_e64 s0, 0, v0
	v_dual_mov_b32 v12, 0 :: v_dual_lshlrev_b32 v13, 2, v0
	v_cmp_gt_u32_e64 s1, 0x80, v0
	s_mov_b32 s35, 0
	s_wait_kmcnt 0x0
	s_ashr_i32 s5, s4, 31
	v_mad_co_i64_i32 v[1:2], null, s38, v0, 0
	s_ashr_i32 s9, s8, 31
	s_ashr_i32 s7, s6, 31
	s_lshr_b32 s9, s9, 24
	v_cmp_gt_i32_e32 vcc_lo, s8, v0
	s_add_co_i32 s9, s8, s9
	s_mul_u64 s[40:41], s[6:7], s[2:3]
	s_wait_alu 0xfffe
	s_and_b32 s36, s9, 0xffffff00
	s_mul_u64 s[42:43], s[4:5], s[2:3]
	v_or_b32_e32 v3, s36, v0
	v_cndmask_b32_e32 v5, 0, v0, vcc_lo
	s_ashr_i32 s39, s38, 31
	s_cmp_gt_i32 s8, 0xff
	v_cmp_gt_u32_e64 s3, 64, v0
	v_cmp_gt_i32_e64 s2, s8, v3
	v_mad_co_i64_i32 v[3:4], null, s38, v3, 0
	v_cmp_gt_u32_e64 s4, 32, v0
	v_cmp_gt_u32_e64 s5, 16, v0
	;; [unrolled: 1-line block ×5, first 2 shown]
	v_lshlrev_b64_e32 v[0:1], 1, v[1:2]
	v_lshlrev_b64_e32 v[2:3], 1, v[3:4]
	v_lshlrev_b32_e32 v14, 1, v5
	s_cselect_b32 s33, -1, 0
	s_ashr_i32 s37, s36, 31
	s_wait_alu 0xfffe
	s_lshl_b64 s[38:39], s[38:39], 9
	s_lshl_b64 s[18:19], s[18:19], 1
	;; [unrolled: 1-line block ×7, first 2 shown]
	s_branch .LBB462_4
.LBB462_2:                              ;   in Loop: Header=BB462_4 Depth=1
	s_or_b32 exec_lo, exec_lo, s10
.LBB462_3:                              ;   in Loop: Header=BB462_4 Depth=1
	s_add_co_i32 s34, s34, 0x10000
	s_delay_alu instid0(SALU_CYCLE_1)
	s_cmp_lt_u32 s34, s11
	s_cbranch_scc0 .LBB462_45
.LBB462_4:                              ; =>This Loop Header: Depth=1
                                        ;     Child Loop BB462_19 Depth 2
	s_mul_u64 s[46:47], s[14:15], s[34:35]
	s_mul_u64 s[48:49], s[22:23], s[34:35]
	s_lshl_b64 s[46:47], s[46:47], 2
	s_lshl_b64 s[48:49], s[48:49], 2
	s_add_nc_u64 s[46:47], s[12:13], s[46:47]
	s_add_nc_u64 s[48:49], s[20:21], s[48:49]
	s_clause 0x1
	global_load_b32 v15, v12, s[46:47]
	global_load_b32 v4, v12, s[48:49]
	s_wait_loadcnt 0x1
	v_cmp_eq_f32_e64 s9, 0, v15
	s_wait_loadcnt 0x0
	v_cmp_eq_f32_e32 vcc_lo, 1.0, v4
	v_readfirstlane_b32 s37, v4
	s_and_b32 s10, s9, vcc_lo
	s_delay_alu instid0(SALU_CYCLE_1)
	s_and_b32 vcc_lo, exec_lo, s10
	s_wait_alu 0xfffe
	s_cbranch_vccnz .LBB462_3
; %bb.5:                                ;   in Loop: Header=BB462_4 Depth=1
	v_mov_b32_e32 v4, 0
	v_dual_mov_b32 v5, 0 :: v_dual_mov_b32 v6, 0
	v_cmp_neq_f32_e64 s10, 0, v15
	v_mov_b32_e32 v7, 0
	s_and_b32 vcc_lo, exec_lo, s9
	s_wait_alu 0xfffe
	s_cbranch_vccnz .LBB462_7
; %bb.6:                                ;   in Loop: Header=BB462_4 Depth=1
	s_lshl_b64 s[46:47], s[34:35], 3
	s_delay_alu instid0(SALU_CYCLE_1)
	s_add_nc_u64 s[46:47], s[16:17], s[46:47]
	global_load_b64 v[6:7], v12, s[46:47]
	s_wait_loadcnt 0x0
	v_add_co_u32 v6, vcc_lo, v6, s18
	s_wait_alu 0xfffd
	v_add_co_ci_u32_e64 v7, null, s19, v7, vcc_lo
.LBB462_7:                              ;   in Loop: Header=BB462_4 Depth=1
	s_and_not1_b32 vcc_lo, exec_lo, s10
	s_wait_alu 0xfffe
	s_cbranch_vccnz .LBB462_9
; %bb.8:                                ;   in Loop: Header=BB462_4 Depth=1
	s_lshl_b64 s[46:47], s[34:35], 3
	s_delay_alu instid0(SALU_CYCLE_1)
	s_add_nc_u64 s[46:47], s[28:29], s[46:47]
	global_load_b64 v[4:5], v12, s[46:47]
	s_wait_loadcnt 0x0
	v_add_co_u32 v4, vcc_lo, v4, s30
	s_wait_alu 0xfffd
	v_add_co_ci_u32_e64 v5, null, s31, v5, vcc_lo
.LBB462_9:                              ;   in Loop: Header=BB462_4 Depth=1
	s_lshl_b64 s[46:47], s[34:35], 3
	s_delay_alu instid0(SALU_CYCLE_1)
	s_add_nc_u64 s[46:47], s[24:25], s[46:47]
	global_load_b64 v[8:9], v12, s[46:47]
	s_wait_loadcnt 0x0
	v_add_co_u32 v16, vcc_lo, v8, s26
	s_wait_alu 0xfffd
	v_add_co_ci_u32_e64 v17, null, s27, v9, vcc_lo
	s_and_not1_b32 vcc_lo, exec_lo, s9
	s_wait_alu 0xfffe
	s_cbranch_vccnz .LBB462_13
; %bb.10:                               ;   in Loop: Header=BB462_4 Depth=1
	s_mov_b32 s10, 0
	s_mov_b32 s9, 0
                                        ; implicit-def: $vgpr8
	s_and_saveexec_b32 s46, s0
	s_cbranch_execz .LBB462_14
; %bb.11:                               ;   in Loop: Header=BB462_4 Depth=1
	s_cmp_eq_f32 s37, 0
	s_cbranch_scc1 .LBB462_15
; %bb.12:                               ;   in Loop: Header=BB462_4 Depth=1
	v_add_co_u32 v8, vcc_lo, v16, s40
	s_wait_alu 0xfffd
	v_add_co_ci_u32_e64 v9, null, s41, v17, vcc_lo
	flat_load_u16 v8, v[8:9]
	s_wait_loadcnt_dscnt 0x0
	v_fma_mixlo_f16 v8, s37, v8, 0 op_sel_hi:[0,1,0]
	s_branch .LBB462_16
.LBB462_13:                             ;   in Loop: Header=BB462_4 Depth=1
	s_mov_b32 s9, 0
                                        ; implicit-def: $vgpr8
	s_cbranch_execnz .LBB462_17
	s_branch .LBB462_43
.LBB462_14:                             ;   in Loop: Header=BB462_4 Depth=1
	s_or_b32 exec_lo, exec_lo, s46
	s_delay_alu instid0(SALU_CYCLE_1)
	s_and_b32 vcc_lo, exec_lo, s10
	s_wait_alu 0xfffe
	s_cbranch_vccnz .LBB462_17
	s_branch .LBB462_43
.LBB462_15:                             ;   in Loop: Header=BB462_4 Depth=1
	v_mov_b32_e32 v8, 0
.LBB462_16:                             ;   in Loop: Header=BB462_4 Depth=1
	s_mov_b32 s9, exec_lo
	s_or_b32 exec_lo, exec_lo, s46
	s_delay_alu instid0(SALU_CYCLE_1)
	s_and_b32 vcc_lo, exec_lo, s10
	s_wait_alu 0xfffe
	s_cbranch_vccz .LBB462_43
.LBB462_17:                             ;   in Loop: Header=BB462_4 Depth=1
	v_add_co_u32 v6, vcc_lo, v6, v14
	s_wait_alu 0xfffd
	v_add_co_ci_u32_e64 v7, null, 0, v7, vcc_lo
	v_mov_b32_e32 v18, 0
	s_delay_alu instid0(VALU_DEP_3) | instskip(SKIP_1) | instid1(VALU_DEP_3)
	v_add_co_u32 v6, vcc_lo, v6, s42
	s_wait_alu 0xfffd
	v_add_co_ci_u32_e64 v7, null, s43, v7, vcc_lo
	s_and_not1_b32 vcc_lo, exec_lo, s33
	s_wait_alu 0xfffe
	s_cbranch_vccnz .LBB462_20
; %bb.18:                               ;   in Loop: Header=BB462_4 Depth=1
	v_add_co_u32 v8, vcc_lo, v4, v0
	v_dual_mov_b32 v18, 0 :: v_dual_mov_b32 v11, v7
	s_wait_alu 0xfffd
	v_add_co_ci_u32_e64 v9, null, v5, v1, vcc_lo
	v_mov_b32_e32 v10, v6
	s_mov_b32 s10, 0
.LBB462_19:                             ;   Parent Loop BB462_4 Depth=1
                                        ; =>  This Inner Loop Header: Depth=2
	flat_load_u16 v19, v[10:11]
	flat_load_u16 v20, v[8:9]
	v_add_co_u32 v8, vcc_lo, v8, s38
	s_wait_alu 0xfffd
	v_add_co_ci_u32_e64 v9, null, s39, v9, vcc_lo
	v_add_co_u32 v10, vcc_lo, 0x200, v10
	s_wait_alu 0xfffd
	v_add_co_ci_u32_e64 v11, null, 0, v11, vcc_lo
	s_addk_co_i32 s10, 0x100
	s_delay_alu instid0(SALU_CYCLE_1) | instskip(SKIP_2) | instid1(VALU_DEP_1)
	s_cmp_ge_i32 s10, s36
	s_wait_loadcnt_dscnt 0x0
	v_mul_f16_e32 v19, v19, v20
	v_cvt_f32_f16_e32 v19, v19
	s_delay_alu instid0(VALU_DEP_1)
	v_add_f32_e32 v18, v18, v19
	s_cbranch_scc0 .LBB462_19
.LBB462_20:                             ;   in Loop: Header=BB462_4 Depth=1
	s_and_saveexec_b32 s10, s2
	s_cbranch_execz .LBB462_22
; %bb.21:                               ;   in Loop: Header=BB462_4 Depth=1
	v_add_co_u32 v6, vcc_lo, v6, s44
	s_wait_alu 0xfffd
	v_add_co_ci_u32_e64 v7, null, s45, v7, vcc_lo
	v_add_co_u32 v4, vcc_lo, v4, v2
	s_wait_alu 0xfffd
	v_add_co_ci_u32_e64 v5, null, v5, v3, vcc_lo
	flat_load_u16 v6, v[6:7]
	flat_load_u16 v4, v[4:5]
	s_wait_loadcnt_dscnt 0x0
	v_mul_f16_e32 v4, v6, v4
	s_delay_alu instid0(VALU_DEP_1) | instskip(NEXT) | instid1(VALU_DEP_1)
	v_cvt_f32_f16_e32 v4, v4
	v_add_f32_e32 v18, v18, v4
.LBB462_22:                             ;   in Loop: Header=BB462_4 Depth=1
	s_or_b32 exec_lo, exec_lo, s10
	ds_store_b32 v13, v18
	s_wait_dscnt 0x0
	s_barrier_signal -1
	s_barrier_wait -1
	global_inv scope:SCOPE_SE
	s_and_saveexec_b32 s10, s1
	s_cbranch_execz .LBB462_24
; %bb.23:                               ;   in Loop: Header=BB462_4 Depth=1
	ds_load_2addr_stride64_b32 v[4:5], v13 offset1:2
	s_wait_dscnt 0x0
	v_add_f32_e32 v4, v5, v4
	ds_store_b32 v13, v4
.LBB462_24:                             ;   in Loop: Header=BB462_4 Depth=1
	s_or_b32 exec_lo, exec_lo, s10
	s_wait_loadcnt_dscnt 0x0
	s_barrier_signal -1
	s_barrier_wait -1
	global_inv scope:SCOPE_SE
	s_and_saveexec_b32 s10, s3
	s_cbranch_execz .LBB462_26
; %bb.25:                               ;   in Loop: Header=BB462_4 Depth=1
	ds_load_2addr_stride64_b32 v[4:5], v13 offset1:1
	s_wait_dscnt 0x0
	v_add_f32_e32 v4, v5, v4
	ds_store_b32 v13, v4
.LBB462_26:                             ;   in Loop: Header=BB462_4 Depth=1
	s_or_b32 exec_lo, exec_lo, s10
	s_wait_loadcnt_dscnt 0x0
	s_barrier_signal -1
	s_barrier_wait -1
	global_inv scope:SCOPE_SE
	s_and_saveexec_b32 s10, s4
	s_cbranch_execz .LBB462_28
; %bb.27:                               ;   in Loop: Header=BB462_4 Depth=1
	ds_load_2addr_b32 v[4:5], v13 offset1:32
	s_wait_dscnt 0x0
	v_add_f32_e32 v4, v5, v4
	ds_store_b32 v13, v4
.LBB462_28:                             ;   in Loop: Header=BB462_4 Depth=1
	s_or_b32 exec_lo, exec_lo, s10
	s_wait_loadcnt_dscnt 0x0
	s_barrier_signal -1
	s_barrier_wait -1
	global_inv scope:SCOPE_SE
	s_and_saveexec_b32 s10, s5
	s_cbranch_execz .LBB462_30
; %bb.29:                               ;   in Loop: Header=BB462_4 Depth=1
	ds_load_2addr_b32 v[4:5], v13 offset1:16
	s_wait_dscnt 0x0
	v_add_f32_e32 v4, v5, v4
	ds_store_b32 v13, v4
.LBB462_30:                             ;   in Loop: Header=BB462_4 Depth=1
	s_or_b32 exec_lo, exec_lo, s10
	s_wait_loadcnt_dscnt 0x0
	s_barrier_signal -1
	s_barrier_wait -1
	global_inv scope:SCOPE_SE
	s_and_saveexec_b32 s10, s6
	s_cbranch_execz .LBB462_32
; %bb.31:                               ;   in Loop: Header=BB462_4 Depth=1
	ds_load_2addr_b32 v[4:5], v13 offset1:8
	s_wait_dscnt 0x0
	v_add_f32_e32 v4, v5, v4
	ds_store_b32 v13, v4
.LBB462_32:                             ;   in Loop: Header=BB462_4 Depth=1
	s_or_b32 exec_lo, exec_lo, s10
	s_wait_loadcnt_dscnt 0x0
	s_barrier_signal -1
	s_barrier_wait -1
	global_inv scope:SCOPE_SE
	s_and_saveexec_b32 s10, s7
	s_cbranch_execz .LBB462_34
; %bb.33:                               ;   in Loop: Header=BB462_4 Depth=1
	ds_load_2addr_b32 v[4:5], v13 offset1:4
	s_wait_dscnt 0x0
	v_add_f32_e32 v4, v5, v4
	ds_store_b32 v13, v4
.LBB462_34:                             ;   in Loop: Header=BB462_4 Depth=1
	s_or_b32 exec_lo, exec_lo, s10
	s_wait_loadcnt_dscnt 0x0
	s_barrier_signal -1
	s_barrier_wait -1
	global_inv scope:SCOPE_SE
	s_and_saveexec_b32 s10, s8
	s_cbranch_execz .LBB462_36
; %bb.35:                               ;   in Loop: Header=BB462_4 Depth=1
	ds_load_2addr_b32 v[4:5], v13 offset1:2
	s_wait_dscnt 0x0
	v_add_f32_e32 v4, v5, v4
	ds_store_b32 v13, v4
.LBB462_36:                             ;   in Loop: Header=BB462_4 Depth=1
	s_or_b32 exec_lo, exec_lo, s10
	s_wait_loadcnt_dscnt 0x0
	s_barrier_signal -1
	s_barrier_wait -1
	global_inv scope:SCOPE_SE
	s_and_saveexec_b32 s10, s0
	s_cbranch_execz .LBB462_38
; %bb.37:                               ;   in Loop: Header=BB462_4 Depth=1
	ds_load_b64 v[4:5], v12
	s_wait_dscnt 0x0
	v_add_f32_e32 v4, v5, v4
	ds_store_b32 v12, v4
.LBB462_38:                             ;   in Loop: Header=BB462_4 Depth=1
	s_or_b32 exec_lo, exec_lo, s10
	s_wait_loadcnt_dscnt 0x0
	s_barrier_signal -1
	s_barrier_wait -1
	global_inv scope:SCOPE_SE
                                        ; implicit-def: $vgpr8
	s_and_saveexec_b32 s10, s0
	s_cbranch_execz .LBB462_42
; %bb.39:                               ;   in Loop: Header=BB462_4 Depth=1
	ds_load_b32 v4, v12
	s_cmp_eq_f32 s37, 0
	s_wait_dscnt 0x0
	v_mul_f32_e32 v4, v15, v4
	s_cbranch_scc1 .LBB462_41
; %bb.40:                               ;   in Loop: Header=BB462_4 Depth=1
	v_add_co_u32 v5, vcc_lo, v16, s40
	s_wait_alu 0xfffd
	v_add_co_ci_u32_e64 v6, null, s41, v17, vcc_lo
	flat_load_u16 v5, v[5:6]
	s_wait_loadcnt_dscnt 0x0
	v_fma_mix_f32 v4, s37, v5, v4 op_sel_hi:[0,1,0]
.LBB462_41:                             ;   in Loop: Header=BB462_4 Depth=1
	s_delay_alu instid0(VALU_DEP_1)
	v_cvt_f16_f32_e32 v8, v4
	s_or_b32 s9, s9, exec_lo
.LBB462_42:                             ;   in Loop: Header=BB462_4 Depth=1
	s_or_b32 exec_lo, exec_lo, s10
.LBB462_43:                             ;   in Loop: Header=BB462_4 Depth=1
	s_wait_alu 0xfffe
	s_and_saveexec_b32 s10, s9
	s_cbranch_execz .LBB462_2
; %bb.44:                               ;   in Loop: Header=BB462_4 Depth=1
	v_add_co_u32 v4, vcc_lo, v16, s40
	s_wait_alu 0xfffd
	v_add_co_ci_u32_e64 v5, null, s41, v17, vcc_lo
	flat_store_b16 v[4:5], v8
	s_branch .LBB462_2
.LBB462_45:
	s_endpgm
	.section	.rodata,"a",@progbits
	.p2align	6, 0x0
	.amdhsa_kernel _ZL20rocblas_gemvt_kernelILb1ELi256EPKDF16_PKfKPDF16_EviiT2_lPKT1_lilS9_lilS6_lPT3_lili
		.amdhsa_group_segment_fixed_size 1024
		.amdhsa_private_segment_fixed_size 0
		.amdhsa_kernarg_size 140
		.amdhsa_user_sgpr_count 2
		.amdhsa_user_sgpr_dispatch_ptr 0
		.amdhsa_user_sgpr_queue_ptr 0
		.amdhsa_user_sgpr_kernarg_segment_ptr 1
		.amdhsa_user_sgpr_dispatch_id 0
		.amdhsa_user_sgpr_private_segment_size 0
		.amdhsa_wavefront_size32 1
		.amdhsa_uses_dynamic_stack 0
		.amdhsa_enable_private_segment 0
		.amdhsa_system_sgpr_workgroup_id_x 1
		.amdhsa_system_sgpr_workgroup_id_y 0
		.amdhsa_system_sgpr_workgroup_id_z 1
		.amdhsa_system_sgpr_workgroup_info 0
		.amdhsa_system_vgpr_workitem_id 0
		.amdhsa_next_free_vgpr 21
		.amdhsa_next_free_sgpr 50
		.amdhsa_reserve_vcc 1
		.amdhsa_float_round_mode_32 0
		.amdhsa_float_round_mode_16_64 0
		.amdhsa_float_denorm_mode_32 3
		.amdhsa_float_denorm_mode_16_64 3
		.amdhsa_fp16_overflow 0
		.amdhsa_workgroup_processor_mode 1
		.amdhsa_memory_ordered 1
		.amdhsa_forward_progress 1
		.amdhsa_inst_pref_size 14
		.amdhsa_round_robin_scheduling 0
		.amdhsa_exception_fp_ieee_invalid_op 0
		.amdhsa_exception_fp_denorm_src 0
		.amdhsa_exception_fp_ieee_div_zero 0
		.amdhsa_exception_fp_ieee_overflow 0
		.amdhsa_exception_fp_ieee_underflow 0
		.amdhsa_exception_fp_ieee_inexact 0
		.amdhsa_exception_int_div_zero 0
	.end_amdhsa_kernel
	.section	.text._ZL20rocblas_gemvt_kernelILb1ELi256EPKDF16_PKfKPDF16_EviiT2_lPKT1_lilS9_lilS6_lPT3_lili,"axG",@progbits,_ZL20rocblas_gemvt_kernelILb1ELi256EPKDF16_PKfKPDF16_EviiT2_lPKT1_lilS9_lilS6_lPT3_lili,comdat
.Lfunc_end462:
	.size	_ZL20rocblas_gemvt_kernelILb1ELi256EPKDF16_PKfKPDF16_EviiT2_lPKT1_lilS9_lilS6_lPT3_lili, .Lfunc_end462-_ZL20rocblas_gemvt_kernelILb1ELi256EPKDF16_PKfKPDF16_EviiT2_lPKT1_lilS9_lilS6_lPT3_lili
                                        ; -- End function
	.set _ZL20rocblas_gemvt_kernelILb1ELi256EPKDF16_PKfKPDF16_EviiT2_lPKT1_lilS9_lilS6_lPT3_lili.num_vgpr, 21
	.set _ZL20rocblas_gemvt_kernelILb1ELi256EPKDF16_PKfKPDF16_EviiT2_lPKT1_lilS9_lilS6_lPT3_lili.num_agpr, 0
	.set _ZL20rocblas_gemvt_kernelILb1ELi256EPKDF16_PKfKPDF16_EviiT2_lPKT1_lilS9_lilS6_lPT3_lili.numbered_sgpr, 50
	.set _ZL20rocblas_gemvt_kernelILb1ELi256EPKDF16_PKfKPDF16_EviiT2_lPKT1_lilS9_lilS6_lPT3_lili.num_named_barrier, 0
	.set _ZL20rocblas_gemvt_kernelILb1ELi256EPKDF16_PKfKPDF16_EviiT2_lPKT1_lilS9_lilS6_lPT3_lili.private_seg_size, 0
	.set _ZL20rocblas_gemvt_kernelILb1ELi256EPKDF16_PKfKPDF16_EviiT2_lPKT1_lilS9_lilS6_lPT3_lili.uses_vcc, 1
	.set _ZL20rocblas_gemvt_kernelILb1ELi256EPKDF16_PKfKPDF16_EviiT2_lPKT1_lilS9_lilS6_lPT3_lili.uses_flat_scratch, 0
	.set _ZL20rocblas_gemvt_kernelILb1ELi256EPKDF16_PKfKPDF16_EviiT2_lPKT1_lilS9_lilS6_lPT3_lili.has_dyn_sized_stack, 0
	.set _ZL20rocblas_gemvt_kernelILb1ELi256EPKDF16_PKfKPDF16_EviiT2_lPKT1_lilS9_lilS6_lPT3_lili.has_recursion, 0
	.set _ZL20rocblas_gemvt_kernelILb1ELi256EPKDF16_PKfKPDF16_EviiT2_lPKT1_lilS9_lilS6_lPT3_lili.has_indirect_call, 0
	.section	.AMDGPU.csdata,"",@progbits
; Kernel info:
; codeLenInByte = 1732
; TotalNumSgprs: 52
; NumVgprs: 21
; ScratchSize: 0
; MemoryBound: 0
; FloatMode: 240
; IeeeMode: 1
; LDSByteSize: 1024 bytes/workgroup (compile time only)
; SGPRBlocks: 0
; VGPRBlocks: 2
; NumSGPRsForWavesPerEU: 52
; NumVGPRsForWavesPerEU: 21
; Occupancy: 16
; WaveLimiterHint : 1
; COMPUTE_PGM_RSRC2:SCRATCH_EN: 0
; COMPUTE_PGM_RSRC2:USER_SGPR: 2
; COMPUTE_PGM_RSRC2:TRAP_HANDLER: 0
; COMPUTE_PGM_RSRC2:TGID_X_EN: 1
; COMPUTE_PGM_RSRC2:TGID_Y_EN: 0
; COMPUTE_PGM_RSRC2:TGID_Z_EN: 1
; COMPUTE_PGM_RSRC2:TIDIG_COMP_CNT: 0
	.section	.text._ZL20rocblas_gemvt_kernelILb1ELi256EPKDF16_fKPDF16_EviiT2_lPKT1_lilS7_lilS4_lPT3_lili,"axG",@progbits,_ZL20rocblas_gemvt_kernelILb1ELi256EPKDF16_fKPDF16_EviiT2_lPKT1_lilS7_lilS4_lPT3_lili,comdat
	.globl	_ZL20rocblas_gemvt_kernelILb1ELi256EPKDF16_fKPDF16_EviiT2_lPKT1_lilS7_lilS4_lPT3_lili ; -- Begin function _ZL20rocblas_gemvt_kernelILb1ELi256EPKDF16_fKPDF16_EviiT2_lPKT1_lilS7_lilS4_lPT3_lili
	.p2align	8
	.type	_ZL20rocblas_gemvt_kernelILb1ELi256EPKDF16_fKPDF16_EviiT2_lPKT1_lilS7_lilS4_lPT3_lili,@function
_ZL20rocblas_gemvt_kernelILb1ELi256EPKDF16_fKPDF16_EviiT2_lPKT1_lilS7_lilS4_lPT3_lili: ; @_ZL20rocblas_gemvt_kernelILb1ELi256EPKDF16_fKPDF16_EviiT2_lPKT1_lilS7_lilS4_lPT3_lili
; %bb.0:
	s_load_b32 s33, s[0:1], 0x88
	s_lshr_b32 s10, ttmp7, 16
	s_wait_kmcnt 0x0
	s_cmp_ge_u32 s10, s33
	s_cbranch_scc1 .LBB463_48
; %bb.1:
	s_clause 0x8
	s_load_b32 s26, s[0:1], 0x28
	s_load_b32 s28, s[0:1], 0x48
	;; [unrolled: 1-line block ×6, first 2 shown]
	s_load_b128 s[12:15], s[0:1], 0x18
	s_load_b128 s[16:19], s[0:1], 0x38
	;; [unrolled: 1-line block ×3, first 2 shown]
	v_cmp_eq_u32_e64 s0, 0, v0
	v_dual_mov_b32 v13, 0 :: v_dual_lshlrev_b32 v14, 2, v0
	v_cmp_gt_u32_e64 s1, 0x80, v0
	v_cmp_gt_u32_e64 s2, 64, v0
	;; [unrolled: 1-line block ×5, first 2 shown]
	s_mov_b32 s8, ttmp9
	s_mov_b32 s11, 0
	s_wait_kmcnt 0x0
	s_ashr_i32 s27, s26, 31
	s_ashr_i32 s29, s28, 31
	;; [unrolled: 1-line block ×3, first 2 shown]
	s_cmp_eq_f32 s36, 0
	v_mad_co_i64_i32 v[1:2], null, s28, v0, 0
	v_cmp_gt_i32_e32 vcc_lo, s41, v0
	s_cselect_b32 s38, -1, 0
	s_cmp_neq_f32 s37, 1.0
	v_cndmask_b32_e32 v5, 0, v0, vcc_lo
	s_cselect_b32 s6, -1, 0
	s_cmp_neq_f32 s36, 0
	s_delay_alu instid0(VALU_DEP_3) | instskip(SKIP_1) | instid1(SALU_CYCLE_1)
	v_lshlrev_b64_e32 v[1:2], 1, v[1:2]
	s_cselect_b32 s7, -1, 0
	s_or_b32 s39, s7, s6
	s_cmp_neq_f32 s37, 0
	v_cndmask_b32_e64 v15, 0, 1, s7
	v_cmp_gt_u32_e64 s6, 4, v0
	v_cmp_gt_u32_e64 s7, 2, v0
	s_cselect_b32 s40, -1, 0
	s_ashr_i32 s9, s41, 31
	s_delay_alu instid0(SALU_CYCLE_1) | instskip(NEXT) | instid1(SALU_CYCLE_1)
	s_lshr_b32 s9, s9, 24
	s_add_co_i32 s24, s41, s9
	s_ashr_i32 s9, ttmp9, 31
	s_and_b32 s24, s24, 0xffffff00
	s_cmp_gt_i32 s41, 0xff
	v_or_b32_e32 v0, s24, v0
	s_mul_u64 s[30:31], s[30:31], s[8:9]
	s_mul_u64 s[34:35], s[26:27], s[8:9]
	s_cselect_b32 s9, -1, 0
	s_ashr_i32 s25, s24, 31
	v_mad_co_i64_i32 v[3:4], null, s28, v0, 0
	v_cmp_gt_i32_e64 s8, s41, v0
	v_lshlrev_b32_e32 v0, 1, v5
	s_lshl_b64 s[26:27], s[28:29], 9
	s_lshl_b64 s[14:15], s[14:15], 1
	;; [unrolled: 1-line block ×4, first 2 shown]
	v_lshlrev_b64_e32 v[3:4], 1, v[3:4]
	s_lshl_b64 s[28:29], s[30:31], 1
	s_lshl_b64 s[30:31], s[34:35], 1
	s_wait_alu 0xfffe
	s_lshl_b64 s[34:35], s[24:25], 1
	s_branch .LBB463_4
.LBB463_2:                              ;   in Loop: Header=BB463_4 Depth=1
	s_wait_alu 0xfffe
	s_or_b32 exec_lo, exec_lo, s41
.LBB463_3:                              ;   in Loop: Header=BB463_4 Depth=1
	s_add_co_i32 s10, s10, 0x10000
	s_delay_alu instid0(SALU_CYCLE_1)
	s_cmp_lt_u32 s10, s33
	s_cbranch_scc0 .LBB463_48
.LBB463_4:                              ; =>This Loop Header: Depth=1
                                        ;     Child Loop BB463_22 Depth 2
	s_and_not1_b32 vcc_lo, exec_lo, s39
	s_wait_alu 0xfffe
	s_cbranch_vccnz .LBB463_3
; %bb.5:                                ;   in Loop: Header=BB463_4 Depth=1
	s_and_not1_b32 vcc_lo, exec_lo, s38
	s_wait_alu 0xfffe
	s_cbranch_vccnz .LBB463_7
; %bb.6:                                ;   in Loop: Header=BB463_4 Depth=1
	s_mov_b32 s25, 0
	s_branch .LBB463_8
.LBB463_7:                              ;   in Loop: Header=BB463_4 Depth=1
	s_mov_b32 s25, -1
.LBB463_8:                              ;   in Loop: Header=BB463_4 Depth=1
	v_mov_b32_e32 v5, 0
	v_dual_mov_b32 v6, 0 :: v_dual_mov_b32 v7, 0
	v_mov_b32_e32 v8, 0
	s_wait_alu 0xfffe
	s_and_not1_b32 vcc_lo, exec_lo, s25
	s_wait_alu 0xfffe
	s_cbranch_vccnz .LBB463_10
; %bb.9:                                ;   in Loop: Header=BB463_4 Depth=1
	s_lshl_b64 s[42:43], s[10:11], 3
	s_delay_alu instid0(SALU_CYCLE_1)
	s_add_nc_u64 s[42:43], s[12:13], s[42:43]
	global_load_b64 v[7:8], v13, s[42:43]
	s_wait_loadcnt 0x0
	v_add_co_u32 v7, vcc_lo, v7, s14
	s_wait_alu 0xfffd
	v_add_co_ci_u32_e64 v8, null, s15, v8, vcc_lo
.LBB463_10:                             ;   in Loop: Header=BB463_4 Depth=1
	v_cmp_ne_u32_e32 vcc_lo, 1, v15
	s_cbranch_vccnz .LBB463_12
; %bb.11:                               ;   in Loop: Header=BB463_4 Depth=1
	s_lshl_b64 s[42:43], s[10:11], 3
	s_delay_alu instid0(SALU_CYCLE_1)
	s_add_nc_u64 s[42:43], s[16:17], s[42:43]
	global_load_b64 v[5:6], v13, s[42:43]
	s_wait_loadcnt 0x0
	v_add_co_u32 v5, vcc_lo, v5, s18
	s_wait_alu 0xfffd
	v_add_co_ci_u32_e64 v6, null, s19, v6, vcc_lo
.LBB463_12:                             ;   in Loop: Header=BB463_4 Depth=1
	s_lshl_b64 s[42:43], s[10:11], 3
	s_delay_alu instid0(SALU_CYCLE_1)
	s_add_nc_u64 s[42:43], s[20:21], s[42:43]
	global_load_b64 v[9:10], v13, s[42:43]
	s_wait_loadcnt 0x0
	v_add_co_u32 v16, vcc_lo, v9, s22
	s_wait_alu 0xfffd
	v_add_co_ci_u32_e64 v17, null, s23, v10, vcc_lo
	s_and_not1_b32 vcc_lo, exec_lo, s38
	s_wait_alu 0xfffe
	s_cbranch_vccnz .LBB463_16
; %bb.13:                               ;   in Loop: Header=BB463_4 Depth=1
	s_mov_b32 s41, 0
	s_mov_b32 s25, 0
                                        ; implicit-def: $vgpr9
	s_and_saveexec_b32 s42, s0
	s_cbranch_execz .LBB463_17
; %bb.14:                               ;   in Loop: Header=BB463_4 Depth=1
	s_and_not1_b32 vcc_lo, exec_lo, s40
	s_wait_alu 0xfffe
	s_cbranch_vccnz .LBB463_18
; %bb.15:                               ;   in Loop: Header=BB463_4 Depth=1
	v_add_co_u32 v9, vcc_lo, v16, s28
	s_wait_alu 0xfffd
	v_add_co_ci_u32_e64 v10, null, s29, v17, vcc_lo
	flat_load_u16 v9, v[9:10]
	s_wait_loadcnt_dscnt 0x0
	v_fma_mixlo_f16 v9, s37, v9, 0 op_sel_hi:[0,1,0]
	s_branch .LBB463_19
.LBB463_16:                             ;   in Loop: Header=BB463_4 Depth=1
	s_mov_b32 s25, 0
                                        ; implicit-def: $vgpr9
	s_cbranch_execnz .LBB463_20
	s_branch .LBB463_46
.LBB463_17:                             ;   in Loop: Header=BB463_4 Depth=1
	s_or_b32 exec_lo, exec_lo, s42
	s_wait_alu 0xfffe
	s_and_b32 vcc_lo, exec_lo, s41
	s_wait_alu 0xfffe
	s_cbranch_vccnz .LBB463_20
	s_branch .LBB463_46
.LBB463_18:                             ;   in Loop: Header=BB463_4 Depth=1
	v_mov_b32_e32 v9, 0
.LBB463_19:                             ;   in Loop: Header=BB463_4 Depth=1
	s_mov_b32 s25, exec_lo
	s_or_b32 exec_lo, exec_lo, s42
	s_delay_alu instid0(SALU_CYCLE_1)
	s_and_b32 vcc_lo, exec_lo, s41
	s_wait_alu 0xfffe
	s_cbranch_vccz .LBB463_46
.LBB463_20:                             ;   in Loop: Header=BB463_4 Depth=1
	v_add_co_u32 v7, vcc_lo, v7, v0
	s_wait_alu 0xfffd
	v_add_co_ci_u32_e64 v8, null, 0, v8, vcc_lo
	v_mov_b32_e32 v18, 0
	s_delay_alu instid0(VALU_DEP_3) | instskip(SKIP_1) | instid1(VALU_DEP_3)
	v_add_co_u32 v7, vcc_lo, v7, s30
	s_wait_alu 0xfffd
	v_add_co_ci_u32_e64 v8, null, s31, v8, vcc_lo
	s_and_not1_b32 vcc_lo, exec_lo, s9
	s_wait_alu 0xfffe
	s_cbranch_vccnz .LBB463_23
; %bb.21:                               ;   in Loop: Header=BB463_4 Depth=1
	v_add_co_u32 v9, vcc_lo, v5, v1
	v_mov_b32_e32 v12, v8
	s_wait_alu 0xfffd
	v_add_co_ci_u32_e64 v10, null, v6, v2, vcc_lo
	v_dual_mov_b32 v18, 0 :: v_dual_mov_b32 v11, v7
	s_mov_b32 s41, 0
.LBB463_22:                             ;   Parent Loop BB463_4 Depth=1
                                        ; =>  This Inner Loop Header: Depth=2
	flat_load_u16 v19, v[11:12]
	flat_load_u16 v20, v[9:10]
	v_add_co_u32 v9, vcc_lo, v9, s26
	s_wait_alu 0xfffd
	v_add_co_ci_u32_e64 v10, null, s27, v10, vcc_lo
	v_add_co_u32 v11, vcc_lo, 0x200, v11
	s_wait_alu 0xfffd
	v_add_co_ci_u32_e64 v12, null, 0, v12, vcc_lo
	s_wait_alu 0xfffe
	s_addk_co_i32 s41, 0x100
	s_wait_alu 0xfffe
	s_cmp_ge_i32 s41, s24
	s_wait_loadcnt_dscnt 0x0
	v_mul_f16_e32 v19, v19, v20
	s_delay_alu instid0(VALU_DEP_1) | instskip(NEXT) | instid1(VALU_DEP_1)
	v_cvt_f32_f16_e32 v19, v19
	v_add_f32_e32 v18, v18, v19
	s_cbranch_scc0 .LBB463_22
.LBB463_23:                             ;   in Loop: Header=BB463_4 Depth=1
	s_and_saveexec_b32 s41, s8
	s_cbranch_execz .LBB463_25
; %bb.24:                               ;   in Loop: Header=BB463_4 Depth=1
	v_add_co_u32 v7, vcc_lo, v7, s34
	s_wait_alu 0xfffd
	v_add_co_ci_u32_e64 v8, null, s35, v8, vcc_lo
	v_add_co_u32 v5, vcc_lo, v5, v3
	s_wait_alu 0xfffd
	v_add_co_ci_u32_e64 v6, null, v6, v4, vcc_lo
	flat_load_u16 v7, v[7:8]
	flat_load_u16 v5, v[5:6]
	s_wait_loadcnt_dscnt 0x0
	v_mul_f16_e32 v5, v7, v5
	s_delay_alu instid0(VALU_DEP_1) | instskip(NEXT) | instid1(VALU_DEP_1)
	v_cvt_f32_f16_e32 v5, v5
	v_add_f32_e32 v18, v18, v5
.LBB463_25:                             ;   in Loop: Header=BB463_4 Depth=1
	s_wait_alu 0xfffe
	s_or_b32 exec_lo, exec_lo, s41
	ds_store_b32 v14, v18
	s_wait_dscnt 0x0
	s_barrier_signal -1
	s_barrier_wait -1
	global_inv scope:SCOPE_SE
	s_and_saveexec_b32 s41, s1
	s_cbranch_execz .LBB463_27
; %bb.26:                               ;   in Loop: Header=BB463_4 Depth=1
	ds_load_2addr_stride64_b32 v[5:6], v14 offset1:2
	s_wait_dscnt 0x0
	v_add_f32_e32 v5, v6, v5
	ds_store_b32 v14, v5
.LBB463_27:                             ;   in Loop: Header=BB463_4 Depth=1
	s_wait_alu 0xfffe
	s_or_b32 exec_lo, exec_lo, s41
	s_wait_loadcnt_dscnt 0x0
	s_barrier_signal -1
	s_barrier_wait -1
	global_inv scope:SCOPE_SE
	s_and_saveexec_b32 s41, s2
	s_cbranch_execz .LBB463_29
; %bb.28:                               ;   in Loop: Header=BB463_4 Depth=1
	ds_load_2addr_stride64_b32 v[5:6], v14 offset1:1
	s_wait_dscnt 0x0
	v_add_f32_e32 v5, v6, v5
	ds_store_b32 v14, v5
.LBB463_29:                             ;   in Loop: Header=BB463_4 Depth=1
	s_wait_alu 0xfffe
	s_or_b32 exec_lo, exec_lo, s41
	s_wait_loadcnt_dscnt 0x0
	s_barrier_signal -1
	s_barrier_wait -1
	global_inv scope:SCOPE_SE
	s_and_saveexec_b32 s41, s3
	s_cbranch_execz .LBB463_31
; %bb.30:                               ;   in Loop: Header=BB463_4 Depth=1
	ds_load_2addr_b32 v[5:6], v14 offset1:32
	s_wait_dscnt 0x0
	v_add_f32_e32 v5, v6, v5
	ds_store_b32 v14, v5
.LBB463_31:                             ;   in Loop: Header=BB463_4 Depth=1
	s_wait_alu 0xfffe
	s_or_b32 exec_lo, exec_lo, s41
	s_wait_loadcnt_dscnt 0x0
	s_barrier_signal -1
	s_barrier_wait -1
	global_inv scope:SCOPE_SE
	s_and_saveexec_b32 s41, s4
	s_cbranch_execz .LBB463_33
; %bb.32:                               ;   in Loop: Header=BB463_4 Depth=1
	ds_load_2addr_b32 v[5:6], v14 offset1:16
	s_wait_dscnt 0x0
	v_add_f32_e32 v5, v6, v5
	ds_store_b32 v14, v5
.LBB463_33:                             ;   in Loop: Header=BB463_4 Depth=1
	;; [unrolled: 14-line block ×5, first 2 shown]
	s_wait_alu 0xfffe
	s_or_b32 exec_lo, exec_lo, s41
	s_wait_loadcnt_dscnt 0x0
	s_barrier_signal -1
	s_barrier_wait -1
	global_inv scope:SCOPE_SE
	s_and_saveexec_b32 s41, s0
	s_cbranch_execz .LBB463_41
; %bb.40:                               ;   in Loop: Header=BB463_4 Depth=1
	ds_load_b64 v[5:6], v13
	s_wait_dscnt 0x0
	v_add_f32_e32 v5, v6, v5
	ds_store_b32 v13, v5
.LBB463_41:                             ;   in Loop: Header=BB463_4 Depth=1
	s_wait_alu 0xfffe
	s_or_b32 exec_lo, exec_lo, s41
	s_wait_loadcnt_dscnt 0x0
	s_barrier_signal -1
	s_barrier_wait -1
	global_inv scope:SCOPE_SE
                                        ; implicit-def: $vgpr9
	s_and_saveexec_b32 s41, s0
	s_cbranch_execz .LBB463_45
; %bb.42:                               ;   in Loop: Header=BB463_4 Depth=1
	ds_load_b32 v5, v13
	s_and_not1_b32 vcc_lo, exec_lo, s40
	s_wait_dscnt 0x0
	v_mul_f32_e32 v5, s36, v5
	s_wait_alu 0xfffe
	s_cbranch_vccnz .LBB463_44
; %bb.43:                               ;   in Loop: Header=BB463_4 Depth=1
	v_add_co_u32 v6, vcc_lo, v16, s28
	s_wait_alu 0xfffd
	v_add_co_ci_u32_e64 v7, null, s29, v17, vcc_lo
	flat_load_u16 v6, v[6:7]
	s_wait_loadcnt_dscnt 0x0
	v_fma_mix_f32 v5, s37, v6, v5 op_sel_hi:[0,1,0]
.LBB463_44:                             ;   in Loop: Header=BB463_4 Depth=1
	s_delay_alu instid0(VALU_DEP_1)
	v_cvt_f16_f32_e32 v9, v5
	s_or_b32 s25, s25, exec_lo
.LBB463_45:                             ;   in Loop: Header=BB463_4 Depth=1
	s_wait_alu 0xfffe
	s_or_b32 exec_lo, exec_lo, s41
.LBB463_46:                             ;   in Loop: Header=BB463_4 Depth=1
	s_wait_alu 0xfffe
	s_and_saveexec_b32 s41, s25
	s_cbranch_execz .LBB463_2
; %bb.47:                               ;   in Loop: Header=BB463_4 Depth=1
	v_add_co_u32 v5, vcc_lo, v16, s28
	s_wait_alu 0xfffd
	v_add_co_ci_u32_e64 v6, null, s29, v17, vcc_lo
	flat_store_b16 v[5:6], v9
	s_branch .LBB463_2
.LBB463_48:
	s_endpgm
	.section	.rodata,"a",@progbits
	.p2align	6, 0x0
	.amdhsa_kernel _ZL20rocblas_gemvt_kernelILb1ELi256EPKDF16_fKPDF16_EviiT2_lPKT1_lilS7_lilS4_lPT3_lili
		.amdhsa_group_segment_fixed_size 1024
		.amdhsa_private_segment_fixed_size 0
		.amdhsa_kernarg_size 140
		.amdhsa_user_sgpr_count 2
		.amdhsa_user_sgpr_dispatch_ptr 0
		.amdhsa_user_sgpr_queue_ptr 0
		.amdhsa_user_sgpr_kernarg_segment_ptr 1
		.amdhsa_user_sgpr_dispatch_id 0
		.amdhsa_user_sgpr_private_segment_size 0
		.amdhsa_wavefront_size32 1
		.amdhsa_uses_dynamic_stack 0
		.amdhsa_enable_private_segment 0
		.amdhsa_system_sgpr_workgroup_id_x 1
		.amdhsa_system_sgpr_workgroup_id_y 0
		.amdhsa_system_sgpr_workgroup_id_z 1
		.amdhsa_system_sgpr_workgroup_info 0
		.amdhsa_system_vgpr_workitem_id 0
		.amdhsa_next_free_vgpr 21
		.amdhsa_next_free_sgpr 44
		.amdhsa_reserve_vcc 1
		.amdhsa_float_round_mode_32 0
		.amdhsa_float_round_mode_16_64 0
		.amdhsa_float_denorm_mode_32 3
		.amdhsa_float_denorm_mode_16_64 3
		.amdhsa_fp16_overflow 0
		.amdhsa_workgroup_processor_mode 1
		.amdhsa_memory_ordered 1
		.amdhsa_forward_progress 1
		.amdhsa_inst_pref_size 14
		.amdhsa_round_robin_scheduling 0
		.amdhsa_exception_fp_ieee_invalid_op 0
		.amdhsa_exception_fp_denorm_src 0
		.amdhsa_exception_fp_ieee_div_zero 0
		.amdhsa_exception_fp_ieee_overflow 0
		.amdhsa_exception_fp_ieee_underflow 0
		.amdhsa_exception_fp_ieee_inexact 0
		.amdhsa_exception_int_div_zero 0
	.end_amdhsa_kernel
	.section	.text._ZL20rocblas_gemvt_kernelILb1ELi256EPKDF16_fKPDF16_EviiT2_lPKT1_lilS7_lilS4_lPT3_lili,"axG",@progbits,_ZL20rocblas_gemvt_kernelILb1ELi256EPKDF16_fKPDF16_EviiT2_lPKT1_lilS7_lilS4_lPT3_lili,comdat
.Lfunc_end463:
	.size	_ZL20rocblas_gemvt_kernelILb1ELi256EPKDF16_fKPDF16_EviiT2_lPKT1_lilS7_lilS4_lPT3_lili, .Lfunc_end463-_ZL20rocblas_gemvt_kernelILb1ELi256EPKDF16_fKPDF16_EviiT2_lPKT1_lilS7_lilS4_lPT3_lili
                                        ; -- End function
	.set _ZL20rocblas_gemvt_kernelILb1ELi256EPKDF16_fKPDF16_EviiT2_lPKT1_lilS7_lilS4_lPT3_lili.num_vgpr, 21
	.set _ZL20rocblas_gemvt_kernelILb1ELi256EPKDF16_fKPDF16_EviiT2_lPKT1_lilS7_lilS4_lPT3_lili.num_agpr, 0
	.set _ZL20rocblas_gemvt_kernelILb1ELi256EPKDF16_fKPDF16_EviiT2_lPKT1_lilS7_lilS4_lPT3_lili.numbered_sgpr, 44
	.set _ZL20rocblas_gemvt_kernelILb1ELi256EPKDF16_fKPDF16_EviiT2_lPKT1_lilS7_lilS4_lPT3_lili.num_named_barrier, 0
	.set _ZL20rocblas_gemvt_kernelILb1ELi256EPKDF16_fKPDF16_EviiT2_lPKT1_lilS7_lilS4_lPT3_lili.private_seg_size, 0
	.set _ZL20rocblas_gemvt_kernelILb1ELi256EPKDF16_fKPDF16_EviiT2_lPKT1_lilS7_lilS4_lPT3_lili.uses_vcc, 1
	.set _ZL20rocblas_gemvt_kernelILb1ELi256EPKDF16_fKPDF16_EviiT2_lPKT1_lilS7_lilS4_lPT3_lili.uses_flat_scratch, 0
	.set _ZL20rocblas_gemvt_kernelILb1ELi256EPKDF16_fKPDF16_EviiT2_lPKT1_lilS7_lilS4_lPT3_lili.has_dyn_sized_stack, 0
	.set _ZL20rocblas_gemvt_kernelILb1ELi256EPKDF16_fKPDF16_EviiT2_lPKT1_lilS7_lilS4_lPT3_lili.has_recursion, 0
	.set _ZL20rocblas_gemvt_kernelILb1ELi256EPKDF16_fKPDF16_EviiT2_lPKT1_lilS7_lilS4_lPT3_lili.has_indirect_call, 0
	.section	.AMDGPU.csdata,"",@progbits
; Kernel info:
; codeLenInByte = 1784
; TotalNumSgprs: 46
; NumVgprs: 21
; ScratchSize: 0
; MemoryBound: 0
; FloatMode: 240
; IeeeMode: 1
; LDSByteSize: 1024 bytes/workgroup (compile time only)
; SGPRBlocks: 0
; VGPRBlocks: 2
; NumSGPRsForWavesPerEU: 46
; NumVGPRsForWavesPerEU: 21
; Occupancy: 16
; WaveLimiterHint : 1
; COMPUTE_PGM_RSRC2:SCRATCH_EN: 0
; COMPUTE_PGM_RSRC2:USER_SGPR: 2
; COMPUTE_PGM_RSRC2:TRAP_HANDLER: 0
; COMPUTE_PGM_RSRC2:TGID_X_EN: 1
; COMPUTE_PGM_RSRC2:TGID_Y_EN: 0
; COMPUTE_PGM_RSRC2:TGID_Z_EN: 1
; COMPUTE_PGM_RSRC2:TIDIG_COMP_CNT: 0
	.section	.text._ZL32rocblas_gemvt_warp_reduce_kernelILb1ELi1024EiPKDF16_PKfKPDF16_EviiT3_lPKT2_lT1_lS9_lSA_lS6_lPT4_lSA_li,"axG",@progbits,_ZL32rocblas_gemvt_warp_reduce_kernelILb1ELi1024EiPKDF16_PKfKPDF16_EviiT3_lPKT2_lT1_lS9_lSA_lS6_lPT4_lSA_li,comdat
	.globl	_ZL32rocblas_gemvt_warp_reduce_kernelILb1ELi1024EiPKDF16_PKfKPDF16_EviiT3_lPKT2_lT1_lS9_lSA_lS6_lPT4_lSA_li ; -- Begin function _ZL32rocblas_gemvt_warp_reduce_kernelILb1ELi1024EiPKDF16_PKfKPDF16_EviiT3_lPKT2_lT1_lS9_lSA_lS6_lPT4_lSA_li
	.p2align	8
	.type	_ZL32rocblas_gemvt_warp_reduce_kernelILb1ELi1024EiPKDF16_PKfKPDF16_EviiT3_lPKT2_lT1_lS9_lSA_lS6_lPT4_lSA_li,@function
_ZL32rocblas_gemvt_warp_reduce_kernelILb1ELi1024EiPKDF16_PKfKPDF16_EviiT3_lPKT2_lT1_lS9_lSA_lS6_lPT4_lSA_li: ; @_ZL32rocblas_gemvt_warp_reduce_kernelILb1ELi1024EiPKDF16_PKfKPDF16_EviiT3_lPKT2_lT1_lS9_lSA_lS6_lPT4_lSA_li
; %bb.0:
	s_load_b32 s7, s[0:1], 0x88
	s_lshr_b32 s28, ttmp7, 16
	s_wait_kmcnt 0x0
	s_cmp_ge_u32 s28, s7
	s_cbranch_scc1 .LBB464_38
; %bb.1:
	s_clause 0x6
	s_load_b32 s4, s[0:1], 0x0
	s_load_b32 s3, s[0:1], 0x78
	s_load_b256 s[8:15], s[0:1], 0x8
	s_load_b32 s5, s[0:1], 0x28
	s_load_b128 s[24:27], s[0:1], 0x38
	s_load_b32 s6, s[0:1], 0x48
	s_load_b256 s[16:23], s[0:1], 0x58
	v_lshrrev_b32_e32 v2, 3, v0
	v_and_b32_e32 v1, 31, v0
	v_mov_b32_e32 v11, 0
	v_mbcnt_lo_u32_b32 v15, -1, 0
	v_cmp_eq_u32_e64 s0, 0, v0
	v_and_b32_e32 v13, 0x7c, v2
	v_lshlrev_b32_e32 v12, 2, v1
	v_cmp_gt_u32_e64 s1, 32, v0
	v_lshl_or_b32 v17, v15, 2, 64
	s_mov_b32 s29, 0
	s_wait_kmcnt 0x0
	s_ashr_i32 s2, s4, 31
	v_cmp_gt_i32_e32 vcc_lo, s4, v0
	s_lshr_b32 s2, s2, 22
	s_mul_i32 s34, s3, ttmp9
	s_add_co_i32 s30, s4, s2
	v_cmp_eq_u32_e64 s2, 0, v1
	s_and_b32 s30, s30, 0xfffffc00
	v_cndmask_b32_e32 v3, 0, v0, vcc_lo
	v_or_b32_e32 v2, s30, v0
	v_mul_lo_u32 v14, v0, s6
	s_mul_i32 s36, s5, ttmp9
	v_cmp_gt_i32_e64 s3, s30, v0
	v_lshlrev_b32_e32 v16, 1, v3
	v_mul_lo_u32 v1, s6, v2
	v_cmp_gt_i32_e64 s4, s4, v2
	s_ashr_i32 s35, s34, 31
	s_ashr_i32 s37, s36, 31
	;; [unrolled: 1-line block ×3, first 2 shown]
	s_lshl_b32 s33, s6, 10
	s_lshl_b64 s[14:15], s[14:15], 1
	s_lshl_b64 s[26:27], s[26:27], 1
	v_ashrrev_i32_e32 v2, 31, v1
	s_lshl_b64 s[22:23], s[22:23], 1
	s_lshl_b64 s[34:35], s[34:35], 1
	;; [unrolled: 1-line block ×3, first 2 shown]
	s_wait_alu 0xfffe
	s_lshl_b64 s[38:39], s[30:31], 1
	v_lshlrev_b64_e32 v[1:2], 1, v[1:2]
	s_branch .LBB464_4
.LBB464_2:                              ;   in Loop: Header=BB464_4 Depth=1
	s_wait_alu 0xfffe
	s_or_b32 exec_lo, exec_lo, s5
.LBB464_3:                              ;   in Loop: Header=BB464_4 Depth=1
	s_add_co_i32 s28, s28, 0x10000
	s_delay_alu instid0(SALU_CYCLE_1)
	s_cmp_lt_u32 s28, s7
	s_cbranch_scc0 .LBB464_38
.LBB464_4:                              ; =>This Loop Header: Depth=1
                                        ;     Child Loop BB464_27 Depth 2
	s_mul_u64 s[40:41], s[10:11], s[28:29]
	s_mul_u64 s[42:43], s[18:19], s[28:29]
	s_lshl_b64 s[40:41], s[40:41], 2
	s_lshl_b64 s[42:43], s[42:43], 2
	s_add_nc_u64 s[40:41], s[8:9], s[40:41]
	s_add_nc_u64 s[42:43], s[16:17], s[42:43]
	s_clause 0x1
	global_load_b32 v18, v11, s[40:41]
	global_load_b32 v3, v11, s[42:43]
	s_wait_loadcnt 0x1
	v_cmp_eq_f32_e64 s5, 0, v18
	s_wait_loadcnt 0x0
	v_cmp_eq_f32_e32 vcc_lo, 1.0, v3
	v_readfirstlane_b32 s31, v3
	s_and_b32 s6, s5, vcc_lo
	s_wait_alu 0xfffe
	s_and_b32 vcc_lo, exec_lo, s6
	s_wait_alu 0xfffe
	s_cbranch_vccnz .LBB464_3
; %bb.5:                                ;   in Loop: Header=BB464_4 Depth=1
	v_mov_b32_e32 v3, 0
	v_dual_mov_b32 v4, 0 :: v_dual_mov_b32 v5, 0
	v_cmp_neq_f32_e64 s6, 0, v18
	v_mov_b32_e32 v6, 0
	s_and_b32 vcc_lo, exec_lo, s5
	s_wait_alu 0xfffe
	s_cbranch_vccnz .LBB464_7
; %bb.6:                                ;   in Loop: Header=BB464_4 Depth=1
	s_lshl_b64 s[40:41], s[28:29], 3
	s_delay_alu instid0(SALU_CYCLE_1)
	s_add_nc_u64 s[40:41], s[12:13], s[40:41]
	global_load_b64 v[5:6], v11, s[40:41]
	s_wait_loadcnt 0x0
	v_add_co_u32 v5, vcc_lo, v5, s14
	s_wait_alu 0xfffd
	v_add_co_ci_u32_e64 v6, null, s15, v6, vcc_lo
.LBB464_7:                              ;   in Loop: Header=BB464_4 Depth=1
	s_and_not1_b32 vcc_lo, exec_lo, s6
	s_wait_alu 0xfffe
	s_cbranch_vccnz .LBB464_9
; %bb.8:                                ;   in Loop: Header=BB464_4 Depth=1
	s_lshl_b64 s[40:41], s[28:29], 3
	s_delay_alu instid0(SALU_CYCLE_1)
	s_add_nc_u64 s[40:41], s[24:25], s[40:41]
	global_load_b64 v[3:4], v11, s[40:41]
	s_wait_loadcnt 0x0
	v_add_co_u32 v3, vcc_lo, v3, s26
	s_wait_alu 0xfffd
	v_add_co_ci_u32_e64 v4, null, s27, v4, vcc_lo
.LBB464_9:                              ;   in Loop: Header=BB464_4 Depth=1
	s_lshl_b64 s[40:41], s[28:29], 3
	s_delay_alu instid0(SALU_CYCLE_1)
	s_add_nc_u64 s[40:41], s[20:21], s[40:41]
	s_wait_dscnt 0x0
	global_load_b64 v[7:8], v11, s[40:41]
	s_wait_loadcnt 0x0
	v_add_co_u32 v19, vcc_lo, v7, s22
	s_wait_alu 0xfffd
	v_add_co_ci_u32_e64 v20, null, s23, v8, vcc_lo
	s_and_not1_b32 vcc_lo, exec_lo, s5
	s_wait_alu 0xfffe
	s_cbranch_vccnz .LBB464_13
; %bb.10:                               ;   in Loop: Header=BB464_4 Depth=1
	s_mov_b32 s5, 0
	s_mov_b32 s6, 0
                                        ; implicit-def: $vgpr7
	s_and_saveexec_b32 s40, s0
	s_cbranch_execz .LBB464_14
; %bb.11:                               ;   in Loop: Header=BB464_4 Depth=1
	s_cmp_eq_f32 s31, 0
	s_cbranch_scc1 .LBB464_15
; %bb.12:                               ;   in Loop: Header=BB464_4 Depth=1
	v_add_co_u32 v7, vcc_lo, v19, s34
	s_wait_alu 0xfffd
	v_add_co_ci_u32_e64 v8, null, s35, v20, vcc_lo
	flat_load_u16 v7, v[7:8]
	s_wait_loadcnt_dscnt 0x0
	v_fma_mixlo_f16 v7, s31, v7, 0 op_sel_hi:[0,1,0]
	s_branch .LBB464_16
.LBB464_13:                             ;   in Loop: Header=BB464_4 Depth=1
	s_mov_b32 s6, 0
                                        ; implicit-def: $vgpr7
	s_cbranch_execnz .LBB464_17
	s_branch .LBB464_36
.LBB464_14:                             ;   in Loop: Header=BB464_4 Depth=1
	s_or_b32 exec_lo, exec_lo, s40
	s_wait_alu 0xfffe
	s_and_b32 vcc_lo, exec_lo, s5
	s_wait_alu 0xfffe
	s_cbranch_vccnz .LBB464_17
	s_branch .LBB464_36
.LBB464_15:                             ;   in Loop: Header=BB464_4 Depth=1
	v_mov_b32_e32 v7, 0
.LBB464_16:                             ;   in Loop: Header=BB464_4 Depth=1
	s_mov_b32 s6, exec_lo
	s_or_b32 exec_lo, exec_lo, s40
	s_wait_alu 0xfffe
	s_and_b32 vcc_lo, exec_lo, s5
	s_wait_alu 0xfffe
	s_cbranch_vccz .LBB464_36
.LBB464_17:                             ;   in Loop: Header=BB464_4 Depth=1
	v_add_co_u32 v5, vcc_lo, v5, v16
	s_wait_alu 0xfffd
	v_add_co_ci_u32_e64 v6, null, 0, v6, vcc_lo
	v_mov_b32_e32 v21, 0
	s_delay_alu instid0(VALU_DEP_3) | instskip(SKIP_1) | instid1(VALU_DEP_3)
	v_add_co_u32 v5, vcc_lo, v5, s36
	s_wait_alu 0xfffd
	v_add_co_ci_u32_e64 v6, null, s37, v6, vcc_lo
	s_and_saveexec_b32 s40, s3
	s_cbranch_execnz .LBB464_26
; %bb.18:                               ;   in Loop: Header=BB464_4 Depth=1
	s_or_b32 exec_lo, exec_lo, s40
	s_and_saveexec_b32 s5, s4
	s_cbranch_execnz .LBB464_29
.LBB464_19:                             ;   in Loop: Header=BB464_4 Depth=1
	s_wait_alu 0xfffe
	s_or_b32 exec_lo, exec_lo, s5
	s_and_saveexec_b32 s5, s1
.LBB464_20:                             ;   in Loop: Header=BB464_4 Depth=1
	ds_store_b32 v12, v11
.LBB464_21:                             ;   in Loop: Header=BB464_4 Depth=1
	s_wait_alu 0xfffe
	s_or_b32 exec_lo, exec_lo, s5
	ds_bpermute_b32 v4, v17, v21
	v_cmp_gt_u32_e32 vcc_lo, 24, v15
	s_wait_dscnt 0x0
	s_barrier_signal -1
	s_barrier_wait -1
	global_inv scope:SCOPE_SE
	s_wait_alu 0xfffd
	v_cndmask_b32_e64 v3, 0, 8, vcc_lo
	v_cmp_gt_u32_e32 vcc_lo, 28, v15
	s_delay_alu instid0(VALU_DEP_2)
	v_add_lshl_u32 v3, v3, v15, 2
	v_add_f32_e32 v5, v21, v4
	s_wait_alu 0xfffd
	v_cndmask_b32_e64 v4, 0, 4, vcc_lo
	v_cmp_gt_u32_e32 vcc_lo, 30, v15
	ds_bpermute_b32 v6, v3, v5
	v_add_lshl_u32 v4, v4, v15, 2
	s_wait_dscnt 0x0
	v_add_f32_e32 v6, v5, v6
	s_wait_alu 0xfffd
	v_cndmask_b32_e64 v5, 0, 2, vcc_lo
	v_cmp_ne_u32_e32 vcc_lo, 31, v15
	ds_bpermute_b32 v7, v4, v6
	v_add_lshl_u32 v5, v5, v15, 2
	s_wait_alu 0xfffd
	v_add_co_ci_u32_e64 v8, null, 0, v15, vcc_lo
	s_wait_dscnt 0x0
	v_add_f32_e32 v6, v6, v7
	ds_bpermute_b32 v7, v5, v6
	s_wait_dscnt 0x0
	v_dual_add_f32 v7, v6, v7 :: v_dual_lshlrev_b32 v6, 2, v8
	ds_bpermute_b32 v8, v6, v7
	s_and_saveexec_b32 s5, s2
	s_cbranch_execz .LBB464_23
; %bb.22:                               ;   in Loop: Header=BB464_4 Depth=1
	s_wait_dscnt 0x0
	v_add_f32_e32 v7, v7, v8
	ds_store_b32 v13, v7
.LBB464_23:                             ;   in Loop: Header=BB464_4 Depth=1
	s_wait_alu 0xfffe
	s_or_b32 exec_lo, exec_lo, s5
	s_wait_dscnt 0x0
	v_mov_b32_e32 v8, 0
	s_wait_loadcnt 0x0
	s_barrier_signal -1
	s_barrier_wait -1
	global_inv scope:SCOPE_SE
	s_and_saveexec_b32 s5, s1
	s_cbranch_execnz .LBB464_30
; %bb.24:                               ;   in Loop: Header=BB464_4 Depth=1
	s_wait_alu 0xfffe
	s_or_b32 exec_lo, exec_lo, s5
	s_and_saveexec_b32 s5, s1
	s_cbranch_execnz .LBB464_31
.LBB464_25:                             ;   in Loop: Header=BB464_4 Depth=1
	s_wait_alu 0xfffe
	s_or_b32 exec_lo, exec_lo, s5
                                        ; implicit-def: $vgpr7
	s_and_saveexec_b32 s5, s0
	s_cbranch_execnz .LBB464_32
	s_branch .LBB464_35
.LBB464_26:                             ;   in Loop: Header=BB464_4 Depth=1
	v_dual_mov_b32 v21, 0 :: v_dual_mov_b32 v8, v6
	v_dual_mov_b32 v7, v5 :: v_dual_mov_b32 v22, v0
	v_mov_b32_e32 v9, v14
	s_mov_b32 s41, 0
.LBB464_27:                             ;   Parent Loop BB464_4 Depth=1
                                        ; =>  This Inner Loop Header: Depth=2
	s_delay_alu instid0(VALU_DEP_1) | instskip(NEXT) | instid1(VALU_DEP_3)
	v_ashrrev_i32_e32 v10, 31, v9
	v_add_nc_u32_e32 v22, 0x400, v22
	s_delay_alu instid0(VALU_DEP_2) | instskip(NEXT) | instid1(VALU_DEP_2)
	v_lshlrev_b64_e32 v[23:24], 1, v[9:10]
	v_cmp_le_i32_e64 s5, s30, v22
	v_add_nc_u32_e32 v9, s33, v9
	s_or_b32 s41, s5, s41
	v_add_co_u32 v23, vcc_lo, v3, v23
	s_wait_alu 0xfffd
	v_add_co_ci_u32_e64 v24, null, v4, v24, vcc_lo
	flat_load_u16 v10, v[7:8]
	flat_load_u16 v23, v[23:24]
	v_add_co_u32 v7, vcc_lo, 0x800, v7
	s_wait_alu 0xfffd
	v_add_co_ci_u32_e64 v8, null, 0, v8, vcc_lo
	s_wait_loadcnt_dscnt 0x0
	v_mul_f16_e32 v10, v10, v23
	s_delay_alu instid0(VALU_DEP_1) | instskip(NEXT) | instid1(VALU_DEP_1)
	v_cvt_f32_f16_e32 v10, v10
	v_add_f32_e32 v21, v21, v10
	s_and_not1_b32 exec_lo, exec_lo, s41
	s_cbranch_execnz .LBB464_27
; %bb.28:                               ;   in Loop: Header=BB464_4 Depth=1
	s_or_b32 exec_lo, exec_lo, s41
	s_delay_alu instid0(SALU_CYCLE_1)
	s_or_b32 exec_lo, exec_lo, s40
	s_and_saveexec_b32 s5, s4
	s_cbranch_execz .LBB464_19
.LBB464_29:                             ;   in Loop: Header=BB464_4 Depth=1
	v_add_co_u32 v5, vcc_lo, v5, s38
	s_wait_alu 0xfffd
	v_add_co_ci_u32_e64 v6, null, s39, v6, vcc_lo
	v_add_co_u32 v3, vcc_lo, v3, v1
	s_wait_alu 0xfffd
	v_add_co_ci_u32_e64 v4, null, v4, v2, vcc_lo
	flat_load_u16 v5, v[5:6]
	flat_load_u16 v3, v[3:4]
	s_wait_loadcnt_dscnt 0x0
	v_mul_f16_e32 v3, v5, v3
	s_delay_alu instid0(VALU_DEP_1) | instskip(NEXT) | instid1(VALU_DEP_1)
	v_cvt_f32_f16_e32 v3, v3
	v_add_f32_e32 v21, v21, v3
	s_wait_alu 0xfffe
	s_or_b32 exec_lo, exec_lo, s5
	s_and_saveexec_b32 s5, s1
	s_cbranch_execnz .LBB464_20
	s_branch .LBB464_21
.LBB464_30:                             ;   in Loop: Header=BB464_4 Depth=1
	ds_load_b32 v8, v12
	s_wait_alu 0xfffe
	s_or_b32 exec_lo, exec_lo, s5
	s_and_saveexec_b32 s5, s1
	s_cbranch_execz .LBB464_25
.LBB464_31:                             ;   in Loop: Header=BB464_4 Depth=1
	s_wait_dscnt 0x0
	ds_bpermute_b32 v7, v17, v8
	s_wait_dscnt 0x0
	v_add_f32_e32 v7, v8, v7
	ds_bpermute_b32 v3, v3, v7
	s_wait_dscnt 0x0
	v_add_f32_e32 v3, v7, v3
	;; [unrolled: 3-line block ×5, first 2 shown]
	s_wait_alu 0xfffe
	s_or_b32 exec_lo, exec_lo, s5
                                        ; implicit-def: $vgpr7
	s_and_saveexec_b32 s5, s0
	s_cbranch_execz .LBB464_35
.LBB464_32:                             ;   in Loop: Header=BB464_4 Depth=1
	s_wait_dscnt 0x0
	v_mul_f32_e32 v3, v18, v8
	s_cmp_eq_f32 s31, 0
	s_cbranch_scc1 .LBB464_34
; %bb.33:                               ;   in Loop: Header=BB464_4 Depth=1
	v_add_co_u32 v4, vcc_lo, v19, s34
	s_wait_alu 0xfffd
	v_add_co_ci_u32_e64 v5, null, s35, v20, vcc_lo
	flat_load_u16 v4, v[4:5]
	s_wait_loadcnt_dscnt 0x0
	v_fma_mix_f32 v3, s31, v4, v3 op_sel_hi:[0,1,0]
.LBB464_34:                             ;   in Loop: Header=BB464_4 Depth=1
	s_delay_alu instid0(VALU_DEP_1)
	v_cvt_f16_f32_e32 v7, v3
	s_or_b32 s6, s6, exec_lo
.LBB464_35:                             ;   in Loop: Header=BB464_4 Depth=1
	s_wait_alu 0xfffe
	s_or_b32 exec_lo, exec_lo, s5
.LBB464_36:                             ;   in Loop: Header=BB464_4 Depth=1
	s_wait_alu 0xfffe
	s_and_saveexec_b32 s5, s6
	s_cbranch_execz .LBB464_2
; %bb.37:                               ;   in Loop: Header=BB464_4 Depth=1
	v_add_co_u32 v3, vcc_lo, v19, s34
	s_wait_alu 0xfffd
	v_add_co_ci_u32_e64 v4, null, s35, v20, vcc_lo
	flat_store_b16 v[3:4], v7
	s_branch .LBB464_2
.LBB464_38:
	s_endpgm
	.section	.rodata,"a",@progbits
	.p2align	6, 0x0
	.amdhsa_kernel _ZL32rocblas_gemvt_warp_reduce_kernelILb1ELi1024EiPKDF16_PKfKPDF16_EviiT3_lPKT2_lT1_lS9_lSA_lS6_lPT4_lSA_li
		.amdhsa_group_segment_fixed_size 128
		.amdhsa_private_segment_fixed_size 0
		.amdhsa_kernarg_size 140
		.amdhsa_user_sgpr_count 2
		.amdhsa_user_sgpr_dispatch_ptr 0
		.amdhsa_user_sgpr_queue_ptr 0
		.amdhsa_user_sgpr_kernarg_segment_ptr 1
		.amdhsa_user_sgpr_dispatch_id 0
		.amdhsa_user_sgpr_private_segment_size 0
		.amdhsa_wavefront_size32 1
		.amdhsa_uses_dynamic_stack 0
		.amdhsa_enable_private_segment 0
		.amdhsa_system_sgpr_workgroup_id_x 1
		.amdhsa_system_sgpr_workgroup_id_y 0
		.amdhsa_system_sgpr_workgroup_id_z 1
		.amdhsa_system_sgpr_workgroup_info 0
		.amdhsa_system_vgpr_workitem_id 0
		.amdhsa_next_free_vgpr 25
		.amdhsa_next_free_sgpr 44
		.amdhsa_reserve_vcc 1
		.amdhsa_float_round_mode_32 0
		.amdhsa_float_round_mode_16_64 0
		.amdhsa_float_denorm_mode_32 3
		.amdhsa_float_denorm_mode_16_64 3
		.amdhsa_fp16_overflow 0
		.amdhsa_workgroup_processor_mode 1
		.amdhsa_memory_ordered 1
		.amdhsa_forward_progress 1
		.amdhsa_inst_pref_size 14
		.amdhsa_round_robin_scheduling 0
		.amdhsa_exception_fp_ieee_invalid_op 0
		.amdhsa_exception_fp_denorm_src 0
		.amdhsa_exception_fp_ieee_div_zero 0
		.amdhsa_exception_fp_ieee_overflow 0
		.amdhsa_exception_fp_ieee_underflow 0
		.amdhsa_exception_fp_ieee_inexact 0
		.amdhsa_exception_int_div_zero 0
	.end_amdhsa_kernel
	.section	.text._ZL32rocblas_gemvt_warp_reduce_kernelILb1ELi1024EiPKDF16_PKfKPDF16_EviiT3_lPKT2_lT1_lS9_lSA_lS6_lPT4_lSA_li,"axG",@progbits,_ZL32rocblas_gemvt_warp_reduce_kernelILb1ELi1024EiPKDF16_PKfKPDF16_EviiT3_lPKT2_lT1_lS9_lSA_lS6_lPT4_lSA_li,comdat
.Lfunc_end464:
	.size	_ZL32rocblas_gemvt_warp_reduce_kernelILb1ELi1024EiPKDF16_PKfKPDF16_EviiT3_lPKT2_lT1_lS9_lSA_lS6_lPT4_lSA_li, .Lfunc_end464-_ZL32rocblas_gemvt_warp_reduce_kernelILb1ELi1024EiPKDF16_PKfKPDF16_EviiT3_lPKT2_lT1_lS9_lSA_lS6_lPT4_lSA_li
                                        ; -- End function
	.set _ZL32rocblas_gemvt_warp_reduce_kernelILb1ELi1024EiPKDF16_PKfKPDF16_EviiT3_lPKT2_lT1_lS9_lSA_lS6_lPT4_lSA_li.num_vgpr, 25
	.set _ZL32rocblas_gemvt_warp_reduce_kernelILb1ELi1024EiPKDF16_PKfKPDF16_EviiT3_lPKT2_lT1_lS9_lSA_lS6_lPT4_lSA_li.num_agpr, 0
	.set _ZL32rocblas_gemvt_warp_reduce_kernelILb1ELi1024EiPKDF16_PKfKPDF16_EviiT3_lPKT2_lT1_lS9_lSA_lS6_lPT4_lSA_li.numbered_sgpr, 44
	.set _ZL32rocblas_gemvt_warp_reduce_kernelILb1ELi1024EiPKDF16_PKfKPDF16_EviiT3_lPKT2_lT1_lS9_lSA_lS6_lPT4_lSA_li.num_named_barrier, 0
	.set _ZL32rocblas_gemvt_warp_reduce_kernelILb1ELi1024EiPKDF16_PKfKPDF16_EviiT3_lPKT2_lT1_lS9_lSA_lS6_lPT4_lSA_li.private_seg_size, 0
	.set _ZL32rocblas_gemvt_warp_reduce_kernelILb1ELi1024EiPKDF16_PKfKPDF16_EviiT3_lPKT2_lT1_lS9_lSA_lS6_lPT4_lSA_li.uses_vcc, 1
	.set _ZL32rocblas_gemvt_warp_reduce_kernelILb1ELi1024EiPKDF16_PKfKPDF16_EviiT3_lPKT2_lT1_lS9_lSA_lS6_lPT4_lSA_li.uses_flat_scratch, 0
	.set _ZL32rocblas_gemvt_warp_reduce_kernelILb1ELi1024EiPKDF16_PKfKPDF16_EviiT3_lPKT2_lT1_lS9_lSA_lS6_lPT4_lSA_li.has_dyn_sized_stack, 0
	.set _ZL32rocblas_gemvt_warp_reduce_kernelILb1ELi1024EiPKDF16_PKfKPDF16_EviiT3_lPKT2_lT1_lS9_lSA_lS6_lPT4_lSA_li.has_recursion, 0
	.set _ZL32rocblas_gemvt_warp_reduce_kernelILb1ELi1024EiPKDF16_PKfKPDF16_EviiT3_lPKT2_lT1_lS9_lSA_lS6_lPT4_lSA_li.has_indirect_call, 0
	.section	.AMDGPU.csdata,"",@progbits
; Kernel info:
; codeLenInByte = 1688
; TotalNumSgprs: 46
; NumVgprs: 25
; ScratchSize: 0
; MemoryBound: 0
; FloatMode: 240
; IeeeMode: 1
; LDSByteSize: 128 bytes/workgroup (compile time only)
; SGPRBlocks: 0
; VGPRBlocks: 3
; NumSGPRsForWavesPerEU: 46
; NumVGPRsForWavesPerEU: 25
; Occupancy: 16
; WaveLimiterHint : 1
; COMPUTE_PGM_RSRC2:SCRATCH_EN: 0
; COMPUTE_PGM_RSRC2:USER_SGPR: 2
; COMPUTE_PGM_RSRC2:TRAP_HANDLER: 0
; COMPUTE_PGM_RSRC2:TGID_X_EN: 1
; COMPUTE_PGM_RSRC2:TGID_Y_EN: 0
; COMPUTE_PGM_RSRC2:TGID_Z_EN: 1
; COMPUTE_PGM_RSRC2:TIDIG_COMP_CNT: 0
	.section	.text._ZL32rocblas_gemvt_warp_reduce_kernelILb1ELi1024ElPKDF16_PKfKPDF16_EviiT3_lPKT2_lT1_lS9_lSA_lS6_lPT4_lSA_li,"axG",@progbits,_ZL32rocblas_gemvt_warp_reduce_kernelILb1ELi1024ElPKDF16_PKfKPDF16_EviiT3_lPKT2_lT1_lS9_lSA_lS6_lPT4_lSA_li,comdat
	.globl	_ZL32rocblas_gemvt_warp_reduce_kernelILb1ELi1024ElPKDF16_PKfKPDF16_EviiT3_lPKT2_lT1_lS9_lSA_lS6_lPT4_lSA_li ; -- Begin function _ZL32rocblas_gemvt_warp_reduce_kernelILb1ELi1024ElPKDF16_PKfKPDF16_EviiT3_lPKT2_lT1_lS9_lSA_lS6_lPT4_lSA_li
	.p2align	8
	.type	_ZL32rocblas_gemvt_warp_reduce_kernelILb1ELi1024ElPKDF16_PKfKPDF16_EviiT3_lPKT2_lT1_lS9_lSA_lS6_lPT4_lSA_li,@function
_ZL32rocblas_gemvt_warp_reduce_kernelILb1ELi1024ElPKDF16_PKfKPDF16_EviiT3_lPKT2_lT1_lS9_lSA_lS6_lPT4_lSA_li: ; @_ZL32rocblas_gemvt_warp_reduce_kernelILb1ELi1024ElPKDF16_PKfKPDF16_EviiT3_lPKT2_lT1_lS9_lSA_lS6_lPT4_lSA_li
; %bb.0:
	s_load_b32 s7, s[0:1], 0x88
	s_lshr_b32 s28, ttmp7, 16
	s_wait_kmcnt 0x0
	s_cmp_ge_u32 s28, s7
	s_cbranch_scc1 .LBB465_38
; %bb.1:
	s_clause 0x6
	s_load_b32 s6, s[0:1], 0x0
	s_load_b64 s[36:37], s[0:1], 0x48
	s_load_b256 s[8:15], s[0:1], 0x8
	s_load_b64 s[34:35], s[0:1], 0x78
	s_load_b64 s[38:39], s[0:1], 0x28
	s_load_b128 s[24:27], s[0:1], 0x38
	s_load_b256 s[16:23], s[0:1], 0x58
	v_and_b32_e32 v3, 31, v0
	v_lshrrev_b32_e32 v4, 3, v0
	v_mov_b32_e32 v13, 0
	v_mbcnt_lo_u32_b32 v14, -1, 0
	s_mov_b32 s4, ttmp9
	s_ashr_i32 s5, ttmp9, 31
	v_and_b32_e32 v16, 0x7c, v4
	v_cmp_eq_u32_e64 s0, 0, v0
	v_cmp_gt_u32_e64 s1, 32, v0
	v_lshl_or_b32 v18, v14, 2, 64
	s_mov_b32 s29, 0
	s_wait_kmcnt 0x0
	s_ashr_i32 s2, s6, 31
	v_mad_co_u64_u32 v[1:2], null, s36, v0, 0
	s_lshr_b32 s3, s2, 22
	v_cmp_eq_u32_e64 s2, 0, v3
	s_add_co_i32 s3, s6, s3
	v_cmp_gt_i32_e32 vcc_lo, s6, v0
	s_and_b32 s30, s3, 0xfffffc00
	v_lshlrev_b32_e32 v15, 2, v3
	v_or_b32_e32 v5, s30, v0
	v_mad_co_u64_u32 v[2:3], null, s37, v0, v[2:3]
	s_ashr_i32 s31, s30, 31
	v_cndmask_b32_e32 v6, 0, v0, vcc_lo
	v_mul_lo_u32 v7, s37, v5
	v_mad_co_u64_u32 v[3:4], null, s36, v5, 0
	s_wait_alu 0xfffe
	s_mul_i32 s3, s36, s31
	v_lshlrev_b64_e32 v[1:2], 1, v[1:2]
	s_mul_u64 s[40:41], s[34:35], s[4:5]
	s_mul_u64 s[38:39], s[38:39], s[4:5]
	v_cmp_gt_i32_e64 s4, s6, v5
	v_lshlrev_b32_e32 v17, 1, v6
	v_add3_u32 v4, v4, s3, v7
	v_cmp_gt_i32_e64 s3, s30, v0
	s_lshl_b64 s[34:35], s[36:37], 11
	s_lshl_b64 s[14:15], s[14:15], 1
	;; [unrolled: 1-line block ×3, first 2 shown]
	v_lshlrev_b64_e32 v[3:4], 1, v[3:4]
	s_lshl_b64 s[22:23], s[22:23], 1
	s_lshl_b64 s[36:37], s[40:41], 1
	;; [unrolled: 1-line block ×4, first 2 shown]
	s_branch .LBB465_4
.LBB465_2:                              ;   in Loop: Header=BB465_4 Depth=1
	s_or_b32 exec_lo, exec_lo, s5
.LBB465_3:                              ;   in Loop: Header=BB465_4 Depth=1
	s_add_co_i32 s28, s28, 0x10000
	s_delay_alu instid0(SALU_CYCLE_1)
	s_cmp_lt_u32 s28, s7
	s_cbranch_scc0 .LBB465_38
.LBB465_4:                              ; =>This Loop Header: Depth=1
                                        ;     Child Loop BB465_27 Depth 2
	s_mul_u64 s[42:43], s[10:11], s[28:29]
	s_mul_u64 s[44:45], s[18:19], s[28:29]
	s_lshl_b64 s[42:43], s[42:43], 2
	s_lshl_b64 s[44:45], s[44:45], 2
	s_add_nc_u64 s[42:43], s[8:9], s[42:43]
	s_add_nc_u64 s[44:45], s[16:17], s[44:45]
	s_clause 0x1
	global_load_b32 v19, v13, s[42:43]
	global_load_b32 v5, v13, s[44:45]
	s_wait_loadcnt 0x1
	v_cmp_eq_f32_e64 s5, 0, v19
	s_wait_loadcnt 0x0
	v_cmp_eq_f32_e32 vcc_lo, 1.0, v5
	v_readfirstlane_b32 s31, v5
	s_and_b32 s6, s5, vcc_lo
	s_wait_alu 0xfffe
	s_and_b32 vcc_lo, exec_lo, s6
	s_wait_alu 0xfffe
	s_cbranch_vccnz .LBB465_3
; %bb.5:                                ;   in Loop: Header=BB465_4 Depth=1
	v_mov_b32_e32 v5, 0
	v_dual_mov_b32 v6, 0 :: v_dual_mov_b32 v7, 0
	v_cmp_neq_f32_e64 s6, 0, v19
	v_mov_b32_e32 v8, 0
	s_and_b32 vcc_lo, exec_lo, s5
	s_wait_alu 0xfffe
	s_cbranch_vccnz .LBB465_7
; %bb.6:                                ;   in Loop: Header=BB465_4 Depth=1
	s_lshl_b64 s[42:43], s[28:29], 3
	s_delay_alu instid0(SALU_CYCLE_1)
	s_add_nc_u64 s[42:43], s[12:13], s[42:43]
	global_load_b64 v[7:8], v13, s[42:43]
	s_wait_loadcnt 0x0
	v_add_co_u32 v7, vcc_lo, v7, s14
	s_wait_alu 0xfffd
	v_add_co_ci_u32_e64 v8, null, s15, v8, vcc_lo
.LBB465_7:                              ;   in Loop: Header=BB465_4 Depth=1
	s_and_not1_b32 vcc_lo, exec_lo, s6
	s_wait_alu 0xfffe
	s_cbranch_vccnz .LBB465_9
; %bb.8:                                ;   in Loop: Header=BB465_4 Depth=1
	s_lshl_b64 s[42:43], s[28:29], 3
	s_delay_alu instid0(SALU_CYCLE_1)
	s_add_nc_u64 s[42:43], s[24:25], s[42:43]
	global_load_b64 v[5:6], v13, s[42:43]
	s_wait_loadcnt 0x0
	v_add_co_u32 v5, vcc_lo, v5, s26
	s_wait_alu 0xfffd
	v_add_co_ci_u32_e64 v6, null, s27, v6, vcc_lo
.LBB465_9:                              ;   in Loop: Header=BB465_4 Depth=1
	s_lshl_b64 s[42:43], s[28:29], 3
	s_delay_alu instid0(SALU_CYCLE_1)
	s_add_nc_u64 s[42:43], s[20:21], s[42:43]
	s_wait_dscnt 0x0
	global_load_b64 v[9:10], v13, s[42:43]
	s_wait_loadcnt 0x0
	v_add_co_u32 v20, vcc_lo, v9, s22
	s_wait_alu 0xfffd
	v_add_co_ci_u32_e64 v21, null, s23, v10, vcc_lo
	s_and_not1_b32 vcc_lo, exec_lo, s5
	s_wait_alu 0xfffe
	s_cbranch_vccnz .LBB465_13
; %bb.10:                               ;   in Loop: Header=BB465_4 Depth=1
	s_mov_b32 s5, 0
	s_mov_b32 s6, 0
                                        ; implicit-def: $vgpr9
	s_and_saveexec_b32 s33, s0
	s_cbranch_execz .LBB465_14
; %bb.11:                               ;   in Loop: Header=BB465_4 Depth=1
	s_cmp_eq_f32 s31, 0
	s_cbranch_scc1 .LBB465_15
; %bb.12:                               ;   in Loop: Header=BB465_4 Depth=1
	v_add_co_u32 v9, vcc_lo, v20, s36
	s_wait_alu 0xfffd
	v_add_co_ci_u32_e64 v10, null, s37, v21, vcc_lo
	flat_load_u16 v9, v[9:10]
	s_wait_loadcnt_dscnt 0x0
	v_fma_mixlo_f16 v9, s31, v9, 0 op_sel_hi:[0,1,0]
	s_branch .LBB465_16
.LBB465_13:                             ;   in Loop: Header=BB465_4 Depth=1
	s_mov_b32 s6, 0
                                        ; implicit-def: $vgpr9
	s_cbranch_execnz .LBB465_17
	s_branch .LBB465_36
.LBB465_14:                             ;   in Loop: Header=BB465_4 Depth=1
	s_or_b32 exec_lo, exec_lo, s33
	s_delay_alu instid0(SALU_CYCLE_1)
	s_and_b32 vcc_lo, exec_lo, s5
	s_wait_alu 0xfffe
	s_cbranch_vccnz .LBB465_17
	s_branch .LBB465_36
.LBB465_15:                             ;   in Loop: Header=BB465_4 Depth=1
	v_mov_b32_e32 v9, 0
.LBB465_16:                             ;   in Loop: Header=BB465_4 Depth=1
	s_mov_b32 s6, exec_lo
	s_or_b32 exec_lo, exec_lo, s33
	s_delay_alu instid0(SALU_CYCLE_1)
	s_and_b32 vcc_lo, exec_lo, s5
	s_wait_alu 0xfffe
	s_cbranch_vccz .LBB465_36
.LBB465_17:                             ;   in Loop: Header=BB465_4 Depth=1
	v_add_co_u32 v7, vcc_lo, v7, v17
	s_wait_alu 0xfffd
	v_add_co_ci_u32_e64 v8, null, 0, v8, vcc_lo
	v_mov_b32_e32 v22, 0
	s_delay_alu instid0(VALU_DEP_3) | instskip(SKIP_1) | instid1(VALU_DEP_3)
	v_add_co_u32 v7, vcc_lo, v7, s38
	s_wait_alu 0xfffd
	v_add_co_ci_u32_e64 v8, null, s39, v8, vcc_lo
	s_and_saveexec_b32 s33, s3
	s_cbranch_execnz .LBB465_26
; %bb.18:                               ;   in Loop: Header=BB465_4 Depth=1
	s_or_b32 exec_lo, exec_lo, s33
	s_and_saveexec_b32 s5, s4
	s_cbranch_execnz .LBB465_29
.LBB465_19:                             ;   in Loop: Header=BB465_4 Depth=1
	s_or_b32 exec_lo, exec_lo, s5
	s_and_saveexec_b32 s5, s1
.LBB465_20:                             ;   in Loop: Header=BB465_4 Depth=1
	ds_store_b32 v15, v13
.LBB465_21:                             ;   in Loop: Header=BB465_4 Depth=1
	s_or_b32 exec_lo, exec_lo, s5
	ds_bpermute_b32 v6, v18, v22
	v_cmp_gt_u32_e32 vcc_lo, 24, v14
	s_wait_dscnt 0x0
	s_barrier_signal -1
	s_barrier_wait -1
	global_inv scope:SCOPE_SE
	s_wait_alu 0xfffd
	v_cndmask_b32_e64 v5, 0, 8, vcc_lo
	v_cmp_gt_u32_e32 vcc_lo, 28, v14
	s_delay_alu instid0(VALU_DEP_2)
	v_add_lshl_u32 v5, v5, v14, 2
	v_add_f32_e32 v7, v22, v6
	s_wait_alu 0xfffd
	v_cndmask_b32_e64 v6, 0, 4, vcc_lo
	v_cmp_gt_u32_e32 vcc_lo, 30, v14
	ds_bpermute_b32 v8, v5, v7
	v_add_lshl_u32 v6, v6, v14, 2
	s_wait_dscnt 0x0
	v_add_f32_e32 v8, v7, v8
	s_wait_alu 0xfffd
	v_cndmask_b32_e64 v7, 0, 2, vcc_lo
	v_cmp_ne_u32_e32 vcc_lo, 31, v14
	ds_bpermute_b32 v9, v6, v8
	v_add_lshl_u32 v7, v7, v14, 2
	s_wait_alu 0xfffd
	v_add_co_ci_u32_e64 v10, null, 0, v14, vcc_lo
	s_wait_dscnt 0x0
	v_add_f32_e32 v8, v8, v9
	ds_bpermute_b32 v9, v7, v8
	s_wait_dscnt 0x0
	v_dual_add_f32 v9, v8, v9 :: v_dual_lshlrev_b32 v8, 2, v10
	ds_bpermute_b32 v10, v8, v9
	s_and_saveexec_b32 s5, s2
	s_cbranch_execz .LBB465_23
; %bb.22:                               ;   in Loop: Header=BB465_4 Depth=1
	s_wait_dscnt 0x0
	v_add_f32_e32 v9, v9, v10
	ds_store_b32 v16, v9
.LBB465_23:                             ;   in Loop: Header=BB465_4 Depth=1
	s_or_b32 exec_lo, exec_lo, s5
	s_wait_dscnt 0x0
	v_mov_b32_e32 v10, 0
	s_wait_loadcnt 0x0
	s_barrier_signal -1
	s_barrier_wait -1
	global_inv scope:SCOPE_SE
	s_and_saveexec_b32 s5, s1
	s_cbranch_execnz .LBB465_30
; %bb.24:                               ;   in Loop: Header=BB465_4 Depth=1
	s_or_b32 exec_lo, exec_lo, s5
	s_and_saveexec_b32 s5, s1
	s_cbranch_execnz .LBB465_31
.LBB465_25:                             ;   in Loop: Header=BB465_4 Depth=1
	s_or_b32 exec_lo, exec_lo, s5
                                        ; implicit-def: $vgpr9
	s_and_saveexec_b32 s5, s0
	s_cbranch_execnz .LBB465_32
	s_branch .LBB465_35
.LBB465_26:                             ;   in Loop: Header=BB465_4 Depth=1
	v_add_co_u32 v9, vcc_lo, v5, v1
	v_dual_mov_b32 v12, v8 :: v_dual_mov_b32 v23, v0
	s_wait_alu 0xfffd
	v_add_co_ci_u32_e64 v10, null, v6, v2, vcc_lo
	v_dual_mov_b32 v22, 0 :: v_dual_mov_b32 v11, v7
	s_mov_b32 s42, 0
.LBB465_27:                             ;   Parent Loop BB465_4 Depth=1
                                        ; =>  This Inner Loop Header: Depth=2
	flat_load_u16 v24, v[11:12]
	flat_load_u16 v25, v[9:10]
	v_add_co_u32 v11, vcc_lo, 0x800, v11
	s_wait_alu 0xfffd
	v_add_co_ci_u32_e64 v12, null, 0, v12, vcc_lo
	v_add_co_u32 v9, vcc_lo, v9, s34
	s_wait_alu 0xfffd
	v_add_co_ci_u32_e64 v10, null, s35, v10, vcc_lo
	s_wait_loadcnt_dscnt 0x0
	v_mul_f16_e32 v24, v24, v25
	s_delay_alu instid0(VALU_DEP_1) | instskip(NEXT) | instid1(VALU_DEP_1)
	v_cvt_f32_f16_e32 v24, v24
	v_dual_add_f32 v22, v22, v24 :: v_dual_add_nc_u32 v23, 0x400, v23
	s_delay_alu instid0(VALU_DEP_1) | instskip(SKIP_1) | instid1(SALU_CYCLE_1)
	v_cmp_le_i32_e64 s5, s30, v23
	s_or_b32 s42, s5, s42
	s_and_not1_b32 exec_lo, exec_lo, s42
	s_cbranch_execnz .LBB465_27
; %bb.28:                               ;   in Loop: Header=BB465_4 Depth=1
	s_or_b32 exec_lo, exec_lo, s42
	s_delay_alu instid0(SALU_CYCLE_1)
	s_or_b32 exec_lo, exec_lo, s33
	s_and_saveexec_b32 s5, s4
	s_cbranch_execz .LBB465_19
.LBB465_29:                             ;   in Loop: Header=BB465_4 Depth=1
	v_add_co_u32 v7, vcc_lo, v7, s40
	s_wait_alu 0xfffd
	v_add_co_ci_u32_e64 v8, null, s41, v8, vcc_lo
	v_add_co_u32 v5, vcc_lo, v5, v3
	s_wait_alu 0xfffd
	v_add_co_ci_u32_e64 v6, null, v6, v4, vcc_lo
	flat_load_u16 v7, v[7:8]
	flat_load_u16 v5, v[5:6]
	s_wait_loadcnt_dscnt 0x0
	v_mul_f16_e32 v5, v7, v5
	s_delay_alu instid0(VALU_DEP_1) | instskip(NEXT) | instid1(VALU_DEP_1)
	v_cvt_f32_f16_e32 v5, v5
	v_add_f32_e32 v22, v22, v5
	s_or_b32 exec_lo, exec_lo, s5
	s_and_saveexec_b32 s5, s1
	s_cbranch_execnz .LBB465_20
	s_branch .LBB465_21
.LBB465_30:                             ;   in Loop: Header=BB465_4 Depth=1
	ds_load_b32 v10, v15
	s_or_b32 exec_lo, exec_lo, s5
	s_and_saveexec_b32 s5, s1
	s_cbranch_execz .LBB465_25
.LBB465_31:                             ;   in Loop: Header=BB465_4 Depth=1
	s_wait_dscnt 0x0
	ds_bpermute_b32 v9, v18, v10
	s_wait_dscnt 0x0
	v_add_f32_e32 v9, v10, v9
	ds_bpermute_b32 v5, v5, v9
	s_wait_dscnt 0x0
	v_add_f32_e32 v5, v9, v5
	;; [unrolled: 3-line block ×5, first 2 shown]
	s_or_b32 exec_lo, exec_lo, s5
                                        ; implicit-def: $vgpr9
	s_and_saveexec_b32 s5, s0
	s_cbranch_execz .LBB465_35
.LBB465_32:                             ;   in Loop: Header=BB465_4 Depth=1
	s_wait_dscnt 0x0
	v_mul_f32_e32 v5, v19, v10
	s_cmp_eq_f32 s31, 0
	s_cbranch_scc1 .LBB465_34
; %bb.33:                               ;   in Loop: Header=BB465_4 Depth=1
	v_add_co_u32 v6, vcc_lo, v20, s36
	s_wait_alu 0xfffd
	v_add_co_ci_u32_e64 v7, null, s37, v21, vcc_lo
	flat_load_u16 v6, v[6:7]
	s_wait_loadcnt_dscnt 0x0
	v_fma_mix_f32 v5, s31, v6, v5 op_sel_hi:[0,1,0]
.LBB465_34:                             ;   in Loop: Header=BB465_4 Depth=1
	s_delay_alu instid0(VALU_DEP_1)
	v_cvt_f16_f32_e32 v9, v5
	s_wait_alu 0xfffe
	s_or_b32 s6, s6, exec_lo
.LBB465_35:                             ;   in Loop: Header=BB465_4 Depth=1
	s_or_b32 exec_lo, exec_lo, s5
.LBB465_36:                             ;   in Loop: Header=BB465_4 Depth=1
	s_wait_alu 0xfffe
	s_and_saveexec_b32 s5, s6
	s_cbranch_execz .LBB465_2
; %bb.37:                               ;   in Loop: Header=BB465_4 Depth=1
	v_add_co_u32 v5, vcc_lo, v20, s36
	s_wait_alu 0xfffd
	v_add_co_ci_u32_e64 v6, null, s37, v21, vcc_lo
	flat_store_b16 v[5:6], v9
	s_branch .LBB465_2
.LBB465_38:
	s_endpgm
	.section	.rodata,"a",@progbits
	.p2align	6, 0x0
	.amdhsa_kernel _ZL32rocblas_gemvt_warp_reduce_kernelILb1ELi1024ElPKDF16_PKfKPDF16_EviiT3_lPKT2_lT1_lS9_lSA_lS6_lPT4_lSA_li
		.amdhsa_group_segment_fixed_size 128
		.amdhsa_private_segment_fixed_size 0
		.amdhsa_kernarg_size 140
		.amdhsa_user_sgpr_count 2
		.amdhsa_user_sgpr_dispatch_ptr 0
		.amdhsa_user_sgpr_queue_ptr 0
		.amdhsa_user_sgpr_kernarg_segment_ptr 1
		.amdhsa_user_sgpr_dispatch_id 0
		.amdhsa_user_sgpr_private_segment_size 0
		.amdhsa_wavefront_size32 1
		.amdhsa_uses_dynamic_stack 0
		.amdhsa_enable_private_segment 0
		.amdhsa_system_sgpr_workgroup_id_x 1
		.amdhsa_system_sgpr_workgroup_id_y 0
		.amdhsa_system_sgpr_workgroup_id_z 1
		.amdhsa_system_sgpr_workgroup_info 0
		.amdhsa_system_vgpr_workitem_id 0
		.amdhsa_next_free_vgpr 26
		.amdhsa_next_free_sgpr 46
		.amdhsa_reserve_vcc 1
		.amdhsa_float_round_mode_32 0
		.amdhsa_float_round_mode_16_64 0
		.amdhsa_float_denorm_mode_32 3
		.amdhsa_float_denorm_mode_16_64 3
		.amdhsa_fp16_overflow 0
		.amdhsa_workgroup_processor_mode 1
		.amdhsa_memory_ordered 1
		.amdhsa_forward_progress 1
		.amdhsa_inst_pref_size 14
		.amdhsa_round_robin_scheduling 0
		.amdhsa_exception_fp_ieee_invalid_op 0
		.amdhsa_exception_fp_denorm_src 0
		.amdhsa_exception_fp_ieee_div_zero 0
		.amdhsa_exception_fp_ieee_overflow 0
		.amdhsa_exception_fp_ieee_underflow 0
		.amdhsa_exception_fp_ieee_inexact 0
		.amdhsa_exception_int_div_zero 0
	.end_amdhsa_kernel
	.section	.text._ZL32rocblas_gemvt_warp_reduce_kernelILb1ELi1024ElPKDF16_PKfKPDF16_EviiT3_lPKT2_lT1_lS9_lSA_lS6_lPT4_lSA_li,"axG",@progbits,_ZL32rocblas_gemvt_warp_reduce_kernelILb1ELi1024ElPKDF16_PKfKPDF16_EviiT3_lPKT2_lT1_lS9_lSA_lS6_lPT4_lSA_li,comdat
.Lfunc_end465:
	.size	_ZL32rocblas_gemvt_warp_reduce_kernelILb1ELi1024ElPKDF16_PKfKPDF16_EviiT3_lPKT2_lT1_lS9_lSA_lS6_lPT4_lSA_li, .Lfunc_end465-_ZL32rocblas_gemvt_warp_reduce_kernelILb1ELi1024ElPKDF16_PKfKPDF16_EviiT3_lPKT2_lT1_lS9_lSA_lS6_lPT4_lSA_li
                                        ; -- End function
	.set _ZL32rocblas_gemvt_warp_reduce_kernelILb1ELi1024ElPKDF16_PKfKPDF16_EviiT3_lPKT2_lT1_lS9_lSA_lS6_lPT4_lSA_li.num_vgpr, 26
	.set _ZL32rocblas_gemvt_warp_reduce_kernelILb1ELi1024ElPKDF16_PKfKPDF16_EviiT3_lPKT2_lT1_lS9_lSA_lS6_lPT4_lSA_li.num_agpr, 0
	.set _ZL32rocblas_gemvt_warp_reduce_kernelILb1ELi1024ElPKDF16_PKfKPDF16_EviiT3_lPKT2_lT1_lS9_lSA_lS6_lPT4_lSA_li.numbered_sgpr, 46
	.set _ZL32rocblas_gemvt_warp_reduce_kernelILb1ELi1024ElPKDF16_PKfKPDF16_EviiT3_lPKT2_lT1_lS9_lSA_lS6_lPT4_lSA_li.num_named_barrier, 0
	.set _ZL32rocblas_gemvt_warp_reduce_kernelILb1ELi1024ElPKDF16_PKfKPDF16_EviiT3_lPKT2_lT1_lS9_lSA_lS6_lPT4_lSA_li.private_seg_size, 0
	.set _ZL32rocblas_gemvt_warp_reduce_kernelILb1ELi1024ElPKDF16_PKfKPDF16_EviiT3_lPKT2_lT1_lS9_lSA_lS6_lPT4_lSA_li.uses_vcc, 1
	.set _ZL32rocblas_gemvt_warp_reduce_kernelILb1ELi1024ElPKDF16_PKfKPDF16_EviiT3_lPKT2_lT1_lS9_lSA_lS6_lPT4_lSA_li.uses_flat_scratch, 0
	.set _ZL32rocblas_gemvt_warp_reduce_kernelILb1ELi1024ElPKDF16_PKfKPDF16_EviiT3_lPKT2_lT1_lS9_lSA_lS6_lPT4_lSA_li.has_dyn_sized_stack, 0
	.set _ZL32rocblas_gemvt_warp_reduce_kernelILb1ELi1024ElPKDF16_PKfKPDF16_EviiT3_lPKT2_lT1_lS9_lSA_lS6_lPT4_lSA_li.has_recursion, 0
	.set _ZL32rocblas_gemvt_warp_reduce_kernelILb1ELi1024ElPKDF16_PKfKPDF16_EviiT3_lPKT2_lT1_lS9_lSA_lS6_lPT4_lSA_li.has_indirect_call, 0
	.section	.AMDGPU.csdata,"",@progbits
; Kernel info:
; codeLenInByte = 1680
; TotalNumSgprs: 48
; NumVgprs: 26
; ScratchSize: 0
; MemoryBound: 0
; FloatMode: 240
; IeeeMode: 1
; LDSByteSize: 128 bytes/workgroup (compile time only)
; SGPRBlocks: 0
; VGPRBlocks: 3
; NumSGPRsForWavesPerEU: 48
; NumVGPRsForWavesPerEU: 26
; Occupancy: 16
; WaveLimiterHint : 1
; COMPUTE_PGM_RSRC2:SCRATCH_EN: 0
; COMPUTE_PGM_RSRC2:USER_SGPR: 2
; COMPUTE_PGM_RSRC2:TRAP_HANDLER: 0
; COMPUTE_PGM_RSRC2:TGID_X_EN: 1
; COMPUTE_PGM_RSRC2:TGID_Y_EN: 0
; COMPUTE_PGM_RSRC2:TGID_Z_EN: 1
; COMPUTE_PGM_RSRC2:TIDIG_COMP_CNT: 0
	.section	.text._ZL32rocblas_gemvt_warp_reduce_kernelILb1ELi1024EiPKDF16_fKPDF16_EviiT3_lPKT2_lT1_lS7_lS8_lS4_lPT4_lS8_li,"axG",@progbits,_ZL32rocblas_gemvt_warp_reduce_kernelILb1ELi1024EiPKDF16_fKPDF16_EviiT3_lPKT2_lT1_lS7_lS8_lS4_lPT4_lS8_li,comdat
	.globl	_ZL32rocblas_gemvt_warp_reduce_kernelILb1ELi1024EiPKDF16_fKPDF16_EviiT3_lPKT2_lT1_lS7_lS8_lS4_lPT4_lS8_li ; -- Begin function _ZL32rocblas_gemvt_warp_reduce_kernelILb1ELi1024EiPKDF16_fKPDF16_EviiT3_lPKT2_lT1_lS7_lS8_lS4_lPT4_lS8_li
	.p2align	8
	.type	_ZL32rocblas_gemvt_warp_reduce_kernelILb1ELi1024EiPKDF16_fKPDF16_EviiT3_lPKT2_lT1_lS7_lS8_lS4_lPT4_lS8_li,@function
_ZL32rocblas_gemvt_warp_reduce_kernelILb1ELi1024EiPKDF16_fKPDF16_EviiT3_lPKT2_lT1_lS7_lS8_lS4_lPT4_lS8_li: ; @_ZL32rocblas_gemvt_warp_reduce_kernelILb1ELi1024EiPKDF16_fKPDF16_EviiT3_lPKT2_lT1_lS7_lS8_lS4_lPT4_lS8_li
; %bb.0:
	s_load_b32 s28, s[0:1], 0x88
	s_lshr_b32 s6, ttmp7, 16
	s_wait_kmcnt 0x0
	s_cmp_ge_u32 s6, s28
	s_cbranch_scc1 .LBB466_41
; %bb.1:
	s_clause 0x8
	s_load_b32 s29, s[0:1], 0x8
	s_load_b32 s30, s[0:1], 0x58
	s_load_b128 s[8:11], s[0:1], 0x18
	s_load_b32 s3, s[0:1], 0x28
	s_load_b32 s4, s[0:1], 0x0
	s_load_b128 s[12:15], s[0:1], 0x38
	s_load_b32 s5, s[0:1], 0x48
	s_load_b128 s[16:19], s[0:1], 0x68
	s_load_b32 s20, s[0:1], 0x78
	v_lshrrev_b32_e32 v2, 3, v0
	v_mov_b32_e32 v11, 0
	v_and_b32_e32 v1, 31, v0
	v_mbcnt_lo_u32_b32 v16, -1, 0
	v_cmp_eq_u32_e64 s0, 0, v0
	v_and_b32_e32 v14, 0x7c, v2
	s_mov_b32 s7, 0
	v_lshlrev_b32_e32 v13, 2, v1
	v_lshl_or_b32 v18, v16, 2, 64
	s_wait_kmcnt 0x0
	s_cmp_eq_f32 s29, 0
	v_cmp_gt_i32_e32 vcc_lo, s4, v0
	s_mul_i32 s24, s3, ttmp9
	s_cselect_b32 s31, -1, 0
	s_cmp_neq_f32 s30, 1.0
	s_mul_i32 s22, s20, ttmp9
	v_cndmask_b32_e32 v3, 0, v0, vcc_lo
	v_mul_lo_u32 v15, v0, s5
	s_cselect_b32 s1, -1, 0
	s_cmp_neq_f32 s29, 0
	s_delay_alu instid0(VALU_DEP_2) | instskip(SKIP_1) | instid1(SALU_CYCLE_1)
	v_lshlrev_b32_e32 v17, 1, v3
	s_cselect_b32 s2, -1, 0
	s_or_b32 s33, s2, s1
	s_cmp_neq_f32 s30, 0
	v_cndmask_b32_e64 v12, 0, 1, s2
	v_cmp_eq_u32_e64 s2, 0, v1
	v_cmp_gt_u32_e64 s1, 32, v0
	s_cselect_b32 s34, -1, 0
	s_ashr_i32 s21, s4, 31
	s_ashr_i32 s23, s22, 31
	s_lshr_b32 s21, s21, 22
	s_ashr_i32 s25, s24, 31
	s_add_co_i32 s21, s4, s21
	s_lshl_b32 s35, s5, 10
	s_and_b32 s20, s21, 0xfffffc00
	s_lshl_b64 s[10:11], s[10:11], 1
	v_or_b32_e32 v2, s20, v0
	v_cmp_gt_i32_e64 s3, s20, v0
	s_ashr_i32 s21, s20, 31
	s_lshl_b64 s[14:15], s[14:15], 1
	s_lshl_b64 s[18:19], s[18:19], 1
	v_mul_lo_u32 v1, s5, v2
	v_cmp_gt_i32_e64 s4, s4, v2
	s_lshl_b64 s[22:23], s[22:23], 1
	s_lshl_b64 s[24:25], s[24:25], 1
	s_wait_alu 0xfffe
	s_lshl_b64 s[26:27], s[20:21], 1
	v_ashrrev_i32_e32 v2, 31, v1
	s_delay_alu instid0(VALU_DEP_1)
	v_lshlrev_b64_e32 v[1:2], 1, v[1:2]
	s_branch .LBB466_4
.LBB466_2:                              ;   in Loop: Header=BB466_4 Depth=1
	s_wait_alu 0xfffe
	s_or_b32 exec_lo, exec_lo, s5
.LBB466_3:                              ;   in Loop: Header=BB466_4 Depth=1
	s_add_co_i32 s6, s6, 0x10000
	s_delay_alu instid0(SALU_CYCLE_1)
	s_cmp_lt_u32 s6, s28
	s_cbranch_scc0 .LBB466_41
.LBB466_4:                              ; =>This Loop Header: Depth=1
                                        ;     Child Loop BB466_30 Depth 2
	s_and_not1_b32 vcc_lo, exec_lo, s33
	s_wait_alu 0xfffe
	s_cbranch_vccnz .LBB466_3
; %bb.5:                                ;   in Loop: Header=BB466_4 Depth=1
	s_and_not1_b32 vcc_lo, exec_lo, s31
	s_wait_alu 0xfffe
	s_cbranch_vccnz .LBB466_7
; %bb.6:                                ;   in Loop: Header=BB466_4 Depth=1
	s_mov_b32 s5, 0
	s_branch .LBB466_8
.LBB466_7:                              ;   in Loop: Header=BB466_4 Depth=1
	s_mov_b32 s5, -1
.LBB466_8:                              ;   in Loop: Header=BB466_4 Depth=1
	v_mov_b32_e32 v3, 0
	v_dual_mov_b32 v4, 0 :: v_dual_mov_b32 v5, 0
	v_mov_b32_e32 v6, 0
	s_wait_alu 0xfffe
	s_and_not1_b32 vcc_lo, exec_lo, s5
	s_wait_alu 0xfffe
	s_cbranch_vccnz .LBB466_10
; %bb.9:                                ;   in Loop: Header=BB466_4 Depth=1
	s_lshl_b64 s[36:37], s[6:7], 3
	s_delay_alu instid0(SALU_CYCLE_1)
	s_add_nc_u64 s[36:37], s[8:9], s[36:37]
	global_load_b64 v[5:6], v11, s[36:37]
	s_wait_loadcnt 0x0
	v_add_co_u32 v5, vcc_lo, v5, s10
	s_wait_alu 0xfffd
	v_add_co_ci_u32_e64 v6, null, s11, v6, vcc_lo
.LBB466_10:                             ;   in Loop: Header=BB466_4 Depth=1
	v_cmp_ne_u32_e32 vcc_lo, 1, v12
	s_cbranch_vccnz .LBB466_12
; %bb.11:                               ;   in Loop: Header=BB466_4 Depth=1
	s_lshl_b64 s[36:37], s[6:7], 3
	s_delay_alu instid0(SALU_CYCLE_1)
	s_add_nc_u64 s[36:37], s[12:13], s[36:37]
	global_load_b64 v[3:4], v11, s[36:37]
	s_wait_loadcnt 0x0
	v_add_co_u32 v3, vcc_lo, v3, s14
	s_wait_alu 0xfffd
	v_add_co_ci_u32_e64 v4, null, s15, v4, vcc_lo
.LBB466_12:                             ;   in Loop: Header=BB466_4 Depth=1
	s_lshl_b64 s[36:37], s[6:7], 3
	s_delay_alu instid0(SALU_CYCLE_1)
	s_add_nc_u64 s[36:37], s[16:17], s[36:37]
	s_wait_dscnt 0x0
	global_load_b64 v[7:8], v11, s[36:37]
	s_wait_loadcnt 0x0
	v_add_co_u32 v19, vcc_lo, v7, s18
	s_wait_alu 0xfffd
	v_add_co_ci_u32_e64 v20, null, s19, v8, vcc_lo
	s_and_not1_b32 vcc_lo, exec_lo, s31
	s_wait_alu 0xfffe
	s_cbranch_vccnz .LBB466_16
; %bb.13:                               ;   in Loop: Header=BB466_4 Depth=1
	s_mov_b32 s5, 0
	s_mov_b32 s21, 0
                                        ; implicit-def: $vgpr7
	s_and_saveexec_b32 s36, s0
	s_cbranch_execz .LBB466_17
; %bb.14:                               ;   in Loop: Header=BB466_4 Depth=1
	s_and_not1_b32 vcc_lo, exec_lo, s34
	s_wait_alu 0xfffe
	s_cbranch_vccnz .LBB466_18
; %bb.15:                               ;   in Loop: Header=BB466_4 Depth=1
	v_add_co_u32 v7, vcc_lo, v19, s22
	s_wait_alu 0xfffd
	v_add_co_ci_u32_e64 v8, null, s23, v20, vcc_lo
	flat_load_u16 v7, v[7:8]
	s_wait_loadcnt_dscnt 0x0
	v_fma_mixlo_f16 v7, s30, v7, 0 op_sel_hi:[0,1,0]
	s_branch .LBB466_19
.LBB466_16:                             ;   in Loop: Header=BB466_4 Depth=1
	s_mov_b32 s21, 0
                                        ; implicit-def: $vgpr7
	s_cbranch_execnz .LBB466_20
	s_branch .LBB466_39
.LBB466_17:                             ;   in Loop: Header=BB466_4 Depth=1
	s_or_b32 exec_lo, exec_lo, s36
	s_wait_alu 0xfffe
	s_and_b32 vcc_lo, exec_lo, s5
	s_wait_alu 0xfffe
	s_cbranch_vccnz .LBB466_20
	s_branch .LBB466_39
.LBB466_18:                             ;   in Loop: Header=BB466_4 Depth=1
	v_mov_b32_e32 v7, 0
.LBB466_19:                             ;   in Loop: Header=BB466_4 Depth=1
	s_mov_b32 s21, exec_lo
	s_or_b32 exec_lo, exec_lo, s36
	s_delay_alu instid0(SALU_CYCLE_1)
	s_and_b32 vcc_lo, exec_lo, s5
	s_wait_alu 0xfffe
	s_cbranch_vccz .LBB466_39
.LBB466_20:                             ;   in Loop: Header=BB466_4 Depth=1
	v_add_co_u32 v5, vcc_lo, v5, v17
	s_wait_alu 0xfffd
	v_add_co_ci_u32_e64 v6, null, 0, v6, vcc_lo
	v_mov_b32_e32 v21, 0
	s_delay_alu instid0(VALU_DEP_3) | instskip(SKIP_1) | instid1(VALU_DEP_3)
	v_add_co_u32 v5, vcc_lo, v5, s24
	s_wait_alu 0xfffd
	v_add_co_ci_u32_e64 v6, null, s25, v6, vcc_lo
	s_and_saveexec_b32 s36, s3
	s_cbranch_execnz .LBB466_29
; %bb.21:                               ;   in Loop: Header=BB466_4 Depth=1
	s_or_b32 exec_lo, exec_lo, s36
	s_and_saveexec_b32 s5, s4
	s_cbranch_execnz .LBB466_32
.LBB466_22:                             ;   in Loop: Header=BB466_4 Depth=1
	s_wait_alu 0xfffe
	s_or_b32 exec_lo, exec_lo, s5
	s_and_saveexec_b32 s5, s1
.LBB466_23:                             ;   in Loop: Header=BB466_4 Depth=1
	ds_store_b32 v13, v11
.LBB466_24:                             ;   in Loop: Header=BB466_4 Depth=1
	s_wait_alu 0xfffe
	s_or_b32 exec_lo, exec_lo, s5
	ds_bpermute_b32 v4, v18, v21
	v_cmp_gt_u32_e32 vcc_lo, 24, v16
	s_wait_dscnt 0x0
	s_barrier_signal -1
	s_barrier_wait -1
	global_inv scope:SCOPE_SE
	s_wait_alu 0xfffd
	v_cndmask_b32_e64 v3, 0, 8, vcc_lo
	v_cmp_gt_u32_e32 vcc_lo, 28, v16
	s_delay_alu instid0(VALU_DEP_2)
	v_add_lshl_u32 v3, v3, v16, 2
	v_add_f32_e32 v5, v21, v4
	s_wait_alu 0xfffd
	v_cndmask_b32_e64 v4, 0, 4, vcc_lo
	v_cmp_gt_u32_e32 vcc_lo, 30, v16
	ds_bpermute_b32 v6, v3, v5
	v_add_lshl_u32 v4, v4, v16, 2
	s_wait_dscnt 0x0
	v_add_f32_e32 v6, v5, v6
	s_wait_alu 0xfffd
	v_cndmask_b32_e64 v5, 0, 2, vcc_lo
	v_cmp_ne_u32_e32 vcc_lo, 31, v16
	ds_bpermute_b32 v7, v4, v6
	v_add_lshl_u32 v5, v5, v16, 2
	s_wait_alu 0xfffd
	v_add_co_ci_u32_e64 v8, null, 0, v16, vcc_lo
	s_wait_dscnt 0x0
	v_add_f32_e32 v6, v6, v7
	ds_bpermute_b32 v7, v5, v6
	s_wait_dscnt 0x0
	v_dual_add_f32 v7, v6, v7 :: v_dual_lshlrev_b32 v6, 2, v8
	ds_bpermute_b32 v8, v6, v7
	s_and_saveexec_b32 s5, s2
	s_cbranch_execz .LBB466_26
; %bb.25:                               ;   in Loop: Header=BB466_4 Depth=1
	s_wait_dscnt 0x0
	v_add_f32_e32 v7, v7, v8
	ds_store_b32 v14, v7
.LBB466_26:                             ;   in Loop: Header=BB466_4 Depth=1
	s_wait_alu 0xfffe
	s_or_b32 exec_lo, exec_lo, s5
	s_wait_dscnt 0x0
	v_mov_b32_e32 v8, 0
	s_wait_loadcnt 0x0
	s_barrier_signal -1
	s_barrier_wait -1
	global_inv scope:SCOPE_SE
	s_and_saveexec_b32 s5, s1
	s_cbranch_execnz .LBB466_33
; %bb.27:                               ;   in Loop: Header=BB466_4 Depth=1
	s_wait_alu 0xfffe
	s_or_b32 exec_lo, exec_lo, s5
	s_and_saveexec_b32 s5, s1
	s_cbranch_execnz .LBB466_34
.LBB466_28:                             ;   in Loop: Header=BB466_4 Depth=1
	s_wait_alu 0xfffe
	s_or_b32 exec_lo, exec_lo, s5
                                        ; implicit-def: $vgpr7
	s_and_saveexec_b32 s5, s0
	s_cbranch_execnz .LBB466_35
	s_branch .LBB466_38
.LBB466_29:                             ;   in Loop: Header=BB466_4 Depth=1
	v_dual_mov_b32 v21, 0 :: v_dual_mov_b32 v8, v6
	v_dual_mov_b32 v7, v5 :: v_dual_mov_b32 v22, v0
	v_mov_b32_e32 v9, v15
	s_mov_b32 s37, 0
.LBB466_30:                             ;   Parent Loop BB466_4 Depth=1
                                        ; =>  This Inner Loop Header: Depth=2
	s_delay_alu instid0(VALU_DEP_1) | instskip(NEXT) | instid1(VALU_DEP_3)
	v_ashrrev_i32_e32 v10, 31, v9
	v_add_nc_u32_e32 v22, 0x400, v22
	s_delay_alu instid0(VALU_DEP_2) | instskip(NEXT) | instid1(VALU_DEP_2)
	v_lshlrev_b64_e32 v[23:24], 1, v[9:10]
	v_cmp_le_i32_e64 s5, s20, v22
	v_add_nc_u32_e32 v9, s35, v9
	s_or_b32 s37, s5, s37
	v_add_co_u32 v23, vcc_lo, v3, v23
	s_wait_alu 0xfffd
	v_add_co_ci_u32_e64 v24, null, v4, v24, vcc_lo
	flat_load_u16 v10, v[7:8]
	flat_load_u16 v23, v[23:24]
	v_add_co_u32 v7, vcc_lo, 0x800, v7
	s_wait_alu 0xfffd
	v_add_co_ci_u32_e64 v8, null, 0, v8, vcc_lo
	s_wait_loadcnt_dscnt 0x0
	v_mul_f16_e32 v10, v10, v23
	s_delay_alu instid0(VALU_DEP_1) | instskip(NEXT) | instid1(VALU_DEP_1)
	v_cvt_f32_f16_e32 v10, v10
	v_add_f32_e32 v21, v21, v10
	s_and_not1_b32 exec_lo, exec_lo, s37
	s_cbranch_execnz .LBB466_30
; %bb.31:                               ;   in Loop: Header=BB466_4 Depth=1
	s_or_b32 exec_lo, exec_lo, s37
	s_delay_alu instid0(SALU_CYCLE_1)
	s_or_b32 exec_lo, exec_lo, s36
	s_and_saveexec_b32 s5, s4
	s_cbranch_execz .LBB466_22
.LBB466_32:                             ;   in Loop: Header=BB466_4 Depth=1
	v_add_co_u32 v5, vcc_lo, v5, s26
	s_wait_alu 0xfffd
	v_add_co_ci_u32_e64 v6, null, s27, v6, vcc_lo
	v_add_co_u32 v3, vcc_lo, v3, v1
	s_wait_alu 0xfffd
	v_add_co_ci_u32_e64 v4, null, v4, v2, vcc_lo
	flat_load_u16 v5, v[5:6]
	flat_load_u16 v3, v[3:4]
	s_wait_loadcnt_dscnt 0x0
	v_mul_f16_e32 v3, v5, v3
	s_delay_alu instid0(VALU_DEP_1) | instskip(NEXT) | instid1(VALU_DEP_1)
	v_cvt_f32_f16_e32 v3, v3
	v_add_f32_e32 v21, v21, v3
	s_wait_alu 0xfffe
	s_or_b32 exec_lo, exec_lo, s5
	s_and_saveexec_b32 s5, s1
	s_cbranch_execnz .LBB466_23
	s_branch .LBB466_24
.LBB466_33:                             ;   in Loop: Header=BB466_4 Depth=1
	ds_load_b32 v8, v13
	s_wait_alu 0xfffe
	s_or_b32 exec_lo, exec_lo, s5
	s_and_saveexec_b32 s5, s1
	s_cbranch_execz .LBB466_28
.LBB466_34:                             ;   in Loop: Header=BB466_4 Depth=1
	s_wait_dscnt 0x0
	ds_bpermute_b32 v7, v18, v8
	s_wait_dscnt 0x0
	v_add_f32_e32 v7, v8, v7
	ds_bpermute_b32 v3, v3, v7
	s_wait_dscnt 0x0
	v_add_f32_e32 v3, v7, v3
	;; [unrolled: 3-line block ×5, first 2 shown]
	s_wait_alu 0xfffe
	s_or_b32 exec_lo, exec_lo, s5
                                        ; implicit-def: $vgpr7
	s_and_saveexec_b32 s5, s0
	s_cbranch_execz .LBB466_38
.LBB466_35:                             ;   in Loop: Header=BB466_4 Depth=1
	s_wait_dscnt 0x0
	v_mul_f32_e32 v3, s29, v8
	s_and_not1_b32 vcc_lo, exec_lo, s34
	s_wait_alu 0xfffe
	s_cbranch_vccnz .LBB466_37
; %bb.36:                               ;   in Loop: Header=BB466_4 Depth=1
	v_add_co_u32 v4, vcc_lo, v19, s22
	s_wait_alu 0xfffd
	v_add_co_ci_u32_e64 v5, null, s23, v20, vcc_lo
	flat_load_u16 v4, v[4:5]
	s_wait_loadcnt_dscnt 0x0
	v_fma_mix_f32 v3, s30, v4, v3 op_sel_hi:[0,1,0]
.LBB466_37:                             ;   in Loop: Header=BB466_4 Depth=1
	s_delay_alu instid0(VALU_DEP_1)
	v_cvt_f16_f32_e32 v7, v3
	s_or_b32 s21, s21, exec_lo
.LBB466_38:                             ;   in Loop: Header=BB466_4 Depth=1
	s_wait_alu 0xfffe
	s_or_b32 exec_lo, exec_lo, s5
.LBB466_39:                             ;   in Loop: Header=BB466_4 Depth=1
	s_wait_alu 0xfffe
	s_and_saveexec_b32 s5, s21
	s_cbranch_execz .LBB466_2
; %bb.40:                               ;   in Loop: Header=BB466_4 Depth=1
	v_add_co_u32 v3, vcc_lo, v19, s22
	s_wait_alu 0xfffd
	v_add_co_ci_u32_e64 v4, null, s23, v20, vcc_lo
	flat_store_b16 v[3:4], v7
	s_branch .LBB466_2
.LBB466_41:
	s_endpgm
	.section	.rodata,"a",@progbits
	.p2align	6, 0x0
	.amdhsa_kernel _ZL32rocblas_gemvt_warp_reduce_kernelILb1ELi1024EiPKDF16_fKPDF16_EviiT3_lPKT2_lT1_lS7_lS8_lS4_lPT4_lS8_li
		.amdhsa_group_segment_fixed_size 128
		.amdhsa_private_segment_fixed_size 0
		.amdhsa_kernarg_size 140
		.amdhsa_user_sgpr_count 2
		.amdhsa_user_sgpr_dispatch_ptr 0
		.amdhsa_user_sgpr_queue_ptr 0
		.amdhsa_user_sgpr_kernarg_segment_ptr 1
		.amdhsa_user_sgpr_dispatch_id 0
		.amdhsa_user_sgpr_private_segment_size 0
		.amdhsa_wavefront_size32 1
		.amdhsa_uses_dynamic_stack 0
		.amdhsa_enable_private_segment 0
		.amdhsa_system_sgpr_workgroup_id_x 1
		.amdhsa_system_sgpr_workgroup_id_y 0
		.amdhsa_system_sgpr_workgroup_id_z 1
		.amdhsa_system_sgpr_workgroup_info 0
		.amdhsa_system_vgpr_workitem_id 0
		.amdhsa_next_free_vgpr 25
		.amdhsa_next_free_sgpr 38
		.amdhsa_reserve_vcc 1
		.amdhsa_float_round_mode_32 0
		.amdhsa_float_round_mode_16_64 0
		.amdhsa_float_denorm_mode_32 3
		.amdhsa_float_denorm_mode_16_64 3
		.amdhsa_fp16_overflow 0
		.amdhsa_workgroup_processor_mode 1
		.amdhsa_memory_ordered 1
		.amdhsa_forward_progress 1
		.amdhsa_inst_pref_size 14
		.amdhsa_round_robin_scheduling 0
		.amdhsa_exception_fp_ieee_invalid_op 0
		.amdhsa_exception_fp_denorm_src 0
		.amdhsa_exception_fp_ieee_div_zero 0
		.amdhsa_exception_fp_ieee_overflow 0
		.amdhsa_exception_fp_ieee_underflow 0
		.amdhsa_exception_fp_ieee_inexact 0
		.amdhsa_exception_int_div_zero 0
	.end_amdhsa_kernel
	.section	.text._ZL32rocblas_gemvt_warp_reduce_kernelILb1ELi1024EiPKDF16_fKPDF16_EviiT3_lPKT2_lT1_lS7_lS8_lS4_lPT4_lS8_li,"axG",@progbits,_ZL32rocblas_gemvt_warp_reduce_kernelILb1ELi1024EiPKDF16_fKPDF16_EviiT3_lPKT2_lT1_lS7_lS8_lS4_lPT4_lS8_li,comdat
.Lfunc_end466:
	.size	_ZL32rocblas_gemvt_warp_reduce_kernelILb1ELi1024EiPKDF16_fKPDF16_EviiT3_lPKT2_lT1_lS7_lS8_lS4_lPT4_lS8_li, .Lfunc_end466-_ZL32rocblas_gemvt_warp_reduce_kernelILb1ELi1024EiPKDF16_fKPDF16_EviiT3_lPKT2_lT1_lS7_lS8_lS4_lPT4_lS8_li
                                        ; -- End function
	.set _ZL32rocblas_gemvt_warp_reduce_kernelILb1ELi1024EiPKDF16_fKPDF16_EviiT3_lPKT2_lT1_lS7_lS8_lS4_lPT4_lS8_li.num_vgpr, 25
	.set _ZL32rocblas_gemvt_warp_reduce_kernelILb1ELi1024EiPKDF16_fKPDF16_EviiT3_lPKT2_lT1_lS7_lS8_lS4_lPT4_lS8_li.num_agpr, 0
	.set _ZL32rocblas_gemvt_warp_reduce_kernelILb1ELi1024EiPKDF16_fKPDF16_EviiT3_lPKT2_lT1_lS7_lS8_lS4_lPT4_lS8_li.numbered_sgpr, 38
	.set _ZL32rocblas_gemvt_warp_reduce_kernelILb1ELi1024EiPKDF16_fKPDF16_EviiT3_lPKT2_lT1_lS7_lS8_lS4_lPT4_lS8_li.num_named_barrier, 0
	.set _ZL32rocblas_gemvt_warp_reduce_kernelILb1ELi1024EiPKDF16_fKPDF16_EviiT3_lPKT2_lT1_lS7_lS8_lS4_lPT4_lS8_li.private_seg_size, 0
	.set _ZL32rocblas_gemvt_warp_reduce_kernelILb1ELi1024EiPKDF16_fKPDF16_EviiT3_lPKT2_lT1_lS7_lS8_lS4_lPT4_lS8_li.uses_vcc, 1
	.set _ZL32rocblas_gemvt_warp_reduce_kernelILb1ELi1024EiPKDF16_fKPDF16_EviiT3_lPKT2_lT1_lS7_lS8_lS4_lPT4_lS8_li.uses_flat_scratch, 0
	.set _ZL32rocblas_gemvt_warp_reduce_kernelILb1ELi1024EiPKDF16_fKPDF16_EviiT3_lPKT2_lT1_lS7_lS8_lS4_lPT4_lS8_li.has_dyn_sized_stack, 0
	.set _ZL32rocblas_gemvt_warp_reduce_kernelILb1ELi1024EiPKDF16_fKPDF16_EviiT3_lPKT2_lT1_lS7_lS8_lS4_lPT4_lS8_li.has_recursion, 0
	.set _ZL32rocblas_gemvt_warp_reduce_kernelILb1ELi1024EiPKDF16_fKPDF16_EviiT3_lPKT2_lT1_lS7_lS8_lS4_lPT4_lS8_li.has_indirect_call, 0
	.section	.AMDGPU.csdata,"",@progbits
; Kernel info:
; codeLenInByte = 1696
; TotalNumSgprs: 40
; NumVgprs: 25
; ScratchSize: 0
; MemoryBound: 0
; FloatMode: 240
; IeeeMode: 1
; LDSByteSize: 128 bytes/workgroup (compile time only)
; SGPRBlocks: 0
; VGPRBlocks: 3
; NumSGPRsForWavesPerEU: 40
; NumVGPRsForWavesPerEU: 25
; Occupancy: 16
; WaveLimiterHint : 1
; COMPUTE_PGM_RSRC2:SCRATCH_EN: 0
; COMPUTE_PGM_RSRC2:USER_SGPR: 2
; COMPUTE_PGM_RSRC2:TRAP_HANDLER: 0
; COMPUTE_PGM_RSRC2:TGID_X_EN: 1
; COMPUTE_PGM_RSRC2:TGID_Y_EN: 0
; COMPUTE_PGM_RSRC2:TGID_Z_EN: 1
; COMPUTE_PGM_RSRC2:TIDIG_COMP_CNT: 0
	.section	.text._ZL32rocblas_gemvt_warp_reduce_kernelILb1ELi1024ElPKDF16_fKPDF16_EviiT3_lPKT2_lT1_lS7_lS8_lS4_lPT4_lS8_li,"axG",@progbits,_ZL32rocblas_gemvt_warp_reduce_kernelILb1ELi1024ElPKDF16_fKPDF16_EviiT3_lPKT2_lT1_lS7_lS8_lS4_lPT4_lS8_li,comdat
	.globl	_ZL32rocblas_gemvt_warp_reduce_kernelILb1ELi1024ElPKDF16_fKPDF16_EviiT3_lPKT2_lT1_lS7_lS8_lS4_lPT4_lS8_li ; -- Begin function _ZL32rocblas_gemvt_warp_reduce_kernelILb1ELi1024ElPKDF16_fKPDF16_EviiT3_lPKT2_lT1_lS7_lS8_lS4_lPT4_lS8_li
	.p2align	8
	.type	_ZL32rocblas_gemvt_warp_reduce_kernelILb1ELi1024ElPKDF16_fKPDF16_EviiT3_lPKT2_lT1_lS7_lS8_lS4_lPT4_lS8_li,@function
_ZL32rocblas_gemvt_warp_reduce_kernelILb1ELi1024ElPKDF16_fKPDF16_EviiT3_lPKT2_lT1_lS7_lS8_lS4_lPT4_lS8_li: ; @_ZL32rocblas_gemvt_warp_reduce_kernelILb1ELi1024ElPKDF16_fKPDF16_EviiT3_lPKT2_lT1_lS7_lS8_lS4_lPT4_lS8_li
; %bb.0:
	s_load_b32 s30, s[0:1], 0x88
	s_lshr_b32 s6, ttmp7, 16
	s_wait_kmcnt 0x0
	s_cmp_ge_u32 s6, s30
	s_cbranch_scc1 .LBB467_41
; %bb.1:
	s_clause 0x8
	s_load_b32 s31, s[0:1], 0x8
	s_load_b32 s33, s[0:1], 0x58
	s_load_b64 s[24:25], s[0:1], 0x48
	s_load_b128 s[8:11], s[0:1], 0x38
	s_load_b32 s37, s[0:1], 0x0
	s_load_b128 s[12:15], s[0:1], 0x18
	s_load_b64 s[26:27], s[0:1], 0x28
	s_load_b64 s[28:29], s[0:1], 0x78
	s_load_b128 s[16:19], s[0:1], 0x68
	v_and_b32_e32 v3, 31, v0
	v_lshrrev_b32_e32 v4, 3, v0
	v_mov_b32_e32 v13, 0
	s_mov_b32 s4, ttmp9
	v_mbcnt_lo_u32_b32 v17, -1, 0
	v_lshlrev_b32_e32 v14, 2, v3
	v_and_b32_e32 v16, 0x7c, v4
	v_cmp_eq_u32_e64 s0, 0, v0
	v_cmp_gt_u32_e64 s1, 32, v0
	v_lshl_or_b32 v19, v17, 2, 64
	s_mov_b32 s7, 0
	s_wait_kmcnt 0x0
	s_cmp_eq_f32 s31, 0
	v_mad_co_u64_u32 v[1:2], null, s24, v0, 0
	s_cselect_b32 s34, -1, 0
	s_cmp_neq_f32 s33, 1.0
	v_cmp_gt_i32_e32 vcc_lo, s37, v0
	s_cselect_b32 s2, -1, 0
	s_cmp_neq_f32 s31, 0
	v_cndmask_b32_e32 v5, 0, v0, vcc_lo
	s_cselect_b32 s3, -1, 0
	s_delay_alu instid0(SALU_CYCLE_1)
	s_or_b32 s35, s3, s2
	s_cmp_neq_f32 s33, 0
	v_cndmask_b32_e64 v15, 0, 1, s3
	v_cmp_eq_u32_e64 s2, 0, v3
	v_mad_co_u64_u32 v[2:3], null, s25, v0, v[2:3]
	s_cselect_b32 s36, -1, 0
	s_ashr_i32 s3, s37, 31
	s_ashr_i32 s5, ttmp9, 31
	s_wait_alu 0xfffe
	s_lshr_b32 s3, s3, 22
	s_mul_u64 s[28:29], s[28:29], s[4:5]
	s_wait_alu 0xfffe
	s_add_co_i32 s3, s37, s3
	s_mul_u64 s[26:27], s[26:27], s[4:5]
	s_wait_alu 0xfffe
	s_and_b32 s20, s3, 0xfffffc00
	v_lshlrev_b64_e32 v[1:2], 1, v[1:2]
	v_or_b32_e32 v6, s20, v0
	s_ashr_i32 s21, s20, 31
	v_cmp_gt_i32_e64 s3, s20, v0
	s_wait_alu 0xfffe
	s_mul_i32 s5, s24, s21
	v_lshlrev_b32_e32 v18, 1, v5
	v_mul_lo_u32 v7, s25, v6
	v_mad_co_u64_u32 v[3:4], null, s24, v6, 0
	v_cmp_gt_i32_e64 s4, s37, v6
	s_lshl_b64 s[22:23], s[24:25], 11
	s_lshl_b64 s[14:15], s[14:15], 1
	;; [unrolled: 1-line block ×5, first 2 shown]
	v_add3_u32 v4, v4, s5, v7
	s_lshl_b64 s[26:27], s[26:27], 1
	s_lshl_b64 s[28:29], s[20:21], 1
	s_delay_alu instid0(VALU_DEP_1)
	v_lshlrev_b64_e32 v[3:4], 1, v[3:4]
	s_branch .LBB467_4
.LBB467_2:                              ;   in Loop: Header=BB467_4 Depth=1
	s_wait_alu 0xfffe
	s_or_b32 exec_lo, exec_lo, s5
.LBB467_3:                              ;   in Loop: Header=BB467_4 Depth=1
	s_add_co_i32 s6, s6, 0x10000
	s_delay_alu instid0(SALU_CYCLE_1)
	s_cmp_lt_u32 s6, s30
	s_cbranch_scc0 .LBB467_41
.LBB467_4:                              ; =>This Loop Header: Depth=1
                                        ;     Child Loop BB467_30 Depth 2
	s_and_not1_b32 vcc_lo, exec_lo, s35
	s_wait_alu 0xfffe
	s_cbranch_vccnz .LBB467_3
; %bb.5:                                ;   in Loop: Header=BB467_4 Depth=1
	s_and_not1_b32 vcc_lo, exec_lo, s34
	s_wait_alu 0xfffe
	s_cbranch_vccnz .LBB467_7
; %bb.6:                                ;   in Loop: Header=BB467_4 Depth=1
	s_mov_b32 s5, 0
	s_branch .LBB467_8
.LBB467_7:                              ;   in Loop: Header=BB467_4 Depth=1
	s_mov_b32 s5, -1
.LBB467_8:                              ;   in Loop: Header=BB467_4 Depth=1
	v_mov_b32_e32 v5, 0
	v_dual_mov_b32 v6, 0 :: v_dual_mov_b32 v7, 0
	v_mov_b32_e32 v8, 0
	s_wait_alu 0xfffe
	s_and_not1_b32 vcc_lo, exec_lo, s5
	s_wait_alu 0xfffe
	s_cbranch_vccnz .LBB467_10
; %bb.9:                                ;   in Loop: Header=BB467_4 Depth=1
	s_lshl_b64 s[38:39], s[6:7], 3
	s_delay_alu instid0(SALU_CYCLE_1)
	s_add_nc_u64 s[38:39], s[12:13], s[38:39]
	global_load_b64 v[7:8], v13, s[38:39]
	s_wait_loadcnt 0x0
	v_add_co_u32 v7, vcc_lo, v7, s14
	s_wait_alu 0xfffd
	v_add_co_ci_u32_e64 v8, null, s15, v8, vcc_lo
.LBB467_10:                             ;   in Loop: Header=BB467_4 Depth=1
	v_cmp_ne_u32_e32 vcc_lo, 1, v15
	s_cbranch_vccnz .LBB467_12
; %bb.11:                               ;   in Loop: Header=BB467_4 Depth=1
	s_lshl_b64 s[38:39], s[6:7], 3
	s_delay_alu instid0(SALU_CYCLE_1)
	s_add_nc_u64 s[38:39], s[8:9], s[38:39]
	global_load_b64 v[5:6], v13, s[38:39]
	s_wait_loadcnt 0x0
	v_add_co_u32 v5, vcc_lo, v5, s10
	s_wait_alu 0xfffd
	v_add_co_ci_u32_e64 v6, null, s11, v6, vcc_lo
.LBB467_12:                             ;   in Loop: Header=BB467_4 Depth=1
	s_lshl_b64 s[38:39], s[6:7], 3
	s_delay_alu instid0(SALU_CYCLE_1)
	s_add_nc_u64 s[38:39], s[16:17], s[38:39]
	s_wait_dscnt 0x0
	global_load_b64 v[9:10], v13, s[38:39]
	s_wait_loadcnt 0x0
	v_add_co_u32 v20, vcc_lo, v9, s18
	s_wait_alu 0xfffd
	v_add_co_ci_u32_e64 v21, null, s19, v10, vcc_lo
	s_and_not1_b32 vcc_lo, exec_lo, s34
	s_wait_alu 0xfffe
	s_cbranch_vccnz .LBB467_16
; %bb.13:                               ;   in Loop: Header=BB467_4 Depth=1
	s_mov_b32 s5, 0
	s_mov_b32 s21, 0
                                        ; implicit-def: $vgpr9
	s_and_saveexec_b32 s37, s0
	s_cbranch_execz .LBB467_17
; %bb.14:                               ;   in Loop: Header=BB467_4 Depth=1
	s_and_not1_b32 vcc_lo, exec_lo, s36
	s_wait_alu 0xfffe
	s_cbranch_vccnz .LBB467_18
; %bb.15:                               ;   in Loop: Header=BB467_4 Depth=1
	v_add_co_u32 v9, vcc_lo, v20, s24
	s_wait_alu 0xfffd
	v_add_co_ci_u32_e64 v10, null, s25, v21, vcc_lo
	flat_load_u16 v9, v[9:10]
	s_wait_loadcnt_dscnt 0x0
	v_fma_mixlo_f16 v9, s33, v9, 0 op_sel_hi:[0,1,0]
	s_branch .LBB467_19
.LBB467_16:                             ;   in Loop: Header=BB467_4 Depth=1
	s_mov_b32 s21, 0
                                        ; implicit-def: $vgpr9
	s_cbranch_execnz .LBB467_20
	s_branch .LBB467_39
.LBB467_17:                             ;   in Loop: Header=BB467_4 Depth=1
	s_wait_alu 0xfffe
	s_or_b32 exec_lo, exec_lo, s37
	s_delay_alu instid0(SALU_CYCLE_1)
	s_and_b32 vcc_lo, exec_lo, s5
	s_wait_alu 0xfffe
	s_cbranch_vccnz .LBB467_20
	s_branch .LBB467_39
.LBB467_18:                             ;   in Loop: Header=BB467_4 Depth=1
	v_mov_b32_e32 v9, 0
.LBB467_19:                             ;   in Loop: Header=BB467_4 Depth=1
	s_mov_b32 s21, exec_lo
	s_or_b32 exec_lo, exec_lo, s37
	s_delay_alu instid0(SALU_CYCLE_1)
	s_and_b32 vcc_lo, exec_lo, s5
	s_wait_alu 0xfffe
	s_cbranch_vccz .LBB467_39
.LBB467_20:                             ;   in Loop: Header=BB467_4 Depth=1
	v_add_co_u32 v7, vcc_lo, v7, v18
	s_wait_alu 0xfffd
	v_add_co_ci_u32_e64 v8, null, 0, v8, vcc_lo
	v_mov_b32_e32 v22, 0
	s_delay_alu instid0(VALU_DEP_3) | instskip(SKIP_1) | instid1(VALU_DEP_3)
	v_add_co_u32 v7, vcc_lo, v7, s26
	s_wait_alu 0xfffd
	v_add_co_ci_u32_e64 v8, null, s27, v8, vcc_lo
	s_and_saveexec_b32 s37, s3
	s_cbranch_execnz .LBB467_29
; %bb.21:                               ;   in Loop: Header=BB467_4 Depth=1
	s_wait_alu 0xfffe
	s_or_b32 exec_lo, exec_lo, s37
	s_and_saveexec_b32 s5, s4
	s_cbranch_execnz .LBB467_32
.LBB467_22:                             ;   in Loop: Header=BB467_4 Depth=1
	s_wait_alu 0xfffe
	s_or_b32 exec_lo, exec_lo, s5
	s_and_saveexec_b32 s5, s1
.LBB467_23:                             ;   in Loop: Header=BB467_4 Depth=1
	ds_store_b32 v14, v13
.LBB467_24:                             ;   in Loop: Header=BB467_4 Depth=1
	s_wait_alu 0xfffe
	s_or_b32 exec_lo, exec_lo, s5
	ds_bpermute_b32 v6, v19, v22
	v_cmp_gt_u32_e32 vcc_lo, 24, v17
	s_wait_dscnt 0x0
	s_barrier_signal -1
	s_barrier_wait -1
	global_inv scope:SCOPE_SE
	s_wait_alu 0xfffd
	v_cndmask_b32_e64 v5, 0, 8, vcc_lo
	v_cmp_gt_u32_e32 vcc_lo, 28, v17
	s_delay_alu instid0(VALU_DEP_2)
	v_add_lshl_u32 v5, v5, v17, 2
	v_add_f32_e32 v7, v22, v6
	s_wait_alu 0xfffd
	v_cndmask_b32_e64 v6, 0, 4, vcc_lo
	v_cmp_gt_u32_e32 vcc_lo, 30, v17
	ds_bpermute_b32 v8, v5, v7
	v_add_lshl_u32 v6, v6, v17, 2
	s_wait_dscnt 0x0
	v_add_f32_e32 v8, v7, v8
	s_wait_alu 0xfffd
	v_cndmask_b32_e64 v7, 0, 2, vcc_lo
	v_cmp_ne_u32_e32 vcc_lo, 31, v17
	ds_bpermute_b32 v9, v6, v8
	v_add_lshl_u32 v7, v7, v17, 2
	s_wait_alu 0xfffd
	v_add_co_ci_u32_e64 v10, null, 0, v17, vcc_lo
	s_wait_dscnt 0x0
	v_add_f32_e32 v8, v8, v9
	ds_bpermute_b32 v9, v7, v8
	s_wait_dscnt 0x0
	v_dual_add_f32 v9, v8, v9 :: v_dual_lshlrev_b32 v8, 2, v10
	ds_bpermute_b32 v10, v8, v9
	s_and_saveexec_b32 s5, s2
	s_cbranch_execz .LBB467_26
; %bb.25:                               ;   in Loop: Header=BB467_4 Depth=1
	s_wait_dscnt 0x0
	v_add_f32_e32 v9, v9, v10
	ds_store_b32 v16, v9
.LBB467_26:                             ;   in Loop: Header=BB467_4 Depth=1
	s_wait_alu 0xfffe
	s_or_b32 exec_lo, exec_lo, s5
	s_wait_dscnt 0x0
	v_mov_b32_e32 v10, 0
	s_wait_loadcnt 0x0
	s_barrier_signal -1
	s_barrier_wait -1
	global_inv scope:SCOPE_SE
	s_and_saveexec_b32 s5, s1
	s_cbranch_execnz .LBB467_33
; %bb.27:                               ;   in Loop: Header=BB467_4 Depth=1
	s_wait_alu 0xfffe
	s_or_b32 exec_lo, exec_lo, s5
	s_and_saveexec_b32 s5, s1
	s_cbranch_execnz .LBB467_34
.LBB467_28:                             ;   in Loop: Header=BB467_4 Depth=1
	s_wait_alu 0xfffe
	s_or_b32 exec_lo, exec_lo, s5
                                        ; implicit-def: $vgpr9
	s_and_saveexec_b32 s5, s0
	s_cbranch_execnz .LBB467_35
	s_branch .LBB467_38
.LBB467_29:                             ;   in Loop: Header=BB467_4 Depth=1
	v_add_co_u32 v9, vcc_lo, v5, v1
	v_dual_mov_b32 v12, v8 :: v_dual_mov_b32 v23, v0
	s_wait_alu 0xfffd
	v_add_co_ci_u32_e64 v10, null, v6, v2, vcc_lo
	v_dual_mov_b32 v22, 0 :: v_dual_mov_b32 v11, v7
	s_mov_b32 s38, 0
.LBB467_30:                             ;   Parent Loop BB467_4 Depth=1
                                        ; =>  This Inner Loop Header: Depth=2
	flat_load_u16 v24, v[11:12]
	flat_load_u16 v25, v[9:10]
	v_add_co_u32 v11, vcc_lo, 0x800, v11
	s_wait_alu 0xfffd
	v_add_co_ci_u32_e64 v12, null, 0, v12, vcc_lo
	v_add_co_u32 v9, vcc_lo, v9, s22
	s_wait_alu 0xfffd
	v_add_co_ci_u32_e64 v10, null, s23, v10, vcc_lo
	s_wait_loadcnt_dscnt 0x0
	v_mul_f16_e32 v24, v24, v25
	s_delay_alu instid0(VALU_DEP_1) | instskip(NEXT) | instid1(VALU_DEP_1)
	v_cvt_f32_f16_e32 v24, v24
	v_dual_add_f32 v22, v22, v24 :: v_dual_add_nc_u32 v23, 0x400, v23
	s_delay_alu instid0(VALU_DEP_1) | instskip(SKIP_1) | instid1(SALU_CYCLE_1)
	v_cmp_le_i32_e64 s5, s20, v23
	s_or_b32 s38, s5, s38
	s_and_not1_b32 exec_lo, exec_lo, s38
	s_cbranch_execnz .LBB467_30
; %bb.31:                               ;   in Loop: Header=BB467_4 Depth=1
	s_or_b32 exec_lo, exec_lo, s38
	s_wait_alu 0xfffe
	s_or_b32 exec_lo, exec_lo, s37
	s_and_saveexec_b32 s5, s4
	s_cbranch_execz .LBB467_22
.LBB467_32:                             ;   in Loop: Header=BB467_4 Depth=1
	v_add_co_u32 v7, vcc_lo, v7, s28
	s_wait_alu 0xfffd
	v_add_co_ci_u32_e64 v8, null, s29, v8, vcc_lo
	v_add_co_u32 v5, vcc_lo, v5, v3
	s_wait_alu 0xfffd
	v_add_co_ci_u32_e64 v6, null, v6, v4, vcc_lo
	flat_load_u16 v7, v[7:8]
	flat_load_u16 v5, v[5:6]
	s_wait_loadcnt_dscnt 0x0
	v_mul_f16_e32 v5, v7, v5
	s_delay_alu instid0(VALU_DEP_1) | instskip(NEXT) | instid1(VALU_DEP_1)
	v_cvt_f32_f16_e32 v5, v5
	v_add_f32_e32 v22, v22, v5
	s_wait_alu 0xfffe
	s_or_b32 exec_lo, exec_lo, s5
	s_and_saveexec_b32 s5, s1
	s_cbranch_execnz .LBB467_23
	s_branch .LBB467_24
.LBB467_33:                             ;   in Loop: Header=BB467_4 Depth=1
	ds_load_b32 v10, v14
	s_wait_alu 0xfffe
	s_or_b32 exec_lo, exec_lo, s5
	s_and_saveexec_b32 s5, s1
	s_cbranch_execz .LBB467_28
.LBB467_34:                             ;   in Loop: Header=BB467_4 Depth=1
	s_wait_dscnt 0x0
	ds_bpermute_b32 v9, v19, v10
	s_wait_dscnt 0x0
	v_add_f32_e32 v9, v10, v9
	ds_bpermute_b32 v5, v5, v9
	s_wait_dscnt 0x0
	v_add_f32_e32 v5, v9, v5
	;; [unrolled: 3-line block ×5, first 2 shown]
	s_wait_alu 0xfffe
	s_or_b32 exec_lo, exec_lo, s5
                                        ; implicit-def: $vgpr9
	s_and_saveexec_b32 s5, s0
	s_cbranch_execz .LBB467_38
.LBB467_35:                             ;   in Loop: Header=BB467_4 Depth=1
	s_wait_dscnt 0x0
	v_mul_f32_e32 v5, s31, v10
	s_and_not1_b32 vcc_lo, exec_lo, s36
	s_wait_alu 0xfffe
	s_cbranch_vccnz .LBB467_37
; %bb.36:                               ;   in Loop: Header=BB467_4 Depth=1
	v_add_co_u32 v6, vcc_lo, v20, s24
	s_wait_alu 0xfffd
	v_add_co_ci_u32_e64 v7, null, s25, v21, vcc_lo
	flat_load_u16 v6, v[6:7]
	s_wait_loadcnt_dscnt 0x0
	v_fma_mix_f32 v5, s33, v6, v5 op_sel_hi:[0,1,0]
.LBB467_37:                             ;   in Loop: Header=BB467_4 Depth=1
	s_delay_alu instid0(VALU_DEP_1)
	v_cvt_f16_f32_e32 v9, v5
	s_or_b32 s21, s21, exec_lo
.LBB467_38:                             ;   in Loop: Header=BB467_4 Depth=1
	s_wait_alu 0xfffe
	s_or_b32 exec_lo, exec_lo, s5
.LBB467_39:                             ;   in Loop: Header=BB467_4 Depth=1
	s_wait_alu 0xfffe
	s_and_saveexec_b32 s5, s21
	s_cbranch_execz .LBB467_2
; %bb.40:                               ;   in Loop: Header=BB467_4 Depth=1
	v_add_co_u32 v5, vcc_lo, v20, s24
	s_wait_alu 0xfffd
	v_add_co_ci_u32_e64 v6, null, s25, v21, vcc_lo
	flat_store_b16 v[5:6], v9
	s_branch .LBB467_2
.LBB467_41:
	s_endpgm
	.section	.rodata,"a",@progbits
	.p2align	6, 0x0
	.amdhsa_kernel _ZL32rocblas_gemvt_warp_reduce_kernelILb1ELi1024ElPKDF16_fKPDF16_EviiT3_lPKT2_lT1_lS7_lS8_lS4_lPT4_lS8_li
		.amdhsa_group_segment_fixed_size 128
		.amdhsa_private_segment_fixed_size 0
		.amdhsa_kernarg_size 140
		.amdhsa_user_sgpr_count 2
		.amdhsa_user_sgpr_dispatch_ptr 0
		.amdhsa_user_sgpr_queue_ptr 0
		.amdhsa_user_sgpr_kernarg_segment_ptr 1
		.amdhsa_user_sgpr_dispatch_id 0
		.amdhsa_user_sgpr_private_segment_size 0
		.amdhsa_wavefront_size32 1
		.amdhsa_uses_dynamic_stack 0
		.amdhsa_enable_private_segment 0
		.amdhsa_system_sgpr_workgroup_id_x 1
		.amdhsa_system_sgpr_workgroup_id_y 0
		.amdhsa_system_sgpr_workgroup_id_z 1
		.amdhsa_system_sgpr_workgroup_info 0
		.amdhsa_system_vgpr_workitem_id 0
		.amdhsa_next_free_vgpr 26
		.amdhsa_next_free_sgpr 40
		.amdhsa_reserve_vcc 1
		.amdhsa_float_round_mode_32 0
		.amdhsa_float_round_mode_16_64 0
		.amdhsa_float_denorm_mode_32 3
		.amdhsa_float_denorm_mode_16_64 3
		.amdhsa_fp16_overflow 0
		.amdhsa_workgroup_processor_mode 1
		.amdhsa_memory_ordered 1
		.amdhsa_forward_progress 1
		.amdhsa_inst_pref_size 14
		.amdhsa_round_robin_scheduling 0
		.amdhsa_exception_fp_ieee_invalid_op 0
		.amdhsa_exception_fp_denorm_src 0
		.amdhsa_exception_fp_ieee_div_zero 0
		.amdhsa_exception_fp_ieee_overflow 0
		.amdhsa_exception_fp_ieee_underflow 0
		.amdhsa_exception_fp_ieee_inexact 0
		.amdhsa_exception_int_div_zero 0
	.end_amdhsa_kernel
	.section	.text._ZL32rocblas_gemvt_warp_reduce_kernelILb1ELi1024ElPKDF16_fKPDF16_EviiT3_lPKT2_lT1_lS7_lS8_lS4_lPT4_lS8_li,"axG",@progbits,_ZL32rocblas_gemvt_warp_reduce_kernelILb1ELi1024ElPKDF16_fKPDF16_EviiT3_lPKT2_lT1_lS7_lS8_lS4_lPT4_lS8_li,comdat
.Lfunc_end467:
	.size	_ZL32rocblas_gemvt_warp_reduce_kernelILb1ELi1024ElPKDF16_fKPDF16_EviiT3_lPKT2_lT1_lS7_lS8_lS4_lPT4_lS8_li, .Lfunc_end467-_ZL32rocblas_gemvt_warp_reduce_kernelILb1ELi1024ElPKDF16_fKPDF16_EviiT3_lPKT2_lT1_lS7_lS8_lS4_lPT4_lS8_li
                                        ; -- End function
	.set _ZL32rocblas_gemvt_warp_reduce_kernelILb1ELi1024ElPKDF16_fKPDF16_EviiT3_lPKT2_lT1_lS7_lS8_lS4_lPT4_lS8_li.num_vgpr, 26
	.set _ZL32rocblas_gemvt_warp_reduce_kernelILb1ELi1024ElPKDF16_fKPDF16_EviiT3_lPKT2_lT1_lS7_lS8_lS4_lPT4_lS8_li.num_agpr, 0
	.set _ZL32rocblas_gemvt_warp_reduce_kernelILb1ELi1024ElPKDF16_fKPDF16_EviiT3_lPKT2_lT1_lS7_lS8_lS4_lPT4_lS8_li.numbered_sgpr, 40
	.set _ZL32rocblas_gemvt_warp_reduce_kernelILb1ELi1024ElPKDF16_fKPDF16_EviiT3_lPKT2_lT1_lS7_lS8_lS4_lPT4_lS8_li.num_named_barrier, 0
	.set _ZL32rocblas_gemvt_warp_reduce_kernelILb1ELi1024ElPKDF16_fKPDF16_EviiT3_lPKT2_lT1_lS7_lS8_lS4_lPT4_lS8_li.private_seg_size, 0
	.set _ZL32rocblas_gemvt_warp_reduce_kernelILb1ELi1024ElPKDF16_fKPDF16_EviiT3_lPKT2_lT1_lS7_lS8_lS4_lPT4_lS8_li.uses_vcc, 1
	.set _ZL32rocblas_gemvt_warp_reduce_kernelILb1ELi1024ElPKDF16_fKPDF16_EviiT3_lPKT2_lT1_lS7_lS8_lS4_lPT4_lS8_li.uses_flat_scratch, 0
	.set _ZL32rocblas_gemvt_warp_reduce_kernelILb1ELi1024ElPKDF16_fKPDF16_EviiT3_lPKT2_lT1_lS7_lS8_lS4_lPT4_lS8_li.has_dyn_sized_stack, 0
	.set _ZL32rocblas_gemvt_warp_reduce_kernelILb1ELi1024ElPKDF16_fKPDF16_EviiT3_lPKT2_lT1_lS7_lS8_lS4_lPT4_lS8_li.has_recursion, 0
	.set _ZL32rocblas_gemvt_warp_reduce_kernelILb1ELi1024ElPKDF16_fKPDF16_EviiT3_lPKT2_lT1_lS7_lS8_lS4_lPT4_lS8_li.has_indirect_call, 0
	.section	.AMDGPU.csdata,"",@progbits
; Kernel info:
; codeLenInByte = 1744
; TotalNumSgprs: 42
; NumVgprs: 26
; ScratchSize: 0
; MemoryBound: 0
; FloatMode: 240
; IeeeMode: 1
; LDSByteSize: 128 bytes/workgroup (compile time only)
; SGPRBlocks: 0
; VGPRBlocks: 3
; NumSGPRsForWavesPerEU: 42
; NumVGPRsForWavesPerEU: 26
; Occupancy: 16
; WaveLimiterHint : 1
; COMPUTE_PGM_RSRC2:SCRATCH_EN: 0
; COMPUTE_PGM_RSRC2:USER_SGPR: 2
; COMPUTE_PGM_RSRC2:TRAP_HANDLER: 0
; COMPUTE_PGM_RSRC2:TGID_X_EN: 1
; COMPUTE_PGM_RSRC2:TGID_Y_EN: 0
; COMPUTE_PGM_RSRC2:TGID_Z_EN: 1
; COMPUTE_PGM_RSRC2:TIDIG_COMP_CNT: 0
	.section	.text._ZL34rocblas_gemvn_sm_mn_batched_kernelILi32ELi24EDF16_PKffEviiT2_lPKT1_lilS5_lilS2_lPT3_lili,"axG",@progbits,_ZL34rocblas_gemvn_sm_mn_batched_kernelILi32ELi24EDF16_PKffEviiT2_lPKT1_lilS5_lilS2_lPT3_lili,comdat
	.globl	_ZL34rocblas_gemvn_sm_mn_batched_kernelILi32ELi24EDF16_PKffEviiT2_lPKT1_lilS5_lilS2_lPT3_lili ; -- Begin function _ZL34rocblas_gemvn_sm_mn_batched_kernelILi32ELi24EDF16_PKffEviiT2_lPKT1_lilS5_lilS2_lPT3_lili
	.p2align	8
	.type	_ZL34rocblas_gemvn_sm_mn_batched_kernelILi32ELi24EDF16_PKffEviiT2_lPKT1_lilS5_lilS2_lPT3_lili,@function
_ZL34rocblas_gemvn_sm_mn_batched_kernelILi32ELi24EDF16_PKffEviiT2_lPKT1_lilS5_lilS2_lPT3_lili: ; @_ZL34rocblas_gemvn_sm_mn_batched_kernelILi32ELi24EDF16_PKffEviiT2_lPKT1_lilS5_lilS2_lPT3_lili
; %bb.0:
	s_endpgm
	.section	.rodata,"a",@progbits
	.p2align	6, 0x0
	.amdhsa_kernel _ZL34rocblas_gemvn_sm_mn_batched_kernelILi32ELi24EDF16_PKffEviiT2_lPKT1_lilS5_lilS2_lPT3_lili
		.amdhsa_group_segment_fixed_size 0
		.amdhsa_private_segment_fixed_size 0
		.amdhsa_kernarg_size 140
		.amdhsa_user_sgpr_count 2
		.amdhsa_user_sgpr_dispatch_ptr 0
		.amdhsa_user_sgpr_queue_ptr 0
		.amdhsa_user_sgpr_kernarg_segment_ptr 1
		.amdhsa_user_sgpr_dispatch_id 0
		.amdhsa_user_sgpr_private_segment_size 0
		.amdhsa_wavefront_size32 1
		.amdhsa_uses_dynamic_stack 0
		.amdhsa_enable_private_segment 0
		.amdhsa_system_sgpr_workgroup_id_x 1
		.amdhsa_system_sgpr_workgroup_id_y 0
		.amdhsa_system_sgpr_workgroup_id_z 0
		.amdhsa_system_sgpr_workgroup_info 0
		.amdhsa_system_vgpr_workitem_id 0
		.amdhsa_next_free_vgpr 1
		.amdhsa_next_free_sgpr 1
		.amdhsa_reserve_vcc 0
		.amdhsa_float_round_mode_32 0
		.amdhsa_float_round_mode_16_64 0
		.amdhsa_float_denorm_mode_32 3
		.amdhsa_float_denorm_mode_16_64 3
		.amdhsa_fp16_overflow 0
		.amdhsa_workgroup_processor_mode 1
		.amdhsa_memory_ordered 1
		.amdhsa_forward_progress 1
		.amdhsa_inst_pref_size 1
		.amdhsa_round_robin_scheduling 0
		.amdhsa_exception_fp_ieee_invalid_op 0
		.amdhsa_exception_fp_denorm_src 0
		.amdhsa_exception_fp_ieee_div_zero 0
		.amdhsa_exception_fp_ieee_overflow 0
		.amdhsa_exception_fp_ieee_underflow 0
		.amdhsa_exception_fp_ieee_inexact 0
		.amdhsa_exception_int_div_zero 0
	.end_amdhsa_kernel
	.section	.text._ZL34rocblas_gemvn_sm_mn_batched_kernelILi32ELi24EDF16_PKffEviiT2_lPKT1_lilS5_lilS2_lPT3_lili,"axG",@progbits,_ZL34rocblas_gemvn_sm_mn_batched_kernelILi32ELi24EDF16_PKffEviiT2_lPKT1_lilS5_lilS2_lPT3_lili,comdat
.Lfunc_end468:
	.size	_ZL34rocblas_gemvn_sm_mn_batched_kernelILi32ELi24EDF16_PKffEviiT2_lPKT1_lilS5_lilS2_lPT3_lili, .Lfunc_end468-_ZL34rocblas_gemvn_sm_mn_batched_kernelILi32ELi24EDF16_PKffEviiT2_lPKT1_lilS5_lilS2_lPT3_lili
                                        ; -- End function
	.set _ZL34rocblas_gemvn_sm_mn_batched_kernelILi32ELi24EDF16_PKffEviiT2_lPKT1_lilS5_lilS2_lPT3_lili.num_vgpr, 0
	.set _ZL34rocblas_gemvn_sm_mn_batched_kernelILi32ELi24EDF16_PKffEviiT2_lPKT1_lilS5_lilS2_lPT3_lili.num_agpr, 0
	.set _ZL34rocblas_gemvn_sm_mn_batched_kernelILi32ELi24EDF16_PKffEviiT2_lPKT1_lilS5_lilS2_lPT3_lili.numbered_sgpr, 0
	.set _ZL34rocblas_gemvn_sm_mn_batched_kernelILi32ELi24EDF16_PKffEviiT2_lPKT1_lilS5_lilS2_lPT3_lili.num_named_barrier, 0
	.set _ZL34rocblas_gemvn_sm_mn_batched_kernelILi32ELi24EDF16_PKffEviiT2_lPKT1_lilS5_lilS2_lPT3_lili.private_seg_size, 0
	.set _ZL34rocblas_gemvn_sm_mn_batched_kernelILi32ELi24EDF16_PKffEviiT2_lPKT1_lilS5_lilS2_lPT3_lili.uses_vcc, 0
	.set _ZL34rocblas_gemvn_sm_mn_batched_kernelILi32ELi24EDF16_PKffEviiT2_lPKT1_lilS5_lilS2_lPT3_lili.uses_flat_scratch, 0
	.set _ZL34rocblas_gemvn_sm_mn_batched_kernelILi32ELi24EDF16_PKffEviiT2_lPKT1_lilS5_lilS2_lPT3_lili.has_dyn_sized_stack, 0
	.set _ZL34rocblas_gemvn_sm_mn_batched_kernelILi32ELi24EDF16_PKffEviiT2_lPKT1_lilS5_lilS2_lPT3_lili.has_recursion, 0
	.set _ZL34rocblas_gemvn_sm_mn_batched_kernelILi32ELi24EDF16_PKffEviiT2_lPKT1_lilS5_lilS2_lPT3_lili.has_indirect_call, 0
	.section	.AMDGPU.csdata,"",@progbits
; Kernel info:
; codeLenInByte = 4
; TotalNumSgprs: 0
; NumVgprs: 0
; ScratchSize: 0
; MemoryBound: 0
; FloatMode: 240
; IeeeMode: 1
; LDSByteSize: 0 bytes/workgroup (compile time only)
; SGPRBlocks: 0
; VGPRBlocks: 0
; NumSGPRsForWavesPerEU: 1
; NumVGPRsForWavesPerEU: 1
; Occupancy: 16
; WaveLimiterHint : 0
; COMPUTE_PGM_RSRC2:SCRATCH_EN: 0
; COMPUTE_PGM_RSRC2:USER_SGPR: 2
; COMPUTE_PGM_RSRC2:TRAP_HANDLER: 0
; COMPUTE_PGM_RSRC2:TGID_X_EN: 1
; COMPUTE_PGM_RSRC2:TGID_Y_EN: 0
; COMPUTE_PGM_RSRC2:TGID_Z_EN: 0
; COMPUTE_PGM_RSRC2:TIDIG_COMP_CNT: 0
	.section	.text._ZL34rocblas_gemvn_sm_mn_batched_kernelILi32ELi24EDF16_ffEviiT2_lPKT1_lilS3_lilS0_lPT3_lili,"axG",@progbits,_ZL34rocblas_gemvn_sm_mn_batched_kernelILi32ELi24EDF16_ffEviiT2_lPKT1_lilS3_lilS0_lPT3_lili,comdat
	.globl	_ZL34rocblas_gemvn_sm_mn_batched_kernelILi32ELi24EDF16_ffEviiT2_lPKT1_lilS3_lilS0_lPT3_lili ; -- Begin function _ZL34rocblas_gemvn_sm_mn_batched_kernelILi32ELi24EDF16_ffEviiT2_lPKT1_lilS3_lilS0_lPT3_lili
	.p2align	8
	.type	_ZL34rocblas_gemvn_sm_mn_batched_kernelILi32ELi24EDF16_ffEviiT2_lPKT1_lilS3_lilS0_lPT3_lili,@function
_ZL34rocblas_gemvn_sm_mn_batched_kernelILi32ELi24EDF16_ffEviiT2_lPKT1_lilS3_lilS0_lPT3_lili: ; @_ZL34rocblas_gemvn_sm_mn_batched_kernelILi32ELi24EDF16_ffEviiT2_lPKT1_lilS3_lilS0_lPT3_lili
; %bb.0:
	s_endpgm
	.section	.rodata,"a",@progbits
	.p2align	6, 0x0
	.amdhsa_kernel _ZL34rocblas_gemvn_sm_mn_batched_kernelILi32ELi24EDF16_ffEviiT2_lPKT1_lilS3_lilS0_lPT3_lili
		.amdhsa_group_segment_fixed_size 0
		.amdhsa_private_segment_fixed_size 0
		.amdhsa_kernarg_size 140
		.amdhsa_user_sgpr_count 2
		.amdhsa_user_sgpr_dispatch_ptr 0
		.amdhsa_user_sgpr_queue_ptr 0
		.amdhsa_user_sgpr_kernarg_segment_ptr 1
		.amdhsa_user_sgpr_dispatch_id 0
		.amdhsa_user_sgpr_private_segment_size 0
		.amdhsa_wavefront_size32 1
		.amdhsa_uses_dynamic_stack 0
		.amdhsa_enable_private_segment 0
		.amdhsa_system_sgpr_workgroup_id_x 1
		.amdhsa_system_sgpr_workgroup_id_y 0
		.amdhsa_system_sgpr_workgroup_id_z 0
		.amdhsa_system_sgpr_workgroup_info 0
		.amdhsa_system_vgpr_workitem_id 0
		.amdhsa_next_free_vgpr 1
		.amdhsa_next_free_sgpr 1
		.amdhsa_reserve_vcc 0
		.amdhsa_float_round_mode_32 0
		.amdhsa_float_round_mode_16_64 0
		.amdhsa_float_denorm_mode_32 3
		.amdhsa_float_denorm_mode_16_64 3
		.amdhsa_fp16_overflow 0
		.amdhsa_workgroup_processor_mode 1
		.amdhsa_memory_ordered 1
		.amdhsa_forward_progress 1
		.amdhsa_inst_pref_size 1
		.amdhsa_round_robin_scheduling 0
		.amdhsa_exception_fp_ieee_invalid_op 0
		.amdhsa_exception_fp_denorm_src 0
		.amdhsa_exception_fp_ieee_div_zero 0
		.amdhsa_exception_fp_ieee_overflow 0
		.amdhsa_exception_fp_ieee_underflow 0
		.amdhsa_exception_fp_ieee_inexact 0
		.amdhsa_exception_int_div_zero 0
	.end_amdhsa_kernel
	.section	.text._ZL34rocblas_gemvn_sm_mn_batched_kernelILi32ELi24EDF16_ffEviiT2_lPKT1_lilS3_lilS0_lPT3_lili,"axG",@progbits,_ZL34rocblas_gemvn_sm_mn_batched_kernelILi32ELi24EDF16_ffEviiT2_lPKT1_lilS3_lilS0_lPT3_lili,comdat
.Lfunc_end469:
	.size	_ZL34rocblas_gemvn_sm_mn_batched_kernelILi32ELi24EDF16_ffEviiT2_lPKT1_lilS3_lilS0_lPT3_lili, .Lfunc_end469-_ZL34rocblas_gemvn_sm_mn_batched_kernelILi32ELi24EDF16_ffEviiT2_lPKT1_lilS3_lilS0_lPT3_lili
                                        ; -- End function
	.set _ZL34rocblas_gemvn_sm_mn_batched_kernelILi32ELi24EDF16_ffEviiT2_lPKT1_lilS3_lilS0_lPT3_lili.num_vgpr, 0
	.set _ZL34rocblas_gemvn_sm_mn_batched_kernelILi32ELi24EDF16_ffEviiT2_lPKT1_lilS3_lilS0_lPT3_lili.num_agpr, 0
	.set _ZL34rocblas_gemvn_sm_mn_batched_kernelILi32ELi24EDF16_ffEviiT2_lPKT1_lilS3_lilS0_lPT3_lili.numbered_sgpr, 0
	.set _ZL34rocblas_gemvn_sm_mn_batched_kernelILi32ELi24EDF16_ffEviiT2_lPKT1_lilS3_lilS0_lPT3_lili.num_named_barrier, 0
	.set _ZL34rocblas_gemvn_sm_mn_batched_kernelILi32ELi24EDF16_ffEviiT2_lPKT1_lilS3_lilS0_lPT3_lili.private_seg_size, 0
	.set _ZL34rocblas_gemvn_sm_mn_batched_kernelILi32ELi24EDF16_ffEviiT2_lPKT1_lilS3_lilS0_lPT3_lili.uses_vcc, 0
	.set _ZL34rocblas_gemvn_sm_mn_batched_kernelILi32ELi24EDF16_ffEviiT2_lPKT1_lilS3_lilS0_lPT3_lili.uses_flat_scratch, 0
	.set _ZL34rocblas_gemvn_sm_mn_batched_kernelILi32ELi24EDF16_ffEviiT2_lPKT1_lilS3_lilS0_lPT3_lili.has_dyn_sized_stack, 0
	.set _ZL34rocblas_gemvn_sm_mn_batched_kernelILi32ELi24EDF16_ffEviiT2_lPKT1_lilS3_lilS0_lPT3_lili.has_recursion, 0
	.set _ZL34rocblas_gemvn_sm_mn_batched_kernelILi32ELi24EDF16_ffEviiT2_lPKT1_lilS3_lilS0_lPT3_lili.has_indirect_call, 0
	.section	.AMDGPU.csdata,"",@progbits
; Kernel info:
; codeLenInByte = 4
; TotalNumSgprs: 0
; NumVgprs: 0
; ScratchSize: 0
; MemoryBound: 0
; FloatMode: 240
; IeeeMode: 1
; LDSByteSize: 0 bytes/workgroup (compile time only)
; SGPRBlocks: 0
; VGPRBlocks: 0
; NumSGPRsForWavesPerEU: 1
; NumVGPRsForWavesPerEU: 1
; Occupancy: 16
; WaveLimiterHint : 0
; COMPUTE_PGM_RSRC2:SCRATCH_EN: 0
; COMPUTE_PGM_RSRC2:USER_SGPR: 2
; COMPUTE_PGM_RSRC2:TRAP_HANDLER: 0
; COMPUTE_PGM_RSRC2:TGID_X_EN: 1
; COMPUTE_PGM_RSRC2:TGID_Y_EN: 0
; COMPUTE_PGM_RSRC2:TGID_Z_EN: 0
; COMPUTE_PGM_RSRC2:TIDIG_COMP_CNT: 0
	.section	.text._ZL20rocblas_gemvn_kernelILi64ELi4EiDF16_PKffEviiT3_lPKT2_lT1_lS5_lS6_lS2_lPT4_lS6_li,"axG",@progbits,_ZL20rocblas_gemvn_kernelILi64ELi4EiDF16_PKffEviiT3_lPKT2_lT1_lS5_lS6_lS2_lPT4_lS6_li,comdat
	.globl	_ZL20rocblas_gemvn_kernelILi64ELi4EiDF16_PKffEviiT3_lPKT2_lT1_lS5_lS6_lS2_lPT4_lS6_li ; -- Begin function _ZL20rocblas_gemvn_kernelILi64ELi4EiDF16_PKffEviiT3_lPKT2_lT1_lS5_lS6_lS2_lPT4_lS6_li
	.p2align	8
	.type	_ZL20rocblas_gemvn_kernelILi64ELi4EiDF16_PKffEviiT3_lPKT2_lT1_lS5_lS6_lS2_lPT4_lS6_li,@function
_ZL20rocblas_gemvn_kernelILi64ELi4EiDF16_PKffEviiT3_lPKT2_lT1_lS5_lS6_lS2_lPT4_lS6_li: ; @_ZL20rocblas_gemvn_kernelILi64ELi4EiDF16_PKffEviiT3_lPKT2_lT1_lS5_lS6_lS2_lPT4_lS6_li
; %bb.0:
	s_load_b64 s[2:3], s[0:1], 0x9c
	s_wait_kmcnt 0x0
	s_lshr_b32 s4, s2, 16
	s_and_b32 s2, s2, 0xffff
	s_and_b32 s3, s3, 0xffff
	s_mul_i32 s2, s4, s2
	s_delay_alu instid0(SALU_CYCLE_1) | instskip(NEXT) | instid1(SALU_CYCLE_1)
	s_mul_i32 s2, s2, s3
	s_cmp_lg_u32 s2, 0x100
	s_cbranch_scc1 .LBB470_53
; %bb.1:
	s_load_b32 s31, s[0:1], 0x88
	s_lshr_b32 s34, ttmp7, 16
	s_wait_kmcnt 0x0
	s_cmp_ge_u32 s34, s31
	s_cbranch_scc1 .LBB470_53
; %bb.2:
	s_clause 0x3
	s_load_b96 s[4:6], s[0:1], 0x70
	s_load_b256 s[8:15], s[0:1], 0x8
	s_load_b96 s[28:30], s[0:1], 0x40
	s_load_b64 s[36:37], s[0:1], 0x0
	v_and_b32_e32 v9, 0x3ff, v0
	v_bfe_u32 v8, v0, 10, 10
	s_clause 0x2
	s_load_b32 s33, s[0:1], 0x28
	s_load_b128 s[24:27], s[0:1], 0x30
	s_load_b256 s[16:23], s[0:1], 0x50
	s_lshl_b32 s42, ttmp9, 8
	v_mov_b32_e32 v1, 0
	v_or_b32_e32 v19, s42, v9
	v_lshl_add_u32 v5, v8, 6, v9
	v_lshlrev_b32_e32 v20, 2, v8
	s_load_b64 s[38:39], s[0:1], 0x80
	s_mov_b32 s35, 0
	v_add_nc_u32_e32 v7, 0x80, v19
	v_add_nc_u32_e32 v0, s42, v5
	v_or_b32_e32 v11, s42, v5
	v_add_nc_u32_e32 v6, 64, v19
	v_add_nc_u32_e32 v10, 0xc0, v19
	v_or_b32_e32 v12, 3, v20
	s_wait_kmcnt 0x0
	v_mad_co_u64_u32 v[2:3], null, s6, v0, 0
	s_lshl_b64 s[2:3], s[14:15], 1
	s_ashr_i32 s1, s6, 31
	s_ashr_i32 s7, s37, 31
	s_add_nc_u64 s[12:13], s[12:13], s[2:3]
	v_cmp_gt_i32_e64 s3, s36, v7
	v_mul_lo_u32 v7, s33, v20
	s_lshl_b64 s[4:5], s[4:5], 2
	s_wait_alu 0xfffe
	s_lshr_b32 s2, s7, 28
	v_mad_co_u64_u32 v[3:4], null, s1, v0, v[3:4]
	v_mul_lo_u32 v4, s6, v11
	v_cmp_gt_i32_e64 s6, s36, v11
	v_mul_lo_u32 v11, v8, s33
	s_add_co_i32 s1, s37, s2
	s_add_nc_u64 s[22:23], s[22:23], s[4:5]
	v_cmp_gt_i32_e64 s2, s36, v6
	v_cmp_gt_i32_e64 s4, s36, v10
	v_lshlrev_b32_e32 v6, 2, v9
	v_or_b32_e32 v10, 2, v20
	v_mul_lo_u32 v13, v8, s30
	s_lshl_b64 s[14:15], s[28:29], 1
	s_ashr_i32 s29, s36, 31
	s_mov_b32 s28, s36
	s_wait_alu 0xfffe
	s_and_b32 s43, s1, -16
	s_add_nc_u64 s[14:15], s[26:27], s[14:15]
	v_cmp_gt_i64_e32 vcc_lo, s[28:29], v[0:1]
	v_lshl_add_u32 v0, v8, 10, v6
	v_lshl_add_u32 v21, v8, 8, v6
	v_add3_u32 v22, v7, s33, v9
	v_mad_co_u64_u32 v[6:7], null, s33, v10, v[9:10]
	s_mov_b32 s26, s30
	s_wait_alu 0xfffe
	s_sub_co_i32 s5, s37, s43
	v_mad_co_u64_u32 v[7:8], null, s33, v12, v[9:10]
	v_lshl_add_u32 v23, v11, 2, v9
	v_mad_co_u64_u32 v[8:9], null, s30, v20, s[26:27]
	v_mul_lo_u32 v24, s30, v10
	v_mul_lo_u32 v25, s30, v12
	s_cmp_gt_i32 s5, 0
	v_cmp_gt_u32_e64 s5, 0x100, v5
	v_lshlrev_b64_e32 v[9:10], 2, v[2:3]
	v_cmp_gt_i32_e64 s0, s36, v19
	v_cmp_gt_i32_e64 s1, s43, v20
	v_ashrrev_i32_e32 v5, 31, v4
	v_lshlrev_b32_e32 v26, 2, v13
	s_cselect_b32 s36, -1, 0
	s_and_b32 s44, s5, vcc_lo
	s_lshl_b32 s45, s33, 4
	s_lshl_b32 s46, s30, 4
	s_branch .LBB470_5
.LBB470_3:                              ;   in Loop: Header=BB470_5 Depth=1
	s_wait_alu 0xfffe
	s_or_b32 exec_lo, exec_lo, s7
.LBB470_4:                              ;   in Loop: Header=BB470_5 Depth=1
	s_add_co_i32 s34, s34, 0x10000
	s_delay_alu instid0(SALU_CYCLE_1)
	s_cmp_lt_u32 s34, s31
	s_cbranch_scc0 .LBB470_53
.LBB470_5:                              ; =>This Loop Header: Depth=1
                                        ;     Child Loop BB470_21 Depth 2
	s_mul_u64 s[26:27], s[10:11], s[34:35]
	s_mul_u64 s[28:29], s[20:21], s[34:35]
	s_wait_alu 0xfffe
	s_lshl_b64 s[26:27], s[26:27], 2
	s_lshl_b64 s[28:29], s[28:29], 2
	s_wait_alu 0xfffe
	s_add_nc_u64 s[26:27], s[8:9], s[26:27]
	s_add_nc_u64 s[28:29], s[18:19], s[28:29]
	s_clause 0x1
	global_load_b32 v27, v1, s[26:27]
	global_load_b32 v11, v1, s[28:29]
	s_wait_loadcnt 0x1
	v_cmp_eq_f32_e32 vcc_lo, 0, v27
	s_wait_loadcnt 0x0
	v_cmp_eq_f32_e64 s7, 1.0, v11
	v_readfirstlane_b32 s47, v11
	s_and_b32 s7, vcc_lo, s7
	s_wait_alu 0xfffe
	s_and_b32 vcc_lo, exec_lo, s7
	s_wait_alu 0xfffe
	s_cbranch_vccnz .LBB470_4
; %bb.6:                                ;   in Loop: Header=BB470_5 Depth=1
	v_cmp_neq_f32_e32 vcc_lo, 0, v27
	s_mul_u64 s[26:27], s[38:39], s[34:35]
	s_wait_alu 0xfffe
	s_lshl_b64 s[26:27], s[26:27], 2
	s_wait_alu 0xfffe
	s_add_nc_u64 s[26:27], s[22:23], s[26:27]
	s_cbranch_vccnz .LBB470_10
; %bb.7:                                ;   in Loop: Header=BB470_5 Depth=1
	s_mov_b32 s7, 0
	s_mov_b32 s48, 0
                                        ; implicit-def: $vgpr13
	s_and_saveexec_b32 s28, s44
	s_cbranch_execz .LBB470_11
; %bb.8:                                ;   in Loop: Header=BB470_5 Depth=1
	s_cmp_eq_f32 s47, 0
	s_cbranch_scc1 .LBB470_13
; %bb.9:                                ;   in Loop: Header=BB470_5 Depth=1
	s_wait_alu 0xfffe
	v_add_co_u32 v11, vcc_lo, s26, v9
	s_wait_alu 0xfffd
	v_add_co_ci_u32_e64 v12, null, s27, v10, vcc_lo
	global_load_b32 v11, v[11:12], off
	s_wait_loadcnt 0x0
	v_mul_f32_e32 v13, s47, v11
	s_branch .LBB470_14
.LBB470_10:                             ;   in Loop: Header=BB470_5 Depth=1
	s_mov_b32 s48, 0
                                        ; implicit-def: $vgpr13
	s_cbranch_execz .LBB470_12
	s_branch .LBB470_15
.LBB470_11:                             ;   in Loop: Header=BB470_5 Depth=1
	s_wait_alu 0xfffe
	s_or_b32 exec_lo, exec_lo, s28
	s_delay_alu instid0(SALU_CYCLE_1)
	s_and_b32 vcc_lo, exec_lo, s7
	s_wait_alu 0xfffe
	s_cbranch_vccnz .LBB470_15
.LBB470_12:                             ;   in Loop: Header=BB470_5 Depth=1
	v_dual_mov_b32 v12, v3 :: v_dual_mov_b32 v11, v2
	s_and_saveexec_b32 s7, s48
	s_cbranch_execz .LBB470_3
	s_branch .LBB470_52
.LBB470_13:                             ;   in Loop: Header=BB470_5 Depth=1
	v_mov_b32_e32 v13, 0
.LBB470_14:                             ;   in Loop: Header=BB470_5 Depth=1
	s_mov_b32 s48, exec_lo
	s_wait_alu 0xfffe
	s_or_b32 exec_lo, exec_lo, s28
	s_delay_alu instid0(SALU_CYCLE_1)
	s_and_b32 vcc_lo, exec_lo, s7
	s_wait_alu 0xfffe
	s_cbranch_vccz .LBB470_12
.LBB470_15:                             ;   in Loop: Header=BB470_5 Depth=1
	s_mul_u64 s[28:29], s[24:25], s[34:35]
	s_mul_u64 s[40:41], s[16:17], s[34:35]
	v_dual_mov_b32 v28, 0 :: v_dual_mov_b32 v29, 0
	v_dual_mov_b32 v32, v20 :: v_dual_mov_b32 v31, 0
	v_mov_b32_e32 v30, 0
	s_wait_alu 0xfffe
	s_lshl_b64 s[28:29], s[28:29], 1
	s_lshl_b64 s[40:41], s[40:41], 1
	s_wait_alu 0xfffe
	s_add_nc_u64 s[28:29], s[12:13], s[28:29]
	s_add_nc_u64 s[40:41], s[14:15], s[40:41]
	s_and_saveexec_b32 s7, s1
	s_cbranch_execz .LBB470_27
; %bb.16:                               ;   in Loop: Header=BB470_5 Depth=1
	v_dual_mov_b32 v28, 0 :: v_dual_mov_b32 v33, v23
	v_dual_mov_b32 v34, v7 :: v_dual_mov_b32 v35, v6
	;; [unrolled: 1-line block ×4, first 2 shown]
	v_mov_b32_e32 v30, 0
	s_mov_b32 s49, 0
	s_mov_b32 s50, 0
	s_branch .LBB470_21
.LBB470_17:                             ;   in Loop: Header=BB470_21 Depth=2
	s_or_b32 exec_lo, exec_lo, s54
	s_wait_loadcnt 0x3
	v_fma_mix_f32 v11, v49, v53, v30 op_sel_hi:[0,1,0]
	s_wait_loadcnt 0x2
	s_delay_alu instid0(VALU_DEP_1) | instskip(SKIP_1) | instid1(VALU_DEP_1)
	v_fma_mix_f32 v11, v50, v54, v11 op_sel_hi:[0,1,0]
	s_wait_loadcnt 0x1
	v_fma_mix_f32 v11, v51, v55, v11 op_sel_hi:[0,1,0]
	s_wait_loadcnt 0x0
	s_delay_alu instid0(VALU_DEP_1)
	v_fma_mix_f32 v30, v52, v56, v11 op_sel_hi:[0,1,0]
.LBB470_18:                             ;   in Loop: Header=BB470_21 Depth=2
	s_or_b32 exec_lo, exec_lo, s53
	s_wait_loadcnt 0x3
	v_fma_mix_f32 v11, v49, v45, v29 op_sel_hi:[0,1,0]
	s_wait_loadcnt 0x2
	s_delay_alu instid0(VALU_DEP_1) | instskip(SKIP_1) | instid1(VALU_DEP_1)
	v_fma_mix_f32 v11, v50, v46, v11 op_sel_hi:[0,1,0]
	s_wait_loadcnt 0x1
	v_fma_mix_f32 v11, v51, v47, v11 op_sel_hi:[0,1,0]
	s_wait_loadcnt 0x0
	s_delay_alu instid0(VALU_DEP_1)
	v_fma_mix_f32 v29, v52, v48, v11 op_sel_hi:[0,1,0]
.LBB470_19:                             ;   in Loop: Header=BB470_21 Depth=2
	s_or_b32 exec_lo, exec_lo, s52
	s_wait_loadcnt 0x3
	v_fma_mix_f32 v11, v37, v41, v28 op_sel_hi:[1,1,0]
	s_wait_loadcnt 0x2
	s_delay_alu instid0(VALU_DEP_1) | instskip(SKIP_1) | instid1(VALU_DEP_1)
	v_fma_mix_f32 v11, v38, v42, v11 op_sel_hi:[1,1,0]
	s_wait_loadcnt 0x1
	v_fma_mix_f32 v11, v39, v43, v11 op_sel_hi:[1,1,0]
	s_wait_loadcnt 0x0
	s_delay_alu instid0(VALU_DEP_1)
	v_fma_mix_f32 v28, v40, v44, v11 op_sel_hi:[1,1,0]
.LBB470_20:                             ;   in Loop: Header=BB470_21 Depth=2
	s_wait_alu 0xfffe
	s_or_b32 exec_lo, exec_lo, s51
	v_add_nc_u32_e32 v32, 16, v32
	v_add_nc_u32_e32 v36, s45, v36
	v_add_nc_u32_e32 v35, s45, v35
	v_add_nc_u32_e32 v34, s45, v34
	v_add_nc_u32_e32 v33, s45, v33
	v_cmp_le_i32_e32 vcc_lo, s43, v32
	s_add_co_i32 s50, s50, s46
	s_or_b32 s49, vcc_lo, s49
	s_delay_alu instid0(SALU_CYCLE_1)
	s_and_not1_b32 exec_lo, exec_lo, s49
	s_cbranch_execz .LBB470_26
.LBB470_21:                             ;   Parent Loop BB470_5 Depth=1
                                        ; =>  This Inner Loop Header: Depth=2
	s_and_saveexec_b32 s51, s0
	s_cbranch_execz .LBB470_20
; %bb.22:                               ;   in Loop: Header=BB470_21 Depth=2
	s_wait_alu 0xfffe
	v_add_nc_u32_e32 v11, s50, v26
	v_add_nc_u32_e32 v13, s50, v8
	;; [unrolled: 1-line block ×5, first 2 shown]
	v_ashrrev_i32_e32 v12, 31, v11
	v_ashrrev_i32_e32 v14, 31, v13
	;; [unrolled: 1-line block ×5, first 2 shown]
	v_lshlrev_b64_e32 v[11:12], 1, v[11:12]
	v_lshlrev_b64_e32 v[13:14], 1, v[13:14]
	;; [unrolled: 1-line block ×3, first 2 shown]
	s_delay_alu instid0(VALU_DEP_3) | instskip(SKIP_1) | instid1(VALU_DEP_4)
	v_add_co_u32 v39, vcc_lo, s40, v11
	s_wait_alu 0xfffd
	v_add_co_ci_u32_e64 v40, null, s41, v12, vcc_lo
	s_delay_alu instid0(VALU_DEP_4)
	v_add_co_u32 v41, vcc_lo, s40, v13
	v_add_nc_u32_e32 v13, s42, v36
	s_wait_alu 0xfffd
	v_add_co_ci_u32_e64 v42, null, s41, v14, vcc_lo
	v_lshlrev_b64_e32 v[11:12], 1, v[17:18]
	v_add_co_u32 v43, vcc_lo, s40, v15
	v_add_nc_u32_e32 v17, s42, v35
	s_wait_alu 0xfffd
	v_add_co_ci_u32_e64 v44, null, s41, v16, vcc_lo
	v_lshlrev_b64_e32 v[15:16], 1, v[37:38]
	v_add_nc_u32_e32 v37, s42, v34
	v_ashrrev_i32_e32 v14, 31, v13
	v_ashrrev_i32_e32 v18, 31, v17
	v_add_co_u32 v45, vcc_lo, s40, v11
	s_delay_alu instid0(VALU_DEP_4)
	v_ashrrev_i32_e32 v38, 31, v37
	s_wait_alu 0xfffd
	v_add_co_ci_u32_e64 v46, null, s41, v12, vcc_lo
	v_lshlrev_b64_e32 v[13:14], 1, v[13:14]
	v_add_co_u32 v11, vcc_lo, s28, v15
	s_wait_alu 0xfffd
	v_add_co_ci_u32_e64 v12, null, s29, v16, vcc_lo
	v_lshlrev_b64_e32 v[15:16], 1, v[17:18]
	v_lshlrev_b64_e32 v[17:18], 1, v[37:38]
	v_add_co_u32 v13, vcc_lo, s28, v13
	s_wait_alu 0xfffd
	v_add_co_ci_u32_e64 v14, null, s29, v14, vcc_lo
	s_delay_alu instid0(VALU_DEP_4)
	v_add_co_u32 v15, vcc_lo, s28, v15
	s_wait_alu 0xfffd
	v_add_co_ci_u32_e64 v16, null, s29, v16, vcc_lo
	v_add_co_u32 v17, vcc_lo, s28, v17
	s_wait_alu 0xfffd
	v_add_co_ci_u32_e64 v18, null, s29, v18, vcc_lo
	s_clause 0x3
	global_load_u16 v37, v[39:40], off
	global_load_u16 v38, v[41:42], off
	;; [unrolled: 1-line block ×4, first 2 shown]
	s_clause 0x3
	global_load_u16 v41, v[11:12], off
	global_load_u16 v42, v[13:14], off
	;; [unrolled: 1-line block ×4, first 2 shown]
	s_and_saveexec_b32 s52, s2
	s_cbranch_execz .LBB470_19
; %bb.23:                               ;   in Loop: Header=BB470_21 Depth=2
	s_clause 0x3
	global_load_u16 v45, v[11:12], off offset:128
	global_load_u16 v46, v[13:14], off offset:128
	;; [unrolled: 1-line block ×4, first 2 shown]
	s_wait_loadcnt 0xb
	v_cvt_f32_f16_e32 v49, v37
	s_wait_loadcnt 0xa
	v_cvt_f32_f16_e32 v50, v38
	;; [unrolled: 2-line block ×4, first 2 shown]
	s_and_saveexec_b32 s53, s3
	s_cbranch_execz .LBB470_18
; %bb.24:                               ;   in Loop: Header=BB470_21 Depth=2
	s_clause 0x3
	global_load_u16 v53, v[11:12], off offset:256
	global_load_u16 v54, v[13:14], off offset:256
	;; [unrolled: 1-line block ×4, first 2 shown]
	s_and_saveexec_b32 s54, s4
	s_cbranch_execz .LBB470_17
; %bb.25:                               ;   in Loop: Header=BB470_21 Depth=2
	s_clause 0x3
	global_load_u16 v11, v[11:12], off offset:384
	global_load_u16 v12, v[13:14], off offset:384
	global_load_u16 v13, v[15:16], off offset:384
	global_load_u16 v14, v[17:18], off offset:384
	s_wait_loadcnt 0x3
	v_fma_mix_f32 v11, v49, v11, v31 op_sel_hi:[0,1,0]
	s_wait_loadcnt 0x2
	s_delay_alu instid0(VALU_DEP_1) | instskip(SKIP_1) | instid1(VALU_DEP_1)
	v_fma_mix_f32 v11, v50, v12, v11 op_sel_hi:[0,1,0]
	s_wait_loadcnt 0x1
	v_fma_mix_f32 v11, v51, v13, v11 op_sel_hi:[0,1,0]
	s_wait_loadcnt 0x0
	s_delay_alu instid0(VALU_DEP_1)
	v_fma_mix_f32 v31, v52, v14, v11 op_sel_hi:[0,1,0]
	s_branch .LBB470_17
.LBB470_26:                             ;   in Loop: Header=BB470_5 Depth=1
	s_or_b32 exec_lo, exec_lo, s49
.LBB470_27:                             ;   in Loop: Header=BB470_5 Depth=1
	s_wait_alu 0xfffe
	s_or_b32 exec_lo, exec_lo, s7
	s_delay_alu instid0(SALU_CYCLE_1)
	s_and_not1_b32 vcc_lo, exec_lo, s36
	s_wait_alu 0xfffe
	s_cbranch_vccnz .LBB470_45
; %bb.28:                               ;   in Loop: Header=BB470_5 Depth=1
	v_cmp_gt_i32_e32 vcc_lo, s37, v32
	v_dual_mov_b32 v33, 0 :: v_dual_mov_b32 v34, 0
	v_or_b32_e32 v11, 1, v32
	v_dual_mov_b32 v35, 0 :: v_dual_mov_b32 v36, 0
	s_and_saveexec_b32 s49, vcc_lo
	s_cbranch_execz .LBB470_36
; %bb.29:                               ;   in Loop: Header=BB470_5 Depth=1
	v_mul_lo_u32 v12, v32, s30
	v_dual_mov_b32 v35, 0 :: v_dual_mov_b32 v34, 0
	v_mov_b32_e32 v33, 0
	s_mov_b32 s50, exec_lo
	s_delay_alu instid0(VALU_DEP_3) | instskip(NEXT) | instid1(VALU_DEP_1)
	v_ashrrev_i32_e32 v13, 31, v12
	v_lshlrev_b64_e32 v[12:13], 1, v[12:13]
	s_delay_alu instid0(VALU_DEP_1) | instskip(SKIP_1) | instid1(VALU_DEP_2)
	v_add_co_u32 v12, s7, s40, v12
	s_wait_alu 0xf1ff
	v_add_co_ci_u32_e64 v13, null, s41, v13, s7
	global_load_u16 v12, v[12:13], off
	v_cmpx_gt_i32_e64 s37, v11
	s_cbranch_execz .LBB470_35
; %bb.30:                               ;   in Loop: Header=BB470_5 Depth=1
	v_mul_lo_u32 v13, v11, s30
	v_dual_mov_b32 v34, 0 :: v_dual_mov_b32 v33, 0
	s_mov_b32 s51, exec_lo
	s_delay_alu instid0(VALU_DEP_2) | instskip(NEXT) | instid1(VALU_DEP_1)
	v_ashrrev_i32_e32 v14, 31, v13
	v_lshlrev_b64_e32 v[13:14], 1, v[13:14]
	s_delay_alu instid0(VALU_DEP_1) | instskip(SKIP_1) | instid1(VALU_DEP_2)
	v_add_co_u32 v13, s7, s40, v13
	s_wait_alu 0xf1ff
	v_add_co_ci_u32_e64 v14, null, s41, v14, s7
	global_load_u16 v13, v[13:14], off
	v_or_b32_e32 v14, 2, v32
	s_delay_alu instid0(VALU_DEP_1)
	v_cmpx_gt_i32_e64 s37, v14
	s_cbranch_execz .LBB470_34
; %bb.31:                               ;   in Loop: Header=BB470_5 Depth=1
	v_mul_lo_u32 v14, v14, s30
	v_mov_b32_e32 v33, 0
	s_mov_b32 s52, exec_lo
	s_delay_alu instid0(VALU_DEP_2) | instskip(NEXT) | instid1(VALU_DEP_1)
	v_ashrrev_i32_e32 v15, 31, v14
	v_lshlrev_b64_e32 v[14:15], 1, v[14:15]
	s_delay_alu instid0(VALU_DEP_1) | instskip(SKIP_1) | instid1(VALU_DEP_2)
	v_add_co_u32 v14, s7, s40, v14
	s_wait_alu 0xf1ff
	v_add_co_ci_u32_e64 v15, null, s41, v15, s7
	global_load_u16 v14, v[14:15], off
	v_or_b32_e32 v15, 3, v32
	s_delay_alu instid0(VALU_DEP_1)
	v_cmpx_gt_i32_e64 s37, v15
	s_cbranch_execz .LBB470_33
; %bb.32:                               ;   in Loop: Header=BB470_5 Depth=1
	v_mul_lo_u32 v15, v15, s30
	s_delay_alu instid0(VALU_DEP_1) | instskip(NEXT) | instid1(VALU_DEP_1)
	v_ashrrev_i32_e32 v16, 31, v15
	v_lshlrev_b64_e32 v[15:16], 1, v[15:16]
	s_delay_alu instid0(VALU_DEP_1) | instskip(SKIP_1) | instid1(VALU_DEP_2)
	v_add_co_u32 v15, s7, s40, v15
	s_wait_alu 0xf1ff
	v_add_co_ci_u32_e64 v16, null, s41, v16, s7
	global_load_u16 v15, v[15:16], off
	s_wait_loadcnt 0x0
	v_cvt_f32_f16_e32 v33, v15
.LBB470_33:                             ;   in Loop: Header=BB470_5 Depth=1
	s_or_b32 exec_lo, exec_lo, s52
	s_wait_loadcnt 0x0
	v_cvt_f32_f16_e32 v34, v14
.LBB470_34:                             ;   in Loop: Header=BB470_5 Depth=1
	s_wait_alu 0xfffe
	s_or_b32 exec_lo, exec_lo, s51
	s_wait_loadcnt 0x0
	v_cvt_f32_f16_e32 v35, v13
.LBB470_35:                             ;   in Loop: Header=BB470_5 Depth=1
	s_wait_alu 0xfffe
	s_or_b32 exec_lo, exec_lo, s50
	s_wait_loadcnt 0x0
	v_cvt_f32_f16_e32 v36, v12
.LBB470_36:                             ;   in Loop: Header=BB470_5 Depth=1
	s_or_b32 exec_lo, exec_lo, s49
	s_and_saveexec_b32 s7, s0
	s_cbranch_execz .LBB470_44
; %bb.37:                               ;   in Loop: Header=BB470_5 Depth=1
	v_mul_lo_u32 v13, v32, s33
	v_or_b32_e32 v12, 2, v32
	v_mul_lo_u32 v15, v11, s33
	v_or_b32_e32 v14, 3, v32
	s_delay_alu instid0(VALU_DEP_3) | instskip(NEXT) | instid1(VALU_DEP_2)
	v_mul_lo_u32 v16, v12, s33
	v_mul_lo_u32 v17, v14, s33
	v_cndmask_b32_e32 v13, 0, v13, vcc_lo
	v_cmp_gt_i32_e32 vcc_lo, s37, v11
	s_wait_alu 0xfffd
	v_cndmask_b32_e32 v15, 0, v15, vcc_lo
	v_cmp_gt_i32_e32 vcc_lo, s37, v12
	s_wait_alu 0xfffd
	;; [unrolled: 3-line block ×3, first 2 shown]
	v_dual_cndmask_b32 v14, 0, v17 :: v_dual_add_nc_u32 v11, v13, v19
	v_add_nc_u32_e32 v13, v15, v19
	v_add_nc_u32_e32 v15, v12, v19
	s_delay_alu instid0(VALU_DEP_3) | instskip(NEXT) | instid1(VALU_DEP_4)
	v_ashrrev_i32_e32 v12, 31, v11
	v_add_nc_u32_e32 v17, v14, v19
	s_delay_alu instid0(VALU_DEP_4) | instskip(NEXT) | instid1(VALU_DEP_4)
	v_ashrrev_i32_e32 v14, 31, v13
	v_ashrrev_i32_e32 v16, 31, v15
	s_delay_alu instid0(VALU_DEP_4) | instskip(NEXT) | instid1(VALU_DEP_4)
	v_lshlrev_b64_e32 v[11:12], 1, v[11:12]
	v_ashrrev_i32_e32 v18, 31, v17
	s_delay_alu instid0(VALU_DEP_4) | instskip(NEXT) | instid1(VALU_DEP_4)
	v_lshlrev_b64_e32 v[13:14], 1, v[13:14]
	v_lshlrev_b64_e32 v[15:16], 1, v[15:16]
	s_delay_alu instid0(VALU_DEP_4) | instskip(NEXT) | instid1(VALU_DEP_4)
	v_add_co_u32 v11, vcc_lo, s28, v11
	v_lshlrev_b64_e32 v[17:18], 1, v[17:18]
	s_wait_alu 0xfffd
	v_add_co_ci_u32_e64 v12, null, s29, v12, vcc_lo
	v_add_co_u32 v13, vcc_lo, s28, v13
	s_wait_alu 0xfffd
	v_add_co_ci_u32_e64 v14, null, s29, v14, vcc_lo
	v_add_co_u32 v15, vcc_lo, s28, v15
	s_wait_alu 0xfffd
	v_add_co_ci_u32_e64 v16, null, s29, v16, vcc_lo
	v_add_co_u32 v17, vcc_lo, s28, v17
	s_wait_alu 0xfffd
	v_add_co_ci_u32_e64 v18, null, s29, v18, vcc_lo
	s_clause 0x3
	global_load_u16 v32, v[11:12], off
	global_load_u16 v37, v[13:14], off
	;; [unrolled: 1-line block ×4, first 2 shown]
	s_and_saveexec_b32 s28, s2
	s_cbranch_execz .LBB470_43
; %bb.38:                               ;   in Loop: Header=BB470_5 Depth=1
	s_clause 0x3
	global_load_u16 v40, v[11:12], off offset:128
	global_load_u16 v41, v[13:14], off offset:128
	global_load_u16 v42, v[15:16], off offset:128
	global_load_u16 v43, v[17:18], off offset:128
	s_and_saveexec_b32 s29, s3
	s_cbranch_execz .LBB470_42
; %bb.39:                               ;   in Loop: Header=BB470_5 Depth=1
	s_clause 0x3
	global_load_u16 v44, v[11:12], off offset:256
	global_load_u16 v45, v[13:14], off offset:256
	global_load_u16 v46, v[15:16], off offset:256
	global_load_u16 v47, v[17:18], off offset:256
	;; [unrolled: 8-line block ×3, first 2 shown]
	s_wait_loadcnt 0x3
	v_fma_mix_f32 v11, v36, v11, v31 op_sel_hi:[0,1,0]
	s_wait_loadcnt 0x2
	s_delay_alu instid0(VALU_DEP_1) | instskip(SKIP_1) | instid1(VALU_DEP_1)
	v_fma_mix_f32 v11, v35, v12, v11 op_sel_hi:[0,1,0]
	s_wait_loadcnt 0x1
	v_fma_mix_f32 v11, v34, v13, v11 op_sel_hi:[0,1,0]
	s_wait_loadcnt 0x0
	s_delay_alu instid0(VALU_DEP_1)
	v_fma_mix_f32 v31, v33, v14, v11 op_sel_hi:[0,1,0]
.LBB470_41:                             ;   in Loop: Header=BB470_5 Depth=1
	s_wait_alu 0xfffe
	s_or_b32 exec_lo, exec_lo, s40
	s_wait_loadcnt 0x3
	v_fma_mix_f32 v11, v36, v44, v30 op_sel_hi:[0,1,0]
	s_wait_loadcnt 0x2
	s_delay_alu instid0(VALU_DEP_1) | instskip(SKIP_1) | instid1(VALU_DEP_1)
	v_fma_mix_f32 v11, v35, v45, v11 op_sel_hi:[0,1,0]
	s_wait_loadcnt 0x1
	v_fma_mix_f32 v11, v34, v46, v11 op_sel_hi:[0,1,0]
	s_wait_loadcnt 0x0
	s_delay_alu instid0(VALU_DEP_1)
	v_fma_mix_f32 v30, v33, v47, v11 op_sel_hi:[0,1,0]
.LBB470_42:                             ;   in Loop: Header=BB470_5 Depth=1
	s_wait_alu 0xfffe
	s_or_b32 exec_lo, exec_lo, s29
	s_wait_loadcnt 0x3
	v_fma_mix_f32 v11, v36, v40, v29 op_sel_hi:[0,1,0]
	s_wait_loadcnt 0x2
	s_delay_alu instid0(VALU_DEP_1) | instskip(SKIP_1) | instid1(VALU_DEP_1)
	v_fma_mix_f32 v11, v35, v41, v11 op_sel_hi:[0,1,0]
	s_wait_loadcnt 0x1
	v_fma_mix_f32 v11, v34, v42, v11 op_sel_hi:[0,1,0]
	s_wait_loadcnt 0x0
	s_delay_alu instid0(VALU_DEP_1)
	v_fma_mix_f32 v29, v33, v43, v11 op_sel_hi:[0,1,0]
.LBB470_43:                             ;   in Loop: Header=BB470_5 Depth=1
	s_wait_alu 0xfffe
	s_or_b32 exec_lo, exec_lo, s28
	s_wait_loadcnt 0x3
	v_fma_mix_f32 v11, v36, v32, v28 op_sel_hi:[0,1,0]
	s_wait_loadcnt 0x2
	s_delay_alu instid0(VALU_DEP_1) | instskip(SKIP_1) | instid1(VALU_DEP_1)
	v_fma_mix_f32 v11, v35, v37, v11 op_sel_hi:[0,1,0]
	s_wait_loadcnt 0x1
	v_fma_mix_f32 v11, v34, v38, v11 op_sel_hi:[0,1,0]
	s_wait_loadcnt 0x0
	s_delay_alu instid0(VALU_DEP_1)
	v_fma_mix_f32 v28, v33, v39, v11 op_sel_hi:[0,1,0]
.LBB470_44:                             ;   in Loop: Header=BB470_5 Depth=1
	s_wait_alu 0xfffe
	s_or_b32 exec_lo, exec_lo, s7
.LBB470_45:                             ;   in Loop: Header=BB470_5 Depth=1
	ds_store_2addr_stride64_b32 v0, v28, v29 offset1:1
	ds_store_2addr_stride64_b32 v0, v30, v31 offset0:2 offset1:3
	s_wait_dscnt 0x0
	s_barrier_signal -1
	s_barrier_wait -1
	global_inv scope:SCOPE_SE
                                        ; implicit-def: $vgpr13
	s_and_saveexec_b32 s7, s5
	s_cbranch_execz .LBB470_51
; %bb.46:                               ;   in Loop: Header=BB470_5 Depth=1
	ds_load_2addr_stride64_b32 v[11:12], v21 offset1:4
	ds_load_2addr_stride64_b32 v[13:14], v21 offset0:8 offset1:12
	s_mov_b32 s29, s48
	s_wait_dscnt 0x1
	v_add_f32_e32 v11, v11, v12
	s_wait_dscnt 0x0
	s_delay_alu instid0(VALU_DEP_1) | instskip(NEXT) | instid1(VALU_DEP_1)
	v_add_f32_e32 v11, v13, v11
                                        ; implicit-def: $vgpr13
	v_add_f32_e32 v11, v14, v11
	ds_store_b32 v21, v11
	s_and_saveexec_b32 s28, s6
	s_cbranch_execz .LBB470_50
; %bb.47:                               ;   in Loop: Header=BB470_5 Depth=1
	v_mul_f32_e32 v13, v27, v11
	s_cmp_eq_f32 s47, 0
	s_cbranch_scc1 .LBB470_49
; %bb.48:                               ;   in Loop: Header=BB470_5 Depth=1
	v_lshlrev_b64_e32 v[11:12], 2, v[4:5]
	s_delay_alu instid0(VALU_DEP_1) | instskip(SKIP_1) | instid1(VALU_DEP_2)
	v_add_co_u32 v11, vcc_lo, s26, v11
	s_wait_alu 0xfffd
	v_add_co_ci_u32_e64 v12, null, s27, v12, vcc_lo
	global_load_b32 v11, v[11:12], off
	s_wait_loadcnt 0x0
	v_fmac_f32_e32 v13, s47, v11
.LBB470_49:                             ;   in Loop: Header=BB470_5 Depth=1
	s_or_b32 s29, s48, exec_lo
.LBB470_50:                             ;   in Loop: Header=BB470_5 Depth=1
	s_wait_alu 0xfffe
	s_or_b32 exec_lo, exec_lo, s28
	s_delay_alu instid0(SALU_CYCLE_1)
	s_and_not1_b32 s28, s48, exec_lo
	s_and_b32 s29, s29, exec_lo
	s_wait_alu 0xfffe
	s_or_b32 s48, s28, s29
.LBB470_51:                             ;   in Loop: Header=BB470_5 Depth=1
	s_wait_alu 0xfffe
	s_or_b32 exec_lo, exec_lo, s7
	v_dual_mov_b32 v12, v5 :: v_dual_mov_b32 v11, v4
	s_and_saveexec_b32 s7, s48
	s_cbranch_execz .LBB470_3
.LBB470_52:                             ;   in Loop: Header=BB470_5 Depth=1
	s_delay_alu instid0(VALU_DEP_1) | instskip(SKIP_1) | instid1(VALU_DEP_1)
	v_lshlrev_b64_e32 v[11:12], 2, v[11:12]
	s_wait_alu 0xfffe
	v_add_co_u32 v11, vcc_lo, s26, v11
	s_wait_alu 0xfffd
	s_delay_alu instid0(VALU_DEP_2)
	v_add_co_ci_u32_e64 v12, null, s27, v12, vcc_lo
	global_store_b32 v[11:12], v13, off
	s_branch .LBB470_3
.LBB470_53:
	s_endpgm
	.section	.rodata,"a",@progbits
	.p2align	6, 0x0
	.amdhsa_kernel _ZL20rocblas_gemvn_kernelILi64ELi4EiDF16_PKffEviiT3_lPKT2_lT1_lS5_lS6_lS2_lPT4_lS6_li
		.amdhsa_group_segment_fixed_size 4096
		.amdhsa_private_segment_fixed_size 0
		.amdhsa_kernarg_size 400
		.amdhsa_user_sgpr_count 2
		.amdhsa_user_sgpr_dispatch_ptr 0
		.amdhsa_user_sgpr_queue_ptr 0
		.amdhsa_user_sgpr_kernarg_segment_ptr 1
		.amdhsa_user_sgpr_dispatch_id 0
		.amdhsa_user_sgpr_private_segment_size 0
		.amdhsa_wavefront_size32 1
		.amdhsa_uses_dynamic_stack 0
		.amdhsa_enable_private_segment 0
		.amdhsa_system_sgpr_workgroup_id_x 1
		.amdhsa_system_sgpr_workgroup_id_y 0
		.amdhsa_system_sgpr_workgroup_id_z 1
		.amdhsa_system_sgpr_workgroup_info 0
		.amdhsa_system_vgpr_workitem_id 1
		.amdhsa_next_free_vgpr 57
		.amdhsa_next_free_sgpr 55
		.amdhsa_reserve_vcc 1
		.amdhsa_float_round_mode_32 0
		.amdhsa_float_round_mode_16_64 0
		.amdhsa_float_denorm_mode_32 3
		.amdhsa_float_denorm_mode_16_64 3
		.amdhsa_fp16_overflow 0
		.amdhsa_workgroup_processor_mode 1
		.amdhsa_memory_ordered 1
		.amdhsa_forward_progress 1
		.amdhsa_inst_pref_size 26
		.amdhsa_round_robin_scheduling 0
		.amdhsa_exception_fp_ieee_invalid_op 0
		.amdhsa_exception_fp_denorm_src 0
		.amdhsa_exception_fp_ieee_div_zero 0
		.amdhsa_exception_fp_ieee_overflow 0
		.amdhsa_exception_fp_ieee_underflow 0
		.amdhsa_exception_fp_ieee_inexact 0
		.amdhsa_exception_int_div_zero 0
	.end_amdhsa_kernel
	.section	.text._ZL20rocblas_gemvn_kernelILi64ELi4EiDF16_PKffEviiT3_lPKT2_lT1_lS5_lS6_lS2_lPT4_lS6_li,"axG",@progbits,_ZL20rocblas_gemvn_kernelILi64ELi4EiDF16_PKffEviiT3_lPKT2_lT1_lS5_lS6_lS2_lPT4_lS6_li,comdat
.Lfunc_end470:
	.size	_ZL20rocblas_gemvn_kernelILi64ELi4EiDF16_PKffEviiT3_lPKT2_lT1_lS5_lS6_lS2_lPT4_lS6_li, .Lfunc_end470-_ZL20rocblas_gemvn_kernelILi64ELi4EiDF16_PKffEviiT3_lPKT2_lT1_lS5_lS6_lS2_lPT4_lS6_li
                                        ; -- End function
	.set _ZL20rocblas_gemvn_kernelILi64ELi4EiDF16_PKffEviiT3_lPKT2_lT1_lS5_lS6_lS2_lPT4_lS6_li.num_vgpr, 57
	.set _ZL20rocblas_gemvn_kernelILi64ELi4EiDF16_PKffEviiT3_lPKT2_lT1_lS5_lS6_lS2_lPT4_lS6_li.num_agpr, 0
	.set _ZL20rocblas_gemvn_kernelILi64ELi4EiDF16_PKffEviiT3_lPKT2_lT1_lS5_lS6_lS2_lPT4_lS6_li.numbered_sgpr, 55
	.set _ZL20rocblas_gemvn_kernelILi64ELi4EiDF16_PKffEviiT3_lPKT2_lT1_lS5_lS6_lS2_lPT4_lS6_li.num_named_barrier, 0
	.set _ZL20rocblas_gemvn_kernelILi64ELi4EiDF16_PKffEviiT3_lPKT2_lT1_lS5_lS6_lS2_lPT4_lS6_li.private_seg_size, 0
	.set _ZL20rocblas_gemvn_kernelILi64ELi4EiDF16_PKffEviiT3_lPKT2_lT1_lS5_lS6_lS2_lPT4_lS6_li.uses_vcc, 1
	.set _ZL20rocblas_gemvn_kernelILi64ELi4EiDF16_PKffEviiT3_lPKT2_lT1_lS5_lS6_lS2_lPT4_lS6_li.uses_flat_scratch, 0
	.set _ZL20rocblas_gemvn_kernelILi64ELi4EiDF16_PKffEviiT3_lPKT2_lT1_lS5_lS6_lS2_lPT4_lS6_li.has_dyn_sized_stack, 0
	.set _ZL20rocblas_gemvn_kernelILi64ELi4EiDF16_PKffEviiT3_lPKT2_lT1_lS5_lS6_lS2_lPT4_lS6_li.has_recursion, 0
	.set _ZL20rocblas_gemvn_kernelILi64ELi4EiDF16_PKffEviiT3_lPKT2_lT1_lS5_lS6_lS2_lPT4_lS6_li.has_indirect_call, 0
	.section	.AMDGPU.csdata,"",@progbits
; Kernel info:
; codeLenInByte = 3288
; TotalNumSgprs: 57
; NumVgprs: 57
; ScratchSize: 0
; MemoryBound: 0
; FloatMode: 240
; IeeeMode: 1
; LDSByteSize: 4096 bytes/workgroup (compile time only)
; SGPRBlocks: 0
; VGPRBlocks: 7
; NumSGPRsForWavesPerEU: 57
; NumVGPRsForWavesPerEU: 57
; Occupancy: 16
; WaveLimiterHint : 1
; COMPUTE_PGM_RSRC2:SCRATCH_EN: 0
; COMPUTE_PGM_RSRC2:USER_SGPR: 2
; COMPUTE_PGM_RSRC2:TRAP_HANDLER: 0
; COMPUTE_PGM_RSRC2:TGID_X_EN: 1
; COMPUTE_PGM_RSRC2:TGID_Y_EN: 0
; COMPUTE_PGM_RSRC2:TGID_Z_EN: 1
; COMPUTE_PGM_RSRC2:TIDIG_COMP_CNT: 1
	.section	.text._ZL20rocblas_gemvn_kernelILi64ELi4ElDF16_PKffEviiT3_lPKT2_lT1_lS5_lS6_lS2_lPT4_lS6_li,"axG",@progbits,_ZL20rocblas_gemvn_kernelILi64ELi4ElDF16_PKffEviiT3_lPKT2_lT1_lS5_lS6_lS2_lPT4_lS6_li,comdat
	.globl	_ZL20rocblas_gemvn_kernelILi64ELi4ElDF16_PKffEviiT3_lPKT2_lT1_lS5_lS6_lS2_lPT4_lS6_li ; -- Begin function _ZL20rocblas_gemvn_kernelILi64ELi4ElDF16_PKffEviiT3_lPKT2_lT1_lS5_lS6_lS2_lPT4_lS6_li
	.p2align	8
	.type	_ZL20rocblas_gemvn_kernelILi64ELi4ElDF16_PKffEviiT3_lPKT2_lT1_lS5_lS6_lS2_lPT4_lS6_li,@function
_ZL20rocblas_gemvn_kernelILi64ELi4ElDF16_PKffEviiT3_lPKT2_lT1_lS5_lS6_lS2_lPT4_lS6_li: ; @_ZL20rocblas_gemvn_kernelILi64ELi4ElDF16_PKffEviiT3_lPKT2_lT1_lS5_lS6_lS2_lPT4_lS6_li
; %bb.0:
	s_load_b64 s[2:3], s[0:1], 0x9c
	s_wait_kmcnt 0x0
	s_lshr_b32 s4, s2, 16
	s_and_b32 s2, s2, 0xffff
	s_and_b32 s3, s3, 0xffff
	s_mul_i32 s2, s4, s2
	s_delay_alu instid0(SALU_CYCLE_1) | instskip(NEXT) | instid1(SALU_CYCLE_1)
	s_mul_i32 s2, s2, s3
	s_cmp_lg_u32 s2, 0x100
	s_cbranch_scc1 .LBB471_53
; %bb.1:
	s_load_b32 s33, s[0:1], 0x88
	s_lshr_b32 s10, ttmp7, 16
	s_wait_kmcnt 0x0
	s_cmp_ge_u32 s10, s33
	s_cbranch_scc1 .LBB471_53
; %bb.2:
	s_clause 0x2
	s_load_b512 s[12:27], s[0:1], 0x8
	s_load_b512 s[36:51], s[0:1], 0x48
	s_load_b64 s[8:9], s[0:1], 0x0
	v_and_b32_e32 v5, 0x3ff, v0
	v_bfe_u32 v17, v0, 10, 10
	s_lshl_b32 s34, ttmp9, 8
	v_mov_b32_e32 v1, 0
	s_mov_b32 s11, 0
	v_or_b32_e32 v6, s34, v5
	v_lshlrev_b32_e32 v18, 2, v17
	v_lshl_add_u32 v10, v17, 6, v5
	s_delay_alu instid0(VALU_DEP_3) | instskip(SKIP_1) | instid1(VALU_DEP_4)
	v_add_nc_u32_e32 v8, 0x80, v6
	v_add_nc_u32_e32 v9, 0xc0, v6
	v_or_b32_e32 v20, 3, v18
	s_delay_alu instid0(VALU_DEP_4)
	v_add_nc_u32_e32 v0, s34, v10
	v_or_b32_e32 v21, s34, v10
	v_or_b32_e32 v24, 2, v18
	v_ashrrev_i32_e32 v7, 31, v6
	s_wait_kmcnt 0x0
	s_lshl_b64 s[4:5], s[18:19], 1
	s_lshl_b64 s[18:19], s[26:27], 1
	s_ashr_i32 s28, s9, 31
	s_add_nc_u64 s[16:17], s[16:17], s[4:5]
	s_lshr_b32 s4, s28, 28
	s_lshl_b64 s[6:7], s[46:47], 2
	s_add_co_i32 s4, s9, s4
	s_ashr_i32 s31, s8, 31
	s_and_b32 s52, s4, -16
	v_cmp_gt_i32_e64 s2, s8, v8
	s_sub_co_i32 s5, s9, s52
	v_cmp_gt_i32_e64 s3, s8, v9
	s_cmp_gt_i32 s5, 0
	v_mad_co_u64_u32 v[8:9], null, s36, v17, 0
	v_cmp_gt_u32_e64 s5, 0x100, v10
	v_mad_co_u64_u32 v[10:11], null, s20, v20, 0
	s_mov_b32 s30, s8
	s_add_nc_u64 s[28:29], s[44:45], s[6:7]
	s_cselect_b32 s53, -1, 0
	v_mul_lo_u32 v22, s49, v21
	s_ashr_i32 s6, s34, 31
	v_mad_co_u64_u32 v[28:29], null, s36, v24, 0
	v_mad_co_u64_u32 v[12:13], null, s37, v17, v[9:10]
	v_mov_b32_e32 v9, v11
	v_mad_co_u64_u32 v[13:14], null, s36, v20, 0
	v_mad_co_u64_u32 v[2:3], null, s48, v0, 0
	s_delay_alu instid0(VALU_DEP_3) | instskip(SKIP_1) | instid1(VALU_DEP_4)
	v_mad_co_u64_u32 v[15:16], null, s21, v20, v[9:10]
	v_dual_mov_b32 v9, v12 :: v_dual_add_nc_u32 v4, 64, v6
	v_mov_b32_e32 v12, v14
	v_cmp_gt_i64_e32 vcc_lo, s[30:31], v[0:1]
	s_mul_i32 s7, s48, s6
	s_delay_alu instid0(VALU_DEP_3)
	v_cmp_gt_i32_e64 s1, s8, v4
	v_mad_co_u64_u32 v[3:4], null, s49, v0, v[3:4]
	v_lshlrev_b64_e32 v[8:9], 3, v[8:9]
	v_dual_mov_b32 v11, v15 :: v_dual_lshlrev_b32 v4, 2, v5
	v_mad_co_u64_u32 v[14:15], null, s37, v20, v[12:13]
	v_mad_co_u64_u32 v[15:16], null, s20, v17, 0
	s_delay_alu instid0(VALU_DEP_3)
	v_lshl_add_u32 v0, v17, 10, v4
	v_lshl_add_u32 v19, v17, 8, v4
	v_mad_co_u64_u32 v[4:5], null, s48, v21, 0
	s_and_b32 s54, s5, vcc_lo
	v_add_co_u32 v20, vcc_lo, s24, v8
	v_cmp_gt_i32_e64 s6, s8, v21
	v_add_co_ci_u32_e64 v21, null, s25, v9, vcc_lo
	v_lshlrev_b64_e32 v[8:9], 1, v[10:11]
	v_mad_co_u64_u32 v[11:12], null, s20, v24, 0
	v_mov_b32_e32 v10, v16
	v_add3_u32 v5, v5, s7, v22
	v_mad_co_u64_u32 v[30:31], null, s36, v18, s[36:37]
	v_add_co_u32 v22, vcc_lo, s16, v8
	s_delay_alu instid0(VALU_DEP_4)
	v_mad_co_u64_u32 v[16:17], null, s21, v17, v[10:11]
	s_wait_alu 0xfffd
	v_add_co_ci_u32_e64 v23, null, s17, v9, vcc_lo
	v_lshlrev_b64_e32 v[9:10], 1, v[13:14]
	v_mov_b32_e32 v8, v12
	v_mov_b32_e32 v12, v29
	v_mad_co_u64_u32 v[32:33], null, s20, v18, s[20:21]
	v_cmp_gt_i32_e64 s0, s8, v6
	s_delay_alu instid0(VALU_DEP_4)
	v_mad_co_u64_u32 v[13:14], null, s21, v24, v[8:9]
	v_mov_b32_e32 v8, v31
	v_lshlrev_b64_e32 v[6:7], 1, v[6:7]
	v_cmp_gt_i32_e64 s4, s52, v18
	s_add_nc_u64 s[26:27], s[24:25], s[18:19]
	s_lshl_b64 s[30:31], s[38:39], 1
	s_lshl_b64 s[34:35], s[22:23], 1
	v_mad_co_u64_u32 v[26:27], null, s37, v24, v[12:13]
	v_add_co_u32 v24, vcc_lo, s24, v9
	s_wait_alu 0xfffd
	v_add_co_ci_u32_e64 v25, null, s25, v10, vcc_lo
	v_lshlrev_b64_e32 v[9:10], 3, v[15:16]
	s_delay_alu instid0(VALU_DEP_4) | instskip(SKIP_1) | instid1(VALU_DEP_2)
	v_dual_mov_b32 v12, v13 :: v_dual_mov_b32 v29, v26
	s_lshl_b64 s[44:45], s[20:21], 5
	v_add_co_u32 v26, vcc_lo, s16, v9
	v_mad_co_u64_u32 v[13:14], null, s37, v18, v[8:9]
	s_wait_alu 0xfffd
	v_add_co_ci_u32_e64 v27, null, s17, v10, vcc_lo
	v_lshlrev_b64_e32 v[9:10], 1, v[11:12]
	v_mov_b32_e32 v8, v33
	v_lshlrev_b64_e32 v[14:15], 1, v[28:29]
	v_mov_b32_e32 v31, v13
	s_delay_alu instid0(VALU_DEP_3) | instskip(SKIP_1) | instid1(VALU_DEP_3)
	v_mad_co_u64_u32 v[11:12], null, s21, v18, v[8:9]
	v_add_co_u32 v28, vcc_lo, s16, v9
	v_lshlrev_b64_e32 v[8:9], 1, v[30:31]
	s_wait_alu 0xfffd
	v_add_co_ci_u32_e64 v29, null, s17, v10, vcc_lo
	v_add_co_u32 v30, vcc_lo, s24, v14
	v_mov_b32_e32 v33, v11
	s_wait_alu 0xfffd
	v_add_co_ci_u32_e64 v31, null, s25, v15, vcc_lo
	s_delay_alu instid0(VALU_DEP_2) | instskip(SKIP_4) | instid1(VALU_DEP_4)
	v_lshlrev_b64_e32 v[10:11], 1, v[32:33]
	v_add_co_u32 v32, vcc_lo, s24, v8
	s_wait_alu 0xfffd
	v_add_co_ci_u32_e64 v33, null, s25, v9, vcc_lo
	v_lshlrev_b64_e32 v[8:9], 2, v[2:3]
	v_add_co_u32 v34, vcc_lo, s16, v10
	s_wait_alu 0xfffd
	v_add_co_ci_u32_e64 v35, null, s17, v11, vcc_lo
	s_lshl_b64 s[24:25], s[36:37], 5
	s_branch .LBB471_5
.LBB471_3:                              ;   in Loop: Header=BB471_5 Depth=1
	s_wait_alu 0xfffe
	s_or_b32 exec_lo, exec_lo, s7
.LBB471_4:                              ;   in Loop: Header=BB471_5 Depth=1
	s_add_co_i32 s10, s10, 0x10000
	s_delay_alu instid0(SALU_CYCLE_1)
	s_cmp_lt_u32 s10, s33
	s_cbranch_scc0 .LBB471_53
.LBB471_5:                              ; =>This Loop Header: Depth=1
                                        ;     Child Loop BB471_21 Depth 2
	s_mul_u64 s[46:47], s[14:15], s[10:11]
	s_mul_u64 s[48:49], s[42:43], s[10:11]
	s_wait_alu 0xfffe
	s_lshl_b64 s[46:47], s[46:47], 2
	s_lshl_b64 s[48:49], s[48:49], 2
	s_wait_alu 0xfffe
	s_add_nc_u64 s[46:47], s[12:13], s[46:47]
	s_add_nc_u64 s[48:49], s[40:41], s[48:49]
	s_clause 0x1
	global_load_b32 v36, v1, s[46:47]
	global_load_b32 v10, v1, s[48:49]
	s_wait_loadcnt 0x1
	v_cmp_eq_f32_e32 vcc_lo, 0, v36
	s_wait_loadcnt 0x0
	v_cmp_eq_f32_e64 s7, 1.0, v10
	v_readfirstlane_b32 s55, v10
	s_and_b32 s7, vcc_lo, s7
	s_wait_alu 0xfffe
	s_and_b32 vcc_lo, exec_lo, s7
	s_wait_alu 0xfffe
	s_cbranch_vccnz .LBB471_4
; %bb.6:                                ;   in Loop: Header=BB471_5 Depth=1
	v_cmp_neq_f32_e32 vcc_lo, 0, v36
	s_mul_u64 s[46:47], s[50:51], s[10:11]
	s_wait_alu 0xfffe
	s_lshl_b64 s[46:47], s[46:47], 2
	s_wait_alu 0xfffe
	s_add_nc_u64 s[46:47], s[28:29], s[46:47]
	s_cbranch_vccnz .LBB471_10
; %bb.7:                                ;   in Loop: Header=BB471_5 Depth=1
	s_mov_b32 s7, 0
	s_mov_b32 s56, 0
                                        ; implicit-def: $vgpr12
	s_and_saveexec_b32 s8, s54
	s_cbranch_execz .LBB471_11
; %bb.8:                                ;   in Loop: Header=BB471_5 Depth=1
	s_cmp_eq_f32 s55, 0
	s_cbranch_scc1 .LBB471_13
; %bb.9:                                ;   in Loop: Header=BB471_5 Depth=1
	s_wait_alu 0xfffe
	v_add_co_u32 v10, vcc_lo, s46, v8
	s_wait_alu 0xfffd
	v_add_co_ci_u32_e64 v11, null, s47, v9, vcc_lo
	global_load_b32 v10, v[10:11], off
	s_wait_loadcnt 0x0
	v_mul_f32_e32 v12, s55, v10
	s_branch .LBB471_14
.LBB471_10:                             ;   in Loop: Header=BB471_5 Depth=1
	s_mov_b32 s56, 0
                                        ; implicit-def: $vgpr12
	s_cbranch_execz .LBB471_12
	s_branch .LBB471_15
.LBB471_11:                             ;   in Loop: Header=BB471_5 Depth=1
	s_wait_alu 0xfffe
	s_or_b32 exec_lo, exec_lo, s8
	s_delay_alu instid0(SALU_CYCLE_1)
	s_and_b32 vcc_lo, exec_lo, s7
	s_wait_alu 0xfffe
	s_cbranch_vccnz .LBB471_15
.LBB471_12:                             ;   in Loop: Header=BB471_5 Depth=1
	v_dual_mov_b32 v11, v3 :: v_dual_mov_b32 v10, v2
	s_and_saveexec_b32 s7, s56
	s_cbranch_execz .LBB471_3
	s_branch .LBB471_52
.LBB471_13:                             ;   in Loop: Header=BB471_5 Depth=1
	v_mov_b32_e32 v12, 0
.LBB471_14:                             ;   in Loop: Header=BB471_5 Depth=1
	s_mov_b32 s56, exec_lo
	s_wait_alu 0xfffe
	s_or_b32 exec_lo, exec_lo, s8
	s_delay_alu instid0(SALU_CYCLE_1)
	s_and_b32 vcc_lo, exec_lo, s7
	s_wait_alu 0xfffe
	s_cbranch_vccz .LBB471_12
.LBB471_15:                             ;   in Loop: Header=BB471_5 Depth=1
	v_dual_mov_b32 v37, 0 :: v_dual_mov_b32 v38, 0
	v_dual_mov_b32 v41, v18 :: v_dual_mov_b32 v40, 0
	v_mov_b32_e32 v39, 0
	s_and_saveexec_b32 s8, s4
	s_cbranch_execz .LBB471_27
; %bb.16:                               ;   in Loop: Header=BB471_5 Depth=1
	s_mul_u64 s[48:49], s[30:31], s[10:11]
	s_mul_u64 s[58:59], s[34:35], s[10:11]
	s_wait_alu 0xfffe
	v_add_co_u32 v42, vcc_lo, v20, s48
	s_wait_alu 0xfffd
	v_add_co_ci_u32_e64 v43, null, s49, v21, vcc_lo
	v_add_co_u32 v44, vcc_lo, v22, s58
	s_wait_alu 0xfffd
	v_add_co_ci_u32_e64 v45, null, s59, v23, vcc_lo
	;; [unrolled: 3-line block ×8, first 2 shown]
	v_dual_mov_b32 v37, 0 :: v_dual_mov_b32 v38, 0
	v_dual_mov_b32 v41, v18 :: v_dual_mov_b32 v40, 0
	v_mov_b32_e32 v39, 0
	s_mov_b32 s48, 0
	s_branch .LBB471_21
.LBB471_17:                             ;   in Loop: Header=BB471_21 Depth=2
	s_wait_alu 0xfffe
	s_or_b32 exec_lo, exec_lo, s58
	s_wait_loadcnt 0x3
	v_fma_mix_f32 v10, v70, v74, v39 op_sel_hi:[0,1,0]
	s_wait_loadcnt 0x2
	s_delay_alu instid0(VALU_DEP_1) | instskip(SKIP_1) | instid1(VALU_DEP_1)
	v_fma_mix_f32 v10, v71, v75, v10 op_sel_hi:[0,1,0]
	s_wait_loadcnt 0x1
	v_fma_mix_f32 v10, v72, v76, v10 op_sel_hi:[0,1,0]
	s_wait_loadcnt 0x0
	s_delay_alu instid0(VALU_DEP_1)
	v_fma_mix_f32 v39, v73, v77, v10 op_sel_hi:[0,1,0]
.LBB471_18:                             ;   in Loop: Header=BB471_21 Depth=2
	s_or_b32 exec_lo, exec_lo, s57
	s_wait_loadcnt 0x3
	v_fma_mix_f32 v10, v70, v66, v38 op_sel_hi:[0,1,0]
	s_wait_loadcnt 0x2
	s_delay_alu instid0(VALU_DEP_1) | instskip(SKIP_1) | instid1(VALU_DEP_1)
	v_fma_mix_f32 v10, v71, v67, v10 op_sel_hi:[0,1,0]
	s_wait_loadcnt 0x1
	v_fma_mix_f32 v10, v72, v68, v10 op_sel_hi:[0,1,0]
	s_wait_loadcnt 0x0
	s_delay_alu instid0(VALU_DEP_1)
	v_fma_mix_f32 v38, v73, v69, v10 op_sel_hi:[0,1,0]
.LBB471_19:                             ;   in Loop: Header=BB471_21 Depth=2
	s_wait_alu 0xfffe
	s_or_b32 exec_lo, exec_lo, s49
	s_wait_loadcnt 0x3
	v_fma_mix_f32 v10, v58, v62, v37 op_sel_hi:[1,1,0]
	s_wait_loadcnt 0x2
	s_delay_alu instid0(VALU_DEP_1) | instskip(SKIP_1) | instid1(VALU_DEP_1)
	v_fma_mix_f32 v10, v59, v63, v10 op_sel_hi:[1,1,0]
	s_wait_loadcnt 0x1
	v_fma_mix_f32 v10, v60, v64, v10 op_sel_hi:[1,1,0]
	s_wait_loadcnt 0x0
	s_delay_alu instid0(VALU_DEP_1)
	v_fma_mix_f32 v37, v61, v65, v10 op_sel_hi:[1,1,0]
.LBB471_20:                             ;   in Loop: Header=BB471_21 Depth=2
	s_wait_alu 0xfffe
	s_or_b32 exec_lo, exec_lo, s7
	v_add_co_u32 v42, vcc_lo, v42, s24
	s_wait_alu 0xfffd
	v_add_co_ci_u32_e64 v43, null, s25, v43, vcc_lo
	v_add_co_u32 v44, vcc_lo, v44, s44
	s_wait_alu 0xfffd
	v_add_co_ci_u32_e64 v45, null, s45, v45, vcc_lo
	;; [unrolled: 3-line block ×4, first 2 shown]
	v_add_co_u32 v50, vcc_lo, v50, s44
	v_add_nc_u32_e32 v41, 16, v41
	s_wait_alu 0xfffd
	v_add_co_ci_u32_e64 v51, null, s45, v51, vcc_lo
	v_add_co_u32 v52, vcc_lo, v52, s24
	s_wait_alu 0xfffd
	v_add_co_ci_u32_e64 v53, null, s25, v53, vcc_lo
	v_add_co_u32 v54, vcc_lo, v54, s24
	s_wait_alu 0xfffd
	v_add_co_ci_u32_e64 v55, null, s25, v55, vcc_lo
	v_cmp_le_i32_e32 vcc_lo, s52, v41
	v_add_co_u32 v56, s7, v56, s44
	s_wait_alu 0xf1ff
	v_add_co_ci_u32_e64 v57, null, s45, v57, s7
	s_or_b32 s48, vcc_lo, s48
	s_wait_alu 0xfffe
	s_and_not1_b32 exec_lo, exec_lo, s48
	s_cbranch_execz .LBB471_26
.LBB471_21:                             ;   Parent Loop BB471_5 Depth=1
                                        ; =>  This Inner Loop Header: Depth=2
	s_and_saveexec_b32 s7, s0
	s_cbranch_execz .LBB471_20
; %bb.22:                               ;   in Loop: Header=BB471_21 Depth=2
	v_add_co_u32 v10, vcc_lo, v42, s18
	s_wait_alu 0xfffd
	v_add_co_ci_u32_e64 v11, null, s19, v43, vcc_lo
	v_add_co_u32 v12, vcc_lo, v54, s18
	s_wait_alu 0xfffd
	v_add_co_ci_u32_e64 v13, null, s19, v55, vcc_lo
	;; [unrolled: 3-line block ×3, first 2 shown]
	v_add_co_u32 v61, vcc_lo, v46, s18
	global_load_u16 v58, v[10:11], off
	global_load_u16 v59, v[12:13], off
	;; [unrolled: 1-line block ×3, first 2 shown]
	s_wait_alu 0xfffd
	v_add_co_ci_u32_e64 v62, null, s19, v47, vcc_lo
	v_add_co_u32 v10, vcc_lo, v48, v6
	s_wait_alu 0xfffd
	v_add_co_ci_u32_e64 v11, null, v49, v7, vcc_lo
	v_add_co_u32 v12, vcc_lo, v56, v6
	;; [unrolled: 3-line block ×4, first 2 shown]
	s_wait_alu 0xfffd
	v_add_co_ci_u32_e64 v17, null, v45, v7, vcc_lo
	global_load_u16 v61, v[61:62], off
	global_load_u16 v62, v[10:11], off
	global_load_u16 v63, v[12:13], off
	global_load_u16 v64, v[14:15], off
	global_load_u16 v65, v[16:17], off
	s_and_saveexec_b32 s49, s1
	s_cbranch_execz .LBB471_19
; %bb.23:                               ;   in Loop: Header=BB471_21 Depth=2
	global_load_u16 v66, v[10:11], off offset:128
	global_load_u16 v67, v[12:13], off offset:128
	;; [unrolled: 1-line block ×4, first 2 shown]
	s_wait_loadcnt 0xb
	v_cvt_f32_f16_e32 v70, v58
	s_wait_loadcnt 0xa
	v_cvt_f32_f16_e32 v71, v59
	;; [unrolled: 2-line block ×4, first 2 shown]
	s_and_saveexec_b32 s57, s2
	s_cbranch_execz .LBB471_18
; %bb.24:                               ;   in Loop: Header=BB471_21 Depth=2
	global_load_u16 v74, v[10:11], off offset:256
	global_load_u16 v75, v[12:13], off offset:256
	;; [unrolled: 1-line block ×4, first 2 shown]
	s_and_saveexec_b32 s58, s3
	s_cbranch_execz .LBB471_17
; %bb.25:                               ;   in Loop: Header=BB471_21 Depth=2
	global_load_u16 v10, v[10:11], off offset:384
	global_load_u16 v11, v[12:13], off offset:384
	;; [unrolled: 1-line block ×4, first 2 shown]
	s_wait_loadcnt 0x3
	v_fma_mix_f32 v10, v70, v10, v40 op_sel_hi:[0,1,0]
	s_wait_loadcnt 0x2
	s_delay_alu instid0(VALU_DEP_1) | instskip(SKIP_1) | instid1(VALU_DEP_1)
	v_fma_mix_f32 v10, v71, v11, v10 op_sel_hi:[0,1,0]
	s_wait_loadcnt 0x1
	v_fma_mix_f32 v10, v72, v12, v10 op_sel_hi:[0,1,0]
	s_wait_loadcnt 0x0
	s_delay_alu instid0(VALU_DEP_1)
	v_fma_mix_f32 v40, v73, v13, v10 op_sel_hi:[0,1,0]
	s_branch .LBB471_17
.LBB471_26:                             ;   in Loop: Header=BB471_5 Depth=1
	s_or_b32 exec_lo, exec_lo, s48
.LBB471_27:                             ;   in Loop: Header=BB471_5 Depth=1
	s_wait_alu 0xfffe
	s_or_b32 exec_lo, exec_lo, s8
	s_delay_alu instid0(SALU_CYCLE_1)
	s_and_not1_b32 vcc_lo, exec_lo, s53
	s_wait_alu 0xfffe
	s_cbranch_vccnz .LBB471_45
; %bb.28:                               ;   in Loop: Header=BB471_5 Depth=1
	v_cmp_gt_i32_e32 vcc_lo, s9, v41
	v_dual_mov_b32 v42, 0 :: v_dual_mov_b32 v43, 0
	v_or_b32_e32 v10, 1, v41
	v_dual_mov_b32 v44, 0 :: v_dual_mov_b32 v45, 0
	s_and_saveexec_b32 s8, vcc_lo
	s_cbranch_execz .LBB471_36
; %bb.29:                               ;   in Loop: Header=BB471_5 Depth=1
	v_mad_co_u64_u32 v[11:12], null, s36, v41, 0
	s_mul_u64 s[48:49], s[38:39], s[10:11]
	v_dual_mov_b32 v44, 0 :: v_dual_mov_b32 v43, 0
	s_wait_alu 0xfffe
	s_lshl_b64 s[48:49], s[48:49], 1
	v_mov_b32_e32 v42, 0
	s_wait_alu 0xfffe
	s_add_nc_u64 s[48:49], s[26:27], s[48:49]
	v_mad_co_u64_u32 v[12:13], null, s37, v41, v[12:13]
	s_mov_b32 s57, exec_lo
	v_lshlrev_b64_e32 v[11:12], 1, v[11:12]
	s_wait_alu 0xfffe
	s_delay_alu instid0(VALU_DEP_1) | instskip(SKIP_1) | instid1(VALU_DEP_2)
	v_add_co_u32 v11, s7, s48, v11
	s_wait_alu 0xf1ff
	v_add_co_ci_u32_e64 v12, null, s49, v12, s7
	global_load_u16 v11, v[11:12], off
	v_cmpx_gt_i32_e64 s9, v10
	s_cbranch_execz .LBB471_35
; %bb.30:                               ;   in Loop: Header=BB471_5 Depth=1
	v_mad_co_u64_u32 v[12:13], null, s36, v10, 0
	v_dual_mov_b32 v43, 0 :: v_dual_mov_b32 v42, 0
	s_mov_b32 s58, exec_lo
	s_delay_alu instid0(VALU_DEP_2) | instskip(NEXT) | instid1(VALU_DEP_1)
	v_mad_co_u64_u32 v[13:14], null, s37, v10, v[13:14]
	v_lshlrev_b64_e32 v[12:13], 1, v[12:13]
	s_delay_alu instid0(VALU_DEP_1) | instskip(SKIP_1) | instid1(VALU_DEP_2)
	v_add_co_u32 v12, s7, s48, v12
	s_wait_alu 0xf1ff
	v_add_co_ci_u32_e64 v13, null, s49, v13, s7
	global_load_u16 v12, v[12:13], off
	v_or_b32_e32 v13, 2, v41
	s_delay_alu instid0(VALU_DEP_1)
	v_cmpx_gt_i32_e64 s9, v13
	s_cbranch_execz .LBB471_34
; %bb.31:                               ;   in Loop: Header=BB471_5 Depth=1
	v_mad_co_u64_u32 v[14:15], null, s36, v13, 0
	v_mov_b32_e32 v42, 0
	s_mov_b32 s59, exec_lo
	s_delay_alu instid0(VALU_DEP_2) | instskip(NEXT) | instid1(VALU_DEP_1)
	v_mad_co_u64_u32 v[15:16], null, s37, v13, v[15:16]
	v_lshlrev_b64_e32 v[13:14], 1, v[14:15]
	s_delay_alu instid0(VALU_DEP_1) | instskip(SKIP_1) | instid1(VALU_DEP_2)
	v_add_co_u32 v13, s7, s48, v13
	s_wait_alu 0xf1ff
	v_add_co_ci_u32_e64 v14, null, s49, v14, s7
	global_load_u16 v13, v[13:14], off
	v_or_b32_e32 v14, 3, v41
	s_delay_alu instid0(VALU_DEP_1)
	v_cmpx_gt_i32_e64 s9, v14
	s_cbranch_execz .LBB471_33
; %bb.32:                               ;   in Loop: Header=BB471_5 Depth=1
	v_mad_co_u64_u32 v[15:16], null, s36, v14, 0
	s_delay_alu instid0(VALU_DEP_1) | instskip(NEXT) | instid1(VALU_DEP_1)
	v_mad_co_u64_u32 v[16:17], null, s37, v14, v[16:17]
	v_lshlrev_b64_e32 v[14:15], 1, v[15:16]
	s_delay_alu instid0(VALU_DEP_1) | instskip(SKIP_1) | instid1(VALU_DEP_2)
	v_add_co_u32 v14, s7, s48, v14
	s_wait_alu 0xf1ff
	v_add_co_ci_u32_e64 v15, null, s49, v15, s7
	global_load_u16 v14, v[14:15], off
	s_wait_loadcnt 0x0
	v_cvt_f32_f16_e32 v42, v14
.LBB471_33:                             ;   in Loop: Header=BB471_5 Depth=1
	s_wait_alu 0xfffe
	s_or_b32 exec_lo, exec_lo, s59
	s_wait_loadcnt 0x0
	v_cvt_f32_f16_e32 v43, v13
.LBB471_34:                             ;   in Loop: Header=BB471_5 Depth=1
	s_wait_alu 0xfffe
	s_or_b32 exec_lo, exec_lo, s58
	s_wait_loadcnt 0x0
	v_cvt_f32_f16_e32 v44, v12
.LBB471_35:                             ;   in Loop: Header=BB471_5 Depth=1
	s_or_b32 exec_lo, exec_lo, s57
	s_wait_loadcnt 0x0
	v_cvt_f32_f16_e32 v45, v11
.LBB471_36:                             ;   in Loop: Header=BB471_5 Depth=1
	s_wait_alu 0xfffe
	s_or_b32 exec_lo, exec_lo, s8
	s_and_saveexec_b32 s48, s0
	s_cbranch_execz .LBB471_44
; %bb.37:                               ;   in Loop: Header=BB471_5 Depth=1
	v_mad_co_u64_u32 v[11:12], null, s20, v41, 0
	v_mad_co_u64_u32 v[13:14], null, s20, v10, 0
	v_or_b32_e32 v50, 2, v41
	v_or_b32_e32 v51, 3, v41
	s_mul_u64 s[58:59], s[22:23], s[10:11]
	s_wait_alu 0xfffe
	s_lshl_b64 s[58:59], s[58:59], 1
	v_cmp_gt_i32_e64 s7, s9, v50
	s_delay_alu instid0(VALU_DEP_4) | instskip(SKIP_4) | instid1(VALU_DEP_2)
	v_mad_co_u64_u32 v[15:16], null, s21, v41, v[12:13]
	v_mad_co_u64_u32 v[16:17], null, s20, v50, 0
	v_mad_co_u64_u32 v[46:47], null, s20, v51, 0
	s_wait_alu 0xfffe
	s_add_nc_u64 s[58:59], s[16:17], s[58:59]
	v_dual_cndmask_b32 v12, 0, v15 :: v_dual_mov_b32 v15, v17
	s_delay_alu instid0(VALU_DEP_2) | instskip(NEXT) | instid1(VALU_DEP_2)
	v_mov_b32_e32 v17, v47
	v_mad_co_u64_u32 v[48:49], null, s21, v10, v[14:15]
	v_cndmask_b32_e32 v11, 0, v11, vcc_lo
	v_cmp_gt_i32_e32 vcc_lo, s9, v10
	s_wait_alu 0xfffd
	s_delay_alu instid0(VALU_DEP_3) | instskip(NEXT) | instid1(VALU_DEP_3)
	v_dual_cndmask_b32 v13, 0, v13 :: v_dual_cndmask_b32 v14, 0, v48
	v_lshlrev_b64_e32 v[11:12], 1, v[11:12]
	s_wait_alu 0xfffe
	s_delay_alu instid0(VALU_DEP_1) | instskip(SKIP_1) | instid1(VALU_DEP_2)
	v_add_co_u32 v10, s8, s58, v11
	s_wait_alu 0xf1ff
	v_add_co_ci_u32_e64 v11, null, s59, v12, s8
	v_lshlrev_b64_e32 v[12:13], 1, v[13:14]
	s_delay_alu instid0(VALU_DEP_3) | instskip(SKIP_1) | instid1(VALU_DEP_3)
	v_add_co_u32 v10, vcc_lo, v10, v6
	s_wait_alu 0xfffd
	v_add_co_ci_u32_e64 v11, null, v11, v7, vcc_lo
	v_cmp_gt_i32_e32 vcc_lo, s9, v51
	v_cndmask_b32_e64 v14, 0, v16, s7
	s_wait_alu 0xfffd
	v_cndmask_b32_e32 v46, 0, v46, vcc_lo
	v_mad_co_u64_u32 v[49:50], null, s21, v50, v[15:16]
	v_mad_co_u64_u32 v[16:17], null, s21, v51, v[17:18]
	s_delay_alu instid0(VALU_DEP_2) | instskip(SKIP_1) | instid1(VALU_DEP_3)
	v_cndmask_b32_e64 v15, 0, v49, s7
	v_add_co_u32 v12, s7, s58, v12
	v_cndmask_b32_e32 v47, 0, v16, vcc_lo
	s_wait_alu 0xf1ff
	v_add_co_ci_u32_e64 v13, null, s59, v13, s7
	v_lshlrev_b64_e32 v[14:15], 1, v[14:15]
	v_add_co_u32 v12, vcc_lo, v12, v6
	v_lshlrev_b64_e32 v[16:17], 1, v[46:47]
	s_wait_alu 0xfffd
	v_add_co_ci_u32_e64 v13, null, v13, v7, vcc_lo
	s_delay_alu instid0(VALU_DEP_4)
	v_add_co_u32 v14, vcc_lo, s58, v14
	s_wait_alu 0xfffd
	v_add_co_ci_u32_e64 v15, null, s59, v15, vcc_lo
	v_add_co_u32 v16, vcc_lo, s58, v16
	s_wait_alu 0xfffd
	v_add_co_ci_u32_e64 v17, null, s59, v17, vcc_lo
	v_add_co_u32 v14, vcc_lo, v14, v6
	s_wait_alu 0xfffd
	v_add_co_ci_u32_e64 v15, null, v15, v7, vcc_lo
	v_add_co_u32 v16, vcc_lo, v16, v6
	s_wait_alu 0xfffd
	v_add_co_ci_u32_e64 v17, null, v17, v7, vcc_lo
	s_clause 0x3
	global_load_u16 v41, v[10:11], off
	global_load_u16 v46, v[12:13], off
	;; [unrolled: 1-line block ×4, first 2 shown]
	s_and_saveexec_b32 s7, s1
	s_cbranch_execz .LBB471_43
; %bb.38:                               ;   in Loop: Header=BB471_5 Depth=1
	s_clause 0x3
	global_load_u16 v49, v[10:11], off offset:128
	global_load_u16 v50, v[12:13], off offset:128
	global_load_u16 v51, v[14:15], off offset:128
	global_load_u16 v52, v[16:17], off offset:128
	s_and_saveexec_b32 s8, s2
	s_cbranch_execz .LBB471_42
; %bb.39:                               ;   in Loop: Header=BB471_5 Depth=1
	s_clause 0x3
	global_load_u16 v53, v[10:11], off offset:256
	global_load_u16 v54, v[12:13], off offset:256
	global_load_u16 v55, v[14:15], off offset:256
	global_load_u16 v56, v[16:17], off offset:256
	;; [unrolled: 8-line block ×3, first 2 shown]
	s_wait_loadcnt 0x3
	v_fma_mix_f32 v10, v45, v10, v40 op_sel_hi:[0,1,0]
	s_wait_loadcnt 0x2
	s_delay_alu instid0(VALU_DEP_1) | instskip(SKIP_1) | instid1(VALU_DEP_1)
	v_fma_mix_f32 v10, v44, v11, v10 op_sel_hi:[0,1,0]
	s_wait_loadcnt 0x1
	v_fma_mix_f32 v10, v43, v12, v10 op_sel_hi:[0,1,0]
	s_wait_loadcnt 0x0
	s_delay_alu instid0(VALU_DEP_1)
	v_fma_mix_f32 v40, v42, v13, v10 op_sel_hi:[0,1,0]
.LBB471_41:                             ;   in Loop: Header=BB471_5 Depth=1
	s_wait_alu 0xfffe
	s_or_b32 exec_lo, exec_lo, s49
	s_wait_loadcnt 0x3
	v_fma_mix_f32 v10, v45, v53, v39 op_sel_hi:[0,1,0]
	s_wait_loadcnt 0x2
	s_delay_alu instid0(VALU_DEP_1) | instskip(SKIP_1) | instid1(VALU_DEP_1)
	v_fma_mix_f32 v10, v44, v54, v10 op_sel_hi:[0,1,0]
	s_wait_loadcnt 0x1
	v_fma_mix_f32 v10, v43, v55, v10 op_sel_hi:[0,1,0]
	s_wait_loadcnt 0x0
	s_delay_alu instid0(VALU_DEP_1)
	v_fma_mix_f32 v39, v42, v56, v10 op_sel_hi:[0,1,0]
.LBB471_42:                             ;   in Loop: Header=BB471_5 Depth=1
	s_wait_alu 0xfffe
	s_or_b32 exec_lo, exec_lo, s8
	s_wait_loadcnt 0x3
	v_fma_mix_f32 v10, v45, v49, v38 op_sel_hi:[0,1,0]
	s_wait_loadcnt 0x2
	s_delay_alu instid0(VALU_DEP_1) | instskip(SKIP_1) | instid1(VALU_DEP_1)
	v_fma_mix_f32 v10, v44, v50, v10 op_sel_hi:[0,1,0]
	s_wait_loadcnt 0x1
	v_fma_mix_f32 v10, v43, v51, v10 op_sel_hi:[0,1,0]
	s_wait_loadcnt 0x0
	s_delay_alu instid0(VALU_DEP_1)
	v_fma_mix_f32 v38, v42, v52, v10 op_sel_hi:[0,1,0]
.LBB471_43:                             ;   in Loop: Header=BB471_5 Depth=1
	s_wait_alu 0xfffe
	s_or_b32 exec_lo, exec_lo, s7
	s_wait_loadcnt 0x3
	v_fma_mix_f32 v10, v45, v41, v37 op_sel_hi:[0,1,0]
	s_wait_loadcnt 0x2
	s_delay_alu instid0(VALU_DEP_1) | instskip(SKIP_1) | instid1(VALU_DEP_1)
	v_fma_mix_f32 v10, v44, v46, v10 op_sel_hi:[0,1,0]
	s_wait_loadcnt 0x1
	v_fma_mix_f32 v10, v43, v47, v10 op_sel_hi:[0,1,0]
	s_wait_loadcnt 0x0
	s_delay_alu instid0(VALU_DEP_1)
	v_fma_mix_f32 v37, v42, v48, v10 op_sel_hi:[0,1,0]
.LBB471_44:                             ;   in Loop: Header=BB471_5 Depth=1
	s_wait_alu 0xfffe
	s_or_b32 exec_lo, exec_lo, s48
.LBB471_45:                             ;   in Loop: Header=BB471_5 Depth=1
	ds_store_2addr_stride64_b32 v0, v37, v38 offset1:1
	ds_store_2addr_stride64_b32 v0, v39, v40 offset0:2 offset1:3
	s_wait_dscnt 0x0
	s_barrier_signal -1
	s_barrier_wait -1
	global_inv scope:SCOPE_SE
                                        ; implicit-def: $vgpr12
	s_and_saveexec_b32 s7, s5
	s_cbranch_execz .LBB471_51
; %bb.46:                               ;   in Loop: Header=BB471_5 Depth=1
	ds_load_2addr_stride64_b32 v[10:11], v19 offset1:4
	ds_load_2addr_stride64_b32 v[12:13], v19 offset0:8 offset1:12
	s_mov_b32 s48, s56
	s_wait_dscnt 0x1
	v_add_f32_e32 v10, v10, v11
	s_wait_dscnt 0x0
	s_delay_alu instid0(VALU_DEP_1) | instskip(NEXT) | instid1(VALU_DEP_1)
	v_add_f32_e32 v10, v12, v10
                                        ; implicit-def: $vgpr12
	v_add_f32_e32 v10, v13, v10
	ds_store_b32 v19, v10
	s_and_saveexec_b32 s8, s6
	s_cbranch_execz .LBB471_50
; %bb.47:                               ;   in Loop: Header=BB471_5 Depth=1
	v_mul_f32_e32 v12, v36, v10
	s_cmp_eq_f32 s55, 0
	s_cbranch_scc1 .LBB471_49
; %bb.48:                               ;   in Loop: Header=BB471_5 Depth=1
	v_lshlrev_b64_e32 v[10:11], 2, v[4:5]
	s_delay_alu instid0(VALU_DEP_1) | instskip(SKIP_1) | instid1(VALU_DEP_2)
	v_add_co_u32 v10, vcc_lo, s46, v10
	s_wait_alu 0xfffd
	v_add_co_ci_u32_e64 v11, null, s47, v11, vcc_lo
	global_load_b32 v10, v[10:11], off
	s_wait_loadcnt 0x0
	v_fmac_f32_e32 v12, s55, v10
.LBB471_49:                             ;   in Loop: Header=BB471_5 Depth=1
	s_or_b32 s48, s56, exec_lo
.LBB471_50:                             ;   in Loop: Header=BB471_5 Depth=1
	s_wait_alu 0xfffe
	s_or_b32 exec_lo, exec_lo, s8
	s_delay_alu instid0(SALU_CYCLE_1)
	s_and_not1_b32 s8, s56, exec_lo
	s_and_b32 s48, s48, exec_lo
	s_wait_alu 0xfffe
	s_or_b32 s56, s8, s48
.LBB471_51:                             ;   in Loop: Header=BB471_5 Depth=1
	s_wait_alu 0xfffe
	s_or_b32 exec_lo, exec_lo, s7
	v_dual_mov_b32 v11, v5 :: v_dual_mov_b32 v10, v4
	s_and_saveexec_b32 s7, s56
	s_cbranch_execz .LBB471_3
.LBB471_52:                             ;   in Loop: Header=BB471_5 Depth=1
	s_delay_alu instid0(VALU_DEP_1) | instskip(SKIP_1) | instid1(VALU_DEP_1)
	v_lshlrev_b64_e32 v[10:11], 2, v[10:11]
	s_wait_alu 0xfffe
	v_add_co_u32 v10, vcc_lo, s46, v10
	s_wait_alu 0xfffd
	s_delay_alu instid0(VALU_DEP_2)
	v_add_co_ci_u32_e64 v11, null, s47, v11, vcc_lo
	global_store_b32 v[10:11], v12, off
	s_branch .LBB471_3
.LBB471_53:
	s_endpgm
	.section	.rodata,"a",@progbits
	.p2align	6, 0x0
	.amdhsa_kernel _ZL20rocblas_gemvn_kernelILi64ELi4ElDF16_PKffEviiT3_lPKT2_lT1_lS5_lS6_lS2_lPT4_lS6_li
		.amdhsa_group_segment_fixed_size 4096
		.amdhsa_private_segment_fixed_size 0
		.amdhsa_kernarg_size 400
		.amdhsa_user_sgpr_count 2
		.amdhsa_user_sgpr_dispatch_ptr 0
		.amdhsa_user_sgpr_queue_ptr 0
		.amdhsa_user_sgpr_kernarg_segment_ptr 1
		.amdhsa_user_sgpr_dispatch_id 0
		.amdhsa_user_sgpr_private_segment_size 0
		.amdhsa_wavefront_size32 1
		.amdhsa_uses_dynamic_stack 0
		.amdhsa_enable_private_segment 0
		.amdhsa_system_sgpr_workgroup_id_x 1
		.amdhsa_system_sgpr_workgroup_id_y 0
		.amdhsa_system_sgpr_workgroup_id_z 1
		.amdhsa_system_sgpr_workgroup_info 0
		.amdhsa_system_vgpr_workitem_id 1
		.amdhsa_next_free_vgpr 78
		.amdhsa_next_free_sgpr 60
		.amdhsa_reserve_vcc 1
		.amdhsa_float_round_mode_32 0
		.amdhsa_float_round_mode_16_64 0
		.amdhsa_float_denorm_mode_32 3
		.amdhsa_float_denorm_mode_16_64 3
		.amdhsa_fp16_overflow 0
		.amdhsa_workgroup_processor_mode 1
		.amdhsa_memory_ordered 1
		.amdhsa_forward_progress 1
		.amdhsa_inst_pref_size 31
		.amdhsa_round_robin_scheduling 0
		.amdhsa_exception_fp_ieee_invalid_op 0
		.amdhsa_exception_fp_denorm_src 0
		.amdhsa_exception_fp_ieee_div_zero 0
		.amdhsa_exception_fp_ieee_overflow 0
		.amdhsa_exception_fp_ieee_underflow 0
		.amdhsa_exception_fp_ieee_inexact 0
		.amdhsa_exception_int_div_zero 0
	.end_amdhsa_kernel
	.section	.text._ZL20rocblas_gemvn_kernelILi64ELi4ElDF16_PKffEviiT3_lPKT2_lT1_lS5_lS6_lS2_lPT4_lS6_li,"axG",@progbits,_ZL20rocblas_gemvn_kernelILi64ELi4ElDF16_PKffEviiT3_lPKT2_lT1_lS5_lS6_lS2_lPT4_lS6_li,comdat
.Lfunc_end471:
	.size	_ZL20rocblas_gemvn_kernelILi64ELi4ElDF16_PKffEviiT3_lPKT2_lT1_lS5_lS6_lS2_lPT4_lS6_li, .Lfunc_end471-_ZL20rocblas_gemvn_kernelILi64ELi4ElDF16_PKffEviiT3_lPKT2_lT1_lS5_lS6_lS2_lPT4_lS6_li
                                        ; -- End function
	.set _ZL20rocblas_gemvn_kernelILi64ELi4ElDF16_PKffEviiT3_lPKT2_lT1_lS5_lS6_lS2_lPT4_lS6_li.num_vgpr, 78
	.set _ZL20rocblas_gemvn_kernelILi64ELi4ElDF16_PKffEviiT3_lPKT2_lT1_lS5_lS6_lS2_lPT4_lS6_li.num_agpr, 0
	.set _ZL20rocblas_gemvn_kernelILi64ELi4ElDF16_PKffEviiT3_lPKT2_lT1_lS5_lS6_lS2_lPT4_lS6_li.numbered_sgpr, 60
	.set _ZL20rocblas_gemvn_kernelILi64ELi4ElDF16_PKffEviiT3_lPKT2_lT1_lS5_lS6_lS2_lPT4_lS6_li.num_named_barrier, 0
	.set _ZL20rocblas_gemvn_kernelILi64ELi4ElDF16_PKffEviiT3_lPKT2_lT1_lS5_lS6_lS2_lPT4_lS6_li.private_seg_size, 0
	.set _ZL20rocblas_gemvn_kernelILi64ELi4ElDF16_PKffEviiT3_lPKT2_lT1_lS5_lS6_lS2_lPT4_lS6_li.uses_vcc, 1
	.set _ZL20rocblas_gemvn_kernelILi64ELi4ElDF16_PKffEviiT3_lPKT2_lT1_lS5_lS6_lS2_lPT4_lS6_li.uses_flat_scratch, 0
	.set _ZL20rocblas_gemvn_kernelILi64ELi4ElDF16_PKffEviiT3_lPKT2_lT1_lS5_lS6_lS2_lPT4_lS6_li.has_dyn_sized_stack, 0
	.set _ZL20rocblas_gemvn_kernelILi64ELi4ElDF16_PKffEviiT3_lPKT2_lT1_lS5_lS6_lS2_lPT4_lS6_li.has_recursion, 0
	.set _ZL20rocblas_gemvn_kernelILi64ELi4ElDF16_PKffEviiT3_lPKT2_lT1_lS5_lS6_lS2_lPT4_lS6_li.has_indirect_call, 0
	.section	.AMDGPU.csdata,"",@progbits
; Kernel info:
; codeLenInByte = 3896
; TotalNumSgprs: 62
; NumVgprs: 78
; ScratchSize: 0
; MemoryBound: 0
; FloatMode: 240
; IeeeMode: 1
; LDSByteSize: 4096 bytes/workgroup (compile time only)
; SGPRBlocks: 0
; VGPRBlocks: 9
; NumSGPRsForWavesPerEU: 62
; NumVGPRsForWavesPerEU: 78
; Occupancy: 16
; WaveLimiterHint : 1
; COMPUTE_PGM_RSRC2:SCRATCH_EN: 0
; COMPUTE_PGM_RSRC2:USER_SGPR: 2
; COMPUTE_PGM_RSRC2:TRAP_HANDLER: 0
; COMPUTE_PGM_RSRC2:TGID_X_EN: 1
; COMPUTE_PGM_RSRC2:TGID_Y_EN: 0
; COMPUTE_PGM_RSRC2:TGID_Z_EN: 1
; COMPUTE_PGM_RSRC2:TIDIG_COMP_CNT: 1
	.section	.text._ZL20rocblas_gemvn_kernelILi64ELi4EiDF16_ffEviiT3_lPKT2_lT1_lS3_lS4_lS0_lPT4_lS4_li,"axG",@progbits,_ZL20rocblas_gemvn_kernelILi64ELi4EiDF16_ffEviiT3_lPKT2_lT1_lS3_lS4_lS0_lPT4_lS4_li,comdat
	.globl	_ZL20rocblas_gemvn_kernelILi64ELi4EiDF16_ffEviiT3_lPKT2_lT1_lS3_lS4_lS0_lPT4_lS4_li ; -- Begin function _ZL20rocblas_gemvn_kernelILi64ELi4EiDF16_ffEviiT3_lPKT2_lT1_lS3_lS4_lS0_lPT4_lS4_li
	.p2align	8
	.type	_ZL20rocblas_gemvn_kernelILi64ELi4EiDF16_ffEviiT3_lPKT2_lT1_lS3_lS4_lS0_lPT4_lS4_li,@function
_ZL20rocblas_gemvn_kernelILi64ELi4EiDF16_ffEviiT3_lPKT2_lT1_lS3_lS4_lS0_lPT4_lS4_li: ; @_ZL20rocblas_gemvn_kernelILi64ELi4EiDF16_ffEviiT3_lPKT2_lT1_lS3_lS4_lS0_lPT4_lS4_li
; %bb.0:
	s_load_b64 s[2:3], s[0:1], 0x9c
	s_wait_kmcnt 0x0
	s_lshr_b32 s4, s2, 16
	s_and_b32 s2, s2, 0xffff
	s_and_b32 s3, s3, 0xffff
	s_mul_i32 s2, s4, s2
	s_delay_alu instid0(SALU_CYCLE_1) | instskip(NEXT) | instid1(SALU_CYCLE_1)
	s_mul_i32 s2, s2, s3
	s_cmp_lg_u32 s2, 0x100
	s_cbranch_scc1 .LBB472_53
; %bb.1:
	s_load_b32 s19, s[0:1], 0x88
	s_lshr_b32 s28, ttmp7, 16
	s_wait_kmcnt 0x0
	s_cmp_ge_u32 s28, s19
	s_cbranch_scc1 .LBB472_53
; %bb.2:
	s_clause 0x8
	s_load_b128 s[4:7], s[0:1], 0x18
	s_load_b96 s[16:18], s[0:1], 0x40
	s_load_b128 s[12:15], s[0:1], 0x68
	s_load_b32 s34, s[0:1], 0x78
	s_load_b96 s[20:22], s[0:1], 0x0
	s_load_b32 s23, s[0:1], 0x28
	s_load_b128 s[8:11], s[0:1], 0x30
	s_load_b96 s[24:26], s[0:1], 0x50
	s_load_b64 s[30:31], s[0:1], 0x80
	v_dual_mov_b32 v4, 0 :: v_dual_and_b32 v7, 0x3ff, v0
	v_bfe_u32 v6, v0, 10, 10
	s_mov_b32 s29, 0
	s_delay_alu instid0(VALU_DEP_2) | instskip(NEXT) | instid1(VALU_DEP_2)
	v_lshlrev_b32_e32 v5, 2, v7
	v_lshl_add_u32 v8, v6, 6, v7
	v_lshlrev_b32_e32 v17, 2, v6
	s_delay_alu instid0(VALU_DEP_3)
	v_lshl_add_u32 v18, v6, 10, v5
	s_wait_kmcnt 0x0
	s_lshl_b64 s[0:1], s[6:7], 1
	s_lshl_b64 s[2:3], s[16:17], 1
	;; [unrolled: 1-line block ×3, first 2 shown]
	s_ashr_i32 s35, s34, 31
	s_cmp_eq_f32 s22, 0
	s_add_nc_u64 s[14:15], s[4:5], s[0:1]
	v_mul_lo_u32 v9, s23, v17
	s_mov_b32 s16, s20
	s_cselect_b32 s27, -1, 0
	s_cmp_neq_f32 s22, 0
	s_add_nc_u64 s[10:11], s[10:11], s[2:3]
	s_add_nc_u64 s[12:13], s[12:13], s[6:7]
	v_lshl_add_u32 v20, v6, 8, v5
	s_cselect_b32 s36, -1, 0
	s_cmp_neq_f32 s26, 1.0
	v_add3_u32 v21, v9, s23, v7
	v_or_b32_e32 v9, 3, v17
	s_cselect_b32 s0, -1, 0
	s_lshl_b32 s33, ttmp9, 8
	s_ashr_i32 s17, s20, 31
	v_add_nc_u32_e32 v3, s33, v8
	v_or_b32_e32 v10, s33, v8
	s_or_b32 s38, s36, s0
	s_cmp_neq_f32 s26, 0
	v_or_b32_e32 v19, s33, v7
	v_mad_co_u64_u32 v[0:1], null, s34, v3, 0
	v_mul_lo_u32 v2, s34, v10
	s_cselect_b32 s39, -1, 0
	s_ashr_i32 s1, s21, 31
	v_cmp_gt_i64_e32 vcc_lo, s[16:17], v[3:4]
	s_lshr_b32 s1, s1, 28
	v_add_nc_u32_e32 v11, 64, v19
	s_add_co_i32 s3, s21, s1
	v_cmp_gt_i32_e64 s6, s20, v10
	v_mad_co_u64_u32 v[3:4], null, s35, v3, v[1:2]
	s_and_b32 s40, s3, -16
	v_mul_lo_u32 v10, v6, s23
	s_sub_co_i32 s5, s21, s40
	v_cmp_gt_i32_e64 s1, s20, v11
	s_cmp_gt_i32 s5, 0
	v_cmp_gt_u32_e64 s5, 0x100, v8
	v_or_b32_e32 v8, 2, v17
	v_mul_lo_u32 v11, v6, s18
	v_dual_mov_b32 v1, v3 :: v_dual_add_nc_u32 v12, 0x80, v19
	v_add_nc_u32_e32 v13, 0xc0, v19
	s_delay_alu instid0(VALU_DEP_4)
	v_mad_co_u64_u32 v[4:5], null, s23, v8, v[7:8]
	s_mov_b32 s16, s18
	v_mad_co_u64_u32 v[5:6], null, s23, v9, v[7:8]
	v_lshl_add_u32 v22, v10, 2, v7
	s_wait_alu 0xfffe
	v_mad_co_u64_u32 v[6:7], null, s18, v17, s[16:17]
	v_mul_lo_u32 v23, s18, v8
	v_mul_lo_u32 v24, s18, v9
	v_lshlrev_b64_e32 v[7:8], 2, v[0:1]
	v_cmp_gt_i32_e64 s0, s20, v19
	v_cmp_gt_i32_e64 s2, s20, v12
	;; [unrolled: 1-line block ×4, first 2 shown]
	v_ashrrev_i32_e32 v3, 31, v2
	v_lshlrev_b32_e32 v25, 2, v11
	s_cselect_b32 s20, -1, 0
	s_and_b32 s41, s5, vcc_lo
	s_lshl_b32 s42, s23, 4
	s_lshl_b32 s43, s18, 4
	s_branch .LBB472_5
.LBB472_3:                              ;   in Loop: Header=BB472_5 Depth=1
	s_wait_alu 0xfffe
	s_or_b32 exec_lo, exec_lo, s7
.LBB472_4:                              ;   in Loop: Header=BB472_5 Depth=1
	s_add_co_i32 s28, s28, 0x10000
	s_delay_alu instid0(SALU_CYCLE_1)
	s_cmp_lt_u32 s28, s19
	s_cbranch_scc0 .LBB472_53
.LBB472_5:                              ; =>This Loop Header: Depth=1
                                        ;     Child Loop BB472_21 Depth 2
	s_and_not1_b32 vcc_lo, exec_lo, s38
	s_wait_alu 0xfffe
	s_cbranch_vccnz .LBB472_4
; %bb.6:                                ;   in Loop: Header=BB472_5 Depth=1
	s_mul_u64 s[16:17], s[30:31], s[28:29]
	s_and_not1_b32 vcc_lo, exec_lo, s27
	s_wait_alu 0xfffe
	s_lshl_b64 s[16:17], s[16:17], 2
	s_wait_alu 0xfffe
	s_add_nc_u64 s[16:17], s[12:13], s[16:17]
	s_cbranch_vccnz .LBB472_10
; %bb.7:                                ;   in Loop: Header=BB472_5 Depth=1
	s_mov_b32 s7, 0
	s_mov_b32 s44, 0
                                        ; implicit-def: $vgpr11
	s_and_saveexec_b32 s34, s41
	s_cbranch_execz .LBB472_11
; %bb.8:                                ;   in Loop: Header=BB472_5 Depth=1
	s_and_not1_b32 vcc_lo, exec_lo, s39
	s_wait_alu 0xfffe
	s_cbranch_vccnz .LBB472_13
; %bb.9:                                ;   in Loop: Header=BB472_5 Depth=1
	v_add_co_u32 v9, vcc_lo, s16, v7
	s_wait_alu 0xfffd
	v_add_co_ci_u32_e64 v10, null, s17, v8, vcc_lo
	global_load_b32 v9, v[9:10], off
	s_wait_loadcnt 0x0
	v_mul_f32_e32 v11, s26, v9
	s_branch .LBB472_14
.LBB472_10:                             ;   in Loop: Header=BB472_5 Depth=1
	s_mov_b32 s44, 0
                                        ; implicit-def: $vgpr11
	s_cbranch_execz .LBB472_12
	s_branch .LBB472_15
.LBB472_11:                             ;   in Loop: Header=BB472_5 Depth=1
	s_wait_alu 0xfffe
	s_or_b32 exec_lo, exec_lo, s34
	s_delay_alu instid0(SALU_CYCLE_1)
	s_and_b32 vcc_lo, exec_lo, s7
	s_wait_alu 0xfffe
	s_cbranch_vccnz .LBB472_15
.LBB472_12:                             ;   in Loop: Header=BB472_5 Depth=1
	v_dual_mov_b32 v10, v1 :: v_dual_mov_b32 v9, v0
	s_and_saveexec_b32 s7, s44
	s_cbranch_execz .LBB472_3
	s_branch .LBB472_52
.LBB472_13:                             ;   in Loop: Header=BB472_5 Depth=1
	v_mov_b32_e32 v11, 0
.LBB472_14:                             ;   in Loop: Header=BB472_5 Depth=1
	s_mov_b32 s44, exec_lo
	s_wait_alu 0xfffe
	s_or_b32 exec_lo, exec_lo, s34
	s_delay_alu instid0(SALU_CYCLE_1)
	s_and_b32 vcc_lo, exec_lo, s7
	s_wait_alu 0xfffe
	s_cbranch_vccz .LBB472_12
.LBB472_15:                             ;   in Loop: Header=BB472_5 Depth=1
	s_mul_u64 s[34:35], s[8:9], s[28:29]
	s_mul_u64 s[36:37], s[24:25], s[28:29]
	v_dual_mov_b32 v26, 0 :: v_dual_mov_b32 v27, 0
	v_dual_mov_b32 v30, v17 :: v_dual_mov_b32 v29, 0
	v_mov_b32_e32 v28, 0
	s_wait_alu 0xfffe
	s_lshl_b64 s[34:35], s[34:35], 1
	s_lshl_b64 s[36:37], s[36:37], 1
	s_wait_alu 0xfffe
	s_add_nc_u64 s[34:35], s[14:15], s[34:35]
	s_add_nc_u64 s[36:37], s[10:11], s[36:37]
	s_and_saveexec_b32 s7, s4
	s_cbranch_execz .LBB472_27
; %bb.16:                               ;   in Loop: Header=BB472_5 Depth=1
	v_dual_mov_b32 v26, 0 :: v_dual_mov_b32 v31, v22
	v_dual_mov_b32 v32, v5 :: v_dual_mov_b32 v33, v4
	;; [unrolled: 1-line block ×4, first 2 shown]
	v_mov_b32_e32 v28, 0
	s_mov_b32 s45, 0
	s_mov_b32 s46, 0
	s_branch .LBB472_21
.LBB472_17:                             ;   in Loop: Header=BB472_21 Depth=2
	s_or_b32 exec_lo, exec_lo, s50
	s_wait_loadcnt 0x3
	v_fma_mix_f32 v9, v47, v51, v28 op_sel_hi:[0,1,0]
	s_wait_loadcnt 0x2
	s_delay_alu instid0(VALU_DEP_1) | instskip(SKIP_1) | instid1(VALU_DEP_1)
	v_fma_mix_f32 v9, v48, v52, v9 op_sel_hi:[0,1,0]
	s_wait_loadcnt 0x1
	v_fma_mix_f32 v9, v49, v53, v9 op_sel_hi:[0,1,0]
	s_wait_loadcnt 0x0
	s_delay_alu instid0(VALU_DEP_1)
	v_fma_mix_f32 v28, v50, v54, v9 op_sel_hi:[0,1,0]
.LBB472_18:                             ;   in Loop: Header=BB472_21 Depth=2
	s_or_b32 exec_lo, exec_lo, s49
	s_wait_loadcnt 0x3
	v_fma_mix_f32 v9, v47, v43, v27 op_sel_hi:[0,1,0]
	s_wait_loadcnt 0x2
	s_delay_alu instid0(VALU_DEP_1) | instskip(SKIP_1) | instid1(VALU_DEP_1)
	v_fma_mix_f32 v9, v48, v44, v9 op_sel_hi:[0,1,0]
	s_wait_loadcnt 0x1
	v_fma_mix_f32 v9, v49, v45, v9 op_sel_hi:[0,1,0]
	s_wait_loadcnt 0x0
	s_delay_alu instid0(VALU_DEP_1)
	v_fma_mix_f32 v27, v50, v46, v9 op_sel_hi:[0,1,0]
.LBB472_19:                             ;   in Loop: Header=BB472_21 Depth=2
	s_or_b32 exec_lo, exec_lo, s48
	s_wait_loadcnt 0x3
	v_fma_mix_f32 v9, v35, v39, v26 op_sel_hi:[1,1,0]
	s_wait_loadcnt 0x2
	s_delay_alu instid0(VALU_DEP_1) | instskip(SKIP_1) | instid1(VALU_DEP_1)
	v_fma_mix_f32 v9, v36, v40, v9 op_sel_hi:[1,1,0]
	s_wait_loadcnt 0x1
	v_fma_mix_f32 v9, v37, v41, v9 op_sel_hi:[1,1,0]
	s_wait_loadcnt 0x0
	s_delay_alu instid0(VALU_DEP_1)
	v_fma_mix_f32 v26, v38, v42, v9 op_sel_hi:[1,1,0]
.LBB472_20:                             ;   in Loop: Header=BB472_21 Depth=2
	s_wait_alu 0xfffe
	s_or_b32 exec_lo, exec_lo, s47
	v_add_nc_u32_e32 v30, 16, v30
	v_add_nc_u32_e32 v34, s42, v34
	;; [unrolled: 1-line block ×5, first 2 shown]
	v_cmp_le_i32_e32 vcc_lo, s40, v30
	s_add_co_i32 s46, s46, s43
	s_or_b32 s45, vcc_lo, s45
	s_delay_alu instid0(SALU_CYCLE_1)
	s_and_not1_b32 exec_lo, exec_lo, s45
	s_cbranch_execz .LBB472_26
.LBB472_21:                             ;   Parent Loop BB472_5 Depth=1
                                        ; =>  This Inner Loop Header: Depth=2
	s_and_saveexec_b32 s47, s0
	s_cbranch_execz .LBB472_20
; %bb.22:                               ;   in Loop: Header=BB472_21 Depth=2
	s_wait_alu 0xfffe
	v_add_nc_u32_e32 v9, s46, v25
	v_add_nc_u32_e32 v11, s46, v6
	;; [unrolled: 1-line block ×5, first 2 shown]
	v_ashrrev_i32_e32 v10, 31, v9
	v_ashrrev_i32_e32 v12, 31, v11
	;; [unrolled: 1-line block ×5, first 2 shown]
	v_lshlrev_b64_e32 v[9:10], 1, v[9:10]
	v_lshlrev_b64_e32 v[11:12], 1, v[11:12]
	;; [unrolled: 1-line block ×3, first 2 shown]
	s_delay_alu instid0(VALU_DEP_3) | instskip(SKIP_1) | instid1(VALU_DEP_4)
	v_add_co_u32 v37, vcc_lo, s36, v9
	s_wait_alu 0xfffd
	v_add_co_ci_u32_e64 v38, null, s37, v10, vcc_lo
	s_delay_alu instid0(VALU_DEP_4)
	v_add_co_u32 v39, vcc_lo, s36, v11
	v_add_nc_u32_e32 v11, s33, v34
	s_wait_alu 0xfffd
	v_add_co_ci_u32_e64 v40, null, s37, v12, vcc_lo
	v_lshlrev_b64_e32 v[9:10], 1, v[15:16]
	v_add_co_u32 v41, vcc_lo, s36, v13
	v_add_nc_u32_e32 v15, s33, v33
	s_wait_alu 0xfffd
	v_add_co_ci_u32_e64 v42, null, s37, v14, vcc_lo
	v_lshlrev_b64_e32 v[13:14], 1, v[35:36]
	v_add_nc_u32_e32 v35, s33, v32
	v_ashrrev_i32_e32 v12, 31, v11
	v_ashrrev_i32_e32 v16, 31, v15
	v_add_co_u32 v43, vcc_lo, s36, v9
	s_delay_alu instid0(VALU_DEP_4)
	v_ashrrev_i32_e32 v36, 31, v35
	s_wait_alu 0xfffd
	v_add_co_ci_u32_e64 v44, null, s37, v10, vcc_lo
	v_lshlrev_b64_e32 v[11:12], 1, v[11:12]
	v_add_co_u32 v9, vcc_lo, s34, v13
	s_wait_alu 0xfffd
	v_add_co_ci_u32_e64 v10, null, s35, v14, vcc_lo
	v_lshlrev_b64_e32 v[13:14], 1, v[15:16]
	v_lshlrev_b64_e32 v[15:16], 1, v[35:36]
	v_add_co_u32 v11, vcc_lo, s34, v11
	s_wait_alu 0xfffd
	v_add_co_ci_u32_e64 v12, null, s35, v12, vcc_lo
	s_delay_alu instid0(VALU_DEP_4)
	v_add_co_u32 v13, vcc_lo, s34, v13
	s_wait_alu 0xfffd
	v_add_co_ci_u32_e64 v14, null, s35, v14, vcc_lo
	v_add_co_u32 v15, vcc_lo, s34, v15
	s_wait_alu 0xfffd
	v_add_co_ci_u32_e64 v16, null, s35, v16, vcc_lo
	s_clause 0x3
	global_load_u16 v35, v[37:38], off
	global_load_u16 v36, v[39:40], off
	;; [unrolled: 1-line block ×4, first 2 shown]
	s_clause 0x3
	global_load_u16 v39, v[9:10], off
	global_load_u16 v40, v[11:12], off
	;; [unrolled: 1-line block ×4, first 2 shown]
	s_and_saveexec_b32 s48, s1
	s_cbranch_execz .LBB472_19
; %bb.23:                               ;   in Loop: Header=BB472_21 Depth=2
	s_clause 0x3
	global_load_u16 v43, v[9:10], off offset:128
	global_load_u16 v44, v[11:12], off offset:128
	;; [unrolled: 1-line block ×4, first 2 shown]
	s_wait_loadcnt 0xb
	v_cvt_f32_f16_e32 v47, v35
	s_wait_loadcnt 0xa
	v_cvt_f32_f16_e32 v48, v36
	;; [unrolled: 2-line block ×4, first 2 shown]
	s_and_saveexec_b32 s49, s2
	s_cbranch_execz .LBB472_18
; %bb.24:                               ;   in Loop: Header=BB472_21 Depth=2
	s_clause 0x3
	global_load_u16 v51, v[9:10], off offset:256
	global_load_u16 v52, v[11:12], off offset:256
	;; [unrolled: 1-line block ×4, first 2 shown]
	s_and_saveexec_b32 s50, s3
	s_cbranch_execz .LBB472_17
; %bb.25:                               ;   in Loop: Header=BB472_21 Depth=2
	s_clause 0x3
	global_load_u16 v9, v[9:10], off offset:384
	global_load_u16 v10, v[11:12], off offset:384
	;; [unrolled: 1-line block ×4, first 2 shown]
	s_wait_loadcnt 0x3
	v_fma_mix_f32 v9, v47, v9, v29 op_sel_hi:[0,1,0]
	s_wait_loadcnt 0x2
	s_delay_alu instid0(VALU_DEP_1) | instskip(SKIP_1) | instid1(VALU_DEP_1)
	v_fma_mix_f32 v9, v48, v10, v9 op_sel_hi:[0,1,0]
	s_wait_loadcnt 0x1
	v_fma_mix_f32 v9, v49, v11, v9 op_sel_hi:[0,1,0]
	s_wait_loadcnt 0x0
	s_delay_alu instid0(VALU_DEP_1)
	v_fma_mix_f32 v29, v50, v12, v9 op_sel_hi:[0,1,0]
	s_branch .LBB472_17
.LBB472_26:                             ;   in Loop: Header=BB472_5 Depth=1
	s_or_b32 exec_lo, exec_lo, s45
.LBB472_27:                             ;   in Loop: Header=BB472_5 Depth=1
	s_wait_alu 0xfffe
	s_or_b32 exec_lo, exec_lo, s7
	s_delay_alu instid0(SALU_CYCLE_1)
	s_and_not1_b32 vcc_lo, exec_lo, s20
	s_wait_alu 0xfffe
	s_cbranch_vccnz .LBB472_45
; %bb.28:                               ;   in Loop: Header=BB472_5 Depth=1
	v_cmp_gt_i32_e32 vcc_lo, s21, v30
	v_dual_mov_b32 v31, 0 :: v_dual_mov_b32 v32, 0
	v_or_b32_e32 v9, 1, v30
	v_dual_mov_b32 v33, 0 :: v_dual_mov_b32 v34, 0
	s_and_saveexec_b32 s45, vcc_lo
	s_cbranch_execz .LBB472_36
; %bb.29:                               ;   in Loop: Header=BB472_5 Depth=1
	v_mul_lo_u32 v10, v30, s18
	v_dual_mov_b32 v33, 0 :: v_dual_mov_b32 v32, 0
	v_mov_b32_e32 v31, 0
	s_mov_b32 s46, exec_lo
	s_delay_alu instid0(VALU_DEP_3) | instskip(NEXT) | instid1(VALU_DEP_1)
	v_ashrrev_i32_e32 v11, 31, v10
	v_lshlrev_b64_e32 v[10:11], 1, v[10:11]
	s_delay_alu instid0(VALU_DEP_1) | instskip(SKIP_1) | instid1(VALU_DEP_2)
	v_add_co_u32 v10, s7, s36, v10
	s_wait_alu 0xf1ff
	v_add_co_ci_u32_e64 v11, null, s37, v11, s7
	global_load_u16 v10, v[10:11], off
	v_cmpx_gt_i32_e64 s21, v9
	s_cbranch_execz .LBB472_35
; %bb.30:                               ;   in Loop: Header=BB472_5 Depth=1
	v_mul_lo_u32 v11, v9, s18
	v_dual_mov_b32 v32, 0 :: v_dual_mov_b32 v31, 0
	s_mov_b32 s47, exec_lo
	s_delay_alu instid0(VALU_DEP_2) | instskip(NEXT) | instid1(VALU_DEP_1)
	v_ashrrev_i32_e32 v12, 31, v11
	v_lshlrev_b64_e32 v[11:12], 1, v[11:12]
	s_delay_alu instid0(VALU_DEP_1) | instskip(SKIP_1) | instid1(VALU_DEP_2)
	v_add_co_u32 v11, s7, s36, v11
	s_wait_alu 0xf1ff
	v_add_co_ci_u32_e64 v12, null, s37, v12, s7
	global_load_u16 v11, v[11:12], off
	v_or_b32_e32 v12, 2, v30
	s_delay_alu instid0(VALU_DEP_1)
	v_cmpx_gt_i32_e64 s21, v12
	s_cbranch_execz .LBB472_34
; %bb.31:                               ;   in Loop: Header=BB472_5 Depth=1
	v_mul_lo_u32 v12, v12, s18
	v_mov_b32_e32 v31, 0
	s_mov_b32 s48, exec_lo
	s_delay_alu instid0(VALU_DEP_2) | instskip(NEXT) | instid1(VALU_DEP_1)
	v_ashrrev_i32_e32 v13, 31, v12
	v_lshlrev_b64_e32 v[12:13], 1, v[12:13]
	s_delay_alu instid0(VALU_DEP_1) | instskip(SKIP_1) | instid1(VALU_DEP_2)
	v_add_co_u32 v12, s7, s36, v12
	s_wait_alu 0xf1ff
	v_add_co_ci_u32_e64 v13, null, s37, v13, s7
	global_load_u16 v12, v[12:13], off
	v_or_b32_e32 v13, 3, v30
	s_delay_alu instid0(VALU_DEP_1)
	v_cmpx_gt_i32_e64 s21, v13
	s_cbranch_execz .LBB472_33
; %bb.32:                               ;   in Loop: Header=BB472_5 Depth=1
	v_mul_lo_u32 v13, v13, s18
	s_delay_alu instid0(VALU_DEP_1) | instskip(NEXT) | instid1(VALU_DEP_1)
	v_ashrrev_i32_e32 v14, 31, v13
	v_lshlrev_b64_e32 v[13:14], 1, v[13:14]
	s_delay_alu instid0(VALU_DEP_1) | instskip(SKIP_1) | instid1(VALU_DEP_2)
	v_add_co_u32 v13, s7, s36, v13
	s_wait_alu 0xf1ff
	v_add_co_ci_u32_e64 v14, null, s37, v14, s7
	global_load_u16 v13, v[13:14], off
	s_wait_loadcnt 0x0
	v_cvt_f32_f16_e32 v31, v13
.LBB472_33:                             ;   in Loop: Header=BB472_5 Depth=1
	s_or_b32 exec_lo, exec_lo, s48
	s_wait_loadcnt 0x0
	v_cvt_f32_f16_e32 v32, v12
.LBB472_34:                             ;   in Loop: Header=BB472_5 Depth=1
	s_wait_alu 0xfffe
	s_or_b32 exec_lo, exec_lo, s47
	s_wait_loadcnt 0x0
	v_cvt_f32_f16_e32 v33, v11
.LBB472_35:                             ;   in Loop: Header=BB472_5 Depth=1
	s_wait_alu 0xfffe
	s_or_b32 exec_lo, exec_lo, s46
	s_wait_loadcnt 0x0
	v_cvt_f32_f16_e32 v34, v10
.LBB472_36:                             ;   in Loop: Header=BB472_5 Depth=1
	s_or_b32 exec_lo, exec_lo, s45
	s_and_saveexec_b32 s7, s0
	s_cbranch_execz .LBB472_44
; %bb.37:                               ;   in Loop: Header=BB472_5 Depth=1
	v_mul_lo_u32 v11, v30, s23
	v_or_b32_e32 v10, 2, v30
	v_mul_lo_u32 v13, v9, s23
	v_or_b32_e32 v12, 3, v30
	s_delay_alu instid0(VALU_DEP_3) | instskip(NEXT) | instid1(VALU_DEP_2)
	v_mul_lo_u32 v14, v10, s23
	v_mul_lo_u32 v15, v12, s23
	v_cndmask_b32_e32 v11, 0, v11, vcc_lo
	v_cmp_gt_i32_e32 vcc_lo, s21, v9
	s_wait_alu 0xfffd
	v_cndmask_b32_e32 v13, 0, v13, vcc_lo
	v_cmp_gt_i32_e32 vcc_lo, s21, v10
	s_wait_alu 0xfffd
	v_cndmask_b32_e32 v10, 0, v14, vcc_lo
	v_cmp_gt_i32_e32 vcc_lo, s21, v12
	v_add_nc_u32_e32 v9, v11, v19
	s_wait_alu 0xfffd
	v_cndmask_b32_e32 v12, 0, v15, vcc_lo
	v_add_nc_u32_e32 v11, v13, v19
	v_add_nc_u32_e32 v13, v10, v19
	v_ashrrev_i32_e32 v10, 31, v9
	s_delay_alu instid0(VALU_DEP_4) | instskip(NEXT) | instid1(VALU_DEP_4)
	v_add_nc_u32_e32 v15, v12, v19
	v_ashrrev_i32_e32 v12, 31, v11
	s_delay_alu instid0(VALU_DEP_4) | instskip(NEXT) | instid1(VALU_DEP_4)
	v_ashrrev_i32_e32 v14, 31, v13
	v_lshlrev_b64_e32 v[9:10], 1, v[9:10]
	s_delay_alu instid0(VALU_DEP_4) | instskip(NEXT) | instid1(VALU_DEP_4)
	v_ashrrev_i32_e32 v16, 31, v15
	v_lshlrev_b64_e32 v[11:12], 1, v[11:12]
	s_delay_alu instid0(VALU_DEP_4) | instskip(NEXT) | instid1(VALU_DEP_4)
	v_lshlrev_b64_e32 v[13:14], 1, v[13:14]
	v_add_co_u32 v9, vcc_lo, s34, v9
	s_delay_alu instid0(VALU_DEP_4)
	v_lshlrev_b64_e32 v[15:16], 1, v[15:16]
	s_wait_alu 0xfffd
	v_add_co_ci_u32_e64 v10, null, s35, v10, vcc_lo
	v_add_co_u32 v11, vcc_lo, s34, v11
	s_wait_alu 0xfffd
	v_add_co_ci_u32_e64 v12, null, s35, v12, vcc_lo
	v_add_co_u32 v13, vcc_lo, s34, v13
	s_wait_alu 0xfffd
	v_add_co_ci_u32_e64 v14, null, s35, v14, vcc_lo
	v_add_co_u32 v15, vcc_lo, s34, v15
	s_wait_alu 0xfffd
	v_add_co_ci_u32_e64 v16, null, s35, v16, vcc_lo
	s_clause 0x3
	global_load_u16 v30, v[9:10], off
	global_load_u16 v35, v[11:12], off
	;; [unrolled: 1-line block ×4, first 2 shown]
	s_and_saveexec_b32 s34, s1
	s_cbranch_execz .LBB472_43
; %bb.38:                               ;   in Loop: Header=BB472_5 Depth=1
	s_clause 0x3
	global_load_u16 v38, v[9:10], off offset:128
	global_load_u16 v39, v[11:12], off offset:128
	global_load_u16 v40, v[13:14], off offset:128
	global_load_u16 v41, v[15:16], off offset:128
	s_and_saveexec_b32 s35, s2
	s_cbranch_execz .LBB472_42
; %bb.39:                               ;   in Loop: Header=BB472_5 Depth=1
	s_clause 0x3
	global_load_u16 v42, v[9:10], off offset:256
	global_load_u16 v43, v[11:12], off offset:256
	global_load_u16 v44, v[13:14], off offset:256
	global_load_u16 v45, v[15:16], off offset:256
	;; [unrolled: 8-line block ×3, first 2 shown]
	s_wait_loadcnt 0x3
	v_fma_mix_f32 v9, v34, v9, v29 op_sel_hi:[0,1,0]
	s_wait_loadcnt 0x2
	s_delay_alu instid0(VALU_DEP_1) | instskip(SKIP_1) | instid1(VALU_DEP_1)
	v_fma_mix_f32 v9, v33, v10, v9 op_sel_hi:[0,1,0]
	s_wait_loadcnt 0x1
	v_fma_mix_f32 v9, v32, v11, v9 op_sel_hi:[0,1,0]
	s_wait_loadcnt 0x0
	s_delay_alu instid0(VALU_DEP_1)
	v_fma_mix_f32 v29, v31, v12, v9 op_sel_hi:[0,1,0]
.LBB472_41:                             ;   in Loop: Header=BB472_5 Depth=1
	s_wait_alu 0xfffe
	s_or_b32 exec_lo, exec_lo, s36
	s_wait_loadcnt 0x3
	v_fma_mix_f32 v9, v34, v42, v28 op_sel_hi:[0,1,0]
	s_wait_loadcnt 0x2
	s_delay_alu instid0(VALU_DEP_1) | instskip(SKIP_1) | instid1(VALU_DEP_1)
	v_fma_mix_f32 v9, v33, v43, v9 op_sel_hi:[0,1,0]
	s_wait_loadcnt 0x1
	v_fma_mix_f32 v9, v32, v44, v9 op_sel_hi:[0,1,0]
	s_wait_loadcnt 0x0
	s_delay_alu instid0(VALU_DEP_1)
	v_fma_mix_f32 v28, v31, v45, v9 op_sel_hi:[0,1,0]
.LBB472_42:                             ;   in Loop: Header=BB472_5 Depth=1
	s_wait_alu 0xfffe
	s_or_b32 exec_lo, exec_lo, s35
	s_wait_loadcnt 0x3
	v_fma_mix_f32 v9, v34, v38, v27 op_sel_hi:[0,1,0]
	s_wait_loadcnt 0x2
	s_delay_alu instid0(VALU_DEP_1) | instskip(SKIP_1) | instid1(VALU_DEP_1)
	v_fma_mix_f32 v9, v33, v39, v9 op_sel_hi:[0,1,0]
	s_wait_loadcnt 0x1
	v_fma_mix_f32 v9, v32, v40, v9 op_sel_hi:[0,1,0]
	s_wait_loadcnt 0x0
	s_delay_alu instid0(VALU_DEP_1)
	v_fma_mix_f32 v27, v31, v41, v9 op_sel_hi:[0,1,0]
.LBB472_43:                             ;   in Loop: Header=BB472_5 Depth=1
	s_wait_alu 0xfffe
	s_or_b32 exec_lo, exec_lo, s34
	s_wait_loadcnt 0x3
	v_fma_mix_f32 v9, v34, v30, v26 op_sel_hi:[0,1,0]
	s_wait_loadcnt 0x2
	s_delay_alu instid0(VALU_DEP_1) | instskip(SKIP_1) | instid1(VALU_DEP_1)
	v_fma_mix_f32 v9, v33, v35, v9 op_sel_hi:[0,1,0]
	s_wait_loadcnt 0x1
	v_fma_mix_f32 v9, v32, v36, v9 op_sel_hi:[0,1,0]
	s_wait_loadcnt 0x0
	s_delay_alu instid0(VALU_DEP_1)
	v_fma_mix_f32 v26, v31, v37, v9 op_sel_hi:[0,1,0]
.LBB472_44:                             ;   in Loop: Header=BB472_5 Depth=1
	s_wait_alu 0xfffe
	s_or_b32 exec_lo, exec_lo, s7
.LBB472_45:                             ;   in Loop: Header=BB472_5 Depth=1
	ds_store_2addr_stride64_b32 v18, v26, v27 offset1:1
	ds_store_2addr_stride64_b32 v18, v28, v29 offset0:2 offset1:3
	s_wait_dscnt 0x0
	s_barrier_signal -1
	s_barrier_wait -1
	global_inv scope:SCOPE_SE
                                        ; implicit-def: $vgpr11
	s_and_saveexec_b32 s7, s5
	s_cbranch_execz .LBB472_51
; %bb.46:                               ;   in Loop: Header=BB472_5 Depth=1
	ds_load_2addr_stride64_b32 v[9:10], v20 offset1:4
	ds_load_2addr_stride64_b32 v[11:12], v20 offset0:8 offset1:12
	s_mov_b32 s35, s44
	s_wait_dscnt 0x1
	v_add_f32_e32 v9, v9, v10
	s_wait_dscnt 0x0
	s_delay_alu instid0(VALU_DEP_1) | instskip(NEXT) | instid1(VALU_DEP_1)
	v_add_f32_e32 v9, v11, v9
                                        ; implicit-def: $vgpr11
	v_add_f32_e32 v9, v12, v9
	ds_store_b32 v20, v9
	s_and_saveexec_b32 s34, s6
	s_cbranch_execz .LBB472_50
; %bb.47:                               ;   in Loop: Header=BB472_5 Depth=1
	v_mul_f32_e32 v11, s22, v9
	s_and_not1_b32 vcc_lo, exec_lo, s39
	s_wait_alu 0xfffe
	s_cbranch_vccnz .LBB472_49
; %bb.48:                               ;   in Loop: Header=BB472_5 Depth=1
	v_lshlrev_b64_e32 v[9:10], 2, v[2:3]
	s_delay_alu instid0(VALU_DEP_1) | instskip(SKIP_1) | instid1(VALU_DEP_2)
	v_add_co_u32 v9, vcc_lo, s16, v9
	s_wait_alu 0xfffd
	v_add_co_ci_u32_e64 v10, null, s17, v10, vcc_lo
	global_load_b32 v9, v[9:10], off
	s_wait_loadcnt 0x0
	v_fmac_f32_e32 v11, s26, v9
.LBB472_49:                             ;   in Loop: Header=BB472_5 Depth=1
	s_or_b32 s35, s44, exec_lo
.LBB472_50:                             ;   in Loop: Header=BB472_5 Depth=1
	s_wait_alu 0xfffe
	s_or_b32 exec_lo, exec_lo, s34
	s_delay_alu instid0(SALU_CYCLE_1)
	s_and_not1_b32 s34, s44, exec_lo
	s_and_b32 s35, s35, exec_lo
	s_wait_alu 0xfffe
	s_or_b32 s44, s34, s35
.LBB472_51:                             ;   in Loop: Header=BB472_5 Depth=1
	s_wait_alu 0xfffe
	s_or_b32 exec_lo, exec_lo, s7
	v_dual_mov_b32 v10, v3 :: v_dual_mov_b32 v9, v2
	s_and_saveexec_b32 s7, s44
	s_cbranch_execz .LBB472_3
.LBB472_52:                             ;   in Loop: Header=BB472_5 Depth=1
	s_delay_alu instid0(VALU_DEP_1) | instskip(SKIP_1) | instid1(VALU_DEP_1)
	v_lshlrev_b64_e32 v[9:10], 2, v[9:10]
	s_wait_alu 0xfffe
	v_add_co_u32 v9, vcc_lo, s16, v9
	s_wait_alu 0xfffd
	s_delay_alu instid0(VALU_DEP_2)
	v_add_co_ci_u32_e64 v10, null, s17, v10, vcc_lo
	global_store_b32 v[9:10], v11, off
	s_branch .LBB472_3
.LBB472_53:
	s_endpgm
	.section	.rodata,"a",@progbits
	.p2align	6, 0x0
	.amdhsa_kernel _ZL20rocblas_gemvn_kernelILi64ELi4EiDF16_ffEviiT3_lPKT2_lT1_lS3_lS4_lS0_lPT4_lS4_li
		.amdhsa_group_segment_fixed_size 4096
		.amdhsa_private_segment_fixed_size 0
		.amdhsa_kernarg_size 400
		.amdhsa_user_sgpr_count 2
		.amdhsa_user_sgpr_dispatch_ptr 0
		.amdhsa_user_sgpr_queue_ptr 0
		.amdhsa_user_sgpr_kernarg_segment_ptr 1
		.amdhsa_user_sgpr_dispatch_id 0
		.amdhsa_user_sgpr_private_segment_size 0
		.amdhsa_wavefront_size32 1
		.amdhsa_uses_dynamic_stack 0
		.amdhsa_enable_private_segment 0
		.amdhsa_system_sgpr_workgroup_id_x 1
		.amdhsa_system_sgpr_workgroup_id_y 0
		.amdhsa_system_sgpr_workgroup_id_z 1
		.amdhsa_system_sgpr_workgroup_info 0
		.amdhsa_system_vgpr_workitem_id 1
		.amdhsa_next_free_vgpr 55
		.amdhsa_next_free_sgpr 51
		.amdhsa_reserve_vcc 1
		.amdhsa_float_round_mode_32 0
		.amdhsa_float_round_mode_16_64 0
		.amdhsa_float_denorm_mode_32 3
		.amdhsa_float_denorm_mode_16_64 3
		.amdhsa_fp16_overflow 0
		.amdhsa_workgroup_processor_mode 1
		.amdhsa_memory_ordered 1
		.amdhsa_forward_progress 1
		.amdhsa_inst_pref_size 26
		.amdhsa_round_robin_scheduling 0
		.amdhsa_exception_fp_ieee_invalid_op 0
		.amdhsa_exception_fp_denorm_src 0
		.amdhsa_exception_fp_ieee_div_zero 0
		.amdhsa_exception_fp_ieee_overflow 0
		.amdhsa_exception_fp_ieee_underflow 0
		.amdhsa_exception_fp_ieee_inexact 0
		.amdhsa_exception_int_div_zero 0
	.end_amdhsa_kernel
	.section	.text._ZL20rocblas_gemvn_kernelILi64ELi4EiDF16_ffEviiT3_lPKT2_lT1_lS3_lS4_lS0_lPT4_lS4_li,"axG",@progbits,_ZL20rocblas_gemvn_kernelILi64ELi4EiDF16_ffEviiT3_lPKT2_lT1_lS3_lS4_lS0_lPT4_lS4_li,comdat
.Lfunc_end472:
	.size	_ZL20rocblas_gemvn_kernelILi64ELi4EiDF16_ffEviiT3_lPKT2_lT1_lS3_lS4_lS0_lPT4_lS4_li, .Lfunc_end472-_ZL20rocblas_gemvn_kernelILi64ELi4EiDF16_ffEviiT3_lPKT2_lT1_lS3_lS4_lS0_lPT4_lS4_li
                                        ; -- End function
	.set _ZL20rocblas_gemvn_kernelILi64ELi4EiDF16_ffEviiT3_lPKT2_lT1_lS3_lS4_lS0_lPT4_lS4_li.num_vgpr, 55
	.set _ZL20rocblas_gemvn_kernelILi64ELi4EiDF16_ffEviiT3_lPKT2_lT1_lS3_lS4_lS0_lPT4_lS4_li.num_agpr, 0
	.set _ZL20rocblas_gemvn_kernelILi64ELi4EiDF16_ffEviiT3_lPKT2_lT1_lS3_lS4_lS0_lPT4_lS4_li.numbered_sgpr, 51
	.set _ZL20rocblas_gemvn_kernelILi64ELi4EiDF16_ffEviiT3_lPKT2_lT1_lS3_lS4_lS0_lPT4_lS4_li.num_named_barrier, 0
	.set _ZL20rocblas_gemvn_kernelILi64ELi4EiDF16_ffEviiT3_lPKT2_lT1_lS3_lS4_lS0_lPT4_lS4_li.private_seg_size, 0
	.set _ZL20rocblas_gemvn_kernelILi64ELi4EiDF16_ffEviiT3_lPKT2_lT1_lS3_lS4_lS0_lPT4_lS4_li.uses_vcc, 1
	.set _ZL20rocblas_gemvn_kernelILi64ELi4EiDF16_ffEviiT3_lPKT2_lT1_lS3_lS4_lS0_lPT4_lS4_li.uses_flat_scratch, 0
	.set _ZL20rocblas_gemvn_kernelILi64ELi4EiDF16_ffEviiT3_lPKT2_lT1_lS3_lS4_lS0_lPT4_lS4_li.has_dyn_sized_stack, 0
	.set _ZL20rocblas_gemvn_kernelILi64ELi4EiDF16_ffEviiT3_lPKT2_lT1_lS3_lS4_lS0_lPT4_lS4_li.has_recursion, 0
	.set _ZL20rocblas_gemvn_kernelILi64ELi4EiDF16_ffEviiT3_lPKT2_lT1_lS3_lS4_lS0_lPT4_lS4_li.has_indirect_call, 0
	.section	.AMDGPU.csdata,"",@progbits
; Kernel info:
; codeLenInByte = 3248
; TotalNumSgprs: 53
; NumVgprs: 55
; ScratchSize: 0
; MemoryBound: 0
; FloatMode: 240
; IeeeMode: 1
; LDSByteSize: 4096 bytes/workgroup (compile time only)
; SGPRBlocks: 0
; VGPRBlocks: 6
; NumSGPRsForWavesPerEU: 53
; NumVGPRsForWavesPerEU: 55
; Occupancy: 16
; WaveLimiterHint : 1
; COMPUTE_PGM_RSRC2:SCRATCH_EN: 0
; COMPUTE_PGM_RSRC2:USER_SGPR: 2
; COMPUTE_PGM_RSRC2:TRAP_HANDLER: 0
; COMPUTE_PGM_RSRC2:TGID_X_EN: 1
; COMPUTE_PGM_RSRC2:TGID_Y_EN: 0
; COMPUTE_PGM_RSRC2:TGID_Z_EN: 1
; COMPUTE_PGM_RSRC2:TIDIG_COMP_CNT: 1
	.section	.text._ZL20rocblas_gemvn_kernelILi64ELi4ElDF16_ffEviiT3_lPKT2_lT1_lS3_lS4_lS0_lPT4_lS4_li,"axG",@progbits,_ZL20rocblas_gemvn_kernelILi64ELi4ElDF16_ffEviiT3_lPKT2_lT1_lS3_lS4_lS0_lPT4_lS4_li,comdat
	.globl	_ZL20rocblas_gemvn_kernelILi64ELi4ElDF16_ffEviiT3_lPKT2_lT1_lS3_lS4_lS0_lPT4_lS4_li ; -- Begin function _ZL20rocblas_gemvn_kernelILi64ELi4ElDF16_ffEviiT3_lPKT2_lT1_lS3_lS4_lS0_lPT4_lS4_li
	.p2align	8
	.type	_ZL20rocblas_gemvn_kernelILi64ELi4ElDF16_ffEviiT3_lPKT2_lT1_lS3_lS4_lS0_lPT4_lS4_li,@function
_ZL20rocblas_gemvn_kernelILi64ELi4ElDF16_ffEviiT3_lPKT2_lT1_lS3_lS4_lS0_lPT4_lS4_li: ; @_ZL20rocblas_gemvn_kernelILi64ELi4ElDF16_ffEviiT3_lPKT2_lT1_lS3_lS4_lS0_lPT4_lS4_li
; %bb.0:
	s_load_b64 s[2:3], s[0:1], 0x9c
	s_wait_kmcnt 0x0
	s_lshr_b32 s4, s2, 16
	s_and_b32 s2, s2, 0xffff
	s_and_b32 s3, s3, 0xffff
	s_mul_i32 s2, s4, s2
	s_delay_alu instid0(SALU_CYCLE_1) | instskip(NEXT) | instid1(SALU_CYCLE_1)
	s_mul_i32 s2, s2, s3
	s_cmp_lg_u32 s2, 0x100
	s_cbranch_scc1 .LBB473_53
; %bb.1:
	s_load_b32 s33, s[0:1], 0x88
	s_lshr_b32 s34, ttmp7, 16
	s_wait_kmcnt 0x0
	s_cmp_ge_u32 s34, s33
	s_cbranch_scc1 .LBB473_53
; %bb.2:
	s_clause 0x3
	s_load_b512 s[8:23], s[0:1], 0x18
	s_load_b256 s[24:31], s[0:1], 0x68
	s_load_b96 s[36:38], s[0:1], 0x0
	s_load_b32 s39, s[0:1], 0x58
	v_bfe_u32 v15, v0, 10, 10
	v_and_b32_e32 v1, 0x3ff, v0
	s_mov_b32 s35, 0
	s_delay_alu instid0(VALU_DEP_2) | instskip(NEXT) | instid1(VALU_DEP_2)
	v_dual_mov_b32 v3, 0 :: v_dual_lshlrev_b32 v16, 2, v15
	v_lshlrev_b32_e32 v10, 2, v1
	s_delay_alu instid0(VALU_DEP_2) | instskip(NEXT) | instid1(VALU_DEP_2)
	v_or_b32_e32 v19, 3, v16
	v_lshl_add_u32 v17, v15, 10, v10
	v_lshl_add_u32 v18, v15, 8, v10
	s_wait_kmcnt 0x0
	s_lshl_b64 s[2:3], s[10:11], 1
	s_lshl_b64 s[10:11], s[18:19], 1
	;; [unrolled: 1-line block ×3, first 2 shown]
	s_cmp_eq_f32 s38, 0
	s_add_nc_u64 s[18:19], s[8:9], s[2:3]
	v_mad_co_u64_u32 v[4:5], null, s20, v15, 0
	s_cselect_b32 s46, -1, 0
	s_cmp_neq_f32 s38, 0
	v_mad_co_u64_u32 v[6:7], null, s12, v19, 0
	s_add_nc_u64 s[24:25], s[24:25], s[4:5]
	s_cselect_b32 s1, -1, 0
	s_cmp_neq_f32 s39, 1.0
	s_mov_b32 s6, s36
	s_add_nc_u64 s[26:27], s[16:17], s[10:11]
	s_cselect_b32 s2, -1, 0
	s_lshl_b32 s8, ttmp9, 8
	s_ashr_i32 s7, s36, 31
	s_or_b32 s47, s1, s2
	v_or_b32_e32 v8, s8, v1
	s_cmp_neq_f32 s39, 0
	s_cselect_b32 s48, -1, 0
	s_ashr_i32 s2, s37, 31
	s_delay_alu instid0(VALU_DEP_1)
	v_add_nc_u32_e32 v11, 0x80, v8
	s_lshr_b32 s2, s2, 28
	v_ashrrev_i32_e32 v9, 31, v8
	s_add_co_i32 s3, s37, s2
	v_cmp_gt_i32_e64 s1, s36, v8
	s_and_b32 s49, s3, -16
	v_cmp_gt_i32_e64 s3, s36, v11
	v_mad_co_u64_u32 v[10:11], null, s21, v15, v[5:6]
	v_dual_mov_b32 v5, v7 :: v_dual_add_nc_u32 v12, 0xc0, v8
	s_sub_co_i32 s5, s37, s49
	v_or_b32_e32 v23, 2, v16
	s_cmp_gt_i32 s5, 0
	v_mad_co_u64_u32 v[29:30], null, s20, v16, s[20:21]
	v_mad_co_u64_u32 v[13:14], null, s13, v19, v[5:6]
	v_mov_b32_e32 v5, v10
	v_cmp_gt_i32_e64 s4, s36, v12
	v_mad_co_u64_u32 v[11:12], null, s20, v19, 0
	s_cselect_b32 s50, -1, 0
	v_lshlrev_b64_e32 v[4:5], 3, v[4:5]
	v_mov_b32_e32 v7, v13
	v_mad_co_u64_u32 v[27:28], null, s20, v23, 0
	v_mad_co_u64_u32 v[31:32], null, s12, v16, s[12:13]
	v_mov_b32_e32 v10, v12
	v_lshl_add_u32 v0, v15, 6, v1
	v_lshlrev_b64_e32 v[6:7], 1, v[6:7]
	v_cmp_gt_i32_e64 s5, s49, v16
	s_lshl_b64 s[40:41], s[14:15], 1
	v_mad_co_u64_u32 v[12:13], null, s21, v19, v[10:11]
	v_add_nc_u32_e32 v2, s8, v0
	v_cmp_gt_u32_e64 s0, 0x100, v0
	v_or_b32_e32 v20, s8, v0
	v_mad_co_u64_u32 v[13:14], null, s12, v15, 0
	s_delay_alu instid0(VALU_DEP_4)
	v_mad_co_u64_u32 v[0:1], null, s28, v2, 0
	v_cmp_gt_i64_e32 vcc_lo, s[6:7], v[2:3]
	v_add_nc_u32_e32 v3, 64, v8
	s_ashr_i32 s6, s8, 31
	v_mul_lo_u32 v21, s29, v20
	s_wait_alu 0xfffe
	s_mul_i32 s7, s28, s6
	v_cmp_gt_i32_e64 s6, s36, v20
	v_mad_co_u64_u32 v[1:2], null, s29, v2, v[1:2]
	v_cmp_gt_i32_e64 s2, s36, v3
	v_mad_co_u64_u32 v[2:3], null, s28, v20, 0
	s_and_b32 s36, s0, vcc_lo
	v_add_co_u32 v19, vcc_lo, s16, v4
	s_delay_alu instid0(VALU_DEP_1)
	v_add_co_ci_u32_e64 v20, null, s17, v5, vcc_lo
	v_lshlrev_b64_e32 v[4:5], 1, v[8:9]
	v_mad_co_u64_u32 v[9:10], null, s12, v23, 0
	v_mov_b32_e32 v8, v14
	s_wait_alu 0xfffe
	v_add3_u32 v3, v3, s7, v21
	v_add_co_u32 v21, vcc_lo, s18, v6
	s_wait_alu 0xfffd
	v_add_co_ci_u32_e64 v22, null, s19, v7, vcc_lo
	v_mad_co_u64_u32 v[14:15], null, s13, v15, v[8:9]
	v_lshlrev_b64_e32 v[7:8], 1, v[11:12]
	v_mov_b32_e32 v6, v10
	v_mov_b32_e32 v10, v28
	s_lshl_b64 s[28:29], s[22:23], 1
	s_lshl_b64 s[42:43], s[12:13], 5
	s_delay_alu instid0(VALU_DEP_2) | instskip(SKIP_1) | instid1(VALU_DEP_2)
	v_mad_co_u64_u32 v[11:12], null, s13, v23, v[6:7]
	v_mov_b32_e32 v6, v30
	v_mad_co_u64_u32 v[25:26], null, s21, v23, v[10:11]
	v_add_co_u32 v23, vcc_lo, s16, v7
	s_wait_alu 0xfffd
	v_add_co_ci_u32_e64 v24, null, s17, v8, vcc_lo
	v_lshlrev_b64_e32 v[7:8], 3, v[13:14]
	v_mov_b32_e32 v10, v11
	v_mov_b32_e32 v28, v25
	s_delay_alu instid0(VALU_DEP_3)
	v_add_co_u32 v25, vcc_lo, s18, v7
	v_mad_co_u64_u32 v[11:12], null, s21, v16, v[6:7]
	s_wait_alu 0xfffd
	v_add_co_ci_u32_e64 v26, null, s19, v8, vcc_lo
	v_lshlrev_b64_e32 v[7:8], 1, v[9:10]
	v_mov_b32_e32 v6, v32
	v_lshlrev_b64_e32 v[12:13], 1, v[27:28]
	v_mov_b32_e32 v30, v11
	s_delay_alu instid0(VALU_DEP_3) | instskip(SKIP_1) | instid1(VALU_DEP_3)
	v_mad_co_u64_u32 v[9:10], null, s13, v16, v[6:7]
	v_add_co_u32 v27, vcc_lo, s18, v7
	v_lshlrev_b64_e32 v[6:7], 1, v[29:30]
	s_wait_alu 0xfffd
	v_add_co_ci_u32_e64 v28, null, s19, v8, vcc_lo
	v_add_co_u32 v29, vcc_lo, s16, v12
	v_mov_b32_e32 v32, v9
	s_wait_alu 0xfffd
	v_add_co_ci_u32_e64 v30, null, s17, v13, vcc_lo
	s_delay_alu instid0(VALU_DEP_2) | instskip(SKIP_4) | instid1(VALU_DEP_4)
	v_lshlrev_b64_e32 v[8:9], 1, v[31:32]
	v_add_co_u32 v31, vcc_lo, s16, v6
	s_wait_alu 0xfffd
	v_add_co_ci_u32_e64 v32, null, s17, v7, vcc_lo
	v_lshlrev_b64_e32 v[6:7], 2, v[0:1]
	v_add_co_u32 v33, vcc_lo, s18, v8
	s_wait_alu 0xfffd
	v_add_co_ci_u32_e64 v34, null, s19, v9, vcc_lo
	s_lshl_b64 s[16:17], s[20:21], 5
	s_branch .LBB473_5
.LBB473_3:                              ;   in Loop: Header=BB473_5 Depth=1
	s_wait_alu 0xfffe
	s_or_b32 exec_lo, exec_lo, s7
.LBB473_4:                              ;   in Loop: Header=BB473_5 Depth=1
	s_add_co_i32 s34, s34, 0x10000
	s_delay_alu instid0(SALU_CYCLE_1)
	s_cmp_lt_u32 s34, s33
	s_cbranch_scc0 .LBB473_53
.LBB473_5:                              ; =>This Loop Header: Depth=1
                                        ;     Child Loop BB473_21 Depth 2
	s_and_not1_b32 vcc_lo, exec_lo, s47
	s_wait_alu 0xfffe
	s_cbranch_vccnz .LBB473_4
; %bb.6:                                ;   in Loop: Header=BB473_5 Depth=1
	s_mul_u64 s[8:9], s[30:31], s[34:35]
	s_and_not1_b32 vcc_lo, exec_lo, s46
	s_wait_alu 0xfffe
	s_lshl_b64 s[8:9], s[8:9], 2
	s_wait_alu 0xfffe
	s_add_nc_u64 s[44:45], s[24:25], s[8:9]
	s_cbranch_vccnz .LBB473_10
; %bb.7:                                ;   in Loop: Header=BB473_5 Depth=1
	s_mov_b32 s7, 0
	s_mov_b32 s51, 0
                                        ; implicit-def: $vgpr10
	s_and_saveexec_b32 s8, s36
	s_cbranch_execz .LBB473_11
; %bb.8:                                ;   in Loop: Header=BB473_5 Depth=1
	s_and_not1_b32 vcc_lo, exec_lo, s48
	s_wait_alu 0xfffe
	s_cbranch_vccnz .LBB473_13
; %bb.9:                                ;   in Loop: Header=BB473_5 Depth=1
	v_add_co_u32 v8, vcc_lo, s44, v6
	s_wait_alu 0xfffd
	v_add_co_ci_u32_e64 v9, null, s45, v7, vcc_lo
	global_load_b32 v8, v[8:9], off
	s_wait_loadcnt 0x0
	v_mul_f32_e32 v10, s39, v8
	s_branch .LBB473_14
.LBB473_10:                             ;   in Loop: Header=BB473_5 Depth=1
	s_mov_b32 s51, 0
                                        ; implicit-def: $vgpr10
	s_cbranch_execz .LBB473_12
	s_branch .LBB473_15
.LBB473_11:                             ;   in Loop: Header=BB473_5 Depth=1
	s_wait_alu 0xfffe
	s_or_b32 exec_lo, exec_lo, s8
	s_delay_alu instid0(SALU_CYCLE_1)
	s_and_b32 vcc_lo, exec_lo, s7
	s_wait_alu 0xfffe
	s_cbranch_vccnz .LBB473_15
.LBB473_12:                             ;   in Loop: Header=BB473_5 Depth=1
	v_dual_mov_b32 v9, v1 :: v_dual_mov_b32 v8, v0
	s_and_saveexec_b32 s7, s51
	s_cbranch_execz .LBB473_3
	s_branch .LBB473_52
.LBB473_13:                             ;   in Loop: Header=BB473_5 Depth=1
	v_mov_b32_e32 v10, 0
.LBB473_14:                             ;   in Loop: Header=BB473_5 Depth=1
	s_mov_b32 s51, exec_lo
	s_or_b32 exec_lo, exec_lo, s8
	s_delay_alu instid0(SALU_CYCLE_1)
	s_and_b32 vcc_lo, exec_lo, s7
	s_wait_alu 0xfffe
	s_cbranch_vccz .LBB473_12
.LBB473_15:                             ;   in Loop: Header=BB473_5 Depth=1
	v_dual_mov_b32 v35, 0 :: v_dual_mov_b32 v36, 0
	v_dual_mov_b32 v39, v16 :: v_dual_mov_b32 v38, 0
	v_mov_b32_e32 v37, 0
	s_and_saveexec_b32 s8, s5
	s_cbranch_execz .LBB473_27
; %bb.16:                               ;   in Loop: Header=BB473_5 Depth=1
	s_mul_u64 s[52:53], s[28:29], s[34:35]
	s_mul_u64 s[54:55], s[40:41], s[34:35]
	s_wait_alu 0xfffe
	v_add_co_u32 v40, vcc_lo, v19, s52
	s_wait_alu 0xfffd
	v_add_co_ci_u32_e64 v41, null, s53, v20, vcc_lo
	v_add_co_u32 v42, vcc_lo, v21, s54
	s_wait_alu 0xfffd
	v_add_co_ci_u32_e64 v43, null, s55, v22, vcc_lo
	;; [unrolled: 3-line block ×8, first 2 shown]
	v_dual_mov_b32 v35, 0 :: v_dual_mov_b32 v36, 0
	v_dual_mov_b32 v39, v16 :: v_dual_mov_b32 v38, 0
	v_mov_b32_e32 v37, 0
	s_mov_b32 s9, 0
	s_branch .LBB473_21
.LBB473_17:                             ;   in Loop: Header=BB473_21 Depth=2
	s_wait_alu 0xfffe
	s_or_b32 exec_lo, exec_lo, s54
	s_wait_loadcnt 0x3
	v_fma_mix_f32 v8, v68, v72, v37 op_sel_hi:[0,1,0]
	s_wait_loadcnt 0x2
	s_delay_alu instid0(VALU_DEP_1) | instskip(SKIP_1) | instid1(VALU_DEP_1)
	v_fma_mix_f32 v8, v69, v73, v8 op_sel_hi:[0,1,0]
	s_wait_loadcnt 0x1
	v_fma_mix_f32 v8, v70, v74, v8 op_sel_hi:[0,1,0]
	s_wait_loadcnt 0x0
	s_delay_alu instid0(VALU_DEP_1)
	v_fma_mix_f32 v37, v71, v75, v8 op_sel_hi:[0,1,0]
.LBB473_18:                             ;   in Loop: Header=BB473_21 Depth=2
	s_wait_alu 0xfffe
	s_or_b32 exec_lo, exec_lo, s53
	s_wait_loadcnt 0x3
	v_fma_mix_f32 v8, v68, v64, v36 op_sel_hi:[0,1,0]
	s_wait_loadcnt 0x2
	s_delay_alu instid0(VALU_DEP_1) | instskip(SKIP_1) | instid1(VALU_DEP_1)
	v_fma_mix_f32 v8, v69, v65, v8 op_sel_hi:[0,1,0]
	s_wait_loadcnt 0x1
	v_fma_mix_f32 v8, v70, v66, v8 op_sel_hi:[0,1,0]
	s_wait_loadcnt 0x0
	s_delay_alu instid0(VALU_DEP_1)
	v_fma_mix_f32 v36, v71, v67, v8 op_sel_hi:[0,1,0]
.LBB473_19:                             ;   in Loop: Header=BB473_21 Depth=2
	s_wait_alu 0xfffe
	s_or_b32 exec_lo, exec_lo, s52
	s_wait_loadcnt 0x3
	v_fma_mix_f32 v8, v56, v60, v35 op_sel_hi:[1,1,0]
	s_wait_loadcnt 0x2
	s_delay_alu instid0(VALU_DEP_1) | instskip(SKIP_1) | instid1(VALU_DEP_1)
	v_fma_mix_f32 v8, v57, v61, v8 op_sel_hi:[1,1,0]
	s_wait_loadcnt 0x1
	v_fma_mix_f32 v8, v58, v62, v8 op_sel_hi:[1,1,0]
	s_wait_loadcnt 0x0
	s_delay_alu instid0(VALU_DEP_1)
	v_fma_mix_f32 v35, v59, v63, v8 op_sel_hi:[1,1,0]
.LBB473_20:                             ;   in Loop: Header=BB473_21 Depth=2
	s_wait_alu 0xfffe
	s_or_b32 exec_lo, exec_lo, s7
	v_add_co_u32 v40, vcc_lo, v40, s16
	s_wait_alu 0xfffd
	v_add_co_ci_u32_e64 v41, null, s17, v41, vcc_lo
	v_add_co_u32 v42, vcc_lo, v42, s42
	s_wait_alu 0xfffd
	v_add_co_ci_u32_e64 v43, null, s43, v43, vcc_lo
	;; [unrolled: 3-line block ×4, first 2 shown]
	v_add_co_u32 v48, vcc_lo, v48, s42
	v_add_nc_u32_e32 v39, 16, v39
	s_wait_alu 0xfffd
	v_add_co_ci_u32_e64 v49, null, s43, v49, vcc_lo
	v_add_co_u32 v50, vcc_lo, v50, s16
	s_wait_alu 0xfffd
	v_add_co_ci_u32_e64 v51, null, s17, v51, vcc_lo
	v_add_co_u32 v52, vcc_lo, v52, s16
	s_wait_alu 0xfffd
	v_add_co_ci_u32_e64 v53, null, s17, v53, vcc_lo
	v_cmp_le_i32_e32 vcc_lo, s49, v39
	v_add_co_u32 v54, s7, v54, s42
	s_wait_alu 0xf1ff
	v_add_co_ci_u32_e64 v55, null, s43, v55, s7
	s_or_b32 s9, vcc_lo, s9
	s_wait_alu 0xfffe
	s_and_not1_b32 exec_lo, exec_lo, s9
	s_cbranch_execz .LBB473_26
.LBB473_21:                             ;   Parent Loop BB473_5 Depth=1
                                        ; =>  This Inner Loop Header: Depth=2
	s_and_saveexec_b32 s7, s1
	s_cbranch_execz .LBB473_20
; %bb.22:                               ;   in Loop: Header=BB473_21 Depth=2
	v_add_co_u32 v8, vcc_lo, v40, s10
	s_wait_alu 0xfffd
	v_add_co_ci_u32_e64 v9, null, s11, v41, vcc_lo
	v_add_co_u32 v10, vcc_lo, v52, s10
	s_wait_alu 0xfffd
	v_add_co_ci_u32_e64 v11, null, s11, v53, vcc_lo
	;; [unrolled: 3-line block ×3, first 2 shown]
	v_add_co_u32 v59, vcc_lo, v44, s10
	global_load_u16 v56, v[8:9], off
	global_load_u16 v57, v[10:11], off
	;; [unrolled: 1-line block ×3, first 2 shown]
	s_wait_alu 0xfffd
	v_add_co_ci_u32_e64 v60, null, s11, v45, vcc_lo
	v_add_co_u32 v8, vcc_lo, v46, v4
	s_wait_alu 0xfffd
	v_add_co_ci_u32_e64 v9, null, v47, v5, vcc_lo
	v_add_co_u32 v10, vcc_lo, v54, v4
	s_wait_alu 0xfffd
	v_add_co_ci_u32_e64 v11, null, v55, v5, vcc_lo
	v_add_co_u32 v12, vcc_lo, v48, v4
	s_wait_alu 0xfffd
	v_add_co_ci_u32_e64 v13, null, v49, v5, vcc_lo
	v_add_co_u32 v14, vcc_lo, v42, v4
	s_wait_alu 0xfffd
	v_add_co_ci_u32_e64 v15, null, v43, v5, vcc_lo
	global_load_u16 v59, v[59:60], off
	global_load_u16 v60, v[8:9], off
	;; [unrolled: 1-line block ×5, first 2 shown]
	s_and_saveexec_b32 s52, s2
	s_cbranch_execz .LBB473_19
; %bb.23:                               ;   in Loop: Header=BB473_21 Depth=2
	global_load_u16 v64, v[8:9], off offset:128
	global_load_u16 v65, v[10:11], off offset:128
	;; [unrolled: 1-line block ×4, first 2 shown]
	s_wait_loadcnt 0xb
	v_cvt_f32_f16_e32 v68, v56
	s_wait_loadcnt 0xa
	v_cvt_f32_f16_e32 v69, v57
	;; [unrolled: 2-line block ×4, first 2 shown]
	s_and_saveexec_b32 s53, s3
	s_cbranch_execz .LBB473_18
; %bb.24:                               ;   in Loop: Header=BB473_21 Depth=2
	global_load_u16 v72, v[8:9], off offset:256
	global_load_u16 v73, v[10:11], off offset:256
	;; [unrolled: 1-line block ×4, first 2 shown]
	s_and_saveexec_b32 s54, s4
	s_cbranch_execz .LBB473_17
; %bb.25:                               ;   in Loop: Header=BB473_21 Depth=2
	global_load_u16 v8, v[8:9], off offset:384
	global_load_u16 v9, v[10:11], off offset:384
	global_load_u16 v10, v[12:13], off offset:384
	global_load_u16 v11, v[14:15], off offset:384
	s_wait_loadcnt 0x3
	v_fma_mix_f32 v8, v68, v8, v38 op_sel_hi:[0,1,0]
	s_wait_loadcnt 0x2
	s_delay_alu instid0(VALU_DEP_1) | instskip(SKIP_1) | instid1(VALU_DEP_1)
	v_fma_mix_f32 v8, v69, v9, v8 op_sel_hi:[0,1,0]
	s_wait_loadcnt 0x1
	v_fma_mix_f32 v8, v70, v10, v8 op_sel_hi:[0,1,0]
	s_wait_loadcnt 0x0
	s_delay_alu instid0(VALU_DEP_1)
	v_fma_mix_f32 v38, v71, v11, v8 op_sel_hi:[0,1,0]
	s_branch .LBB473_17
.LBB473_26:                             ;   in Loop: Header=BB473_5 Depth=1
	s_or_b32 exec_lo, exec_lo, s9
.LBB473_27:                             ;   in Loop: Header=BB473_5 Depth=1
	s_wait_alu 0xfffe
	s_or_b32 exec_lo, exec_lo, s8
	s_delay_alu instid0(SALU_CYCLE_1)
	s_and_not1_b32 vcc_lo, exec_lo, s50
	s_wait_alu 0xfffe
	s_cbranch_vccnz .LBB473_45
; %bb.28:                               ;   in Loop: Header=BB473_5 Depth=1
	v_cmp_gt_i32_e32 vcc_lo, s37, v39
	v_dual_mov_b32 v40, 0 :: v_dual_mov_b32 v41, 0
	v_or_b32_e32 v8, 1, v39
	v_dual_mov_b32 v42, 0 :: v_dual_mov_b32 v43, 0
	s_and_saveexec_b32 s52, vcc_lo
	s_cbranch_execz .LBB473_36
; %bb.29:                               ;   in Loop: Header=BB473_5 Depth=1
	v_mad_co_u64_u32 v[9:10], null, s20, v39, 0
	s_mul_u64 s[8:9], s[22:23], s[34:35]
	v_dual_mov_b32 v42, 0 :: v_dual_mov_b32 v41, 0
	s_wait_alu 0xfffe
	s_lshl_b64 s[8:9], s[8:9], 1
	v_mov_b32_e32 v40, 0
	s_wait_alu 0xfffe
	s_add_nc_u64 s[8:9], s[26:27], s[8:9]
	v_mad_co_u64_u32 v[10:11], null, s21, v39, v[10:11]
	s_mov_b32 s53, exec_lo
	v_lshlrev_b64_e32 v[9:10], 1, v[9:10]
	s_wait_alu 0xfffe
	s_delay_alu instid0(VALU_DEP_1) | instskip(SKIP_1) | instid1(VALU_DEP_2)
	v_add_co_u32 v9, s7, s8, v9
	s_wait_alu 0xf1ff
	v_add_co_ci_u32_e64 v10, null, s9, v10, s7
	global_load_u16 v9, v[9:10], off
	v_cmpx_gt_i32_e64 s37, v8
	s_cbranch_execz .LBB473_35
; %bb.30:                               ;   in Loop: Header=BB473_5 Depth=1
	v_mad_co_u64_u32 v[10:11], null, s20, v8, 0
	v_dual_mov_b32 v41, 0 :: v_dual_mov_b32 v40, 0
	s_mov_b32 s54, exec_lo
	s_delay_alu instid0(VALU_DEP_2) | instskip(NEXT) | instid1(VALU_DEP_1)
	v_mad_co_u64_u32 v[11:12], null, s21, v8, v[11:12]
	v_lshlrev_b64_e32 v[10:11], 1, v[10:11]
	s_delay_alu instid0(VALU_DEP_1) | instskip(SKIP_1) | instid1(VALU_DEP_2)
	v_add_co_u32 v10, s7, s8, v10
	s_wait_alu 0xf1ff
	v_add_co_ci_u32_e64 v11, null, s9, v11, s7
	global_load_u16 v10, v[10:11], off
	v_or_b32_e32 v11, 2, v39
	s_delay_alu instid0(VALU_DEP_1)
	v_cmpx_gt_i32_e64 s37, v11
	s_cbranch_execz .LBB473_34
; %bb.31:                               ;   in Loop: Header=BB473_5 Depth=1
	v_mad_co_u64_u32 v[12:13], null, s20, v11, 0
	v_mov_b32_e32 v40, 0
	s_mov_b32 s55, exec_lo
	s_delay_alu instid0(VALU_DEP_2) | instskip(NEXT) | instid1(VALU_DEP_1)
	v_mad_co_u64_u32 v[13:14], null, s21, v11, v[13:14]
	v_lshlrev_b64_e32 v[11:12], 1, v[12:13]
	s_delay_alu instid0(VALU_DEP_1) | instskip(SKIP_1) | instid1(VALU_DEP_2)
	v_add_co_u32 v11, s7, s8, v11
	s_wait_alu 0xf1ff
	v_add_co_ci_u32_e64 v12, null, s9, v12, s7
	global_load_u16 v11, v[11:12], off
	v_or_b32_e32 v12, 3, v39
	s_delay_alu instid0(VALU_DEP_1)
	v_cmpx_gt_i32_e64 s37, v12
	s_cbranch_execz .LBB473_33
; %bb.32:                               ;   in Loop: Header=BB473_5 Depth=1
	v_mad_co_u64_u32 v[13:14], null, s20, v12, 0
	s_delay_alu instid0(VALU_DEP_1) | instskip(NEXT) | instid1(VALU_DEP_1)
	v_mad_co_u64_u32 v[14:15], null, s21, v12, v[14:15]
	v_lshlrev_b64_e32 v[12:13], 1, v[13:14]
	s_delay_alu instid0(VALU_DEP_1) | instskip(SKIP_1) | instid1(VALU_DEP_2)
	v_add_co_u32 v12, s7, s8, v12
	s_wait_alu 0xf1ff
	v_add_co_ci_u32_e64 v13, null, s9, v13, s7
	global_load_u16 v12, v[12:13], off
	s_wait_loadcnt 0x0
	v_cvt_f32_f16_e32 v40, v12
.LBB473_33:                             ;   in Loop: Header=BB473_5 Depth=1
	s_wait_alu 0xfffe
	s_or_b32 exec_lo, exec_lo, s55
	s_wait_loadcnt 0x0
	v_cvt_f32_f16_e32 v41, v11
.LBB473_34:                             ;   in Loop: Header=BB473_5 Depth=1
	s_wait_alu 0xfffe
	s_or_b32 exec_lo, exec_lo, s54
	s_wait_loadcnt 0x0
	v_cvt_f32_f16_e32 v42, v10
.LBB473_35:                             ;   in Loop: Header=BB473_5 Depth=1
	s_or_b32 exec_lo, exec_lo, s53
	s_wait_loadcnt 0x0
	v_cvt_f32_f16_e32 v43, v9
.LBB473_36:                             ;   in Loop: Header=BB473_5 Depth=1
	s_wait_alu 0xfffe
	s_or_b32 exec_lo, exec_lo, s52
	s_and_saveexec_b32 s9, s1
	s_cbranch_execz .LBB473_44
; %bb.37:                               ;   in Loop: Header=BB473_5 Depth=1
	v_mad_co_u64_u32 v[9:10], null, s12, v39, 0
	v_mad_co_u64_u32 v[11:12], null, s12, v8, 0
	v_or_b32_e32 v48, 2, v39
	v_or_b32_e32 v49, 3, v39
	s_mul_u64 s[52:53], s[14:15], s[34:35]
	s_wait_alu 0xfffe
	s_lshl_b64 s[52:53], s[52:53], 1
	v_cmp_gt_i32_e64 s7, s37, v48
	s_delay_alu instid0(VALU_DEP_4) | instskip(SKIP_4) | instid1(VALU_DEP_2)
	v_mad_co_u64_u32 v[13:14], null, s13, v39, v[10:11]
	v_mad_co_u64_u32 v[14:15], null, s12, v48, 0
	;; [unrolled: 1-line block ×3, first 2 shown]
	s_wait_alu 0xfffe
	s_add_nc_u64 s[52:53], s[18:19], s[52:53]
	v_dual_cndmask_b32 v10, 0, v13 :: v_dual_mov_b32 v13, v15
	s_delay_alu instid0(VALU_DEP_2) | instskip(NEXT) | instid1(VALU_DEP_2)
	v_mov_b32_e32 v15, v45
	v_mad_co_u64_u32 v[46:47], null, s13, v8, v[12:13]
	v_cndmask_b32_e32 v9, 0, v9, vcc_lo
	v_cmp_gt_i32_e32 vcc_lo, s37, v8
	s_wait_alu 0xfffd
	s_delay_alu instid0(VALU_DEP_3) | instskip(NEXT) | instid1(VALU_DEP_3)
	v_dual_cndmask_b32 v11, 0, v11 :: v_dual_cndmask_b32 v12, 0, v46
	v_lshlrev_b64_e32 v[9:10], 1, v[9:10]
	s_wait_alu 0xfffe
	s_delay_alu instid0(VALU_DEP_1) | instskip(SKIP_1) | instid1(VALU_DEP_2)
	v_add_co_u32 v8, s8, s52, v9
	s_wait_alu 0xf1ff
	v_add_co_ci_u32_e64 v9, null, s53, v10, s8
	v_lshlrev_b64_e32 v[10:11], 1, v[11:12]
	s_delay_alu instid0(VALU_DEP_3) | instskip(SKIP_1) | instid1(VALU_DEP_3)
	v_add_co_u32 v8, vcc_lo, v8, v4
	s_wait_alu 0xfffd
	v_add_co_ci_u32_e64 v9, null, v9, v5, vcc_lo
	v_cmp_gt_i32_e32 vcc_lo, s37, v49
	v_cndmask_b32_e64 v12, 0, v14, s7
	s_wait_alu 0xfffd
	v_cndmask_b32_e32 v44, 0, v44, vcc_lo
	v_mad_co_u64_u32 v[47:48], null, s13, v48, v[13:14]
	v_mad_co_u64_u32 v[14:15], null, s13, v49, v[15:16]
	s_delay_alu instid0(VALU_DEP_2) | instskip(SKIP_1) | instid1(VALU_DEP_3)
	v_cndmask_b32_e64 v13, 0, v47, s7
	v_add_co_u32 v10, s7, s52, v10
	v_cndmask_b32_e32 v45, 0, v14, vcc_lo
	s_wait_alu 0xf1ff
	v_add_co_ci_u32_e64 v11, null, s53, v11, s7
	v_lshlrev_b64_e32 v[12:13], 1, v[12:13]
	v_add_co_u32 v10, vcc_lo, v10, v4
	v_lshlrev_b64_e32 v[14:15], 1, v[44:45]
	s_wait_alu 0xfffd
	v_add_co_ci_u32_e64 v11, null, v11, v5, vcc_lo
	s_delay_alu instid0(VALU_DEP_4)
	v_add_co_u32 v12, vcc_lo, s52, v12
	s_wait_alu 0xfffd
	v_add_co_ci_u32_e64 v13, null, s53, v13, vcc_lo
	v_add_co_u32 v14, vcc_lo, s52, v14
	s_wait_alu 0xfffd
	v_add_co_ci_u32_e64 v15, null, s53, v15, vcc_lo
	;; [unrolled: 3-line block ×4, first 2 shown]
	s_clause 0x3
	global_load_u16 v39, v[8:9], off
	global_load_u16 v44, v[10:11], off
	;; [unrolled: 1-line block ×4, first 2 shown]
	s_and_saveexec_b32 s7, s2
	s_cbranch_execz .LBB473_43
; %bb.38:                               ;   in Loop: Header=BB473_5 Depth=1
	s_clause 0x3
	global_load_u16 v47, v[8:9], off offset:128
	global_load_u16 v48, v[10:11], off offset:128
	global_load_u16 v49, v[12:13], off offset:128
	global_load_u16 v50, v[14:15], off offset:128
	s_and_saveexec_b32 s8, s3
	s_cbranch_execz .LBB473_42
; %bb.39:                               ;   in Loop: Header=BB473_5 Depth=1
	s_clause 0x3
	global_load_u16 v51, v[8:9], off offset:256
	global_load_u16 v52, v[10:11], off offset:256
	global_load_u16 v53, v[12:13], off offset:256
	global_load_u16 v54, v[14:15], off offset:256
	;; [unrolled: 8-line block ×3, first 2 shown]
	s_wait_loadcnt 0x3
	v_fma_mix_f32 v8, v43, v8, v38 op_sel_hi:[0,1,0]
	s_wait_loadcnt 0x2
	s_delay_alu instid0(VALU_DEP_1) | instskip(SKIP_1) | instid1(VALU_DEP_1)
	v_fma_mix_f32 v8, v42, v9, v8 op_sel_hi:[0,1,0]
	s_wait_loadcnt 0x1
	v_fma_mix_f32 v8, v41, v10, v8 op_sel_hi:[0,1,0]
	s_wait_loadcnt 0x0
	s_delay_alu instid0(VALU_DEP_1)
	v_fma_mix_f32 v38, v40, v11, v8 op_sel_hi:[0,1,0]
.LBB473_41:                             ;   in Loop: Header=BB473_5 Depth=1
	s_wait_alu 0xfffe
	s_or_b32 exec_lo, exec_lo, s52
	s_wait_loadcnt 0x3
	v_fma_mix_f32 v8, v43, v51, v37 op_sel_hi:[0,1,0]
	s_wait_loadcnt 0x2
	s_delay_alu instid0(VALU_DEP_1) | instskip(SKIP_1) | instid1(VALU_DEP_1)
	v_fma_mix_f32 v8, v42, v52, v8 op_sel_hi:[0,1,0]
	s_wait_loadcnt 0x1
	v_fma_mix_f32 v8, v41, v53, v8 op_sel_hi:[0,1,0]
	s_wait_loadcnt 0x0
	s_delay_alu instid0(VALU_DEP_1)
	v_fma_mix_f32 v37, v40, v54, v8 op_sel_hi:[0,1,0]
.LBB473_42:                             ;   in Loop: Header=BB473_5 Depth=1
	s_wait_alu 0xfffe
	s_or_b32 exec_lo, exec_lo, s8
	s_wait_loadcnt 0x3
	v_fma_mix_f32 v8, v43, v47, v36 op_sel_hi:[0,1,0]
	s_wait_loadcnt 0x2
	s_delay_alu instid0(VALU_DEP_1) | instskip(SKIP_1) | instid1(VALU_DEP_1)
	v_fma_mix_f32 v8, v42, v48, v8 op_sel_hi:[0,1,0]
	s_wait_loadcnt 0x1
	v_fma_mix_f32 v8, v41, v49, v8 op_sel_hi:[0,1,0]
	s_wait_loadcnt 0x0
	s_delay_alu instid0(VALU_DEP_1)
	v_fma_mix_f32 v36, v40, v50, v8 op_sel_hi:[0,1,0]
.LBB473_43:                             ;   in Loop: Header=BB473_5 Depth=1
	s_wait_alu 0xfffe
	s_or_b32 exec_lo, exec_lo, s7
	s_wait_loadcnt 0x3
	v_fma_mix_f32 v8, v43, v39, v35 op_sel_hi:[0,1,0]
	s_wait_loadcnt 0x2
	s_delay_alu instid0(VALU_DEP_1) | instskip(SKIP_1) | instid1(VALU_DEP_1)
	v_fma_mix_f32 v8, v42, v44, v8 op_sel_hi:[0,1,0]
	s_wait_loadcnt 0x1
	v_fma_mix_f32 v8, v41, v45, v8 op_sel_hi:[0,1,0]
	s_wait_loadcnt 0x0
	s_delay_alu instid0(VALU_DEP_1)
	v_fma_mix_f32 v35, v40, v46, v8 op_sel_hi:[0,1,0]
.LBB473_44:                             ;   in Loop: Header=BB473_5 Depth=1
	s_wait_alu 0xfffe
	s_or_b32 exec_lo, exec_lo, s9
.LBB473_45:                             ;   in Loop: Header=BB473_5 Depth=1
	ds_store_2addr_stride64_b32 v17, v35, v36 offset1:1
	ds_store_2addr_stride64_b32 v17, v37, v38 offset0:2 offset1:3
	s_wait_dscnt 0x0
	s_barrier_signal -1
	s_barrier_wait -1
	global_inv scope:SCOPE_SE
                                        ; implicit-def: $vgpr10
	s_and_saveexec_b32 s7, s0
	s_cbranch_execz .LBB473_51
; %bb.46:                               ;   in Loop: Header=BB473_5 Depth=1
	ds_load_2addr_stride64_b32 v[8:9], v18 offset1:4
	ds_load_2addr_stride64_b32 v[10:11], v18 offset0:8 offset1:12
	s_mov_b32 s9, s51
	s_wait_dscnt 0x1
	v_add_f32_e32 v8, v8, v9
	s_wait_dscnt 0x0
	s_delay_alu instid0(VALU_DEP_1) | instskip(NEXT) | instid1(VALU_DEP_1)
	v_add_f32_e32 v8, v10, v8
                                        ; implicit-def: $vgpr10
	v_add_f32_e32 v8, v11, v8
	ds_store_b32 v18, v8
	s_and_saveexec_b32 s8, s6
	s_cbranch_execz .LBB473_50
; %bb.47:                               ;   in Loop: Header=BB473_5 Depth=1
	v_mul_f32_e32 v10, s38, v8
	s_and_not1_b32 vcc_lo, exec_lo, s48
	s_wait_alu 0xfffe
	s_cbranch_vccnz .LBB473_49
; %bb.48:                               ;   in Loop: Header=BB473_5 Depth=1
	v_lshlrev_b64_e32 v[8:9], 2, v[2:3]
	s_delay_alu instid0(VALU_DEP_1) | instskip(SKIP_1) | instid1(VALU_DEP_2)
	v_add_co_u32 v8, vcc_lo, s44, v8
	s_wait_alu 0xfffd
	v_add_co_ci_u32_e64 v9, null, s45, v9, vcc_lo
	global_load_b32 v8, v[8:9], off
	s_wait_loadcnt 0x0
	v_fmac_f32_e32 v10, s39, v8
.LBB473_49:                             ;   in Loop: Header=BB473_5 Depth=1
	s_or_b32 s9, s51, exec_lo
.LBB473_50:                             ;   in Loop: Header=BB473_5 Depth=1
	s_wait_alu 0xfffe
	s_or_b32 exec_lo, exec_lo, s8
	s_delay_alu instid0(SALU_CYCLE_1)
	s_and_not1_b32 s8, s51, exec_lo
	s_and_b32 s9, s9, exec_lo
	s_wait_alu 0xfffe
	s_or_b32 s51, s8, s9
.LBB473_51:                             ;   in Loop: Header=BB473_5 Depth=1
	s_wait_alu 0xfffe
	s_or_b32 exec_lo, exec_lo, s7
	v_dual_mov_b32 v9, v3 :: v_dual_mov_b32 v8, v2
	s_and_saveexec_b32 s7, s51
	s_cbranch_execz .LBB473_3
.LBB473_52:                             ;   in Loop: Header=BB473_5 Depth=1
	s_delay_alu instid0(VALU_DEP_1) | instskip(SKIP_1) | instid1(VALU_DEP_1)
	v_lshlrev_b64_e32 v[8:9], 2, v[8:9]
	s_wait_alu 0xfffe
	v_add_co_u32 v8, vcc_lo, s44, v8
	s_wait_alu 0xfffd
	s_delay_alu instid0(VALU_DEP_2)
	v_add_co_ci_u32_e64 v9, null, s45, v9, vcc_lo
	global_store_b32 v[8:9], v10, off
	s_branch .LBB473_3
.LBB473_53:
	s_endpgm
	.section	.rodata,"a",@progbits
	.p2align	6, 0x0
	.amdhsa_kernel _ZL20rocblas_gemvn_kernelILi64ELi4ElDF16_ffEviiT3_lPKT2_lT1_lS3_lS4_lS0_lPT4_lS4_li
		.amdhsa_group_segment_fixed_size 4096
		.amdhsa_private_segment_fixed_size 0
		.amdhsa_kernarg_size 400
		.amdhsa_user_sgpr_count 2
		.amdhsa_user_sgpr_dispatch_ptr 0
		.amdhsa_user_sgpr_queue_ptr 0
		.amdhsa_user_sgpr_kernarg_segment_ptr 1
		.amdhsa_user_sgpr_dispatch_id 0
		.amdhsa_user_sgpr_private_segment_size 0
		.amdhsa_wavefront_size32 1
		.amdhsa_uses_dynamic_stack 0
		.amdhsa_enable_private_segment 0
		.amdhsa_system_sgpr_workgroup_id_x 1
		.amdhsa_system_sgpr_workgroup_id_y 0
		.amdhsa_system_sgpr_workgroup_id_z 1
		.amdhsa_system_sgpr_workgroup_info 0
		.amdhsa_system_vgpr_workitem_id 1
		.amdhsa_next_free_vgpr 76
		.amdhsa_next_free_sgpr 56
		.amdhsa_reserve_vcc 1
		.amdhsa_float_round_mode_32 0
		.amdhsa_float_round_mode_16_64 0
		.amdhsa_float_denorm_mode_32 3
		.amdhsa_float_denorm_mode_16_64 3
		.amdhsa_fp16_overflow 0
		.amdhsa_workgroup_processor_mode 1
		.amdhsa_memory_ordered 1
		.amdhsa_forward_progress 1
		.amdhsa_inst_pref_size 31
		.amdhsa_round_robin_scheduling 0
		.amdhsa_exception_fp_ieee_invalid_op 0
		.amdhsa_exception_fp_denorm_src 0
		.amdhsa_exception_fp_ieee_div_zero 0
		.amdhsa_exception_fp_ieee_overflow 0
		.amdhsa_exception_fp_ieee_underflow 0
		.amdhsa_exception_fp_ieee_inexact 0
		.amdhsa_exception_int_div_zero 0
	.end_amdhsa_kernel
	.section	.text._ZL20rocblas_gemvn_kernelILi64ELi4ElDF16_ffEviiT3_lPKT2_lT1_lS3_lS4_lS0_lPT4_lS4_li,"axG",@progbits,_ZL20rocblas_gemvn_kernelILi64ELi4ElDF16_ffEviiT3_lPKT2_lT1_lS3_lS4_lS0_lPT4_lS4_li,comdat
.Lfunc_end473:
	.size	_ZL20rocblas_gemvn_kernelILi64ELi4ElDF16_ffEviiT3_lPKT2_lT1_lS3_lS4_lS0_lPT4_lS4_li, .Lfunc_end473-_ZL20rocblas_gemvn_kernelILi64ELi4ElDF16_ffEviiT3_lPKT2_lT1_lS3_lS4_lS0_lPT4_lS4_li
                                        ; -- End function
	.set _ZL20rocblas_gemvn_kernelILi64ELi4ElDF16_ffEviiT3_lPKT2_lT1_lS3_lS4_lS0_lPT4_lS4_li.num_vgpr, 76
	.set _ZL20rocblas_gemvn_kernelILi64ELi4ElDF16_ffEviiT3_lPKT2_lT1_lS3_lS4_lS0_lPT4_lS4_li.num_agpr, 0
	.set _ZL20rocblas_gemvn_kernelILi64ELi4ElDF16_ffEviiT3_lPKT2_lT1_lS3_lS4_lS0_lPT4_lS4_li.numbered_sgpr, 56
	.set _ZL20rocblas_gemvn_kernelILi64ELi4ElDF16_ffEviiT3_lPKT2_lT1_lS3_lS4_lS0_lPT4_lS4_li.num_named_barrier, 0
	.set _ZL20rocblas_gemvn_kernelILi64ELi4ElDF16_ffEviiT3_lPKT2_lT1_lS3_lS4_lS0_lPT4_lS4_li.private_seg_size, 0
	.set _ZL20rocblas_gemvn_kernelILi64ELi4ElDF16_ffEviiT3_lPKT2_lT1_lS3_lS4_lS0_lPT4_lS4_li.uses_vcc, 1
	.set _ZL20rocblas_gemvn_kernelILi64ELi4ElDF16_ffEviiT3_lPKT2_lT1_lS3_lS4_lS0_lPT4_lS4_li.uses_flat_scratch, 0
	.set _ZL20rocblas_gemvn_kernelILi64ELi4ElDF16_ffEviiT3_lPKT2_lT1_lS3_lS4_lS0_lPT4_lS4_li.has_dyn_sized_stack, 0
	.set _ZL20rocblas_gemvn_kernelILi64ELi4ElDF16_ffEviiT3_lPKT2_lT1_lS3_lS4_lS0_lPT4_lS4_li.has_recursion, 0
	.set _ZL20rocblas_gemvn_kernelILi64ELi4ElDF16_ffEviiT3_lPKT2_lT1_lS3_lS4_lS0_lPT4_lS4_li.has_indirect_call, 0
	.section	.AMDGPU.csdata,"",@progbits
; Kernel info:
; codeLenInByte = 3856
; TotalNumSgprs: 58
; NumVgprs: 76
; ScratchSize: 0
; MemoryBound: 0
; FloatMode: 240
; IeeeMode: 1
; LDSByteSize: 4096 bytes/workgroup (compile time only)
; SGPRBlocks: 0
; VGPRBlocks: 9
; NumSGPRsForWavesPerEU: 58
; NumVGPRsForWavesPerEU: 76
; Occupancy: 16
; WaveLimiterHint : 1
; COMPUTE_PGM_RSRC2:SCRATCH_EN: 0
; COMPUTE_PGM_RSRC2:USER_SGPR: 2
; COMPUTE_PGM_RSRC2:TRAP_HANDLER: 0
; COMPUTE_PGM_RSRC2:TGID_X_EN: 1
; COMPUTE_PGM_RSRC2:TGID_Y_EN: 0
; COMPUTE_PGM_RSRC2:TGID_Z_EN: 1
; COMPUTE_PGM_RSRC2:TIDIG_COMP_CNT: 1
	.section	.text._ZL20rocblas_gemvn_kernelILi32ELi16EiDF16_PKffEviiT3_lPKT2_lT1_lS5_lS6_lS2_lPT4_lS6_li,"axG",@progbits,_ZL20rocblas_gemvn_kernelILi32ELi16EiDF16_PKffEviiT3_lPKT2_lT1_lS5_lS6_lS2_lPT4_lS6_li,comdat
	.globl	_ZL20rocblas_gemvn_kernelILi32ELi16EiDF16_PKffEviiT3_lPKT2_lT1_lS5_lS6_lS2_lPT4_lS6_li ; -- Begin function _ZL20rocblas_gemvn_kernelILi32ELi16EiDF16_PKffEviiT3_lPKT2_lT1_lS5_lS6_lS2_lPT4_lS6_li
	.p2align	8
	.type	_ZL20rocblas_gemvn_kernelILi32ELi16EiDF16_PKffEviiT3_lPKT2_lT1_lS5_lS6_lS2_lPT4_lS6_li,@function
_ZL20rocblas_gemvn_kernelILi32ELi16EiDF16_PKffEviiT3_lPKT2_lT1_lS5_lS6_lS2_lPT4_lS6_li: ; @_ZL20rocblas_gemvn_kernelILi32ELi16EiDF16_PKffEviiT3_lPKT2_lT1_lS5_lS6_lS2_lPT4_lS6_li
; %bb.0:
	s_load_b64 s[2:3], s[0:1], 0x9c
	s_wait_kmcnt 0x0
	s_lshr_b32 s4, s2, 16
	s_and_b32 s2, s2, 0xffff
	s_and_b32 s3, s3, 0xffff
	s_mul_i32 s2, s4, s2
	s_delay_alu instid0(SALU_CYCLE_1) | instskip(NEXT) | instid1(SALU_CYCLE_1)
	s_mul_i32 s2, s2, s3
	s_cmp_lg_u32 s2, 0x200
	s_cbranch_scc1 .LBB474_53
; %bb.1:
	s_load_b32 s31, s[0:1], 0x88
	s_lshr_b32 s34, ttmp7, 16
	s_wait_kmcnt 0x0
	s_cmp_ge_u32 s34, s31
	s_cbranch_scc1 .LBB474_53
; %bb.2:
	s_clause 0x3
	s_load_b96 s[4:6], s[0:1], 0x70
	s_load_b256 s[8:15], s[0:1], 0x8
	s_load_b96 s[28:30], s[0:1], 0x40
	s_load_b64 s[36:37], s[0:1], 0x0
	v_and_b32_e32 v9, 0x3ff, v0
	v_bfe_u32 v8, v0, 10, 10
	s_clause 0x2
	s_load_b32 s33, s[0:1], 0x28
	s_load_b128 s[24:27], s[0:1], 0x30
	s_load_b256 s[16:23], s[0:1], 0x50
	s_lshl_b32 s42, ttmp9, 7
	v_mov_b32_e32 v1, 0
	v_add_nc_u32_e32 v21, s42, v9
	v_lshl_add_u32 v5, v8, 5, v9
	v_lshlrev_b32_e32 v22, 2, v8
	s_load_b64 s[38:39], s[0:1], 0x80
	s_mov_b32 s35, 0
	v_add_nc_u32_e32 v7, 64, v21
	v_add_nc_u32_e32 v0, s42, v5
	v_or_b32_e32 v11, s42, v5
	v_add_nc_u32_e32 v6, 32, v21
	v_add_nc_u32_e32 v10, 0x60, v21
	v_or_b32_e32 v12, 3, v22
	s_wait_kmcnt 0x0
	v_mad_co_u64_u32 v[2:3], null, s6, v0, 0
	s_ashr_i32 s1, s6, 31
	s_lshl_b64 s[2:3], s[14:15], 1
	s_ashr_i32 s7, s37, 31
	s_add_nc_u64 s[12:13], s[12:13], s[2:3]
	s_wait_alu 0xfffe
	s_lshr_b32 s2, s7, 26
	v_cmp_gt_i32_e64 s3, s36, v7
	v_mad_co_u64_u32 v[3:4], null, s1, v0, v[3:4]
	v_mul_lo_u32 v4, s6, v11
	v_mul_lo_u32 v7, s33, v22
	s_lshl_b64 s[4:5], s[4:5], 2
	s_add_co_i32 s43, s37, s2
	v_cmp_gt_i32_e64 s6, s36, v11
	v_mul_lo_u32 v11, v8, s33
	s_add_nc_u64 s[22:23], s[22:23], s[4:5]
	s_wait_alu 0xfffe
	s_and_not1_b32 s43, s43, 63
	v_cmp_gt_i32_e64 s2, s36, v6
	v_cmp_gt_i32_e64 s4, s36, v10
	v_lshlrev_b32_e32 v6, 2, v9
	v_or_b32_e32 v10, 2, v22
	s_wait_alu 0xfffe
	s_sub_co_i32 s5, s37, s43
	v_mul_lo_u32 v13, v8, s30
	s_lshl_b64 s[14:15], s[28:29], 1
	s_ashr_i32 s29, s36, 31
	s_mov_b32 s28, s36
	s_cmp_gt_i32 s5, 0
	v_cmp_gt_u32_e64 s5, 0x80, v5
	v_ashrrev_i32_e32 v5, 31, v4
	s_add_nc_u64 s[14:15], s[26:27], s[14:15]
	v_cmp_gt_i64_e32 vcc_lo, s[28:29], v[0:1]
	v_lshl_add_u32 v0, v8, 9, v6
	v_lshl_add_u32 v23, v8, 7, v6
	v_add3_u32 v24, v7, s33, v9
	v_mad_co_u64_u32 v[6:7], null, s33, v10, v[9:10]
	s_mov_b32 s26, s30
	v_mad_co_u64_u32 v[7:8], null, s33, v12, v[9:10]
	v_lshl_add_u32 v25, v11, 2, v9
	v_mad_co_u64_u32 v[8:9], null, s30, v22, s[26:27]
	v_mul_lo_u32 v26, s30, v10
	v_mul_lo_u32 v27, s30, v12
	v_lshlrev_b64_e32 v[9:10], 2, v[2:3]
	v_lshlrev_b64_e32 v[11:12], 2, v[4:5]
	v_cmp_gt_i32_e64 s0, s36, v21
	v_cmp_gt_i32_e64 s1, s43, v22
	v_lshlrev_b32_e32 v28, 2, v13
	s_cselect_b32 s36, -1, 0
	s_and_b32 s44, s5, vcc_lo
	s_lshl_b32 s45, s33, 6
	s_lshl_b32 s46, s30, 6
	s_branch .LBB474_5
.LBB474_3:                              ;   in Loop: Header=BB474_5 Depth=1
	s_wait_alu 0xfffe
	s_or_b32 exec_lo, exec_lo, s7
.LBB474_4:                              ;   in Loop: Header=BB474_5 Depth=1
	s_add_co_i32 s34, s34, 0x10000
	s_delay_alu instid0(SALU_CYCLE_1)
	s_cmp_lt_u32 s34, s31
	s_cbranch_scc0 .LBB474_53
.LBB474_5:                              ; =>This Loop Header: Depth=1
                                        ;     Child Loop BB474_21 Depth 2
	s_mul_u64 s[26:27], s[10:11], s[34:35]
	s_mul_u64 s[28:29], s[20:21], s[34:35]
	s_wait_alu 0xfffe
	s_lshl_b64 s[26:27], s[26:27], 2
	s_lshl_b64 s[28:29], s[28:29], 2
	s_wait_alu 0xfffe
	s_add_nc_u64 s[26:27], s[8:9], s[26:27]
	s_add_nc_u64 s[28:29], s[18:19], s[28:29]
	s_clause 0x1
	global_load_b32 v29, v1, s[26:27]
	global_load_b32 v13, v1, s[28:29]
	s_wait_loadcnt 0x1
	v_cmp_eq_f32_e32 vcc_lo, 0, v29
	s_wait_loadcnt 0x0
	v_cmp_eq_f32_e64 s7, 1.0, v13
	v_readfirstlane_b32 s47, v13
	s_and_b32 s7, vcc_lo, s7
	s_wait_alu 0xfffe
	s_and_b32 vcc_lo, exec_lo, s7
	s_wait_alu 0xfffe
	s_cbranch_vccnz .LBB474_4
; %bb.6:                                ;   in Loop: Header=BB474_5 Depth=1
	v_cmp_neq_f32_e32 vcc_lo, 0, v29
	s_mul_u64 s[26:27], s[38:39], s[34:35]
	s_wait_alu 0xfffe
	s_lshl_b64 s[26:27], s[26:27], 2
	s_wait_alu 0xfffe
	s_add_nc_u64 s[26:27], s[22:23], s[26:27]
	s_cbranch_vccnz .LBB474_10
; %bb.7:                                ;   in Loop: Header=BB474_5 Depth=1
	s_mov_b32 s7, 0
	s_mov_b32 s48, 0
                                        ; implicit-def: $vgpr15
	s_and_saveexec_b32 s28, s44
	s_cbranch_execz .LBB474_11
; %bb.8:                                ;   in Loop: Header=BB474_5 Depth=1
	s_cmp_eq_f32 s47, 0
	s_cbranch_scc1 .LBB474_13
; %bb.9:                                ;   in Loop: Header=BB474_5 Depth=1
	s_wait_alu 0xfffe
	v_add_co_u32 v13, vcc_lo, s26, v9
	s_wait_alu 0xfffd
	v_add_co_ci_u32_e64 v14, null, s27, v10, vcc_lo
	global_load_b32 v13, v[13:14], off
	s_wait_loadcnt 0x0
	v_mul_f32_e32 v15, s47, v13
	s_branch .LBB474_14
.LBB474_10:                             ;   in Loop: Header=BB474_5 Depth=1
	s_mov_b32 s48, 0
                                        ; implicit-def: $vgpr15
	s_cbranch_execz .LBB474_12
	s_branch .LBB474_15
.LBB474_11:                             ;   in Loop: Header=BB474_5 Depth=1
	s_wait_alu 0xfffe
	s_or_b32 exec_lo, exec_lo, s28
	s_delay_alu instid0(SALU_CYCLE_1)
	s_and_b32 vcc_lo, exec_lo, s7
	s_wait_alu 0xfffe
	s_cbranch_vccnz .LBB474_15
.LBB474_12:                             ;   in Loop: Header=BB474_5 Depth=1
	v_dual_mov_b32 v14, v3 :: v_dual_mov_b32 v13, v2
	s_and_saveexec_b32 s7, s48
	s_cbranch_execz .LBB474_3
	s_branch .LBB474_52
.LBB474_13:                             ;   in Loop: Header=BB474_5 Depth=1
	v_mov_b32_e32 v15, 0
.LBB474_14:                             ;   in Loop: Header=BB474_5 Depth=1
	s_mov_b32 s48, exec_lo
	s_wait_alu 0xfffe
	s_or_b32 exec_lo, exec_lo, s28
	s_delay_alu instid0(SALU_CYCLE_1)
	s_and_b32 vcc_lo, exec_lo, s7
	s_wait_alu 0xfffe
	s_cbranch_vccz .LBB474_12
.LBB474_15:                             ;   in Loop: Header=BB474_5 Depth=1
	s_mul_u64 s[28:29], s[24:25], s[34:35]
	s_mul_u64 s[40:41], s[16:17], s[34:35]
	v_dual_mov_b32 v30, 0 :: v_dual_mov_b32 v31, 0
	v_dual_mov_b32 v34, v22 :: v_dual_mov_b32 v33, 0
	v_mov_b32_e32 v32, 0
	s_wait_alu 0xfffe
	s_lshl_b64 s[28:29], s[28:29], 1
	s_lshl_b64 s[40:41], s[40:41], 1
	s_wait_alu 0xfffe
	s_add_nc_u64 s[28:29], s[12:13], s[28:29]
	s_add_nc_u64 s[40:41], s[14:15], s[40:41]
	s_and_saveexec_b32 s7, s1
	s_cbranch_execz .LBB474_27
; %bb.16:                               ;   in Loop: Header=BB474_5 Depth=1
	v_dual_mov_b32 v30, 0 :: v_dual_mov_b32 v35, v25
	v_dual_mov_b32 v36, v7 :: v_dual_mov_b32 v37, v6
	;; [unrolled: 1-line block ×4, first 2 shown]
	v_mov_b32_e32 v32, 0
	s_mov_b32 s49, 0
	s_mov_b32 s50, 0
	s_branch .LBB474_21
.LBB474_17:                             ;   in Loop: Header=BB474_21 Depth=2
	s_or_b32 exec_lo, exec_lo, s54
	s_wait_loadcnt 0x3
	v_fma_mix_f32 v13, v51, v55, v32 op_sel_hi:[0,1,0]
	s_wait_loadcnt 0x2
	s_delay_alu instid0(VALU_DEP_1) | instskip(SKIP_1) | instid1(VALU_DEP_1)
	v_fma_mix_f32 v13, v52, v56, v13 op_sel_hi:[0,1,0]
	s_wait_loadcnt 0x1
	v_fma_mix_f32 v13, v53, v57, v13 op_sel_hi:[0,1,0]
	s_wait_loadcnt 0x0
	s_delay_alu instid0(VALU_DEP_1)
	v_fma_mix_f32 v32, v54, v58, v13 op_sel_hi:[0,1,0]
.LBB474_18:                             ;   in Loop: Header=BB474_21 Depth=2
	s_or_b32 exec_lo, exec_lo, s53
	s_wait_loadcnt 0x3
	v_fma_mix_f32 v13, v51, v47, v31 op_sel_hi:[0,1,0]
	s_wait_loadcnt 0x2
	s_delay_alu instid0(VALU_DEP_1) | instskip(SKIP_1) | instid1(VALU_DEP_1)
	v_fma_mix_f32 v13, v52, v48, v13 op_sel_hi:[0,1,0]
	s_wait_loadcnt 0x1
	v_fma_mix_f32 v13, v53, v49, v13 op_sel_hi:[0,1,0]
	s_wait_loadcnt 0x0
	s_delay_alu instid0(VALU_DEP_1)
	v_fma_mix_f32 v31, v54, v50, v13 op_sel_hi:[0,1,0]
.LBB474_19:                             ;   in Loop: Header=BB474_21 Depth=2
	s_or_b32 exec_lo, exec_lo, s52
	s_wait_loadcnt 0x3
	v_fma_mix_f32 v13, v39, v43, v30 op_sel_hi:[1,1,0]
	s_wait_loadcnt 0x2
	s_delay_alu instid0(VALU_DEP_1) | instskip(SKIP_1) | instid1(VALU_DEP_1)
	v_fma_mix_f32 v13, v40, v44, v13 op_sel_hi:[1,1,0]
	s_wait_loadcnt 0x1
	v_fma_mix_f32 v13, v41, v45, v13 op_sel_hi:[1,1,0]
	s_wait_loadcnt 0x0
	s_delay_alu instid0(VALU_DEP_1)
	v_fma_mix_f32 v30, v42, v46, v13 op_sel_hi:[1,1,0]
.LBB474_20:                             ;   in Loop: Header=BB474_21 Depth=2
	s_wait_alu 0xfffe
	s_or_b32 exec_lo, exec_lo, s51
	v_add_nc_u32_e32 v34, 64, v34
	v_add_nc_u32_e32 v38, s45, v38
	v_add_nc_u32_e32 v37, s45, v37
	v_add_nc_u32_e32 v36, s45, v36
	v_add_nc_u32_e32 v35, s45, v35
	v_cmp_le_i32_e32 vcc_lo, s43, v34
	s_add_co_i32 s50, s50, s46
	s_or_b32 s49, vcc_lo, s49
	s_delay_alu instid0(SALU_CYCLE_1)
	s_and_not1_b32 exec_lo, exec_lo, s49
	s_cbranch_execz .LBB474_26
.LBB474_21:                             ;   Parent Loop BB474_5 Depth=1
                                        ; =>  This Inner Loop Header: Depth=2
	s_and_saveexec_b32 s51, s0
	s_cbranch_execz .LBB474_20
; %bb.22:                               ;   in Loop: Header=BB474_21 Depth=2
	s_wait_alu 0xfffe
	v_add_nc_u32_e32 v13, s50, v28
	v_add_nc_u32_e32 v15, s50, v8
	;; [unrolled: 1-line block ×5, first 2 shown]
	v_ashrrev_i32_e32 v14, 31, v13
	v_ashrrev_i32_e32 v16, 31, v15
	v_ashrrev_i32_e32 v18, 31, v17
	v_ashrrev_i32_e32 v20, 31, v19
	v_ashrrev_i32_e32 v40, 31, v39
	v_lshlrev_b64_e32 v[13:14], 1, v[13:14]
	v_lshlrev_b64_e32 v[15:16], 1, v[15:16]
	;; [unrolled: 1-line block ×3, first 2 shown]
	s_delay_alu instid0(VALU_DEP_3) | instskip(SKIP_1) | instid1(VALU_DEP_4)
	v_add_co_u32 v41, vcc_lo, s40, v13
	s_wait_alu 0xfffd
	v_add_co_ci_u32_e64 v42, null, s41, v14, vcc_lo
	s_delay_alu instid0(VALU_DEP_4)
	v_add_co_u32 v43, vcc_lo, s40, v15
	v_add_nc_u32_e32 v15, s42, v38
	s_wait_alu 0xfffd
	v_add_co_ci_u32_e64 v44, null, s41, v16, vcc_lo
	v_lshlrev_b64_e32 v[13:14], 1, v[19:20]
	v_add_co_u32 v45, vcc_lo, s40, v17
	v_add_nc_u32_e32 v19, s42, v37
	s_wait_alu 0xfffd
	v_add_co_ci_u32_e64 v46, null, s41, v18, vcc_lo
	v_lshlrev_b64_e32 v[17:18], 1, v[39:40]
	v_add_nc_u32_e32 v39, s42, v36
	v_ashrrev_i32_e32 v16, 31, v15
	v_ashrrev_i32_e32 v20, 31, v19
	v_add_co_u32 v47, vcc_lo, s40, v13
	s_delay_alu instid0(VALU_DEP_4)
	v_ashrrev_i32_e32 v40, 31, v39
	s_wait_alu 0xfffd
	v_add_co_ci_u32_e64 v48, null, s41, v14, vcc_lo
	v_lshlrev_b64_e32 v[15:16], 1, v[15:16]
	v_add_co_u32 v13, vcc_lo, s28, v17
	s_wait_alu 0xfffd
	v_add_co_ci_u32_e64 v14, null, s29, v18, vcc_lo
	v_lshlrev_b64_e32 v[17:18], 1, v[19:20]
	v_lshlrev_b64_e32 v[19:20], 1, v[39:40]
	v_add_co_u32 v15, vcc_lo, s28, v15
	s_wait_alu 0xfffd
	v_add_co_ci_u32_e64 v16, null, s29, v16, vcc_lo
	s_delay_alu instid0(VALU_DEP_4)
	v_add_co_u32 v17, vcc_lo, s28, v17
	s_wait_alu 0xfffd
	v_add_co_ci_u32_e64 v18, null, s29, v18, vcc_lo
	v_add_co_u32 v19, vcc_lo, s28, v19
	s_wait_alu 0xfffd
	v_add_co_ci_u32_e64 v20, null, s29, v20, vcc_lo
	s_clause 0x3
	global_load_u16 v39, v[41:42], off
	global_load_u16 v40, v[43:44], off
	;; [unrolled: 1-line block ×4, first 2 shown]
	s_clause 0x3
	global_load_u16 v43, v[13:14], off
	global_load_u16 v44, v[15:16], off
	;; [unrolled: 1-line block ×4, first 2 shown]
	s_and_saveexec_b32 s52, s2
	s_cbranch_execz .LBB474_19
; %bb.23:                               ;   in Loop: Header=BB474_21 Depth=2
	s_clause 0x3
	global_load_u16 v47, v[13:14], off offset:64
	global_load_u16 v48, v[15:16], off offset:64
	;; [unrolled: 1-line block ×4, first 2 shown]
	s_wait_loadcnt 0xb
	v_cvt_f32_f16_e32 v51, v39
	s_wait_loadcnt 0xa
	v_cvt_f32_f16_e32 v52, v40
	;; [unrolled: 2-line block ×4, first 2 shown]
	s_and_saveexec_b32 s53, s3
	s_cbranch_execz .LBB474_18
; %bb.24:                               ;   in Loop: Header=BB474_21 Depth=2
	s_clause 0x3
	global_load_u16 v55, v[13:14], off offset:128
	global_load_u16 v56, v[15:16], off offset:128
	;; [unrolled: 1-line block ×4, first 2 shown]
	s_and_saveexec_b32 s54, s4
	s_cbranch_execz .LBB474_17
; %bb.25:                               ;   in Loop: Header=BB474_21 Depth=2
	s_clause 0x3
	global_load_u16 v13, v[13:14], off offset:192
	global_load_u16 v14, v[15:16], off offset:192
	;; [unrolled: 1-line block ×4, first 2 shown]
	s_wait_loadcnt 0x3
	v_fma_mix_f32 v13, v51, v13, v33 op_sel_hi:[0,1,0]
	s_wait_loadcnt 0x2
	s_delay_alu instid0(VALU_DEP_1) | instskip(SKIP_1) | instid1(VALU_DEP_1)
	v_fma_mix_f32 v13, v52, v14, v13 op_sel_hi:[0,1,0]
	s_wait_loadcnt 0x1
	v_fma_mix_f32 v13, v53, v15, v13 op_sel_hi:[0,1,0]
	s_wait_loadcnt 0x0
	s_delay_alu instid0(VALU_DEP_1)
	v_fma_mix_f32 v33, v54, v16, v13 op_sel_hi:[0,1,0]
	s_branch .LBB474_17
.LBB474_26:                             ;   in Loop: Header=BB474_5 Depth=1
	s_or_b32 exec_lo, exec_lo, s49
.LBB474_27:                             ;   in Loop: Header=BB474_5 Depth=1
	s_wait_alu 0xfffe
	s_or_b32 exec_lo, exec_lo, s7
	s_delay_alu instid0(SALU_CYCLE_1)
	s_and_not1_b32 vcc_lo, exec_lo, s36
	s_wait_alu 0xfffe
	s_cbranch_vccnz .LBB474_45
; %bb.28:                               ;   in Loop: Header=BB474_5 Depth=1
	v_cmp_gt_i32_e32 vcc_lo, s37, v34
	v_dual_mov_b32 v35, 0 :: v_dual_mov_b32 v36, 0
	v_or_b32_e32 v13, 1, v34
	v_dual_mov_b32 v37, 0 :: v_dual_mov_b32 v38, 0
	s_and_saveexec_b32 s49, vcc_lo
	s_cbranch_execz .LBB474_36
; %bb.29:                               ;   in Loop: Header=BB474_5 Depth=1
	v_mul_lo_u32 v14, v34, s30
	v_dual_mov_b32 v37, 0 :: v_dual_mov_b32 v36, 0
	v_mov_b32_e32 v35, 0
	s_mov_b32 s50, exec_lo
	s_delay_alu instid0(VALU_DEP_3) | instskip(NEXT) | instid1(VALU_DEP_1)
	v_ashrrev_i32_e32 v15, 31, v14
	v_lshlrev_b64_e32 v[14:15], 1, v[14:15]
	s_delay_alu instid0(VALU_DEP_1) | instskip(SKIP_1) | instid1(VALU_DEP_2)
	v_add_co_u32 v14, s7, s40, v14
	s_wait_alu 0xf1ff
	v_add_co_ci_u32_e64 v15, null, s41, v15, s7
	global_load_u16 v14, v[14:15], off
	v_cmpx_gt_i32_e64 s37, v13
	s_cbranch_execz .LBB474_35
; %bb.30:                               ;   in Loop: Header=BB474_5 Depth=1
	v_mul_lo_u32 v15, v13, s30
	v_dual_mov_b32 v36, 0 :: v_dual_mov_b32 v35, 0
	s_mov_b32 s51, exec_lo
	s_delay_alu instid0(VALU_DEP_2) | instskip(NEXT) | instid1(VALU_DEP_1)
	v_ashrrev_i32_e32 v16, 31, v15
	v_lshlrev_b64_e32 v[15:16], 1, v[15:16]
	s_delay_alu instid0(VALU_DEP_1) | instskip(SKIP_1) | instid1(VALU_DEP_2)
	v_add_co_u32 v15, s7, s40, v15
	s_wait_alu 0xf1ff
	v_add_co_ci_u32_e64 v16, null, s41, v16, s7
	global_load_u16 v15, v[15:16], off
	v_or_b32_e32 v16, 2, v34
	s_delay_alu instid0(VALU_DEP_1)
	v_cmpx_gt_i32_e64 s37, v16
	s_cbranch_execz .LBB474_34
; %bb.31:                               ;   in Loop: Header=BB474_5 Depth=1
	v_mul_lo_u32 v16, v16, s30
	v_mov_b32_e32 v35, 0
	s_mov_b32 s52, exec_lo
	s_delay_alu instid0(VALU_DEP_2) | instskip(NEXT) | instid1(VALU_DEP_1)
	v_ashrrev_i32_e32 v17, 31, v16
	v_lshlrev_b64_e32 v[16:17], 1, v[16:17]
	s_delay_alu instid0(VALU_DEP_1) | instskip(SKIP_1) | instid1(VALU_DEP_2)
	v_add_co_u32 v16, s7, s40, v16
	s_wait_alu 0xf1ff
	v_add_co_ci_u32_e64 v17, null, s41, v17, s7
	global_load_u16 v16, v[16:17], off
	v_or_b32_e32 v17, 3, v34
	s_delay_alu instid0(VALU_DEP_1)
	v_cmpx_gt_i32_e64 s37, v17
	s_cbranch_execz .LBB474_33
; %bb.32:                               ;   in Loop: Header=BB474_5 Depth=1
	v_mul_lo_u32 v17, v17, s30
	s_delay_alu instid0(VALU_DEP_1) | instskip(NEXT) | instid1(VALU_DEP_1)
	v_ashrrev_i32_e32 v18, 31, v17
	v_lshlrev_b64_e32 v[17:18], 1, v[17:18]
	s_delay_alu instid0(VALU_DEP_1) | instskip(SKIP_1) | instid1(VALU_DEP_2)
	v_add_co_u32 v17, s7, s40, v17
	s_wait_alu 0xf1ff
	v_add_co_ci_u32_e64 v18, null, s41, v18, s7
	global_load_u16 v17, v[17:18], off
	s_wait_loadcnt 0x0
	v_cvt_f32_f16_e32 v35, v17
.LBB474_33:                             ;   in Loop: Header=BB474_5 Depth=1
	s_or_b32 exec_lo, exec_lo, s52
	s_wait_loadcnt 0x0
	v_cvt_f32_f16_e32 v36, v16
.LBB474_34:                             ;   in Loop: Header=BB474_5 Depth=1
	s_wait_alu 0xfffe
	s_or_b32 exec_lo, exec_lo, s51
	s_wait_loadcnt 0x0
	v_cvt_f32_f16_e32 v37, v15
.LBB474_35:                             ;   in Loop: Header=BB474_5 Depth=1
	s_wait_alu 0xfffe
	s_or_b32 exec_lo, exec_lo, s50
	s_wait_loadcnt 0x0
	v_cvt_f32_f16_e32 v38, v14
.LBB474_36:                             ;   in Loop: Header=BB474_5 Depth=1
	s_or_b32 exec_lo, exec_lo, s49
	s_and_saveexec_b32 s7, s0
	s_cbranch_execz .LBB474_44
; %bb.37:                               ;   in Loop: Header=BB474_5 Depth=1
	v_mul_lo_u32 v15, v34, s33
	v_or_b32_e32 v14, 2, v34
	v_mul_lo_u32 v17, v13, s33
	v_or_b32_e32 v16, 3, v34
	s_delay_alu instid0(VALU_DEP_3) | instskip(NEXT) | instid1(VALU_DEP_2)
	v_mul_lo_u32 v18, v14, s33
	v_mul_lo_u32 v19, v16, s33
	v_cndmask_b32_e32 v15, 0, v15, vcc_lo
	v_cmp_gt_i32_e32 vcc_lo, s37, v13
	s_wait_alu 0xfffd
	v_cndmask_b32_e32 v17, 0, v17, vcc_lo
	v_cmp_gt_i32_e32 vcc_lo, s37, v14
	s_wait_alu 0xfffd
	;; [unrolled: 3-line block ×3, first 2 shown]
	v_dual_cndmask_b32 v16, 0, v19 :: v_dual_add_nc_u32 v13, v15, v21
	v_add_nc_u32_e32 v15, v17, v21
	v_add_nc_u32_e32 v17, v14, v21
	s_delay_alu instid0(VALU_DEP_3) | instskip(NEXT) | instid1(VALU_DEP_4)
	v_ashrrev_i32_e32 v14, 31, v13
	v_add_nc_u32_e32 v19, v16, v21
	s_delay_alu instid0(VALU_DEP_4) | instskip(NEXT) | instid1(VALU_DEP_4)
	v_ashrrev_i32_e32 v16, 31, v15
	v_ashrrev_i32_e32 v18, 31, v17
	s_delay_alu instid0(VALU_DEP_4) | instskip(NEXT) | instid1(VALU_DEP_4)
	v_lshlrev_b64_e32 v[13:14], 1, v[13:14]
	v_ashrrev_i32_e32 v20, 31, v19
	s_delay_alu instid0(VALU_DEP_4) | instskip(NEXT) | instid1(VALU_DEP_4)
	v_lshlrev_b64_e32 v[15:16], 1, v[15:16]
	v_lshlrev_b64_e32 v[17:18], 1, v[17:18]
	s_delay_alu instid0(VALU_DEP_4) | instskip(NEXT) | instid1(VALU_DEP_4)
	v_add_co_u32 v13, vcc_lo, s28, v13
	v_lshlrev_b64_e32 v[19:20], 1, v[19:20]
	s_wait_alu 0xfffd
	v_add_co_ci_u32_e64 v14, null, s29, v14, vcc_lo
	v_add_co_u32 v15, vcc_lo, s28, v15
	s_wait_alu 0xfffd
	v_add_co_ci_u32_e64 v16, null, s29, v16, vcc_lo
	v_add_co_u32 v17, vcc_lo, s28, v17
	;; [unrolled: 3-line block ×3, first 2 shown]
	s_wait_alu 0xfffd
	v_add_co_ci_u32_e64 v20, null, s29, v20, vcc_lo
	s_clause 0x3
	global_load_u16 v34, v[13:14], off
	global_load_u16 v39, v[15:16], off
	;; [unrolled: 1-line block ×4, first 2 shown]
	s_and_saveexec_b32 s28, s2
	s_cbranch_execz .LBB474_43
; %bb.38:                               ;   in Loop: Header=BB474_5 Depth=1
	s_clause 0x3
	global_load_u16 v42, v[13:14], off offset:64
	global_load_u16 v43, v[15:16], off offset:64
	global_load_u16 v44, v[17:18], off offset:64
	global_load_u16 v45, v[19:20], off offset:64
	s_and_saveexec_b32 s29, s3
	s_cbranch_execz .LBB474_42
; %bb.39:                               ;   in Loop: Header=BB474_5 Depth=1
	s_clause 0x3
	global_load_u16 v46, v[13:14], off offset:128
	global_load_u16 v47, v[15:16], off offset:128
	global_load_u16 v48, v[17:18], off offset:128
	global_load_u16 v49, v[19:20], off offset:128
	;; [unrolled: 8-line block ×3, first 2 shown]
	s_wait_loadcnt 0x3
	v_fma_mix_f32 v13, v38, v13, v33 op_sel_hi:[0,1,0]
	s_wait_loadcnt 0x2
	s_delay_alu instid0(VALU_DEP_1) | instskip(SKIP_1) | instid1(VALU_DEP_1)
	v_fma_mix_f32 v13, v37, v14, v13 op_sel_hi:[0,1,0]
	s_wait_loadcnt 0x1
	v_fma_mix_f32 v13, v36, v15, v13 op_sel_hi:[0,1,0]
	s_wait_loadcnt 0x0
	s_delay_alu instid0(VALU_DEP_1)
	v_fma_mix_f32 v33, v35, v16, v13 op_sel_hi:[0,1,0]
.LBB474_41:                             ;   in Loop: Header=BB474_5 Depth=1
	s_wait_alu 0xfffe
	s_or_b32 exec_lo, exec_lo, s40
	s_wait_loadcnt 0x3
	v_fma_mix_f32 v13, v38, v46, v32 op_sel_hi:[0,1,0]
	s_wait_loadcnt 0x2
	s_delay_alu instid0(VALU_DEP_1) | instskip(SKIP_1) | instid1(VALU_DEP_1)
	v_fma_mix_f32 v13, v37, v47, v13 op_sel_hi:[0,1,0]
	s_wait_loadcnt 0x1
	v_fma_mix_f32 v13, v36, v48, v13 op_sel_hi:[0,1,0]
	s_wait_loadcnt 0x0
	s_delay_alu instid0(VALU_DEP_1)
	v_fma_mix_f32 v32, v35, v49, v13 op_sel_hi:[0,1,0]
.LBB474_42:                             ;   in Loop: Header=BB474_5 Depth=1
	s_wait_alu 0xfffe
	s_or_b32 exec_lo, exec_lo, s29
	s_wait_loadcnt 0x3
	v_fma_mix_f32 v13, v38, v42, v31 op_sel_hi:[0,1,0]
	s_wait_loadcnt 0x2
	s_delay_alu instid0(VALU_DEP_1) | instskip(SKIP_1) | instid1(VALU_DEP_1)
	v_fma_mix_f32 v13, v37, v43, v13 op_sel_hi:[0,1,0]
	s_wait_loadcnt 0x1
	v_fma_mix_f32 v13, v36, v44, v13 op_sel_hi:[0,1,0]
	s_wait_loadcnt 0x0
	s_delay_alu instid0(VALU_DEP_1)
	v_fma_mix_f32 v31, v35, v45, v13 op_sel_hi:[0,1,0]
.LBB474_43:                             ;   in Loop: Header=BB474_5 Depth=1
	s_wait_alu 0xfffe
	s_or_b32 exec_lo, exec_lo, s28
	s_wait_loadcnt 0x3
	v_fma_mix_f32 v13, v38, v34, v30 op_sel_hi:[0,1,0]
	s_wait_loadcnt 0x2
	s_delay_alu instid0(VALU_DEP_1) | instskip(SKIP_1) | instid1(VALU_DEP_1)
	v_fma_mix_f32 v13, v37, v39, v13 op_sel_hi:[0,1,0]
	s_wait_loadcnt 0x1
	v_fma_mix_f32 v13, v36, v40, v13 op_sel_hi:[0,1,0]
	s_wait_loadcnt 0x0
	s_delay_alu instid0(VALU_DEP_1)
	v_fma_mix_f32 v30, v35, v41, v13 op_sel_hi:[0,1,0]
.LBB474_44:                             ;   in Loop: Header=BB474_5 Depth=1
	s_wait_alu 0xfffe
	s_or_b32 exec_lo, exec_lo, s7
.LBB474_45:                             ;   in Loop: Header=BB474_5 Depth=1
	ds_store_2addr_b32 v0, v30, v31 offset1:32
	ds_store_2addr_b32 v0, v32, v33 offset0:64 offset1:96
	s_wait_dscnt 0x0
	s_barrier_signal -1
	s_barrier_wait -1
	global_inv scope:SCOPE_SE
                                        ; implicit-def: $vgpr15
	s_and_saveexec_b32 s7, s5
	s_cbranch_execz .LBB474_51
; %bb.46:                               ;   in Loop: Header=BB474_5 Depth=1
	ds_load_2addr_stride64_b32 v[13:14], v23 offset1:2
	ds_load_2addr_stride64_b32 v[15:16], v23 offset0:4 offset1:6
	ds_load_2addr_stride64_b32 v[17:18], v23 offset0:8 offset1:10
	s_mov_b32 s29, s48
	s_wait_dscnt 0x2
	v_add_f32_e32 v19, v13, v14
	ds_load_2addr_stride64_b32 v[13:14], v23 offset0:12 offset1:14
	s_wait_dscnt 0x2
	v_add_f32_e32 v15, v15, v19
	s_delay_alu instid0(VALU_DEP_1) | instskip(SKIP_3) | instid1(VALU_DEP_1)
	v_add_f32_e32 v19, v16, v15
	ds_load_2addr_stride64_b32 v[15:16], v23 offset0:16 offset1:18
	s_wait_dscnt 0x2
	v_add_f32_e32 v17, v17, v19
	v_add_f32_e32 v19, v18, v17
	ds_load_2addr_stride64_b32 v[17:18], v23 offset0:20 offset1:22
	s_wait_dscnt 0x2
	v_add_f32_e32 v13, v13, v19
	s_delay_alu instid0(VALU_DEP_1) | instskip(SKIP_1) | instid1(VALU_DEP_1)
	v_add_f32_e32 v13, v14, v13
	s_wait_dscnt 0x1
	v_add_f32_e32 v15, v15, v13
	ds_load_2addr_stride64_b32 v[13:14], v23 offset0:24 offset1:26
	v_add_f32_e32 v15, v16, v15
	s_wait_dscnt 0x1
	s_delay_alu instid0(VALU_DEP_1) | instskip(SKIP_3) | instid1(VALU_DEP_1)
	v_add_f32_e32 v17, v17, v15
	ds_load_2addr_stride64_b32 v[15:16], v23 offset0:28 offset1:30
	v_add_f32_e32 v17, v18, v17
	s_wait_dscnt 0x1
	v_add_f32_e32 v13, v13, v17
	s_delay_alu instid0(VALU_DEP_1) | instskip(SKIP_1) | instid1(VALU_DEP_1)
	v_add_f32_e32 v13, v14, v13
	s_wait_dscnt 0x0
	v_add_f32_e32 v13, v15, v13
                                        ; implicit-def: $vgpr15
	s_delay_alu instid0(VALU_DEP_1)
	v_add_f32_e32 v13, v16, v13
	ds_store_b32 v23, v13
	s_and_saveexec_b32 s28, s6
	s_cbranch_execz .LBB474_50
; %bb.47:                               ;   in Loop: Header=BB474_5 Depth=1
	v_mul_f32_e32 v15, v29, v13
	s_cmp_eq_f32 s47, 0
	s_cbranch_scc1 .LBB474_49
; %bb.48:                               ;   in Loop: Header=BB474_5 Depth=1
	v_add_co_u32 v13, vcc_lo, s26, v11
	s_wait_alu 0xfffd
	v_add_co_ci_u32_e64 v14, null, s27, v12, vcc_lo
	global_load_b32 v13, v[13:14], off
	s_wait_loadcnt 0x0
	v_fmac_f32_e32 v15, s47, v13
.LBB474_49:                             ;   in Loop: Header=BB474_5 Depth=1
	s_or_b32 s29, s48, exec_lo
.LBB474_50:                             ;   in Loop: Header=BB474_5 Depth=1
	s_wait_alu 0xfffe
	s_or_b32 exec_lo, exec_lo, s28
	s_delay_alu instid0(SALU_CYCLE_1)
	s_and_not1_b32 s28, s48, exec_lo
	s_and_b32 s29, s29, exec_lo
	s_wait_alu 0xfffe
	s_or_b32 s48, s28, s29
.LBB474_51:                             ;   in Loop: Header=BB474_5 Depth=1
	s_wait_alu 0xfffe
	s_or_b32 exec_lo, exec_lo, s7
	v_dual_mov_b32 v14, v5 :: v_dual_mov_b32 v13, v4
	s_and_saveexec_b32 s7, s48
	s_cbranch_execz .LBB474_3
.LBB474_52:                             ;   in Loop: Header=BB474_5 Depth=1
	s_delay_alu instid0(VALU_DEP_1) | instskip(SKIP_1) | instid1(VALU_DEP_1)
	v_lshlrev_b64_e32 v[13:14], 2, v[13:14]
	s_wait_alu 0xfffe
	v_add_co_u32 v13, vcc_lo, s26, v13
	s_wait_alu 0xfffd
	s_delay_alu instid0(VALU_DEP_2)
	v_add_co_ci_u32_e64 v14, null, s27, v14, vcc_lo
	global_store_b32 v[13:14], v15, off
	s_branch .LBB474_3
.LBB474_53:
	s_endpgm
	.section	.rodata,"a",@progbits
	.p2align	6, 0x0
	.amdhsa_kernel _ZL20rocblas_gemvn_kernelILi32ELi16EiDF16_PKffEviiT3_lPKT2_lT1_lS5_lS6_lS2_lPT4_lS6_li
		.amdhsa_group_segment_fixed_size 8192
		.amdhsa_private_segment_fixed_size 0
		.amdhsa_kernarg_size 400
		.amdhsa_user_sgpr_count 2
		.amdhsa_user_sgpr_dispatch_ptr 0
		.amdhsa_user_sgpr_queue_ptr 0
		.amdhsa_user_sgpr_kernarg_segment_ptr 1
		.amdhsa_user_sgpr_dispatch_id 0
		.amdhsa_user_sgpr_private_segment_size 0
		.amdhsa_wavefront_size32 1
		.amdhsa_uses_dynamic_stack 0
		.amdhsa_enable_private_segment 0
		.amdhsa_system_sgpr_workgroup_id_x 1
		.amdhsa_system_sgpr_workgroup_id_y 0
		.amdhsa_system_sgpr_workgroup_id_z 1
		.amdhsa_system_sgpr_workgroup_info 0
		.amdhsa_system_vgpr_workitem_id 1
		.amdhsa_next_free_vgpr 59
		.amdhsa_next_free_sgpr 55
		.amdhsa_reserve_vcc 1
		.amdhsa_float_round_mode_32 0
		.amdhsa_float_round_mode_16_64 0
		.amdhsa_float_denorm_mode_32 3
		.amdhsa_float_denorm_mode_16_64 3
		.amdhsa_fp16_overflow 0
		.amdhsa_workgroup_processor_mode 1
		.amdhsa_memory_ordered 1
		.amdhsa_forward_progress 1
		.amdhsa_inst_pref_size 27
		.amdhsa_round_robin_scheduling 0
		.amdhsa_exception_fp_ieee_invalid_op 0
		.amdhsa_exception_fp_denorm_src 0
		.amdhsa_exception_fp_ieee_div_zero 0
		.amdhsa_exception_fp_ieee_overflow 0
		.amdhsa_exception_fp_ieee_underflow 0
		.amdhsa_exception_fp_ieee_inexact 0
		.amdhsa_exception_int_div_zero 0
	.end_amdhsa_kernel
	.section	.text._ZL20rocblas_gemvn_kernelILi32ELi16EiDF16_PKffEviiT3_lPKT2_lT1_lS5_lS6_lS2_lPT4_lS6_li,"axG",@progbits,_ZL20rocblas_gemvn_kernelILi32ELi16EiDF16_PKffEviiT3_lPKT2_lT1_lS5_lS6_lS2_lPT4_lS6_li,comdat
.Lfunc_end474:
	.size	_ZL20rocblas_gemvn_kernelILi32ELi16EiDF16_PKffEviiT3_lPKT2_lT1_lS5_lS6_lS2_lPT4_lS6_li, .Lfunc_end474-_ZL20rocblas_gemvn_kernelILi32ELi16EiDF16_PKffEviiT3_lPKT2_lT1_lS5_lS6_lS2_lPT4_lS6_li
                                        ; -- End function
	.set _ZL20rocblas_gemvn_kernelILi32ELi16EiDF16_PKffEviiT3_lPKT2_lT1_lS5_lS6_lS2_lPT4_lS6_li.num_vgpr, 59
	.set _ZL20rocblas_gemvn_kernelILi32ELi16EiDF16_PKffEviiT3_lPKT2_lT1_lS5_lS6_lS2_lPT4_lS6_li.num_agpr, 0
	.set _ZL20rocblas_gemvn_kernelILi32ELi16EiDF16_PKffEviiT3_lPKT2_lT1_lS5_lS6_lS2_lPT4_lS6_li.numbered_sgpr, 55
	.set _ZL20rocblas_gemvn_kernelILi32ELi16EiDF16_PKffEviiT3_lPKT2_lT1_lS5_lS6_lS2_lPT4_lS6_li.num_named_barrier, 0
	.set _ZL20rocblas_gemvn_kernelILi32ELi16EiDF16_PKffEviiT3_lPKT2_lT1_lS5_lS6_lS2_lPT4_lS6_li.private_seg_size, 0
	.set _ZL20rocblas_gemvn_kernelILi32ELi16EiDF16_PKffEviiT3_lPKT2_lT1_lS5_lS6_lS2_lPT4_lS6_li.uses_vcc, 1
	.set _ZL20rocblas_gemvn_kernelILi32ELi16EiDF16_PKffEviiT3_lPKT2_lT1_lS5_lS6_lS2_lPT4_lS6_li.uses_flat_scratch, 0
	.set _ZL20rocblas_gemvn_kernelILi32ELi16EiDF16_PKffEviiT3_lPKT2_lT1_lS5_lS6_lS2_lPT4_lS6_li.has_dyn_sized_stack, 0
	.set _ZL20rocblas_gemvn_kernelILi32ELi16EiDF16_PKffEviiT3_lPKT2_lT1_lS5_lS6_lS2_lPT4_lS6_li.has_recursion, 0
	.set _ZL20rocblas_gemvn_kernelILi32ELi16EiDF16_PKffEviiT3_lPKT2_lT1_lS5_lS6_lS2_lPT4_lS6_li.has_indirect_call, 0
	.section	.AMDGPU.csdata,"",@progbits
; Kernel info:
; codeLenInByte = 3416
; TotalNumSgprs: 57
; NumVgprs: 59
; ScratchSize: 0
; MemoryBound: 0
; FloatMode: 240
; IeeeMode: 1
; LDSByteSize: 8192 bytes/workgroup (compile time only)
; SGPRBlocks: 0
; VGPRBlocks: 7
; NumSGPRsForWavesPerEU: 57
; NumVGPRsForWavesPerEU: 59
; Occupancy: 16
; WaveLimiterHint : 1
; COMPUTE_PGM_RSRC2:SCRATCH_EN: 0
; COMPUTE_PGM_RSRC2:USER_SGPR: 2
; COMPUTE_PGM_RSRC2:TRAP_HANDLER: 0
; COMPUTE_PGM_RSRC2:TGID_X_EN: 1
; COMPUTE_PGM_RSRC2:TGID_Y_EN: 0
; COMPUTE_PGM_RSRC2:TGID_Z_EN: 1
; COMPUTE_PGM_RSRC2:TIDIG_COMP_CNT: 1
	.section	.text._ZL20rocblas_gemvn_kernelILi32ELi16ElDF16_PKffEviiT3_lPKT2_lT1_lS5_lS6_lS2_lPT4_lS6_li,"axG",@progbits,_ZL20rocblas_gemvn_kernelILi32ELi16ElDF16_PKffEviiT3_lPKT2_lT1_lS5_lS6_lS2_lPT4_lS6_li,comdat
	.globl	_ZL20rocblas_gemvn_kernelILi32ELi16ElDF16_PKffEviiT3_lPKT2_lT1_lS5_lS6_lS2_lPT4_lS6_li ; -- Begin function _ZL20rocblas_gemvn_kernelILi32ELi16ElDF16_PKffEviiT3_lPKT2_lT1_lS5_lS6_lS2_lPT4_lS6_li
	.p2align	8
	.type	_ZL20rocblas_gemvn_kernelILi32ELi16ElDF16_PKffEviiT3_lPKT2_lT1_lS5_lS6_lS2_lPT4_lS6_li,@function
_ZL20rocblas_gemvn_kernelILi32ELi16ElDF16_PKffEviiT3_lPKT2_lT1_lS5_lS6_lS2_lPT4_lS6_li: ; @_ZL20rocblas_gemvn_kernelILi32ELi16ElDF16_PKffEviiT3_lPKT2_lT1_lS5_lS6_lS2_lPT4_lS6_li
; %bb.0:
	s_load_b64 s[2:3], s[0:1], 0x9c
	s_wait_kmcnt 0x0
	s_lshr_b32 s4, s2, 16
	s_and_b32 s2, s2, 0xffff
	s_and_b32 s3, s3, 0xffff
	s_mul_i32 s2, s4, s2
	s_delay_alu instid0(SALU_CYCLE_1) | instskip(NEXT) | instid1(SALU_CYCLE_1)
	s_mul_i32 s2, s2, s3
	s_cmp_lg_u32 s2, 0x200
	s_cbranch_scc1 .LBB475_53
; %bb.1:
	s_load_b32 s33, s[0:1], 0x88
	s_lshr_b32 s10, ttmp7, 16
	s_wait_kmcnt 0x0
	s_cmp_ge_u32 s10, s33
	s_cbranch_scc1 .LBB475_53
; %bb.2:
	s_clause 0x2
	s_load_b512 s[12:27], s[0:1], 0x8
	s_load_b512 s[36:51], s[0:1], 0x48
	s_load_b64 s[8:9], s[0:1], 0x0
	v_and_b32_e32 v5, 0x3ff, v0
	v_bfe_u32 v17, v0, 10, 10
	s_lshl_b32 s34, ttmp9, 7
	s_mov_b32 s11, 0
	s_delay_alu instid0(VALU_DEP_2) | instskip(NEXT) | instid1(VALU_DEP_2)
	v_dual_mov_b32 v1, 0 :: v_dual_add_nc_u32 v6, s34, v5
	v_lshlrev_b32_e32 v18, 2, v17
	v_lshl_add_u32 v10, v17, 5, v5
	s_delay_alu instid0(VALU_DEP_3) | instskip(SKIP_1) | instid1(VALU_DEP_4)
	v_add_nc_u32_e32 v8, 64, v6
	v_add_nc_u32_e32 v9, 0x60, v6
	v_or_b32_e32 v20, 3, v18
	s_delay_alu instid0(VALU_DEP_4)
	v_add_nc_u32_e32 v0, s34, v10
	v_or_b32_e32 v21, s34, v10
	v_ashrrev_i32_e32 v7, 31, v6
	s_wait_kmcnt 0x0
	s_lshl_b64 s[4:5], s[18:19], 1
	s_lshl_b64 s[18:19], s[26:27], 1
	s_ashr_i32 s28, s9, 31
	s_add_nc_u64 s[16:17], s[16:17], s[4:5]
	s_lshr_b32 s4, s28, 26
	s_lshl_b64 s[6:7], s[46:47], 2
	s_add_co_i32 s52, s9, s4
	s_ashr_i32 s31, s8, 31
	s_and_not1_b32 s52, s52, 63
	v_cmp_gt_i32_e64 s2, s8, v8
	s_sub_co_i32 s5, s9, s52
	v_cmp_gt_i32_e64 s3, s8, v9
	s_cmp_gt_i32 s5, 0
	v_mad_co_u64_u32 v[8:9], null, s36, v17, 0
	v_cmp_gt_u32_e64 s5, 0x80, v10
	v_mad_co_u64_u32 v[10:11], null, s20, v20, 0
	s_mov_b32 s30, s8
	s_add_nc_u64 s[28:29], s[44:45], s[6:7]
	s_cselect_b32 s53, -1, 0
	v_mul_lo_u32 v22, s49, v21
	s_ashr_i32 s6, s34, 31
	v_cmp_gt_i32_e64 s0, s8, v6
	v_mad_co_u64_u32 v[12:13], null, s37, v17, v[9:10]
	v_mov_b32_e32 v9, v11
	v_mad_co_u64_u32 v[13:14], null, s36, v20, 0
	v_or_b32_e32 v24, 2, v18
	s_mul_i32 s7, s48, s6
	s_delay_alu instid0(VALU_DEP_3)
	v_mad_co_u64_u32 v[15:16], null, s21, v20, v[9:10]
	v_mov_b32_e32 v9, v12
	v_mad_co_u64_u32 v[2:3], null, s48, v0, 0
	v_add_nc_u32_e32 v4, 32, v6
	v_mov_b32_e32 v12, v14
	v_cmp_gt_i64_e32 vcc_lo, s[30:31], v[0:1]
	v_lshlrev_b64_e32 v[8:9], 3, v[8:9]
	v_mov_b32_e32 v11, v15
	v_cmp_gt_i32_e64 s1, s8, v4
	v_mad_co_u64_u32 v[3:4], null, s49, v0, v[3:4]
	v_lshlrev_b32_e32 v4, 2, v5
	v_mad_co_u64_u32 v[14:15], null, s37, v20, v[12:13]
	v_mad_co_u64_u32 v[15:16], null, s20, v17, 0
	s_delay_alu instid0(VALU_DEP_3)
	v_lshl_add_u32 v0, v17, 9, v4
	v_lshl_add_u32 v19, v17, 7, v4
	v_mad_co_u64_u32 v[4:5], null, s48, v21, 0
	s_and_b32 s54, s5, vcc_lo
	v_add_co_u32 v20, vcc_lo, s24, v8
	v_cmp_gt_i32_e64 s6, s8, v21
	v_add_co_ci_u32_e64 v21, null, s25, v9, vcc_lo
	v_lshlrev_b64_e32 v[8:9], 1, v[10:11]
	v_mad_co_u64_u32 v[11:12], null, s20, v24, 0
	v_mov_b32_e32 v10, v16
	v_add3_u32 v5, v5, s7, v22
	v_mad_co_u64_u32 v[28:29], null, s36, v24, 0
	v_add_co_u32 v22, vcc_lo, s16, v8
	s_delay_alu instid0(VALU_DEP_4)
	v_mad_co_u64_u32 v[16:17], null, s21, v17, v[10:11]
	s_wait_alu 0xfffd
	v_add_co_ci_u32_e64 v23, null, s17, v9, vcc_lo
	v_lshlrev_b64_e32 v[9:10], 1, v[13:14]
	v_mov_b32_e32 v8, v12
	v_mov_b32_e32 v12, v29
	v_mad_co_u64_u32 v[30:31], null, s36, v18, s[36:37]
	v_mad_co_u64_u32 v[32:33], null, s20, v18, s[20:21]
	s_delay_alu instid0(VALU_DEP_4)
	v_mad_co_u64_u32 v[13:14], null, s21, v24, v[8:9]
	v_lshlrev_b64_e32 v[6:7], 1, v[6:7]
	v_cmp_gt_i32_e64 s4, s52, v18
	v_mov_b32_e32 v8, v31
	s_add_nc_u64 s[26:27], s[24:25], s[18:19]
	s_lshl_b64 s[30:31], s[38:39], 1
	s_lshl_b64 s[34:35], s[22:23], 1
	v_mad_co_u64_u32 v[26:27], null, s37, v24, v[12:13]
	v_add_co_u32 v24, vcc_lo, s24, v9
	s_wait_alu 0xfffd
	v_add_co_ci_u32_e64 v25, null, s25, v10, vcc_lo
	v_lshlrev_b64_e32 v[9:10], 3, v[15:16]
	s_delay_alu instid0(VALU_DEP_4) | instskip(SKIP_1) | instid1(VALU_DEP_2)
	v_dual_mov_b32 v12, v13 :: v_dual_mov_b32 v29, v26
	s_lshl_b64 s[44:45], s[20:21], 7
	v_add_co_u32 v26, vcc_lo, s16, v9
	v_mad_co_u64_u32 v[13:14], null, s37, v18, v[8:9]
	s_wait_alu 0xfffd
	v_add_co_ci_u32_e64 v27, null, s17, v10, vcc_lo
	v_lshlrev_b64_e32 v[9:10], 1, v[11:12]
	v_mov_b32_e32 v8, v33
	v_lshlrev_b64_e32 v[14:15], 1, v[28:29]
	v_mov_b32_e32 v31, v13
	s_delay_alu instid0(VALU_DEP_3) | instskip(SKIP_1) | instid1(VALU_DEP_3)
	v_mad_co_u64_u32 v[11:12], null, s21, v18, v[8:9]
	v_add_co_u32 v28, vcc_lo, s16, v9
	v_lshlrev_b64_e32 v[8:9], 1, v[30:31]
	s_wait_alu 0xfffd
	v_add_co_ci_u32_e64 v29, null, s17, v10, vcc_lo
	v_add_co_u32 v30, vcc_lo, s24, v14
	v_mov_b32_e32 v33, v11
	s_wait_alu 0xfffd
	v_add_co_ci_u32_e64 v31, null, s25, v15, vcc_lo
	s_delay_alu instid0(VALU_DEP_2) | instskip(SKIP_4) | instid1(VALU_DEP_4)
	v_lshlrev_b64_e32 v[10:11], 1, v[32:33]
	v_add_co_u32 v32, vcc_lo, s24, v8
	s_wait_alu 0xfffd
	v_add_co_ci_u32_e64 v33, null, s25, v9, vcc_lo
	v_lshlrev_b64_e32 v[8:9], 2, v[2:3]
	v_add_co_u32 v34, vcc_lo, s16, v10
	s_wait_alu 0xfffd
	v_add_co_ci_u32_e64 v35, null, s17, v11, vcc_lo
	s_lshl_b64 s[24:25], s[36:37], 7
	s_branch .LBB475_5
.LBB475_3:                              ;   in Loop: Header=BB475_5 Depth=1
	s_wait_alu 0xfffe
	s_or_b32 exec_lo, exec_lo, s7
.LBB475_4:                              ;   in Loop: Header=BB475_5 Depth=1
	s_add_co_i32 s10, s10, 0x10000
	s_delay_alu instid0(SALU_CYCLE_1)
	s_cmp_lt_u32 s10, s33
	s_cbranch_scc0 .LBB475_53
.LBB475_5:                              ; =>This Loop Header: Depth=1
                                        ;     Child Loop BB475_21 Depth 2
	s_mul_u64 s[46:47], s[14:15], s[10:11]
	s_mul_u64 s[48:49], s[42:43], s[10:11]
	s_wait_alu 0xfffe
	s_lshl_b64 s[46:47], s[46:47], 2
	s_lshl_b64 s[48:49], s[48:49], 2
	s_wait_alu 0xfffe
	s_add_nc_u64 s[46:47], s[12:13], s[46:47]
	s_add_nc_u64 s[48:49], s[40:41], s[48:49]
	s_clause 0x1
	global_load_b32 v36, v1, s[46:47]
	global_load_b32 v10, v1, s[48:49]
	s_wait_loadcnt 0x1
	v_cmp_eq_f32_e32 vcc_lo, 0, v36
	s_wait_loadcnt 0x0
	v_cmp_eq_f32_e64 s7, 1.0, v10
	v_readfirstlane_b32 s55, v10
	s_and_b32 s7, vcc_lo, s7
	s_wait_alu 0xfffe
	s_and_b32 vcc_lo, exec_lo, s7
	s_wait_alu 0xfffe
	s_cbranch_vccnz .LBB475_4
; %bb.6:                                ;   in Loop: Header=BB475_5 Depth=1
	v_cmp_neq_f32_e32 vcc_lo, 0, v36
	s_mul_u64 s[46:47], s[50:51], s[10:11]
	s_wait_alu 0xfffe
	s_lshl_b64 s[46:47], s[46:47], 2
	s_wait_alu 0xfffe
	s_add_nc_u64 s[46:47], s[28:29], s[46:47]
	s_cbranch_vccnz .LBB475_10
; %bb.7:                                ;   in Loop: Header=BB475_5 Depth=1
	s_mov_b32 s7, 0
	s_mov_b32 s56, 0
                                        ; implicit-def: $vgpr12
	s_and_saveexec_b32 s8, s54
	s_cbranch_execz .LBB475_11
; %bb.8:                                ;   in Loop: Header=BB475_5 Depth=1
	s_cmp_eq_f32 s55, 0
	s_cbranch_scc1 .LBB475_13
; %bb.9:                                ;   in Loop: Header=BB475_5 Depth=1
	s_wait_alu 0xfffe
	v_add_co_u32 v10, vcc_lo, s46, v8
	s_wait_alu 0xfffd
	v_add_co_ci_u32_e64 v11, null, s47, v9, vcc_lo
	global_load_b32 v10, v[10:11], off
	s_wait_loadcnt 0x0
	v_mul_f32_e32 v12, s55, v10
	s_branch .LBB475_14
.LBB475_10:                             ;   in Loop: Header=BB475_5 Depth=1
	s_mov_b32 s56, 0
                                        ; implicit-def: $vgpr12
	s_cbranch_execz .LBB475_12
	s_branch .LBB475_15
.LBB475_11:                             ;   in Loop: Header=BB475_5 Depth=1
	s_wait_alu 0xfffe
	s_or_b32 exec_lo, exec_lo, s8
	s_delay_alu instid0(SALU_CYCLE_1)
	s_and_b32 vcc_lo, exec_lo, s7
	s_wait_alu 0xfffe
	s_cbranch_vccnz .LBB475_15
.LBB475_12:                             ;   in Loop: Header=BB475_5 Depth=1
	v_dual_mov_b32 v11, v3 :: v_dual_mov_b32 v10, v2
	s_and_saveexec_b32 s7, s56
	s_cbranch_execz .LBB475_3
	s_branch .LBB475_52
.LBB475_13:                             ;   in Loop: Header=BB475_5 Depth=1
	v_mov_b32_e32 v12, 0
.LBB475_14:                             ;   in Loop: Header=BB475_5 Depth=1
	s_mov_b32 s56, exec_lo
	s_wait_alu 0xfffe
	s_or_b32 exec_lo, exec_lo, s8
	s_delay_alu instid0(SALU_CYCLE_1)
	s_and_b32 vcc_lo, exec_lo, s7
	s_wait_alu 0xfffe
	s_cbranch_vccz .LBB475_12
.LBB475_15:                             ;   in Loop: Header=BB475_5 Depth=1
	v_dual_mov_b32 v37, 0 :: v_dual_mov_b32 v38, 0
	v_dual_mov_b32 v41, v18 :: v_dual_mov_b32 v40, 0
	v_mov_b32_e32 v39, 0
	s_and_saveexec_b32 s8, s4
	s_cbranch_execz .LBB475_27
; %bb.16:                               ;   in Loop: Header=BB475_5 Depth=1
	s_mul_u64 s[48:49], s[30:31], s[10:11]
	s_mul_u64 s[58:59], s[34:35], s[10:11]
	s_wait_alu 0xfffe
	v_add_co_u32 v42, vcc_lo, v20, s48
	s_wait_alu 0xfffd
	v_add_co_ci_u32_e64 v43, null, s49, v21, vcc_lo
	v_add_co_u32 v44, vcc_lo, v22, s58
	s_wait_alu 0xfffd
	v_add_co_ci_u32_e64 v45, null, s59, v23, vcc_lo
	;; [unrolled: 3-line block ×8, first 2 shown]
	v_dual_mov_b32 v37, 0 :: v_dual_mov_b32 v38, 0
	v_dual_mov_b32 v41, v18 :: v_dual_mov_b32 v40, 0
	v_mov_b32_e32 v39, 0
	s_mov_b32 s48, 0
	s_branch .LBB475_21
.LBB475_17:                             ;   in Loop: Header=BB475_21 Depth=2
	s_wait_alu 0xfffe
	s_or_b32 exec_lo, exec_lo, s58
	s_wait_loadcnt 0x3
	v_fma_mix_f32 v10, v70, v74, v39 op_sel_hi:[0,1,0]
	s_wait_loadcnt 0x2
	s_delay_alu instid0(VALU_DEP_1) | instskip(SKIP_1) | instid1(VALU_DEP_1)
	v_fma_mix_f32 v10, v71, v75, v10 op_sel_hi:[0,1,0]
	s_wait_loadcnt 0x1
	v_fma_mix_f32 v10, v72, v76, v10 op_sel_hi:[0,1,0]
	s_wait_loadcnt 0x0
	s_delay_alu instid0(VALU_DEP_1)
	v_fma_mix_f32 v39, v73, v77, v10 op_sel_hi:[0,1,0]
.LBB475_18:                             ;   in Loop: Header=BB475_21 Depth=2
	s_or_b32 exec_lo, exec_lo, s57
	s_wait_loadcnt 0x3
	v_fma_mix_f32 v10, v70, v66, v38 op_sel_hi:[0,1,0]
	s_wait_loadcnt 0x2
	s_delay_alu instid0(VALU_DEP_1) | instskip(SKIP_1) | instid1(VALU_DEP_1)
	v_fma_mix_f32 v10, v71, v67, v10 op_sel_hi:[0,1,0]
	s_wait_loadcnt 0x1
	v_fma_mix_f32 v10, v72, v68, v10 op_sel_hi:[0,1,0]
	s_wait_loadcnt 0x0
	s_delay_alu instid0(VALU_DEP_1)
	v_fma_mix_f32 v38, v73, v69, v10 op_sel_hi:[0,1,0]
.LBB475_19:                             ;   in Loop: Header=BB475_21 Depth=2
	s_wait_alu 0xfffe
	s_or_b32 exec_lo, exec_lo, s49
	s_wait_loadcnt 0x3
	v_fma_mix_f32 v10, v58, v62, v37 op_sel_hi:[1,1,0]
	s_wait_loadcnt 0x2
	s_delay_alu instid0(VALU_DEP_1) | instskip(SKIP_1) | instid1(VALU_DEP_1)
	v_fma_mix_f32 v10, v59, v63, v10 op_sel_hi:[1,1,0]
	s_wait_loadcnt 0x1
	v_fma_mix_f32 v10, v60, v64, v10 op_sel_hi:[1,1,0]
	s_wait_loadcnt 0x0
	s_delay_alu instid0(VALU_DEP_1)
	v_fma_mix_f32 v37, v61, v65, v10 op_sel_hi:[1,1,0]
.LBB475_20:                             ;   in Loop: Header=BB475_21 Depth=2
	s_wait_alu 0xfffe
	s_or_b32 exec_lo, exec_lo, s7
	v_add_co_u32 v42, vcc_lo, v42, s24
	s_wait_alu 0xfffd
	v_add_co_ci_u32_e64 v43, null, s25, v43, vcc_lo
	v_add_co_u32 v44, vcc_lo, v44, s44
	s_wait_alu 0xfffd
	v_add_co_ci_u32_e64 v45, null, s45, v45, vcc_lo
	;; [unrolled: 3-line block ×4, first 2 shown]
	v_add_co_u32 v50, vcc_lo, v50, s44
	v_add_nc_u32_e32 v41, 64, v41
	s_wait_alu 0xfffd
	v_add_co_ci_u32_e64 v51, null, s45, v51, vcc_lo
	v_add_co_u32 v52, vcc_lo, v52, s24
	s_wait_alu 0xfffd
	v_add_co_ci_u32_e64 v53, null, s25, v53, vcc_lo
	v_add_co_u32 v54, vcc_lo, v54, s24
	s_wait_alu 0xfffd
	v_add_co_ci_u32_e64 v55, null, s25, v55, vcc_lo
	v_cmp_le_i32_e32 vcc_lo, s52, v41
	v_add_co_u32 v56, s7, v56, s44
	s_wait_alu 0xf1ff
	v_add_co_ci_u32_e64 v57, null, s45, v57, s7
	s_or_b32 s48, vcc_lo, s48
	s_wait_alu 0xfffe
	s_and_not1_b32 exec_lo, exec_lo, s48
	s_cbranch_execz .LBB475_26
.LBB475_21:                             ;   Parent Loop BB475_5 Depth=1
                                        ; =>  This Inner Loop Header: Depth=2
	s_and_saveexec_b32 s7, s0
	s_cbranch_execz .LBB475_20
; %bb.22:                               ;   in Loop: Header=BB475_21 Depth=2
	v_add_co_u32 v10, vcc_lo, v42, s18
	s_wait_alu 0xfffd
	v_add_co_ci_u32_e64 v11, null, s19, v43, vcc_lo
	v_add_co_u32 v12, vcc_lo, v54, s18
	s_wait_alu 0xfffd
	v_add_co_ci_u32_e64 v13, null, s19, v55, vcc_lo
	;; [unrolled: 3-line block ×3, first 2 shown]
	v_add_co_u32 v61, vcc_lo, v46, s18
	global_load_u16 v58, v[10:11], off
	global_load_u16 v59, v[12:13], off
	;; [unrolled: 1-line block ×3, first 2 shown]
	s_wait_alu 0xfffd
	v_add_co_ci_u32_e64 v62, null, s19, v47, vcc_lo
	v_add_co_u32 v10, vcc_lo, v48, v6
	s_wait_alu 0xfffd
	v_add_co_ci_u32_e64 v11, null, v49, v7, vcc_lo
	v_add_co_u32 v12, vcc_lo, v56, v6
	;; [unrolled: 3-line block ×4, first 2 shown]
	s_wait_alu 0xfffd
	v_add_co_ci_u32_e64 v17, null, v45, v7, vcc_lo
	global_load_u16 v61, v[61:62], off
	global_load_u16 v62, v[10:11], off
	;; [unrolled: 1-line block ×5, first 2 shown]
	s_and_saveexec_b32 s49, s1
	s_cbranch_execz .LBB475_19
; %bb.23:                               ;   in Loop: Header=BB475_21 Depth=2
	global_load_u16 v66, v[10:11], off offset:64
	global_load_u16 v67, v[12:13], off offset:64
	global_load_u16 v68, v[14:15], off offset:64
	global_load_u16 v69, v[16:17], off offset:64
	s_wait_loadcnt 0xb
	v_cvt_f32_f16_e32 v70, v58
	s_wait_loadcnt 0xa
	v_cvt_f32_f16_e32 v71, v59
	;; [unrolled: 2-line block ×4, first 2 shown]
	s_and_saveexec_b32 s57, s2
	s_cbranch_execz .LBB475_18
; %bb.24:                               ;   in Loop: Header=BB475_21 Depth=2
	global_load_u16 v74, v[10:11], off offset:128
	global_load_u16 v75, v[12:13], off offset:128
	;; [unrolled: 1-line block ×4, first 2 shown]
	s_and_saveexec_b32 s58, s3
	s_cbranch_execz .LBB475_17
; %bb.25:                               ;   in Loop: Header=BB475_21 Depth=2
	global_load_u16 v10, v[10:11], off offset:192
	global_load_u16 v11, v[12:13], off offset:192
	;; [unrolled: 1-line block ×4, first 2 shown]
	s_wait_loadcnt 0x3
	v_fma_mix_f32 v10, v70, v10, v40 op_sel_hi:[0,1,0]
	s_wait_loadcnt 0x2
	s_delay_alu instid0(VALU_DEP_1) | instskip(SKIP_1) | instid1(VALU_DEP_1)
	v_fma_mix_f32 v10, v71, v11, v10 op_sel_hi:[0,1,0]
	s_wait_loadcnt 0x1
	v_fma_mix_f32 v10, v72, v12, v10 op_sel_hi:[0,1,0]
	s_wait_loadcnt 0x0
	s_delay_alu instid0(VALU_DEP_1)
	v_fma_mix_f32 v40, v73, v13, v10 op_sel_hi:[0,1,0]
	s_branch .LBB475_17
.LBB475_26:                             ;   in Loop: Header=BB475_5 Depth=1
	s_or_b32 exec_lo, exec_lo, s48
.LBB475_27:                             ;   in Loop: Header=BB475_5 Depth=1
	s_wait_alu 0xfffe
	s_or_b32 exec_lo, exec_lo, s8
	s_delay_alu instid0(SALU_CYCLE_1)
	s_and_not1_b32 vcc_lo, exec_lo, s53
	s_wait_alu 0xfffe
	s_cbranch_vccnz .LBB475_45
; %bb.28:                               ;   in Loop: Header=BB475_5 Depth=1
	v_cmp_gt_i32_e32 vcc_lo, s9, v41
	v_dual_mov_b32 v42, 0 :: v_dual_mov_b32 v43, 0
	v_or_b32_e32 v10, 1, v41
	v_dual_mov_b32 v44, 0 :: v_dual_mov_b32 v45, 0
	s_and_saveexec_b32 s8, vcc_lo
	s_cbranch_execz .LBB475_36
; %bb.29:                               ;   in Loop: Header=BB475_5 Depth=1
	v_mad_co_u64_u32 v[11:12], null, s36, v41, 0
	s_mul_u64 s[48:49], s[38:39], s[10:11]
	v_dual_mov_b32 v44, 0 :: v_dual_mov_b32 v43, 0
	s_wait_alu 0xfffe
	s_lshl_b64 s[48:49], s[48:49], 1
	v_mov_b32_e32 v42, 0
	s_wait_alu 0xfffe
	s_add_nc_u64 s[48:49], s[26:27], s[48:49]
	v_mad_co_u64_u32 v[12:13], null, s37, v41, v[12:13]
	s_mov_b32 s57, exec_lo
	v_lshlrev_b64_e32 v[11:12], 1, v[11:12]
	s_wait_alu 0xfffe
	s_delay_alu instid0(VALU_DEP_1) | instskip(SKIP_1) | instid1(VALU_DEP_2)
	v_add_co_u32 v11, s7, s48, v11
	s_wait_alu 0xf1ff
	v_add_co_ci_u32_e64 v12, null, s49, v12, s7
	global_load_u16 v11, v[11:12], off
	v_cmpx_gt_i32_e64 s9, v10
	s_cbranch_execz .LBB475_35
; %bb.30:                               ;   in Loop: Header=BB475_5 Depth=1
	v_mad_co_u64_u32 v[12:13], null, s36, v10, 0
	v_dual_mov_b32 v43, 0 :: v_dual_mov_b32 v42, 0
	s_mov_b32 s58, exec_lo
	s_delay_alu instid0(VALU_DEP_2) | instskip(NEXT) | instid1(VALU_DEP_1)
	v_mad_co_u64_u32 v[13:14], null, s37, v10, v[13:14]
	v_lshlrev_b64_e32 v[12:13], 1, v[12:13]
	s_delay_alu instid0(VALU_DEP_1) | instskip(SKIP_1) | instid1(VALU_DEP_2)
	v_add_co_u32 v12, s7, s48, v12
	s_wait_alu 0xf1ff
	v_add_co_ci_u32_e64 v13, null, s49, v13, s7
	global_load_u16 v12, v[12:13], off
	v_or_b32_e32 v13, 2, v41
	s_delay_alu instid0(VALU_DEP_1)
	v_cmpx_gt_i32_e64 s9, v13
	s_cbranch_execz .LBB475_34
; %bb.31:                               ;   in Loop: Header=BB475_5 Depth=1
	v_mad_co_u64_u32 v[14:15], null, s36, v13, 0
	v_mov_b32_e32 v42, 0
	s_mov_b32 s59, exec_lo
	s_delay_alu instid0(VALU_DEP_2) | instskip(NEXT) | instid1(VALU_DEP_1)
	v_mad_co_u64_u32 v[15:16], null, s37, v13, v[15:16]
	v_lshlrev_b64_e32 v[13:14], 1, v[14:15]
	s_delay_alu instid0(VALU_DEP_1) | instskip(SKIP_1) | instid1(VALU_DEP_2)
	v_add_co_u32 v13, s7, s48, v13
	s_wait_alu 0xf1ff
	v_add_co_ci_u32_e64 v14, null, s49, v14, s7
	global_load_u16 v13, v[13:14], off
	v_or_b32_e32 v14, 3, v41
	s_delay_alu instid0(VALU_DEP_1)
	v_cmpx_gt_i32_e64 s9, v14
	s_cbranch_execz .LBB475_33
; %bb.32:                               ;   in Loop: Header=BB475_5 Depth=1
	v_mad_co_u64_u32 v[15:16], null, s36, v14, 0
	s_delay_alu instid0(VALU_DEP_1) | instskip(NEXT) | instid1(VALU_DEP_1)
	v_mad_co_u64_u32 v[16:17], null, s37, v14, v[16:17]
	v_lshlrev_b64_e32 v[14:15], 1, v[15:16]
	s_delay_alu instid0(VALU_DEP_1) | instskip(SKIP_1) | instid1(VALU_DEP_2)
	v_add_co_u32 v14, s7, s48, v14
	s_wait_alu 0xf1ff
	v_add_co_ci_u32_e64 v15, null, s49, v15, s7
	global_load_u16 v14, v[14:15], off
	s_wait_loadcnt 0x0
	v_cvt_f32_f16_e32 v42, v14
.LBB475_33:                             ;   in Loop: Header=BB475_5 Depth=1
	s_wait_alu 0xfffe
	s_or_b32 exec_lo, exec_lo, s59
	s_wait_loadcnt 0x0
	v_cvt_f32_f16_e32 v43, v13
.LBB475_34:                             ;   in Loop: Header=BB475_5 Depth=1
	s_wait_alu 0xfffe
	s_or_b32 exec_lo, exec_lo, s58
	s_wait_loadcnt 0x0
	v_cvt_f32_f16_e32 v44, v12
.LBB475_35:                             ;   in Loop: Header=BB475_5 Depth=1
	s_or_b32 exec_lo, exec_lo, s57
	s_wait_loadcnt 0x0
	v_cvt_f32_f16_e32 v45, v11
.LBB475_36:                             ;   in Loop: Header=BB475_5 Depth=1
	s_wait_alu 0xfffe
	s_or_b32 exec_lo, exec_lo, s8
	s_and_saveexec_b32 s48, s0
	s_cbranch_execz .LBB475_44
; %bb.37:                               ;   in Loop: Header=BB475_5 Depth=1
	v_mad_co_u64_u32 v[11:12], null, s20, v41, 0
	v_mad_co_u64_u32 v[13:14], null, s20, v10, 0
	v_or_b32_e32 v50, 2, v41
	v_or_b32_e32 v51, 3, v41
	s_mul_u64 s[58:59], s[22:23], s[10:11]
	s_wait_alu 0xfffe
	s_lshl_b64 s[58:59], s[58:59], 1
	v_cmp_gt_i32_e64 s7, s9, v50
	s_delay_alu instid0(VALU_DEP_4) | instskip(SKIP_4) | instid1(VALU_DEP_2)
	v_mad_co_u64_u32 v[15:16], null, s21, v41, v[12:13]
	v_mad_co_u64_u32 v[16:17], null, s20, v50, 0
	;; [unrolled: 1-line block ×3, first 2 shown]
	s_wait_alu 0xfffe
	s_add_nc_u64 s[58:59], s[16:17], s[58:59]
	v_dual_cndmask_b32 v12, 0, v15 :: v_dual_mov_b32 v15, v17
	s_delay_alu instid0(VALU_DEP_2) | instskip(NEXT) | instid1(VALU_DEP_2)
	v_mov_b32_e32 v17, v47
	v_mad_co_u64_u32 v[48:49], null, s21, v10, v[14:15]
	v_cndmask_b32_e32 v11, 0, v11, vcc_lo
	v_cmp_gt_i32_e32 vcc_lo, s9, v10
	s_wait_alu 0xfffd
	s_delay_alu instid0(VALU_DEP_3) | instskip(NEXT) | instid1(VALU_DEP_3)
	v_dual_cndmask_b32 v13, 0, v13 :: v_dual_cndmask_b32 v14, 0, v48
	v_lshlrev_b64_e32 v[11:12], 1, v[11:12]
	s_wait_alu 0xfffe
	s_delay_alu instid0(VALU_DEP_1) | instskip(SKIP_1) | instid1(VALU_DEP_2)
	v_add_co_u32 v10, s8, s58, v11
	s_wait_alu 0xf1ff
	v_add_co_ci_u32_e64 v11, null, s59, v12, s8
	v_lshlrev_b64_e32 v[12:13], 1, v[13:14]
	s_delay_alu instid0(VALU_DEP_3) | instskip(SKIP_1) | instid1(VALU_DEP_3)
	v_add_co_u32 v10, vcc_lo, v10, v6
	s_wait_alu 0xfffd
	v_add_co_ci_u32_e64 v11, null, v11, v7, vcc_lo
	v_cmp_gt_i32_e32 vcc_lo, s9, v51
	v_cndmask_b32_e64 v14, 0, v16, s7
	s_wait_alu 0xfffd
	v_cndmask_b32_e32 v46, 0, v46, vcc_lo
	v_mad_co_u64_u32 v[49:50], null, s21, v50, v[15:16]
	v_mad_co_u64_u32 v[16:17], null, s21, v51, v[17:18]
	s_delay_alu instid0(VALU_DEP_2) | instskip(SKIP_1) | instid1(VALU_DEP_3)
	v_cndmask_b32_e64 v15, 0, v49, s7
	v_add_co_u32 v12, s7, s58, v12
	v_cndmask_b32_e32 v47, 0, v16, vcc_lo
	s_wait_alu 0xf1ff
	v_add_co_ci_u32_e64 v13, null, s59, v13, s7
	v_lshlrev_b64_e32 v[14:15], 1, v[14:15]
	v_add_co_u32 v12, vcc_lo, v12, v6
	v_lshlrev_b64_e32 v[16:17], 1, v[46:47]
	s_wait_alu 0xfffd
	v_add_co_ci_u32_e64 v13, null, v13, v7, vcc_lo
	s_delay_alu instid0(VALU_DEP_4)
	v_add_co_u32 v14, vcc_lo, s58, v14
	s_wait_alu 0xfffd
	v_add_co_ci_u32_e64 v15, null, s59, v15, vcc_lo
	v_add_co_u32 v16, vcc_lo, s58, v16
	s_wait_alu 0xfffd
	v_add_co_ci_u32_e64 v17, null, s59, v17, vcc_lo
	;; [unrolled: 3-line block ×4, first 2 shown]
	s_clause 0x3
	global_load_u16 v41, v[10:11], off
	global_load_u16 v46, v[12:13], off
	;; [unrolled: 1-line block ×4, first 2 shown]
	s_and_saveexec_b32 s7, s1
	s_cbranch_execz .LBB475_43
; %bb.38:                               ;   in Loop: Header=BB475_5 Depth=1
	s_clause 0x3
	global_load_u16 v49, v[10:11], off offset:64
	global_load_u16 v50, v[12:13], off offset:64
	global_load_u16 v51, v[14:15], off offset:64
	global_load_u16 v52, v[16:17], off offset:64
	s_and_saveexec_b32 s8, s2
	s_cbranch_execz .LBB475_42
; %bb.39:                               ;   in Loop: Header=BB475_5 Depth=1
	s_clause 0x3
	global_load_u16 v53, v[10:11], off offset:128
	global_load_u16 v54, v[12:13], off offset:128
	global_load_u16 v55, v[14:15], off offset:128
	global_load_u16 v56, v[16:17], off offset:128
	;; [unrolled: 8-line block ×3, first 2 shown]
	s_wait_loadcnt 0x3
	v_fma_mix_f32 v10, v45, v10, v40 op_sel_hi:[0,1,0]
	s_wait_loadcnt 0x2
	s_delay_alu instid0(VALU_DEP_1) | instskip(SKIP_1) | instid1(VALU_DEP_1)
	v_fma_mix_f32 v10, v44, v11, v10 op_sel_hi:[0,1,0]
	s_wait_loadcnt 0x1
	v_fma_mix_f32 v10, v43, v12, v10 op_sel_hi:[0,1,0]
	s_wait_loadcnt 0x0
	s_delay_alu instid0(VALU_DEP_1)
	v_fma_mix_f32 v40, v42, v13, v10 op_sel_hi:[0,1,0]
.LBB475_41:                             ;   in Loop: Header=BB475_5 Depth=1
	s_wait_alu 0xfffe
	s_or_b32 exec_lo, exec_lo, s49
	s_wait_loadcnt 0x3
	v_fma_mix_f32 v10, v45, v53, v39 op_sel_hi:[0,1,0]
	s_wait_loadcnt 0x2
	s_delay_alu instid0(VALU_DEP_1) | instskip(SKIP_1) | instid1(VALU_DEP_1)
	v_fma_mix_f32 v10, v44, v54, v10 op_sel_hi:[0,1,0]
	s_wait_loadcnt 0x1
	v_fma_mix_f32 v10, v43, v55, v10 op_sel_hi:[0,1,0]
	s_wait_loadcnt 0x0
	s_delay_alu instid0(VALU_DEP_1)
	v_fma_mix_f32 v39, v42, v56, v10 op_sel_hi:[0,1,0]
.LBB475_42:                             ;   in Loop: Header=BB475_5 Depth=1
	s_wait_alu 0xfffe
	s_or_b32 exec_lo, exec_lo, s8
	s_wait_loadcnt 0x3
	v_fma_mix_f32 v10, v45, v49, v38 op_sel_hi:[0,1,0]
	s_wait_loadcnt 0x2
	s_delay_alu instid0(VALU_DEP_1) | instskip(SKIP_1) | instid1(VALU_DEP_1)
	v_fma_mix_f32 v10, v44, v50, v10 op_sel_hi:[0,1,0]
	s_wait_loadcnt 0x1
	v_fma_mix_f32 v10, v43, v51, v10 op_sel_hi:[0,1,0]
	s_wait_loadcnt 0x0
	s_delay_alu instid0(VALU_DEP_1)
	v_fma_mix_f32 v38, v42, v52, v10 op_sel_hi:[0,1,0]
.LBB475_43:                             ;   in Loop: Header=BB475_5 Depth=1
	s_wait_alu 0xfffe
	s_or_b32 exec_lo, exec_lo, s7
	s_wait_loadcnt 0x3
	v_fma_mix_f32 v10, v45, v41, v37 op_sel_hi:[0,1,0]
	s_wait_loadcnt 0x2
	s_delay_alu instid0(VALU_DEP_1) | instskip(SKIP_1) | instid1(VALU_DEP_1)
	v_fma_mix_f32 v10, v44, v46, v10 op_sel_hi:[0,1,0]
	s_wait_loadcnt 0x1
	v_fma_mix_f32 v10, v43, v47, v10 op_sel_hi:[0,1,0]
	s_wait_loadcnt 0x0
	s_delay_alu instid0(VALU_DEP_1)
	v_fma_mix_f32 v37, v42, v48, v10 op_sel_hi:[0,1,0]
.LBB475_44:                             ;   in Loop: Header=BB475_5 Depth=1
	s_wait_alu 0xfffe
	s_or_b32 exec_lo, exec_lo, s48
.LBB475_45:                             ;   in Loop: Header=BB475_5 Depth=1
	ds_store_2addr_b32 v0, v37, v38 offset1:32
	ds_store_2addr_b32 v0, v39, v40 offset0:64 offset1:96
	s_wait_dscnt 0x0
	s_barrier_signal -1
	s_barrier_wait -1
	global_inv scope:SCOPE_SE
                                        ; implicit-def: $vgpr12
	s_and_saveexec_b32 s7, s5
	s_cbranch_execz .LBB475_51
; %bb.46:                               ;   in Loop: Header=BB475_5 Depth=1
	ds_load_2addr_stride64_b32 v[10:11], v19 offset1:2
	ds_load_2addr_stride64_b32 v[12:13], v19 offset0:4 offset1:6
	ds_load_2addr_stride64_b32 v[14:15], v19 offset0:8 offset1:10
	s_mov_b32 s48, s56
	s_wait_dscnt 0x2
	v_add_f32_e32 v16, v10, v11
	ds_load_2addr_stride64_b32 v[10:11], v19 offset0:12 offset1:14
	s_wait_dscnt 0x2
	v_add_f32_e32 v12, v12, v16
	s_delay_alu instid0(VALU_DEP_1) | instskip(SKIP_3) | instid1(VALU_DEP_1)
	v_add_f32_e32 v16, v13, v12
	ds_load_2addr_stride64_b32 v[12:13], v19 offset0:16 offset1:18
	s_wait_dscnt 0x2
	v_add_f32_e32 v14, v14, v16
	v_add_f32_e32 v16, v15, v14
	ds_load_2addr_stride64_b32 v[14:15], v19 offset0:20 offset1:22
	s_wait_dscnt 0x2
	v_add_f32_e32 v10, v10, v16
	s_delay_alu instid0(VALU_DEP_1) | instskip(SKIP_1) | instid1(VALU_DEP_1)
	v_add_f32_e32 v10, v11, v10
	s_wait_dscnt 0x1
	v_add_f32_e32 v12, v12, v10
	ds_load_2addr_stride64_b32 v[10:11], v19 offset0:24 offset1:26
	v_add_f32_e32 v12, v13, v12
	s_wait_dscnt 0x1
	s_delay_alu instid0(VALU_DEP_1) | instskip(SKIP_3) | instid1(VALU_DEP_1)
	v_add_f32_e32 v14, v14, v12
	ds_load_2addr_stride64_b32 v[12:13], v19 offset0:28 offset1:30
	v_add_f32_e32 v14, v15, v14
	s_wait_dscnt 0x1
	v_add_f32_e32 v10, v10, v14
	s_delay_alu instid0(VALU_DEP_1) | instskip(SKIP_1) | instid1(VALU_DEP_1)
	v_add_f32_e32 v10, v11, v10
	s_wait_dscnt 0x0
	v_add_f32_e32 v10, v12, v10
                                        ; implicit-def: $vgpr12
	s_delay_alu instid0(VALU_DEP_1)
	v_add_f32_e32 v10, v13, v10
	ds_store_b32 v19, v10
	s_and_saveexec_b32 s8, s6
	s_cbranch_execz .LBB475_50
; %bb.47:                               ;   in Loop: Header=BB475_5 Depth=1
	v_mul_f32_e32 v12, v36, v10
	s_cmp_eq_f32 s55, 0
	s_cbranch_scc1 .LBB475_49
; %bb.48:                               ;   in Loop: Header=BB475_5 Depth=1
	v_lshlrev_b64_e32 v[10:11], 2, v[4:5]
	s_delay_alu instid0(VALU_DEP_1) | instskip(SKIP_1) | instid1(VALU_DEP_2)
	v_add_co_u32 v10, vcc_lo, s46, v10
	s_wait_alu 0xfffd
	v_add_co_ci_u32_e64 v11, null, s47, v11, vcc_lo
	global_load_b32 v10, v[10:11], off
	s_wait_loadcnt 0x0
	v_fmac_f32_e32 v12, s55, v10
.LBB475_49:                             ;   in Loop: Header=BB475_5 Depth=1
	s_or_b32 s48, s56, exec_lo
.LBB475_50:                             ;   in Loop: Header=BB475_5 Depth=1
	s_wait_alu 0xfffe
	s_or_b32 exec_lo, exec_lo, s8
	s_delay_alu instid0(SALU_CYCLE_1)
	s_and_not1_b32 s8, s56, exec_lo
	s_and_b32 s48, s48, exec_lo
	s_wait_alu 0xfffe
	s_or_b32 s56, s8, s48
.LBB475_51:                             ;   in Loop: Header=BB475_5 Depth=1
	s_wait_alu 0xfffe
	s_or_b32 exec_lo, exec_lo, s7
	v_dual_mov_b32 v11, v5 :: v_dual_mov_b32 v10, v4
	s_and_saveexec_b32 s7, s56
	s_cbranch_execz .LBB475_3
.LBB475_52:                             ;   in Loop: Header=BB475_5 Depth=1
	s_delay_alu instid0(VALU_DEP_1) | instskip(SKIP_1) | instid1(VALU_DEP_1)
	v_lshlrev_b64_e32 v[10:11], 2, v[10:11]
	s_wait_alu 0xfffe
	v_add_co_u32 v10, vcc_lo, s46, v10
	s_wait_alu 0xfffd
	s_delay_alu instid0(VALU_DEP_2)
	v_add_co_ci_u32_e64 v11, null, s47, v11, vcc_lo
	global_store_b32 v[10:11], v12, off
	s_branch .LBB475_3
.LBB475_53:
	s_endpgm
	.section	.rodata,"a",@progbits
	.p2align	6, 0x0
	.amdhsa_kernel _ZL20rocblas_gemvn_kernelILi32ELi16ElDF16_PKffEviiT3_lPKT2_lT1_lS5_lS6_lS2_lPT4_lS6_li
		.amdhsa_group_segment_fixed_size 8192
		.amdhsa_private_segment_fixed_size 0
		.amdhsa_kernarg_size 400
		.amdhsa_user_sgpr_count 2
		.amdhsa_user_sgpr_dispatch_ptr 0
		.amdhsa_user_sgpr_queue_ptr 0
		.amdhsa_user_sgpr_kernarg_segment_ptr 1
		.amdhsa_user_sgpr_dispatch_id 0
		.amdhsa_user_sgpr_private_segment_size 0
		.amdhsa_wavefront_size32 1
		.amdhsa_uses_dynamic_stack 0
		.amdhsa_enable_private_segment 0
		.amdhsa_system_sgpr_workgroup_id_x 1
		.amdhsa_system_sgpr_workgroup_id_y 0
		.amdhsa_system_sgpr_workgroup_id_z 1
		.amdhsa_system_sgpr_workgroup_info 0
		.amdhsa_system_vgpr_workitem_id 1
		.amdhsa_next_free_vgpr 78
		.amdhsa_next_free_sgpr 60
		.amdhsa_reserve_vcc 1
		.amdhsa_float_round_mode_32 0
		.amdhsa_float_round_mode_16_64 0
		.amdhsa_float_denorm_mode_32 3
		.amdhsa_float_denorm_mode_16_64 3
		.amdhsa_fp16_overflow 0
		.amdhsa_workgroup_processor_mode 1
		.amdhsa_memory_ordered 1
		.amdhsa_forward_progress 1
		.amdhsa_inst_pref_size 32
		.amdhsa_round_robin_scheduling 0
		.amdhsa_exception_fp_ieee_invalid_op 0
		.amdhsa_exception_fp_denorm_src 0
		.amdhsa_exception_fp_ieee_div_zero 0
		.amdhsa_exception_fp_ieee_overflow 0
		.amdhsa_exception_fp_ieee_underflow 0
		.amdhsa_exception_fp_ieee_inexact 0
		.amdhsa_exception_int_div_zero 0
	.end_amdhsa_kernel
	.section	.text._ZL20rocblas_gemvn_kernelILi32ELi16ElDF16_PKffEviiT3_lPKT2_lT1_lS5_lS6_lS2_lPT4_lS6_li,"axG",@progbits,_ZL20rocblas_gemvn_kernelILi32ELi16ElDF16_PKffEviiT3_lPKT2_lT1_lS5_lS6_lS2_lPT4_lS6_li,comdat
.Lfunc_end475:
	.size	_ZL20rocblas_gemvn_kernelILi32ELi16ElDF16_PKffEviiT3_lPKT2_lT1_lS5_lS6_lS2_lPT4_lS6_li, .Lfunc_end475-_ZL20rocblas_gemvn_kernelILi32ELi16ElDF16_PKffEviiT3_lPKT2_lT1_lS5_lS6_lS2_lPT4_lS6_li
                                        ; -- End function
	.set _ZL20rocblas_gemvn_kernelILi32ELi16ElDF16_PKffEviiT3_lPKT2_lT1_lS5_lS6_lS2_lPT4_lS6_li.num_vgpr, 78
	.set _ZL20rocblas_gemvn_kernelILi32ELi16ElDF16_PKffEviiT3_lPKT2_lT1_lS5_lS6_lS2_lPT4_lS6_li.num_agpr, 0
	.set _ZL20rocblas_gemvn_kernelILi32ELi16ElDF16_PKffEviiT3_lPKT2_lT1_lS5_lS6_lS2_lPT4_lS6_li.numbered_sgpr, 60
	.set _ZL20rocblas_gemvn_kernelILi32ELi16ElDF16_PKffEviiT3_lPKT2_lT1_lS5_lS6_lS2_lPT4_lS6_li.num_named_barrier, 0
	.set _ZL20rocblas_gemvn_kernelILi32ELi16ElDF16_PKffEviiT3_lPKT2_lT1_lS5_lS6_lS2_lPT4_lS6_li.private_seg_size, 0
	.set _ZL20rocblas_gemvn_kernelILi32ELi16ElDF16_PKffEviiT3_lPKT2_lT1_lS5_lS6_lS2_lPT4_lS6_li.uses_vcc, 1
	.set _ZL20rocblas_gemvn_kernelILi32ELi16ElDF16_PKffEviiT3_lPKT2_lT1_lS5_lS6_lS2_lPT4_lS6_li.uses_flat_scratch, 0
	.set _ZL20rocblas_gemvn_kernelILi32ELi16ElDF16_PKffEviiT3_lPKT2_lT1_lS5_lS6_lS2_lPT4_lS6_li.has_dyn_sized_stack, 0
	.set _ZL20rocblas_gemvn_kernelILi32ELi16ElDF16_PKffEviiT3_lPKT2_lT1_lS5_lS6_lS2_lPT4_lS6_li.has_recursion, 0
	.set _ZL20rocblas_gemvn_kernelILi32ELi16ElDF16_PKffEviiT3_lPKT2_lT1_lS5_lS6_lS2_lPT4_lS6_li.has_indirect_call, 0
	.section	.AMDGPU.csdata,"",@progbits
; Kernel info:
; codeLenInByte = 4028
; TotalNumSgprs: 62
; NumVgprs: 78
; ScratchSize: 0
; MemoryBound: 0
; FloatMode: 240
; IeeeMode: 1
; LDSByteSize: 8192 bytes/workgroup (compile time only)
; SGPRBlocks: 0
; VGPRBlocks: 9
; NumSGPRsForWavesPerEU: 62
; NumVGPRsForWavesPerEU: 78
; Occupancy: 16
; WaveLimiterHint : 1
; COMPUTE_PGM_RSRC2:SCRATCH_EN: 0
; COMPUTE_PGM_RSRC2:USER_SGPR: 2
; COMPUTE_PGM_RSRC2:TRAP_HANDLER: 0
; COMPUTE_PGM_RSRC2:TGID_X_EN: 1
; COMPUTE_PGM_RSRC2:TGID_Y_EN: 0
; COMPUTE_PGM_RSRC2:TGID_Z_EN: 1
; COMPUTE_PGM_RSRC2:TIDIG_COMP_CNT: 1
	.section	.text._ZL20rocblas_gemvn_kernelILi32ELi16EiDF16_ffEviiT3_lPKT2_lT1_lS3_lS4_lS0_lPT4_lS4_li,"axG",@progbits,_ZL20rocblas_gemvn_kernelILi32ELi16EiDF16_ffEviiT3_lPKT2_lT1_lS3_lS4_lS0_lPT4_lS4_li,comdat
	.globl	_ZL20rocblas_gemvn_kernelILi32ELi16EiDF16_ffEviiT3_lPKT2_lT1_lS3_lS4_lS0_lPT4_lS4_li ; -- Begin function _ZL20rocblas_gemvn_kernelILi32ELi16EiDF16_ffEviiT3_lPKT2_lT1_lS3_lS4_lS0_lPT4_lS4_li
	.p2align	8
	.type	_ZL20rocblas_gemvn_kernelILi32ELi16EiDF16_ffEviiT3_lPKT2_lT1_lS3_lS4_lS0_lPT4_lS4_li,@function
_ZL20rocblas_gemvn_kernelILi32ELi16EiDF16_ffEviiT3_lPKT2_lT1_lS3_lS4_lS0_lPT4_lS4_li: ; @_ZL20rocblas_gemvn_kernelILi32ELi16EiDF16_ffEviiT3_lPKT2_lT1_lS3_lS4_lS0_lPT4_lS4_li
; %bb.0:
	s_load_b64 s[2:3], s[0:1], 0x9c
	s_wait_kmcnt 0x0
	s_lshr_b32 s4, s2, 16
	s_and_b32 s2, s2, 0xffff
	s_and_b32 s3, s3, 0xffff
	s_mul_i32 s2, s4, s2
	s_delay_alu instid0(SALU_CYCLE_1) | instskip(NEXT) | instid1(SALU_CYCLE_1)
	s_mul_i32 s2, s2, s3
	s_cmp_lg_u32 s2, 0x200
	s_cbranch_scc1 .LBB476_53
; %bb.1:
	s_load_b32 s19, s[0:1], 0x88
	s_lshr_b32 s28, ttmp7, 16
	s_wait_kmcnt 0x0
	s_cmp_ge_u32 s28, s19
	s_cbranch_scc1 .LBB476_53
; %bb.2:
	s_clause 0x8
	s_load_b128 s[4:7], s[0:1], 0x18
	s_load_b96 s[16:18], s[0:1], 0x40
	s_load_b128 s[12:15], s[0:1], 0x68
	s_load_b32 s34, s[0:1], 0x78
	s_load_b96 s[20:22], s[0:1], 0x0
	s_load_b32 s23, s[0:1], 0x28
	s_load_b128 s[8:11], s[0:1], 0x30
	s_load_b96 s[24:26], s[0:1], 0x50
	s_load_b64 s[30:31], s[0:1], 0x80
	v_dual_mov_b32 v4, 0 :: v_dual_and_b32 v7, 0x3ff, v0
	v_bfe_u32 v6, v0, 10, 10
	s_mov_b32 s29, 0
	s_delay_alu instid0(VALU_DEP_2) | instskip(NEXT) | instid1(VALU_DEP_2)
	v_lshlrev_b32_e32 v5, 2, v7
	v_lshl_add_u32 v8, v6, 5, v7
	v_lshlrev_b32_e32 v19, 2, v6
	s_delay_alu instid0(VALU_DEP_3)
	v_lshl_add_u32 v20, v6, 9, v5
	s_wait_kmcnt 0x0
	s_lshl_b64 s[0:1], s[6:7], 1
	s_lshl_b64 s[2:3], s[16:17], 1
	;; [unrolled: 1-line block ×3, first 2 shown]
	s_ashr_i32 s35, s34, 31
	s_cmp_eq_f32 s22, 0
	s_add_nc_u64 s[14:15], s[4:5], s[0:1]
	v_mul_lo_u32 v9, s23, v19
	s_mov_b32 s16, s20
	s_cselect_b32 s27, -1, 0
	s_cmp_neq_f32 s22, 0
	s_add_nc_u64 s[12:13], s[12:13], s[6:7]
	v_lshl_add_u32 v22, v6, 7, v5
	s_add_nc_u64 s[10:11], s[10:11], s[2:3]
	s_cselect_b32 s36, -1, 0
	s_cmp_neq_f32 s26, 1.0
	v_add3_u32 v23, v9, s23, v7
	v_or_b32_e32 v9, 3, v19
	s_cselect_b32 s0, -1, 0
	s_lshl_b32 s33, ttmp9, 7
	s_ashr_i32 s17, s20, 31
	v_add_nc_u32_e32 v3, s33, v8
	v_or_b32_e32 v10, s33, v8
	s_or_b32 s38, s36, s0
	s_cmp_neq_f32 s26, 0
	v_add_nc_u32_e32 v21, s33, v7
	v_mad_co_u64_u32 v[0:1], null, s34, v3, 0
	v_mul_lo_u32 v2, s34, v10
	s_cselect_b32 s39, -1, 0
	s_ashr_i32 s1, s21, 31
	v_cmp_gt_i64_e32 vcc_lo, s[16:17], v[3:4]
	s_lshr_b32 s1, s1, 26
	v_add_nc_u32_e32 v11, 32, v21
	s_add_co_i32 s40, s21, s1
	v_cmp_gt_i32_e64 s6, s20, v10
	v_mad_co_u64_u32 v[3:4], null, s35, v3, v[1:2]
	s_and_not1_b32 s40, s40, 63
	v_mul_lo_u32 v10, v6, s23
	s_sub_co_i32 s5, s21, s40
	v_cmp_gt_i32_e64 s1, s20, v11
	s_cmp_gt_i32 s5, 0
	v_cmp_gt_u32_e64 s5, 0x80, v8
	v_or_b32_e32 v8, 2, v19
	v_mul_lo_u32 v11, v6, s18
	v_dual_mov_b32 v1, v3 :: v_dual_add_nc_u32 v12, 64, v21
	v_ashrrev_i32_e32 v3, 31, v2
	v_add_nc_u32_e32 v13, 0x60, v21
	v_mad_co_u64_u32 v[4:5], null, s23, v8, v[7:8]
	s_mov_b32 s16, s18
	v_mad_co_u64_u32 v[5:6], null, s23, v9, v[7:8]
	v_lshl_add_u32 v24, v10, 2, v7
	s_wait_alu 0xfffe
	v_mad_co_u64_u32 v[6:7], null, s18, v19, s[16:17]
	v_mul_lo_u32 v25, s18, v8
	v_mul_lo_u32 v26, s18, v9
	v_lshlrev_b64_e32 v[7:8], 2, v[0:1]
	v_lshlrev_b64_e32 v[9:10], 2, v[2:3]
	v_cmp_gt_i32_e64 s0, s20, v21
	v_cmp_gt_i32_e64 s2, s20, v12
	;; [unrolled: 1-line block ×4, first 2 shown]
	v_lshlrev_b32_e32 v27, 2, v11
	s_cselect_b32 s20, -1, 0
	s_and_b32 s41, s5, vcc_lo
	s_lshl_b32 s42, s23, 6
	s_lshl_b32 s43, s18, 6
	s_branch .LBB476_5
.LBB476_3:                              ;   in Loop: Header=BB476_5 Depth=1
	s_wait_alu 0xfffe
	s_or_b32 exec_lo, exec_lo, s7
.LBB476_4:                              ;   in Loop: Header=BB476_5 Depth=1
	s_add_co_i32 s28, s28, 0x10000
	s_delay_alu instid0(SALU_CYCLE_1)
	s_cmp_lt_u32 s28, s19
	s_cbranch_scc0 .LBB476_53
.LBB476_5:                              ; =>This Loop Header: Depth=1
                                        ;     Child Loop BB476_21 Depth 2
	s_and_not1_b32 vcc_lo, exec_lo, s38
	s_wait_alu 0xfffe
	s_cbranch_vccnz .LBB476_4
; %bb.6:                                ;   in Loop: Header=BB476_5 Depth=1
	s_mul_u64 s[16:17], s[30:31], s[28:29]
	s_and_not1_b32 vcc_lo, exec_lo, s27
	s_wait_alu 0xfffe
	s_lshl_b64 s[16:17], s[16:17], 2
	s_wait_alu 0xfffe
	s_add_nc_u64 s[16:17], s[12:13], s[16:17]
	s_cbranch_vccnz .LBB476_10
; %bb.7:                                ;   in Loop: Header=BB476_5 Depth=1
	s_mov_b32 s7, 0
	s_mov_b32 s44, 0
                                        ; implicit-def: $vgpr13
	s_and_saveexec_b32 s34, s41
	s_cbranch_execz .LBB476_11
; %bb.8:                                ;   in Loop: Header=BB476_5 Depth=1
	s_and_not1_b32 vcc_lo, exec_lo, s39
	s_wait_alu 0xfffe
	s_cbranch_vccnz .LBB476_13
; %bb.9:                                ;   in Loop: Header=BB476_5 Depth=1
	v_add_co_u32 v11, vcc_lo, s16, v7
	s_wait_alu 0xfffd
	v_add_co_ci_u32_e64 v12, null, s17, v8, vcc_lo
	global_load_b32 v11, v[11:12], off
	s_wait_loadcnt 0x0
	v_mul_f32_e32 v13, s26, v11
	s_branch .LBB476_14
.LBB476_10:                             ;   in Loop: Header=BB476_5 Depth=1
	s_mov_b32 s44, 0
                                        ; implicit-def: $vgpr13
	s_cbranch_execz .LBB476_12
	s_branch .LBB476_15
.LBB476_11:                             ;   in Loop: Header=BB476_5 Depth=1
	s_wait_alu 0xfffe
	s_or_b32 exec_lo, exec_lo, s34
	s_delay_alu instid0(SALU_CYCLE_1)
	s_and_b32 vcc_lo, exec_lo, s7
	s_wait_alu 0xfffe
	s_cbranch_vccnz .LBB476_15
.LBB476_12:                             ;   in Loop: Header=BB476_5 Depth=1
	v_dual_mov_b32 v12, v1 :: v_dual_mov_b32 v11, v0
	s_and_saveexec_b32 s7, s44
	s_cbranch_execz .LBB476_3
	s_branch .LBB476_52
.LBB476_13:                             ;   in Loop: Header=BB476_5 Depth=1
	v_mov_b32_e32 v13, 0
.LBB476_14:                             ;   in Loop: Header=BB476_5 Depth=1
	s_mov_b32 s44, exec_lo
	s_wait_alu 0xfffe
	s_or_b32 exec_lo, exec_lo, s34
	s_delay_alu instid0(SALU_CYCLE_1)
	s_and_b32 vcc_lo, exec_lo, s7
	s_wait_alu 0xfffe
	s_cbranch_vccz .LBB476_12
.LBB476_15:                             ;   in Loop: Header=BB476_5 Depth=1
	s_mul_u64 s[34:35], s[8:9], s[28:29]
	s_mul_u64 s[36:37], s[24:25], s[28:29]
	v_dual_mov_b32 v28, 0 :: v_dual_mov_b32 v29, 0
	v_dual_mov_b32 v32, v19 :: v_dual_mov_b32 v31, 0
	v_mov_b32_e32 v30, 0
	s_wait_alu 0xfffe
	s_lshl_b64 s[34:35], s[34:35], 1
	s_lshl_b64 s[36:37], s[36:37], 1
	s_wait_alu 0xfffe
	s_add_nc_u64 s[34:35], s[14:15], s[34:35]
	s_add_nc_u64 s[36:37], s[10:11], s[36:37]
	s_and_saveexec_b32 s7, s4
	s_cbranch_execz .LBB476_27
; %bb.16:                               ;   in Loop: Header=BB476_5 Depth=1
	v_dual_mov_b32 v28, 0 :: v_dual_mov_b32 v33, v24
	v_dual_mov_b32 v34, v5 :: v_dual_mov_b32 v35, v4
	;; [unrolled: 1-line block ×4, first 2 shown]
	v_mov_b32_e32 v30, 0
	s_mov_b32 s45, 0
	s_mov_b32 s46, 0
	s_branch .LBB476_21
.LBB476_17:                             ;   in Loop: Header=BB476_21 Depth=2
	s_or_b32 exec_lo, exec_lo, s50
	s_wait_loadcnt 0x3
	v_fma_mix_f32 v11, v49, v53, v30 op_sel_hi:[0,1,0]
	s_wait_loadcnt 0x2
	s_delay_alu instid0(VALU_DEP_1) | instskip(SKIP_1) | instid1(VALU_DEP_1)
	v_fma_mix_f32 v11, v50, v54, v11 op_sel_hi:[0,1,0]
	s_wait_loadcnt 0x1
	v_fma_mix_f32 v11, v51, v55, v11 op_sel_hi:[0,1,0]
	s_wait_loadcnt 0x0
	s_delay_alu instid0(VALU_DEP_1)
	v_fma_mix_f32 v30, v52, v56, v11 op_sel_hi:[0,1,0]
.LBB476_18:                             ;   in Loop: Header=BB476_21 Depth=2
	s_or_b32 exec_lo, exec_lo, s49
	s_wait_loadcnt 0x3
	v_fma_mix_f32 v11, v49, v45, v29 op_sel_hi:[0,1,0]
	s_wait_loadcnt 0x2
	s_delay_alu instid0(VALU_DEP_1) | instskip(SKIP_1) | instid1(VALU_DEP_1)
	v_fma_mix_f32 v11, v50, v46, v11 op_sel_hi:[0,1,0]
	s_wait_loadcnt 0x1
	v_fma_mix_f32 v11, v51, v47, v11 op_sel_hi:[0,1,0]
	s_wait_loadcnt 0x0
	s_delay_alu instid0(VALU_DEP_1)
	v_fma_mix_f32 v29, v52, v48, v11 op_sel_hi:[0,1,0]
.LBB476_19:                             ;   in Loop: Header=BB476_21 Depth=2
	s_or_b32 exec_lo, exec_lo, s48
	s_wait_loadcnt 0x3
	v_fma_mix_f32 v11, v37, v41, v28 op_sel_hi:[1,1,0]
	s_wait_loadcnt 0x2
	s_delay_alu instid0(VALU_DEP_1) | instskip(SKIP_1) | instid1(VALU_DEP_1)
	v_fma_mix_f32 v11, v38, v42, v11 op_sel_hi:[1,1,0]
	s_wait_loadcnt 0x1
	v_fma_mix_f32 v11, v39, v43, v11 op_sel_hi:[1,1,0]
	s_wait_loadcnt 0x0
	s_delay_alu instid0(VALU_DEP_1)
	v_fma_mix_f32 v28, v40, v44, v11 op_sel_hi:[1,1,0]
.LBB476_20:                             ;   in Loop: Header=BB476_21 Depth=2
	s_wait_alu 0xfffe
	s_or_b32 exec_lo, exec_lo, s47
	v_add_nc_u32_e32 v32, 64, v32
	v_add_nc_u32_e32 v36, s42, v36
	;; [unrolled: 1-line block ×5, first 2 shown]
	v_cmp_le_i32_e32 vcc_lo, s40, v32
	s_add_co_i32 s46, s46, s43
	s_or_b32 s45, vcc_lo, s45
	s_delay_alu instid0(SALU_CYCLE_1)
	s_and_not1_b32 exec_lo, exec_lo, s45
	s_cbranch_execz .LBB476_26
.LBB476_21:                             ;   Parent Loop BB476_5 Depth=1
                                        ; =>  This Inner Loop Header: Depth=2
	s_and_saveexec_b32 s47, s0
	s_cbranch_execz .LBB476_20
; %bb.22:                               ;   in Loop: Header=BB476_21 Depth=2
	s_wait_alu 0xfffe
	v_add_nc_u32_e32 v11, s46, v27
	v_add_nc_u32_e32 v13, s46, v6
	;; [unrolled: 1-line block ×5, first 2 shown]
	v_ashrrev_i32_e32 v12, 31, v11
	v_ashrrev_i32_e32 v14, 31, v13
	;; [unrolled: 1-line block ×5, first 2 shown]
	v_lshlrev_b64_e32 v[11:12], 1, v[11:12]
	v_lshlrev_b64_e32 v[13:14], 1, v[13:14]
	;; [unrolled: 1-line block ×3, first 2 shown]
	s_delay_alu instid0(VALU_DEP_3) | instskip(SKIP_1) | instid1(VALU_DEP_4)
	v_add_co_u32 v39, vcc_lo, s36, v11
	s_wait_alu 0xfffd
	v_add_co_ci_u32_e64 v40, null, s37, v12, vcc_lo
	s_delay_alu instid0(VALU_DEP_4)
	v_add_co_u32 v41, vcc_lo, s36, v13
	v_add_nc_u32_e32 v13, s33, v36
	s_wait_alu 0xfffd
	v_add_co_ci_u32_e64 v42, null, s37, v14, vcc_lo
	v_lshlrev_b64_e32 v[11:12], 1, v[17:18]
	v_add_co_u32 v43, vcc_lo, s36, v15
	v_add_nc_u32_e32 v17, s33, v35
	s_wait_alu 0xfffd
	v_add_co_ci_u32_e64 v44, null, s37, v16, vcc_lo
	v_lshlrev_b64_e32 v[15:16], 1, v[37:38]
	v_add_nc_u32_e32 v37, s33, v34
	v_ashrrev_i32_e32 v14, 31, v13
	v_ashrrev_i32_e32 v18, 31, v17
	v_add_co_u32 v45, vcc_lo, s36, v11
	s_delay_alu instid0(VALU_DEP_4)
	v_ashrrev_i32_e32 v38, 31, v37
	s_wait_alu 0xfffd
	v_add_co_ci_u32_e64 v46, null, s37, v12, vcc_lo
	v_lshlrev_b64_e32 v[13:14], 1, v[13:14]
	v_add_co_u32 v11, vcc_lo, s34, v15
	s_wait_alu 0xfffd
	v_add_co_ci_u32_e64 v12, null, s35, v16, vcc_lo
	v_lshlrev_b64_e32 v[15:16], 1, v[17:18]
	v_lshlrev_b64_e32 v[17:18], 1, v[37:38]
	v_add_co_u32 v13, vcc_lo, s34, v13
	s_wait_alu 0xfffd
	v_add_co_ci_u32_e64 v14, null, s35, v14, vcc_lo
	s_delay_alu instid0(VALU_DEP_4)
	v_add_co_u32 v15, vcc_lo, s34, v15
	s_wait_alu 0xfffd
	v_add_co_ci_u32_e64 v16, null, s35, v16, vcc_lo
	v_add_co_u32 v17, vcc_lo, s34, v17
	s_wait_alu 0xfffd
	v_add_co_ci_u32_e64 v18, null, s35, v18, vcc_lo
	s_clause 0x3
	global_load_u16 v37, v[39:40], off
	global_load_u16 v38, v[41:42], off
	;; [unrolled: 1-line block ×4, first 2 shown]
	s_clause 0x3
	global_load_u16 v41, v[11:12], off
	global_load_u16 v42, v[13:14], off
	;; [unrolled: 1-line block ×4, first 2 shown]
	s_and_saveexec_b32 s48, s1
	s_cbranch_execz .LBB476_19
; %bb.23:                               ;   in Loop: Header=BB476_21 Depth=2
	s_clause 0x3
	global_load_u16 v45, v[11:12], off offset:64
	global_load_u16 v46, v[13:14], off offset:64
	;; [unrolled: 1-line block ×4, first 2 shown]
	s_wait_loadcnt 0xb
	v_cvt_f32_f16_e32 v49, v37
	s_wait_loadcnt 0xa
	v_cvt_f32_f16_e32 v50, v38
	;; [unrolled: 2-line block ×4, first 2 shown]
	s_and_saveexec_b32 s49, s2
	s_cbranch_execz .LBB476_18
; %bb.24:                               ;   in Loop: Header=BB476_21 Depth=2
	s_clause 0x3
	global_load_u16 v53, v[11:12], off offset:128
	global_load_u16 v54, v[13:14], off offset:128
	;; [unrolled: 1-line block ×4, first 2 shown]
	s_and_saveexec_b32 s50, s3
	s_cbranch_execz .LBB476_17
; %bb.25:                               ;   in Loop: Header=BB476_21 Depth=2
	s_clause 0x3
	global_load_u16 v11, v[11:12], off offset:192
	global_load_u16 v12, v[13:14], off offset:192
	;; [unrolled: 1-line block ×4, first 2 shown]
	s_wait_loadcnt 0x3
	v_fma_mix_f32 v11, v49, v11, v31 op_sel_hi:[0,1,0]
	s_wait_loadcnt 0x2
	s_delay_alu instid0(VALU_DEP_1) | instskip(SKIP_1) | instid1(VALU_DEP_1)
	v_fma_mix_f32 v11, v50, v12, v11 op_sel_hi:[0,1,0]
	s_wait_loadcnt 0x1
	v_fma_mix_f32 v11, v51, v13, v11 op_sel_hi:[0,1,0]
	s_wait_loadcnt 0x0
	s_delay_alu instid0(VALU_DEP_1)
	v_fma_mix_f32 v31, v52, v14, v11 op_sel_hi:[0,1,0]
	s_branch .LBB476_17
.LBB476_26:                             ;   in Loop: Header=BB476_5 Depth=1
	s_or_b32 exec_lo, exec_lo, s45
.LBB476_27:                             ;   in Loop: Header=BB476_5 Depth=1
	s_wait_alu 0xfffe
	s_or_b32 exec_lo, exec_lo, s7
	s_delay_alu instid0(SALU_CYCLE_1)
	s_and_not1_b32 vcc_lo, exec_lo, s20
	s_wait_alu 0xfffe
	s_cbranch_vccnz .LBB476_45
; %bb.28:                               ;   in Loop: Header=BB476_5 Depth=1
	v_cmp_gt_i32_e32 vcc_lo, s21, v32
	v_dual_mov_b32 v33, 0 :: v_dual_mov_b32 v34, 0
	v_or_b32_e32 v11, 1, v32
	v_dual_mov_b32 v35, 0 :: v_dual_mov_b32 v36, 0
	s_and_saveexec_b32 s45, vcc_lo
	s_cbranch_execz .LBB476_36
; %bb.29:                               ;   in Loop: Header=BB476_5 Depth=1
	v_mul_lo_u32 v12, v32, s18
	v_dual_mov_b32 v35, 0 :: v_dual_mov_b32 v34, 0
	v_mov_b32_e32 v33, 0
	s_mov_b32 s46, exec_lo
	s_delay_alu instid0(VALU_DEP_3) | instskip(NEXT) | instid1(VALU_DEP_1)
	v_ashrrev_i32_e32 v13, 31, v12
	v_lshlrev_b64_e32 v[12:13], 1, v[12:13]
	s_delay_alu instid0(VALU_DEP_1) | instskip(SKIP_1) | instid1(VALU_DEP_2)
	v_add_co_u32 v12, s7, s36, v12
	s_wait_alu 0xf1ff
	v_add_co_ci_u32_e64 v13, null, s37, v13, s7
	global_load_u16 v12, v[12:13], off
	v_cmpx_gt_i32_e64 s21, v11
	s_cbranch_execz .LBB476_35
; %bb.30:                               ;   in Loop: Header=BB476_5 Depth=1
	v_mul_lo_u32 v13, v11, s18
	v_dual_mov_b32 v34, 0 :: v_dual_mov_b32 v33, 0
	s_mov_b32 s47, exec_lo
	s_delay_alu instid0(VALU_DEP_2) | instskip(NEXT) | instid1(VALU_DEP_1)
	v_ashrrev_i32_e32 v14, 31, v13
	v_lshlrev_b64_e32 v[13:14], 1, v[13:14]
	s_delay_alu instid0(VALU_DEP_1) | instskip(SKIP_1) | instid1(VALU_DEP_2)
	v_add_co_u32 v13, s7, s36, v13
	s_wait_alu 0xf1ff
	v_add_co_ci_u32_e64 v14, null, s37, v14, s7
	global_load_u16 v13, v[13:14], off
	v_or_b32_e32 v14, 2, v32
	s_delay_alu instid0(VALU_DEP_1)
	v_cmpx_gt_i32_e64 s21, v14
	s_cbranch_execz .LBB476_34
; %bb.31:                               ;   in Loop: Header=BB476_5 Depth=1
	v_mul_lo_u32 v14, v14, s18
	v_mov_b32_e32 v33, 0
	s_mov_b32 s48, exec_lo
	s_delay_alu instid0(VALU_DEP_2) | instskip(NEXT) | instid1(VALU_DEP_1)
	v_ashrrev_i32_e32 v15, 31, v14
	v_lshlrev_b64_e32 v[14:15], 1, v[14:15]
	s_delay_alu instid0(VALU_DEP_1) | instskip(SKIP_1) | instid1(VALU_DEP_2)
	v_add_co_u32 v14, s7, s36, v14
	s_wait_alu 0xf1ff
	v_add_co_ci_u32_e64 v15, null, s37, v15, s7
	global_load_u16 v14, v[14:15], off
	v_or_b32_e32 v15, 3, v32
	s_delay_alu instid0(VALU_DEP_1)
	v_cmpx_gt_i32_e64 s21, v15
	s_cbranch_execz .LBB476_33
; %bb.32:                               ;   in Loop: Header=BB476_5 Depth=1
	v_mul_lo_u32 v15, v15, s18
	s_delay_alu instid0(VALU_DEP_1) | instskip(NEXT) | instid1(VALU_DEP_1)
	v_ashrrev_i32_e32 v16, 31, v15
	v_lshlrev_b64_e32 v[15:16], 1, v[15:16]
	s_delay_alu instid0(VALU_DEP_1) | instskip(SKIP_1) | instid1(VALU_DEP_2)
	v_add_co_u32 v15, s7, s36, v15
	s_wait_alu 0xf1ff
	v_add_co_ci_u32_e64 v16, null, s37, v16, s7
	global_load_u16 v15, v[15:16], off
	s_wait_loadcnt 0x0
	v_cvt_f32_f16_e32 v33, v15
.LBB476_33:                             ;   in Loop: Header=BB476_5 Depth=1
	s_or_b32 exec_lo, exec_lo, s48
	s_wait_loadcnt 0x0
	v_cvt_f32_f16_e32 v34, v14
.LBB476_34:                             ;   in Loop: Header=BB476_5 Depth=1
	s_wait_alu 0xfffe
	s_or_b32 exec_lo, exec_lo, s47
	s_wait_loadcnt 0x0
	v_cvt_f32_f16_e32 v35, v13
.LBB476_35:                             ;   in Loop: Header=BB476_5 Depth=1
	s_wait_alu 0xfffe
	s_or_b32 exec_lo, exec_lo, s46
	s_wait_loadcnt 0x0
	v_cvt_f32_f16_e32 v36, v12
.LBB476_36:                             ;   in Loop: Header=BB476_5 Depth=1
	s_or_b32 exec_lo, exec_lo, s45
	s_and_saveexec_b32 s7, s0
	s_cbranch_execz .LBB476_44
; %bb.37:                               ;   in Loop: Header=BB476_5 Depth=1
	v_mul_lo_u32 v13, v32, s23
	v_or_b32_e32 v12, 2, v32
	v_mul_lo_u32 v15, v11, s23
	v_or_b32_e32 v14, 3, v32
	s_delay_alu instid0(VALU_DEP_3) | instskip(NEXT) | instid1(VALU_DEP_2)
	v_mul_lo_u32 v16, v12, s23
	v_mul_lo_u32 v17, v14, s23
	v_cndmask_b32_e32 v13, 0, v13, vcc_lo
	v_cmp_gt_i32_e32 vcc_lo, s21, v11
	s_wait_alu 0xfffd
	v_cndmask_b32_e32 v15, 0, v15, vcc_lo
	v_cmp_gt_i32_e32 vcc_lo, s21, v12
	s_wait_alu 0xfffd
	v_cndmask_b32_e32 v12, 0, v16, vcc_lo
	v_cmp_gt_i32_e32 vcc_lo, s21, v14
	v_add_nc_u32_e32 v11, v13, v21
	s_wait_alu 0xfffd
	v_cndmask_b32_e32 v14, 0, v17, vcc_lo
	v_add_nc_u32_e32 v13, v15, v21
	v_add_nc_u32_e32 v15, v12, v21
	v_ashrrev_i32_e32 v12, 31, v11
	s_delay_alu instid0(VALU_DEP_4) | instskip(NEXT) | instid1(VALU_DEP_4)
	v_add_nc_u32_e32 v17, v14, v21
	v_ashrrev_i32_e32 v14, 31, v13
	s_delay_alu instid0(VALU_DEP_4) | instskip(NEXT) | instid1(VALU_DEP_4)
	v_ashrrev_i32_e32 v16, 31, v15
	v_lshlrev_b64_e32 v[11:12], 1, v[11:12]
	s_delay_alu instid0(VALU_DEP_4) | instskip(NEXT) | instid1(VALU_DEP_4)
	v_ashrrev_i32_e32 v18, 31, v17
	v_lshlrev_b64_e32 v[13:14], 1, v[13:14]
	s_delay_alu instid0(VALU_DEP_4) | instskip(NEXT) | instid1(VALU_DEP_4)
	v_lshlrev_b64_e32 v[15:16], 1, v[15:16]
	v_add_co_u32 v11, vcc_lo, s34, v11
	s_delay_alu instid0(VALU_DEP_4)
	v_lshlrev_b64_e32 v[17:18], 1, v[17:18]
	s_wait_alu 0xfffd
	v_add_co_ci_u32_e64 v12, null, s35, v12, vcc_lo
	v_add_co_u32 v13, vcc_lo, s34, v13
	s_wait_alu 0xfffd
	v_add_co_ci_u32_e64 v14, null, s35, v14, vcc_lo
	v_add_co_u32 v15, vcc_lo, s34, v15
	;; [unrolled: 3-line block ×3, first 2 shown]
	s_wait_alu 0xfffd
	v_add_co_ci_u32_e64 v18, null, s35, v18, vcc_lo
	s_clause 0x3
	global_load_u16 v32, v[11:12], off
	global_load_u16 v37, v[13:14], off
	;; [unrolled: 1-line block ×4, first 2 shown]
	s_and_saveexec_b32 s34, s1
	s_cbranch_execz .LBB476_43
; %bb.38:                               ;   in Loop: Header=BB476_5 Depth=1
	s_clause 0x3
	global_load_u16 v40, v[11:12], off offset:64
	global_load_u16 v41, v[13:14], off offset:64
	global_load_u16 v42, v[15:16], off offset:64
	global_load_u16 v43, v[17:18], off offset:64
	s_and_saveexec_b32 s35, s2
	s_cbranch_execz .LBB476_42
; %bb.39:                               ;   in Loop: Header=BB476_5 Depth=1
	s_clause 0x3
	global_load_u16 v44, v[11:12], off offset:128
	global_load_u16 v45, v[13:14], off offset:128
	global_load_u16 v46, v[15:16], off offset:128
	global_load_u16 v47, v[17:18], off offset:128
	;; [unrolled: 8-line block ×3, first 2 shown]
	s_wait_loadcnt 0x3
	v_fma_mix_f32 v11, v36, v11, v31 op_sel_hi:[0,1,0]
	s_wait_loadcnt 0x2
	s_delay_alu instid0(VALU_DEP_1) | instskip(SKIP_1) | instid1(VALU_DEP_1)
	v_fma_mix_f32 v11, v35, v12, v11 op_sel_hi:[0,1,0]
	s_wait_loadcnt 0x1
	v_fma_mix_f32 v11, v34, v13, v11 op_sel_hi:[0,1,0]
	s_wait_loadcnt 0x0
	s_delay_alu instid0(VALU_DEP_1)
	v_fma_mix_f32 v31, v33, v14, v11 op_sel_hi:[0,1,0]
.LBB476_41:                             ;   in Loop: Header=BB476_5 Depth=1
	s_wait_alu 0xfffe
	s_or_b32 exec_lo, exec_lo, s36
	s_wait_loadcnt 0x3
	v_fma_mix_f32 v11, v36, v44, v30 op_sel_hi:[0,1,0]
	s_wait_loadcnt 0x2
	s_delay_alu instid0(VALU_DEP_1) | instskip(SKIP_1) | instid1(VALU_DEP_1)
	v_fma_mix_f32 v11, v35, v45, v11 op_sel_hi:[0,1,0]
	s_wait_loadcnt 0x1
	v_fma_mix_f32 v11, v34, v46, v11 op_sel_hi:[0,1,0]
	s_wait_loadcnt 0x0
	s_delay_alu instid0(VALU_DEP_1)
	v_fma_mix_f32 v30, v33, v47, v11 op_sel_hi:[0,1,0]
.LBB476_42:                             ;   in Loop: Header=BB476_5 Depth=1
	s_wait_alu 0xfffe
	s_or_b32 exec_lo, exec_lo, s35
	s_wait_loadcnt 0x3
	v_fma_mix_f32 v11, v36, v40, v29 op_sel_hi:[0,1,0]
	s_wait_loadcnt 0x2
	s_delay_alu instid0(VALU_DEP_1) | instskip(SKIP_1) | instid1(VALU_DEP_1)
	v_fma_mix_f32 v11, v35, v41, v11 op_sel_hi:[0,1,0]
	s_wait_loadcnt 0x1
	v_fma_mix_f32 v11, v34, v42, v11 op_sel_hi:[0,1,0]
	s_wait_loadcnt 0x0
	s_delay_alu instid0(VALU_DEP_1)
	v_fma_mix_f32 v29, v33, v43, v11 op_sel_hi:[0,1,0]
.LBB476_43:                             ;   in Loop: Header=BB476_5 Depth=1
	s_wait_alu 0xfffe
	s_or_b32 exec_lo, exec_lo, s34
	s_wait_loadcnt 0x3
	v_fma_mix_f32 v11, v36, v32, v28 op_sel_hi:[0,1,0]
	s_wait_loadcnt 0x2
	s_delay_alu instid0(VALU_DEP_1) | instskip(SKIP_1) | instid1(VALU_DEP_1)
	v_fma_mix_f32 v11, v35, v37, v11 op_sel_hi:[0,1,0]
	s_wait_loadcnt 0x1
	v_fma_mix_f32 v11, v34, v38, v11 op_sel_hi:[0,1,0]
	s_wait_loadcnt 0x0
	s_delay_alu instid0(VALU_DEP_1)
	v_fma_mix_f32 v28, v33, v39, v11 op_sel_hi:[0,1,0]
.LBB476_44:                             ;   in Loop: Header=BB476_5 Depth=1
	s_wait_alu 0xfffe
	s_or_b32 exec_lo, exec_lo, s7
.LBB476_45:                             ;   in Loop: Header=BB476_5 Depth=1
	ds_store_2addr_b32 v20, v28, v29 offset1:32
	ds_store_2addr_b32 v20, v30, v31 offset0:64 offset1:96
	s_wait_dscnt 0x0
	s_barrier_signal -1
	s_barrier_wait -1
	global_inv scope:SCOPE_SE
                                        ; implicit-def: $vgpr13
	s_and_saveexec_b32 s7, s5
	s_cbranch_execz .LBB476_51
; %bb.46:                               ;   in Loop: Header=BB476_5 Depth=1
	ds_load_2addr_stride64_b32 v[11:12], v22 offset1:2
	ds_load_2addr_stride64_b32 v[13:14], v22 offset0:4 offset1:6
	ds_load_2addr_stride64_b32 v[15:16], v22 offset0:8 offset1:10
	s_mov_b32 s35, s44
	s_wait_dscnt 0x2
	v_add_f32_e32 v17, v11, v12
	ds_load_2addr_stride64_b32 v[11:12], v22 offset0:12 offset1:14
	s_wait_dscnt 0x2
	v_add_f32_e32 v13, v13, v17
	s_delay_alu instid0(VALU_DEP_1) | instskip(SKIP_3) | instid1(VALU_DEP_1)
	v_add_f32_e32 v17, v14, v13
	ds_load_2addr_stride64_b32 v[13:14], v22 offset0:16 offset1:18
	s_wait_dscnt 0x2
	v_add_f32_e32 v15, v15, v17
	v_add_f32_e32 v17, v16, v15
	ds_load_2addr_stride64_b32 v[15:16], v22 offset0:20 offset1:22
	s_wait_dscnt 0x2
	v_add_f32_e32 v11, v11, v17
	s_delay_alu instid0(VALU_DEP_1) | instskip(SKIP_1) | instid1(VALU_DEP_1)
	v_add_f32_e32 v11, v12, v11
	s_wait_dscnt 0x1
	v_add_f32_e32 v13, v13, v11
	ds_load_2addr_stride64_b32 v[11:12], v22 offset0:24 offset1:26
	v_add_f32_e32 v13, v14, v13
	s_wait_dscnt 0x1
	s_delay_alu instid0(VALU_DEP_1) | instskip(SKIP_3) | instid1(VALU_DEP_1)
	v_add_f32_e32 v15, v15, v13
	ds_load_2addr_stride64_b32 v[13:14], v22 offset0:28 offset1:30
	v_add_f32_e32 v15, v16, v15
	s_wait_dscnt 0x1
	v_add_f32_e32 v11, v11, v15
	s_delay_alu instid0(VALU_DEP_1) | instskip(SKIP_1) | instid1(VALU_DEP_1)
	v_add_f32_e32 v11, v12, v11
	s_wait_dscnt 0x0
	v_add_f32_e32 v11, v13, v11
                                        ; implicit-def: $vgpr13
	s_delay_alu instid0(VALU_DEP_1)
	v_add_f32_e32 v11, v14, v11
	ds_store_b32 v22, v11
	s_and_saveexec_b32 s34, s6
	s_cbranch_execz .LBB476_50
; %bb.47:                               ;   in Loop: Header=BB476_5 Depth=1
	v_mul_f32_e32 v13, s22, v11
	s_and_not1_b32 vcc_lo, exec_lo, s39
	s_wait_alu 0xfffe
	s_cbranch_vccnz .LBB476_49
; %bb.48:                               ;   in Loop: Header=BB476_5 Depth=1
	v_add_co_u32 v11, vcc_lo, s16, v9
	s_wait_alu 0xfffd
	v_add_co_ci_u32_e64 v12, null, s17, v10, vcc_lo
	global_load_b32 v11, v[11:12], off
	s_wait_loadcnt 0x0
	v_fmac_f32_e32 v13, s26, v11
.LBB476_49:                             ;   in Loop: Header=BB476_5 Depth=1
	s_or_b32 s35, s44, exec_lo
.LBB476_50:                             ;   in Loop: Header=BB476_5 Depth=1
	s_wait_alu 0xfffe
	s_or_b32 exec_lo, exec_lo, s34
	s_delay_alu instid0(SALU_CYCLE_1)
	s_and_not1_b32 s34, s44, exec_lo
	s_and_b32 s35, s35, exec_lo
	s_wait_alu 0xfffe
	s_or_b32 s44, s34, s35
.LBB476_51:                             ;   in Loop: Header=BB476_5 Depth=1
	s_wait_alu 0xfffe
	s_or_b32 exec_lo, exec_lo, s7
	v_dual_mov_b32 v12, v3 :: v_dual_mov_b32 v11, v2
	s_and_saveexec_b32 s7, s44
	s_cbranch_execz .LBB476_3
.LBB476_52:                             ;   in Loop: Header=BB476_5 Depth=1
	s_delay_alu instid0(VALU_DEP_1) | instskip(SKIP_1) | instid1(VALU_DEP_1)
	v_lshlrev_b64_e32 v[11:12], 2, v[11:12]
	s_wait_alu 0xfffe
	v_add_co_u32 v11, vcc_lo, s16, v11
	s_wait_alu 0xfffd
	s_delay_alu instid0(VALU_DEP_2)
	v_add_co_ci_u32_e64 v12, null, s17, v12, vcc_lo
	global_store_b32 v[11:12], v13, off
	s_branch .LBB476_3
.LBB476_53:
	s_endpgm
	.section	.rodata,"a",@progbits
	.p2align	6, 0x0
	.amdhsa_kernel _ZL20rocblas_gemvn_kernelILi32ELi16EiDF16_ffEviiT3_lPKT2_lT1_lS3_lS4_lS0_lPT4_lS4_li
		.amdhsa_group_segment_fixed_size 8192
		.amdhsa_private_segment_fixed_size 0
		.amdhsa_kernarg_size 400
		.amdhsa_user_sgpr_count 2
		.amdhsa_user_sgpr_dispatch_ptr 0
		.amdhsa_user_sgpr_queue_ptr 0
		.amdhsa_user_sgpr_kernarg_segment_ptr 1
		.amdhsa_user_sgpr_dispatch_id 0
		.amdhsa_user_sgpr_private_segment_size 0
		.amdhsa_wavefront_size32 1
		.amdhsa_uses_dynamic_stack 0
		.amdhsa_enable_private_segment 0
		.amdhsa_system_sgpr_workgroup_id_x 1
		.amdhsa_system_sgpr_workgroup_id_y 0
		.amdhsa_system_sgpr_workgroup_id_z 1
		.amdhsa_system_sgpr_workgroup_info 0
		.amdhsa_system_vgpr_workitem_id 1
		.amdhsa_next_free_vgpr 57
		.amdhsa_next_free_sgpr 51
		.amdhsa_reserve_vcc 1
		.amdhsa_float_round_mode_32 0
		.amdhsa_float_round_mode_16_64 0
		.amdhsa_float_denorm_mode_32 3
		.amdhsa_float_denorm_mode_16_64 3
		.amdhsa_fp16_overflow 0
		.amdhsa_workgroup_processor_mode 1
		.amdhsa_memory_ordered 1
		.amdhsa_forward_progress 1
		.amdhsa_inst_pref_size 27
		.amdhsa_round_robin_scheduling 0
		.amdhsa_exception_fp_ieee_invalid_op 0
		.amdhsa_exception_fp_denorm_src 0
		.amdhsa_exception_fp_ieee_div_zero 0
		.amdhsa_exception_fp_ieee_overflow 0
		.amdhsa_exception_fp_ieee_underflow 0
		.amdhsa_exception_fp_ieee_inexact 0
		.amdhsa_exception_int_div_zero 0
	.end_amdhsa_kernel
	.section	.text._ZL20rocblas_gemvn_kernelILi32ELi16EiDF16_ffEviiT3_lPKT2_lT1_lS3_lS4_lS0_lPT4_lS4_li,"axG",@progbits,_ZL20rocblas_gemvn_kernelILi32ELi16EiDF16_ffEviiT3_lPKT2_lT1_lS3_lS4_lS0_lPT4_lS4_li,comdat
.Lfunc_end476:
	.size	_ZL20rocblas_gemvn_kernelILi32ELi16EiDF16_ffEviiT3_lPKT2_lT1_lS3_lS4_lS0_lPT4_lS4_li, .Lfunc_end476-_ZL20rocblas_gemvn_kernelILi32ELi16EiDF16_ffEviiT3_lPKT2_lT1_lS3_lS4_lS0_lPT4_lS4_li
                                        ; -- End function
	.set _ZL20rocblas_gemvn_kernelILi32ELi16EiDF16_ffEviiT3_lPKT2_lT1_lS3_lS4_lS0_lPT4_lS4_li.num_vgpr, 57
	.set _ZL20rocblas_gemvn_kernelILi32ELi16EiDF16_ffEviiT3_lPKT2_lT1_lS3_lS4_lS0_lPT4_lS4_li.num_agpr, 0
	.set _ZL20rocblas_gemvn_kernelILi32ELi16EiDF16_ffEviiT3_lPKT2_lT1_lS3_lS4_lS0_lPT4_lS4_li.numbered_sgpr, 51
	.set _ZL20rocblas_gemvn_kernelILi32ELi16EiDF16_ffEviiT3_lPKT2_lT1_lS3_lS4_lS0_lPT4_lS4_li.num_named_barrier, 0
	.set _ZL20rocblas_gemvn_kernelILi32ELi16EiDF16_ffEviiT3_lPKT2_lT1_lS3_lS4_lS0_lPT4_lS4_li.private_seg_size, 0
	.set _ZL20rocblas_gemvn_kernelILi32ELi16EiDF16_ffEviiT3_lPKT2_lT1_lS3_lS4_lS0_lPT4_lS4_li.uses_vcc, 1
	.set _ZL20rocblas_gemvn_kernelILi32ELi16EiDF16_ffEviiT3_lPKT2_lT1_lS3_lS4_lS0_lPT4_lS4_li.uses_flat_scratch, 0
	.set _ZL20rocblas_gemvn_kernelILi32ELi16EiDF16_ffEviiT3_lPKT2_lT1_lS3_lS4_lS0_lPT4_lS4_li.has_dyn_sized_stack, 0
	.set _ZL20rocblas_gemvn_kernelILi32ELi16EiDF16_ffEviiT3_lPKT2_lT1_lS3_lS4_lS0_lPT4_lS4_li.has_recursion, 0
	.set _ZL20rocblas_gemvn_kernelILi32ELi16EiDF16_ffEviiT3_lPKT2_lT1_lS3_lS4_lS0_lPT4_lS4_li.has_indirect_call, 0
	.section	.AMDGPU.csdata,"",@progbits
; Kernel info:
; codeLenInByte = 3372
; TotalNumSgprs: 53
; NumVgprs: 57
; ScratchSize: 0
; MemoryBound: 0
; FloatMode: 240
; IeeeMode: 1
; LDSByteSize: 8192 bytes/workgroup (compile time only)
; SGPRBlocks: 0
; VGPRBlocks: 7
; NumSGPRsForWavesPerEU: 53
; NumVGPRsForWavesPerEU: 57
; Occupancy: 16
; WaveLimiterHint : 1
; COMPUTE_PGM_RSRC2:SCRATCH_EN: 0
; COMPUTE_PGM_RSRC2:USER_SGPR: 2
; COMPUTE_PGM_RSRC2:TRAP_HANDLER: 0
; COMPUTE_PGM_RSRC2:TGID_X_EN: 1
; COMPUTE_PGM_RSRC2:TGID_Y_EN: 0
; COMPUTE_PGM_RSRC2:TGID_Z_EN: 1
; COMPUTE_PGM_RSRC2:TIDIG_COMP_CNT: 1
	.section	.text._ZL20rocblas_gemvn_kernelILi32ELi16ElDF16_ffEviiT3_lPKT2_lT1_lS3_lS4_lS0_lPT4_lS4_li,"axG",@progbits,_ZL20rocblas_gemvn_kernelILi32ELi16ElDF16_ffEviiT3_lPKT2_lT1_lS3_lS4_lS0_lPT4_lS4_li,comdat
	.globl	_ZL20rocblas_gemvn_kernelILi32ELi16ElDF16_ffEviiT3_lPKT2_lT1_lS3_lS4_lS0_lPT4_lS4_li ; -- Begin function _ZL20rocblas_gemvn_kernelILi32ELi16ElDF16_ffEviiT3_lPKT2_lT1_lS3_lS4_lS0_lPT4_lS4_li
	.p2align	8
	.type	_ZL20rocblas_gemvn_kernelILi32ELi16ElDF16_ffEviiT3_lPKT2_lT1_lS3_lS4_lS0_lPT4_lS4_li,@function
_ZL20rocblas_gemvn_kernelILi32ELi16ElDF16_ffEviiT3_lPKT2_lT1_lS3_lS4_lS0_lPT4_lS4_li: ; @_ZL20rocblas_gemvn_kernelILi32ELi16ElDF16_ffEviiT3_lPKT2_lT1_lS3_lS4_lS0_lPT4_lS4_li
; %bb.0:
	s_load_b64 s[2:3], s[0:1], 0x9c
	s_wait_kmcnt 0x0
	s_lshr_b32 s4, s2, 16
	s_and_b32 s2, s2, 0xffff
	s_and_b32 s3, s3, 0xffff
	s_mul_i32 s2, s4, s2
	s_delay_alu instid0(SALU_CYCLE_1) | instskip(NEXT) | instid1(SALU_CYCLE_1)
	s_mul_i32 s2, s2, s3
	s_cmp_lg_u32 s2, 0x200
	s_cbranch_scc1 .LBB477_53
; %bb.1:
	s_load_b32 s33, s[0:1], 0x88
	s_lshr_b32 s34, ttmp7, 16
	s_wait_kmcnt 0x0
	s_cmp_ge_u32 s34, s33
	s_cbranch_scc1 .LBB477_53
; %bb.2:
	s_clause 0x3
	s_load_b512 s[8:23], s[0:1], 0x18
	s_load_b256 s[24:31], s[0:1], 0x68
	s_load_b96 s[36:38], s[0:1], 0x0
	s_load_b32 s39, s[0:1], 0x58
	v_bfe_u32 v15, v0, 10, 10
	v_and_b32_e32 v1, 0x3ff, v0
	s_mov_b32 s35, 0
	s_delay_alu instid0(VALU_DEP_2) | instskip(NEXT) | instid1(VALU_DEP_2)
	v_dual_mov_b32 v3, 0 :: v_dual_lshlrev_b32 v16, 2, v15
	v_lshlrev_b32_e32 v10, 2, v1
	s_delay_alu instid0(VALU_DEP_2) | instskip(NEXT) | instid1(VALU_DEP_2)
	v_or_b32_e32 v19, 3, v16
	v_lshl_add_u32 v17, v15, 9, v10
	v_lshl_add_u32 v18, v15, 7, v10
	s_wait_kmcnt 0x0
	s_lshl_b64 s[2:3], s[10:11], 1
	s_lshl_b64 s[10:11], s[18:19], 1
	;; [unrolled: 1-line block ×3, first 2 shown]
	s_cmp_eq_f32 s38, 0
	s_add_nc_u64 s[18:19], s[8:9], s[2:3]
	v_mad_co_u64_u32 v[4:5], null, s20, v15, 0
	s_cselect_b32 s46, -1, 0
	s_cmp_neq_f32 s38, 0
	v_mad_co_u64_u32 v[6:7], null, s12, v19, 0
	s_add_nc_u64 s[24:25], s[24:25], s[4:5]
	s_cselect_b32 s1, -1, 0
	s_cmp_neq_f32 s39, 1.0
	s_mov_b32 s6, s36
	s_add_nc_u64 s[26:27], s[16:17], s[10:11]
	s_cselect_b32 s2, -1, 0
	s_lshl_b32 s8, ttmp9, 7
	s_ashr_i32 s7, s36, 31
	v_add_nc_u32_e32 v8, s8, v1
	s_or_b32 s47, s1, s2
	s_cmp_neq_f32 s39, 0
	s_delay_alu instid0(VALU_DEP_1) | instskip(SKIP_2) | instid1(SALU_CYCLE_1)
	v_add_nc_u32_e32 v11, 64, v8
	s_cselect_b32 s48, -1, 0
	s_ashr_i32 s2, s37, 31
	s_lshr_b32 s2, s2, 26
	s_delay_alu instid0(VALU_DEP_1)
	v_cmp_gt_i32_e64 s3, s36, v11
	v_mad_co_u64_u32 v[10:11], null, s21, v15, v[5:6]
	v_mov_b32_e32 v5, v7
	s_add_co_i32 s49, s37, s2
	v_or_b32_e32 v23, 2, v16
	s_and_not1_b32 s49, s49, 63
	v_mad_co_u64_u32 v[29:30], null, s20, v16, s[20:21]
	v_mad_co_u64_u32 v[13:14], null, s13, v19, v[5:6]
	v_dual_mov_b32 v5, v10 :: v_dual_add_nc_u32 v12, 0x60, v8
	s_sub_co_i32 s5, s37, s49
	v_ashrrev_i32_e32 v9, 31, v8
	s_cmp_gt_i32 s5, 0
	s_delay_alu instid0(VALU_DEP_2)
	v_lshlrev_b64_e32 v[4:5], 3, v[4:5]
	v_cmp_gt_i32_e64 s4, s36, v12
	v_mad_co_u64_u32 v[11:12], null, s20, v19, 0
	s_cselect_b32 s50, -1, 0
	v_cmp_gt_i32_e64 s1, s36, v8
	v_mov_b32_e32 v7, v13
	v_mad_co_u64_u32 v[27:28], null, s20, v23, 0
	v_mad_co_u64_u32 v[31:32], null, s12, v16, s[12:13]
	v_mov_b32_e32 v10, v12
	v_lshl_add_u32 v0, v15, 5, v1
	v_lshlrev_b64_e32 v[6:7], 1, v[6:7]
	v_cmp_gt_i32_e64 s5, s49, v16
	s_lshl_b64 s[40:41], s[14:15], 1
	v_mad_co_u64_u32 v[12:13], null, s21, v19, v[10:11]
	v_add_nc_u32_e32 v2, s8, v0
	v_cmp_gt_u32_e64 s0, 0x80, v0
	v_or_b32_e32 v20, s8, v0
	v_mad_co_u64_u32 v[13:14], null, s12, v15, 0
	s_delay_alu instid0(VALU_DEP_4)
	v_mad_co_u64_u32 v[0:1], null, s28, v2, 0
	v_cmp_gt_i64_e32 vcc_lo, s[6:7], v[2:3]
	v_add_nc_u32_e32 v3, 32, v8
	s_ashr_i32 s6, s8, 31
	v_mul_lo_u32 v21, s29, v20
	s_wait_alu 0xfffe
	s_mul_i32 s7, s28, s6
	v_cmp_gt_i32_e64 s6, s36, v20
	v_mad_co_u64_u32 v[1:2], null, s29, v2, v[1:2]
	v_cmp_gt_i32_e64 s2, s36, v3
	v_mad_co_u64_u32 v[2:3], null, s28, v20, 0
	s_and_b32 s36, s0, vcc_lo
	v_add_co_u32 v19, vcc_lo, s16, v4
	s_delay_alu instid0(VALU_DEP_1)
	v_add_co_ci_u32_e64 v20, null, s17, v5, vcc_lo
	v_lshlrev_b64_e32 v[4:5], 1, v[8:9]
	v_mad_co_u64_u32 v[9:10], null, s12, v23, 0
	v_mov_b32_e32 v8, v14
	s_wait_alu 0xfffe
	v_add3_u32 v3, v3, s7, v21
	v_add_co_u32 v21, vcc_lo, s18, v6
	s_wait_alu 0xfffd
	v_add_co_ci_u32_e64 v22, null, s19, v7, vcc_lo
	v_mad_co_u64_u32 v[14:15], null, s13, v15, v[8:9]
	v_lshlrev_b64_e32 v[7:8], 1, v[11:12]
	v_mov_b32_e32 v6, v10
	v_mov_b32_e32 v10, v28
	s_lshl_b64 s[28:29], s[22:23], 1
	s_lshl_b64 s[42:43], s[12:13], 7
	s_delay_alu instid0(VALU_DEP_2) | instskip(SKIP_1) | instid1(VALU_DEP_2)
	v_mad_co_u64_u32 v[11:12], null, s13, v23, v[6:7]
	v_mov_b32_e32 v6, v30
	v_mad_co_u64_u32 v[25:26], null, s21, v23, v[10:11]
	v_add_co_u32 v23, vcc_lo, s16, v7
	s_wait_alu 0xfffd
	v_add_co_ci_u32_e64 v24, null, s17, v8, vcc_lo
	v_lshlrev_b64_e32 v[7:8], 3, v[13:14]
	v_mov_b32_e32 v10, v11
	v_mov_b32_e32 v28, v25
	s_delay_alu instid0(VALU_DEP_3)
	v_add_co_u32 v25, vcc_lo, s18, v7
	v_mad_co_u64_u32 v[11:12], null, s21, v16, v[6:7]
	s_wait_alu 0xfffd
	v_add_co_ci_u32_e64 v26, null, s19, v8, vcc_lo
	v_lshlrev_b64_e32 v[7:8], 1, v[9:10]
	v_mov_b32_e32 v6, v32
	v_lshlrev_b64_e32 v[12:13], 1, v[27:28]
	v_mov_b32_e32 v30, v11
	s_delay_alu instid0(VALU_DEP_3) | instskip(SKIP_1) | instid1(VALU_DEP_3)
	v_mad_co_u64_u32 v[9:10], null, s13, v16, v[6:7]
	v_add_co_u32 v27, vcc_lo, s18, v7
	v_lshlrev_b64_e32 v[6:7], 1, v[29:30]
	s_wait_alu 0xfffd
	v_add_co_ci_u32_e64 v28, null, s19, v8, vcc_lo
	v_add_co_u32 v29, vcc_lo, s16, v12
	v_mov_b32_e32 v32, v9
	s_wait_alu 0xfffd
	v_add_co_ci_u32_e64 v30, null, s17, v13, vcc_lo
	s_delay_alu instid0(VALU_DEP_2) | instskip(SKIP_4) | instid1(VALU_DEP_4)
	v_lshlrev_b64_e32 v[8:9], 1, v[31:32]
	v_add_co_u32 v31, vcc_lo, s16, v6
	s_wait_alu 0xfffd
	v_add_co_ci_u32_e64 v32, null, s17, v7, vcc_lo
	v_lshlrev_b64_e32 v[6:7], 2, v[0:1]
	v_add_co_u32 v33, vcc_lo, s18, v8
	s_wait_alu 0xfffd
	v_add_co_ci_u32_e64 v34, null, s19, v9, vcc_lo
	s_lshl_b64 s[16:17], s[20:21], 7
	s_branch .LBB477_5
.LBB477_3:                              ;   in Loop: Header=BB477_5 Depth=1
	s_wait_alu 0xfffe
	s_or_b32 exec_lo, exec_lo, s7
.LBB477_4:                              ;   in Loop: Header=BB477_5 Depth=1
	s_add_co_i32 s34, s34, 0x10000
	s_delay_alu instid0(SALU_CYCLE_1)
	s_cmp_lt_u32 s34, s33
	s_cbranch_scc0 .LBB477_53
.LBB477_5:                              ; =>This Loop Header: Depth=1
                                        ;     Child Loop BB477_21 Depth 2
	s_and_not1_b32 vcc_lo, exec_lo, s47
	s_wait_alu 0xfffe
	s_cbranch_vccnz .LBB477_4
; %bb.6:                                ;   in Loop: Header=BB477_5 Depth=1
	s_mul_u64 s[8:9], s[30:31], s[34:35]
	s_and_not1_b32 vcc_lo, exec_lo, s46
	s_wait_alu 0xfffe
	s_lshl_b64 s[8:9], s[8:9], 2
	s_wait_alu 0xfffe
	s_add_nc_u64 s[44:45], s[24:25], s[8:9]
	s_cbranch_vccnz .LBB477_10
; %bb.7:                                ;   in Loop: Header=BB477_5 Depth=1
	s_mov_b32 s7, 0
	s_mov_b32 s51, 0
                                        ; implicit-def: $vgpr10
	s_and_saveexec_b32 s8, s36
	s_cbranch_execz .LBB477_11
; %bb.8:                                ;   in Loop: Header=BB477_5 Depth=1
	s_and_not1_b32 vcc_lo, exec_lo, s48
	s_wait_alu 0xfffe
	s_cbranch_vccnz .LBB477_13
; %bb.9:                                ;   in Loop: Header=BB477_5 Depth=1
	v_add_co_u32 v8, vcc_lo, s44, v6
	s_wait_alu 0xfffd
	v_add_co_ci_u32_e64 v9, null, s45, v7, vcc_lo
	global_load_b32 v8, v[8:9], off
	s_wait_loadcnt 0x0
	v_mul_f32_e32 v10, s39, v8
	s_branch .LBB477_14
.LBB477_10:                             ;   in Loop: Header=BB477_5 Depth=1
	s_mov_b32 s51, 0
                                        ; implicit-def: $vgpr10
	s_cbranch_execz .LBB477_12
	s_branch .LBB477_15
.LBB477_11:                             ;   in Loop: Header=BB477_5 Depth=1
	s_wait_alu 0xfffe
	s_or_b32 exec_lo, exec_lo, s8
	s_delay_alu instid0(SALU_CYCLE_1)
	s_and_b32 vcc_lo, exec_lo, s7
	s_wait_alu 0xfffe
	s_cbranch_vccnz .LBB477_15
.LBB477_12:                             ;   in Loop: Header=BB477_5 Depth=1
	v_dual_mov_b32 v9, v1 :: v_dual_mov_b32 v8, v0
	s_and_saveexec_b32 s7, s51
	s_cbranch_execz .LBB477_3
	s_branch .LBB477_52
.LBB477_13:                             ;   in Loop: Header=BB477_5 Depth=1
	v_mov_b32_e32 v10, 0
.LBB477_14:                             ;   in Loop: Header=BB477_5 Depth=1
	s_mov_b32 s51, exec_lo
	s_or_b32 exec_lo, exec_lo, s8
	s_delay_alu instid0(SALU_CYCLE_1)
	s_and_b32 vcc_lo, exec_lo, s7
	s_wait_alu 0xfffe
	s_cbranch_vccz .LBB477_12
.LBB477_15:                             ;   in Loop: Header=BB477_5 Depth=1
	v_dual_mov_b32 v35, 0 :: v_dual_mov_b32 v36, 0
	v_dual_mov_b32 v39, v16 :: v_dual_mov_b32 v38, 0
	v_mov_b32_e32 v37, 0
	s_and_saveexec_b32 s8, s5
	s_cbranch_execz .LBB477_27
; %bb.16:                               ;   in Loop: Header=BB477_5 Depth=1
	s_mul_u64 s[52:53], s[28:29], s[34:35]
	s_mul_u64 s[54:55], s[40:41], s[34:35]
	s_wait_alu 0xfffe
	v_add_co_u32 v40, vcc_lo, v19, s52
	s_wait_alu 0xfffd
	v_add_co_ci_u32_e64 v41, null, s53, v20, vcc_lo
	v_add_co_u32 v42, vcc_lo, v21, s54
	s_wait_alu 0xfffd
	v_add_co_ci_u32_e64 v43, null, s55, v22, vcc_lo
	;; [unrolled: 3-line block ×8, first 2 shown]
	v_dual_mov_b32 v35, 0 :: v_dual_mov_b32 v36, 0
	v_dual_mov_b32 v39, v16 :: v_dual_mov_b32 v38, 0
	v_mov_b32_e32 v37, 0
	s_mov_b32 s9, 0
	s_branch .LBB477_21
.LBB477_17:                             ;   in Loop: Header=BB477_21 Depth=2
	s_wait_alu 0xfffe
	s_or_b32 exec_lo, exec_lo, s54
	s_wait_loadcnt 0x3
	v_fma_mix_f32 v8, v68, v72, v37 op_sel_hi:[0,1,0]
	s_wait_loadcnt 0x2
	s_delay_alu instid0(VALU_DEP_1) | instskip(SKIP_1) | instid1(VALU_DEP_1)
	v_fma_mix_f32 v8, v69, v73, v8 op_sel_hi:[0,1,0]
	s_wait_loadcnt 0x1
	v_fma_mix_f32 v8, v70, v74, v8 op_sel_hi:[0,1,0]
	s_wait_loadcnt 0x0
	s_delay_alu instid0(VALU_DEP_1)
	v_fma_mix_f32 v37, v71, v75, v8 op_sel_hi:[0,1,0]
.LBB477_18:                             ;   in Loop: Header=BB477_21 Depth=2
	s_wait_alu 0xfffe
	s_or_b32 exec_lo, exec_lo, s53
	s_wait_loadcnt 0x3
	v_fma_mix_f32 v8, v68, v64, v36 op_sel_hi:[0,1,0]
	s_wait_loadcnt 0x2
	s_delay_alu instid0(VALU_DEP_1) | instskip(SKIP_1) | instid1(VALU_DEP_1)
	v_fma_mix_f32 v8, v69, v65, v8 op_sel_hi:[0,1,0]
	s_wait_loadcnt 0x1
	v_fma_mix_f32 v8, v70, v66, v8 op_sel_hi:[0,1,0]
	s_wait_loadcnt 0x0
	s_delay_alu instid0(VALU_DEP_1)
	v_fma_mix_f32 v36, v71, v67, v8 op_sel_hi:[0,1,0]
.LBB477_19:                             ;   in Loop: Header=BB477_21 Depth=2
	s_wait_alu 0xfffe
	s_or_b32 exec_lo, exec_lo, s52
	s_wait_loadcnt 0x3
	v_fma_mix_f32 v8, v56, v60, v35 op_sel_hi:[1,1,0]
	s_wait_loadcnt 0x2
	s_delay_alu instid0(VALU_DEP_1) | instskip(SKIP_1) | instid1(VALU_DEP_1)
	v_fma_mix_f32 v8, v57, v61, v8 op_sel_hi:[1,1,0]
	s_wait_loadcnt 0x1
	v_fma_mix_f32 v8, v58, v62, v8 op_sel_hi:[1,1,0]
	s_wait_loadcnt 0x0
	s_delay_alu instid0(VALU_DEP_1)
	v_fma_mix_f32 v35, v59, v63, v8 op_sel_hi:[1,1,0]
.LBB477_20:                             ;   in Loop: Header=BB477_21 Depth=2
	s_wait_alu 0xfffe
	s_or_b32 exec_lo, exec_lo, s7
	v_add_co_u32 v40, vcc_lo, v40, s16
	s_wait_alu 0xfffd
	v_add_co_ci_u32_e64 v41, null, s17, v41, vcc_lo
	v_add_co_u32 v42, vcc_lo, v42, s42
	s_wait_alu 0xfffd
	v_add_co_ci_u32_e64 v43, null, s43, v43, vcc_lo
	;; [unrolled: 3-line block ×4, first 2 shown]
	v_add_co_u32 v48, vcc_lo, v48, s42
	v_add_nc_u32_e32 v39, 64, v39
	s_wait_alu 0xfffd
	v_add_co_ci_u32_e64 v49, null, s43, v49, vcc_lo
	v_add_co_u32 v50, vcc_lo, v50, s16
	s_wait_alu 0xfffd
	v_add_co_ci_u32_e64 v51, null, s17, v51, vcc_lo
	v_add_co_u32 v52, vcc_lo, v52, s16
	s_wait_alu 0xfffd
	v_add_co_ci_u32_e64 v53, null, s17, v53, vcc_lo
	v_cmp_le_i32_e32 vcc_lo, s49, v39
	v_add_co_u32 v54, s7, v54, s42
	s_wait_alu 0xf1ff
	v_add_co_ci_u32_e64 v55, null, s43, v55, s7
	s_or_b32 s9, vcc_lo, s9
	s_wait_alu 0xfffe
	s_and_not1_b32 exec_lo, exec_lo, s9
	s_cbranch_execz .LBB477_26
.LBB477_21:                             ;   Parent Loop BB477_5 Depth=1
                                        ; =>  This Inner Loop Header: Depth=2
	s_and_saveexec_b32 s7, s1
	s_cbranch_execz .LBB477_20
; %bb.22:                               ;   in Loop: Header=BB477_21 Depth=2
	v_add_co_u32 v8, vcc_lo, v40, s10
	s_wait_alu 0xfffd
	v_add_co_ci_u32_e64 v9, null, s11, v41, vcc_lo
	v_add_co_u32 v10, vcc_lo, v52, s10
	s_wait_alu 0xfffd
	v_add_co_ci_u32_e64 v11, null, s11, v53, vcc_lo
	;; [unrolled: 3-line block ×3, first 2 shown]
	v_add_co_u32 v59, vcc_lo, v44, s10
	global_load_u16 v56, v[8:9], off
	global_load_u16 v57, v[10:11], off
	;; [unrolled: 1-line block ×3, first 2 shown]
	s_wait_alu 0xfffd
	v_add_co_ci_u32_e64 v60, null, s11, v45, vcc_lo
	v_add_co_u32 v8, vcc_lo, v46, v4
	s_wait_alu 0xfffd
	v_add_co_ci_u32_e64 v9, null, v47, v5, vcc_lo
	v_add_co_u32 v10, vcc_lo, v54, v4
	;; [unrolled: 3-line block ×4, first 2 shown]
	s_wait_alu 0xfffd
	v_add_co_ci_u32_e64 v15, null, v43, v5, vcc_lo
	global_load_u16 v59, v[59:60], off
	global_load_u16 v60, v[8:9], off
	;; [unrolled: 1-line block ×5, first 2 shown]
	s_and_saveexec_b32 s52, s2
	s_cbranch_execz .LBB477_19
; %bb.23:                               ;   in Loop: Header=BB477_21 Depth=2
	global_load_u16 v64, v[8:9], off offset:64
	global_load_u16 v65, v[10:11], off offset:64
	;; [unrolled: 1-line block ×4, first 2 shown]
	s_wait_loadcnt 0xb
	v_cvt_f32_f16_e32 v68, v56
	s_wait_loadcnt 0xa
	v_cvt_f32_f16_e32 v69, v57
	;; [unrolled: 2-line block ×4, first 2 shown]
	s_and_saveexec_b32 s53, s3
	s_cbranch_execz .LBB477_18
; %bb.24:                               ;   in Loop: Header=BB477_21 Depth=2
	global_load_u16 v72, v[8:9], off offset:128
	global_load_u16 v73, v[10:11], off offset:128
	global_load_u16 v74, v[12:13], off offset:128
	global_load_u16 v75, v[14:15], off offset:128
	s_and_saveexec_b32 s54, s4
	s_cbranch_execz .LBB477_17
; %bb.25:                               ;   in Loop: Header=BB477_21 Depth=2
	global_load_u16 v8, v[8:9], off offset:192
	global_load_u16 v9, v[10:11], off offset:192
	;; [unrolled: 1-line block ×4, first 2 shown]
	s_wait_loadcnt 0x3
	v_fma_mix_f32 v8, v68, v8, v38 op_sel_hi:[0,1,0]
	s_wait_loadcnt 0x2
	s_delay_alu instid0(VALU_DEP_1) | instskip(SKIP_1) | instid1(VALU_DEP_1)
	v_fma_mix_f32 v8, v69, v9, v8 op_sel_hi:[0,1,0]
	s_wait_loadcnt 0x1
	v_fma_mix_f32 v8, v70, v10, v8 op_sel_hi:[0,1,0]
	s_wait_loadcnt 0x0
	s_delay_alu instid0(VALU_DEP_1)
	v_fma_mix_f32 v38, v71, v11, v8 op_sel_hi:[0,1,0]
	s_branch .LBB477_17
.LBB477_26:                             ;   in Loop: Header=BB477_5 Depth=1
	s_or_b32 exec_lo, exec_lo, s9
.LBB477_27:                             ;   in Loop: Header=BB477_5 Depth=1
	s_wait_alu 0xfffe
	s_or_b32 exec_lo, exec_lo, s8
	s_delay_alu instid0(SALU_CYCLE_1)
	s_and_not1_b32 vcc_lo, exec_lo, s50
	s_wait_alu 0xfffe
	s_cbranch_vccnz .LBB477_45
; %bb.28:                               ;   in Loop: Header=BB477_5 Depth=1
	v_cmp_gt_i32_e32 vcc_lo, s37, v39
	v_dual_mov_b32 v40, 0 :: v_dual_mov_b32 v41, 0
	v_or_b32_e32 v8, 1, v39
	v_dual_mov_b32 v42, 0 :: v_dual_mov_b32 v43, 0
	s_and_saveexec_b32 s52, vcc_lo
	s_cbranch_execz .LBB477_36
; %bb.29:                               ;   in Loop: Header=BB477_5 Depth=1
	v_mad_co_u64_u32 v[9:10], null, s20, v39, 0
	s_mul_u64 s[8:9], s[22:23], s[34:35]
	v_dual_mov_b32 v42, 0 :: v_dual_mov_b32 v41, 0
	s_wait_alu 0xfffe
	s_lshl_b64 s[8:9], s[8:9], 1
	v_mov_b32_e32 v40, 0
	s_wait_alu 0xfffe
	s_add_nc_u64 s[8:9], s[26:27], s[8:9]
	v_mad_co_u64_u32 v[10:11], null, s21, v39, v[10:11]
	s_mov_b32 s53, exec_lo
	v_lshlrev_b64_e32 v[9:10], 1, v[9:10]
	s_wait_alu 0xfffe
	s_delay_alu instid0(VALU_DEP_1) | instskip(SKIP_1) | instid1(VALU_DEP_2)
	v_add_co_u32 v9, s7, s8, v9
	s_wait_alu 0xf1ff
	v_add_co_ci_u32_e64 v10, null, s9, v10, s7
	global_load_u16 v9, v[9:10], off
	v_cmpx_gt_i32_e64 s37, v8
	s_cbranch_execz .LBB477_35
; %bb.30:                               ;   in Loop: Header=BB477_5 Depth=1
	v_mad_co_u64_u32 v[10:11], null, s20, v8, 0
	v_dual_mov_b32 v41, 0 :: v_dual_mov_b32 v40, 0
	s_mov_b32 s54, exec_lo
	s_delay_alu instid0(VALU_DEP_2) | instskip(NEXT) | instid1(VALU_DEP_1)
	v_mad_co_u64_u32 v[11:12], null, s21, v8, v[11:12]
	v_lshlrev_b64_e32 v[10:11], 1, v[10:11]
	s_delay_alu instid0(VALU_DEP_1) | instskip(SKIP_1) | instid1(VALU_DEP_2)
	v_add_co_u32 v10, s7, s8, v10
	s_wait_alu 0xf1ff
	v_add_co_ci_u32_e64 v11, null, s9, v11, s7
	global_load_u16 v10, v[10:11], off
	v_or_b32_e32 v11, 2, v39
	s_delay_alu instid0(VALU_DEP_1)
	v_cmpx_gt_i32_e64 s37, v11
	s_cbranch_execz .LBB477_34
; %bb.31:                               ;   in Loop: Header=BB477_5 Depth=1
	v_mad_co_u64_u32 v[12:13], null, s20, v11, 0
	v_mov_b32_e32 v40, 0
	s_mov_b32 s55, exec_lo
	s_delay_alu instid0(VALU_DEP_2) | instskip(NEXT) | instid1(VALU_DEP_1)
	v_mad_co_u64_u32 v[13:14], null, s21, v11, v[13:14]
	v_lshlrev_b64_e32 v[11:12], 1, v[12:13]
	s_delay_alu instid0(VALU_DEP_1) | instskip(SKIP_1) | instid1(VALU_DEP_2)
	v_add_co_u32 v11, s7, s8, v11
	s_wait_alu 0xf1ff
	v_add_co_ci_u32_e64 v12, null, s9, v12, s7
	global_load_u16 v11, v[11:12], off
	v_or_b32_e32 v12, 3, v39
	s_delay_alu instid0(VALU_DEP_1)
	v_cmpx_gt_i32_e64 s37, v12
	s_cbranch_execz .LBB477_33
; %bb.32:                               ;   in Loop: Header=BB477_5 Depth=1
	v_mad_co_u64_u32 v[13:14], null, s20, v12, 0
	s_delay_alu instid0(VALU_DEP_1) | instskip(NEXT) | instid1(VALU_DEP_1)
	v_mad_co_u64_u32 v[14:15], null, s21, v12, v[14:15]
	v_lshlrev_b64_e32 v[12:13], 1, v[13:14]
	s_delay_alu instid0(VALU_DEP_1) | instskip(SKIP_1) | instid1(VALU_DEP_2)
	v_add_co_u32 v12, s7, s8, v12
	s_wait_alu 0xf1ff
	v_add_co_ci_u32_e64 v13, null, s9, v13, s7
	global_load_u16 v12, v[12:13], off
	s_wait_loadcnt 0x0
	v_cvt_f32_f16_e32 v40, v12
.LBB477_33:                             ;   in Loop: Header=BB477_5 Depth=1
	s_wait_alu 0xfffe
	s_or_b32 exec_lo, exec_lo, s55
	s_wait_loadcnt 0x0
	v_cvt_f32_f16_e32 v41, v11
.LBB477_34:                             ;   in Loop: Header=BB477_5 Depth=1
	s_wait_alu 0xfffe
	s_or_b32 exec_lo, exec_lo, s54
	s_wait_loadcnt 0x0
	v_cvt_f32_f16_e32 v42, v10
.LBB477_35:                             ;   in Loop: Header=BB477_5 Depth=1
	s_or_b32 exec_lo, exec_lo, s53
	s_wait_loadcnt 0x0
	v_cvt_f32_f16_e32 v43, v9
.LBB477_36:                             ;   in Loop: Header=BB477_5 Depth=1
	s_wait_alu 0xfffe
	s_or_b32 exec_lo, exec_lo, s52
	s_and_saveexec_b32 s9, s1
	s_cbranch_execz .LBB477_44
; %bb.37:                               ;   in Loop: Header=BB477_5 Depth=1
	v_mad_co_u64_u32 v[9:10], null, s12, v39, 0
	v_mad_co_u64_u32 v[11:12], null, s12, v8, 0
	v_or_b32_e32 v48, 2, v39
	v_or_b32_e32 v49, 3, v39
	s_mul_u64 s[52:53], s[14:15], s[34:35]
	s_wait_alu 0xfffe
	s_lshl_b64 s[52:53], s[52:53], 1
	v_cmp_gt_i32_e64 s7, s37, v48
	s_delay_alu instid0(VALU_DEP_4) | instskip(SKIP_4) | instid1(VALU_DEP_2)
	v_mad_co_u64_u32 v[13:14], null, s13, v39, v[10:11]
	v_mad_co_u64_u32 v[14:15], null, s12, v48, 0
	;; [unrolled: 1-line block ×3, first 2 shown]
	s_wait_alu 0xfffe
	s_add_nc_u64 s[52:53], s[18:19], s[52:53]
	v_dual_cndmask_b32 v10, 0, v13 :: v_dual_mov_b32 v13, v15
	s_delay_alu instid0(VALU_DEP_2) | instskip(NEXT) | instid1(VALU_DEP_2)
	v_mov_b32_e32 v15, v45
	v_mad_co_u64_u32 v[46:47], null, s13, v8, v[12:13]
	v_cndmask_b32_e32 v9, 0, v9, vcc_lo
	v_cmp_gt_i32_e32 vcc_lo, s37, v8
	s_wait_alu 0xfffd
	s_delay_alu instid0(VALU_DEP_3) | instskip(NEXT) | instid1(VALU_DEP_3)
	v_dual_cndmask_b32 v11, 0, v11 :: v_dual_cndmask_b32 v12, 0, v46
	v_lshlrev_b64_e32 v[9:10], 1, v[9:10]
	s_wait_alu 0xfffe
	s_delay_alu instid0(VALU_DEP_1) | instskip(SKIP_1) | instid1(VALU_DEP_2)
	v_add_co_u32 v8, s8, s52, v9
	s_wait_alu 0xf1ff
	v_add_co_ci_u32_e64 v9, null, s53, v10, s8
	v_lshlrev_b64_e32 v[10:11], 1, v[11:12]
	s_delay_alu instid0(VALU_DEP_3) | instskip(SKIP_1) | instid1(VALU_DEP_3)
	v_add_co_u32 v8, vcc_lo, v8, v4
	s_wait_alu 0xfffd
	v_add_co_ci_u32_e64 v9, null, v9, v5, vcc_lo
	v_cmp_gt_i32_e32 vcc_lo, s37, v49
	v_cndmask_b32_e64 v12, 0, v14, s7
	s_wait_alu 0xfffd
	v_cndmask_b32_e32 v44, 0, v44, vcc_lo
	v_mad_co_u64_u32 v[47:48], null, s13, v48, v[13:14]
	v_mad_co_u64_u32 v[14:15], null, s13, v49, v[15:16]
	s_delay_alu instid0(VALU_DEP_2) | instskip(SKIP_1) | instid1(VALU_DEP_3)
	v_cndmask_b32_e64 v13, 0, v47, s7
	v_add_co_u32 v10, s7, s52, v10
	v_cndmask_b32_e32 v45, 0, v14, vcc_lo
	s_wait_alu 0xf1ff
	v_add_co_ci_u32_e64 v11, null, s53, v11, s7
	v_lshlrev_b64_e32 v[12:13], 1, v[12:13]
	v_add_co_u32 v10, vcc_lo, v10, v4
	v_lshlrev_b64_e32 v[14:15], 1, v[44:45]
	s_wait_alu 0xfffd
	v_add_co_ci_u32_e64 v11, null, v11, v5, vcc_lo
	s_delay_alu instid0(VALU_DEP_4)
	v_add_co_u32 v12, vcc_lo, s52, v12
	s_wait_alu 0xfffd
	v_add_co_ci_u32_e64 v13, null, s53, v13, vcc_lo
	v_add_co_u32 v14, vcc_lo, s52, v14
	s_wait_alu 0xfffd
	v_add_co_ci_u32_e64 v15, null, s53, v15, vcc_lo
	;; [unrolled: 3-line block ×4, first 2 shown]
	s_clause 0x3
	global_load_u16 v39, v[8:9], off
	global_load_u16 v44, v[10:11], off
	;; [unrolled: 1-line block ×4, first 2 shown]
	s_and_saveexec_b32 s7, s2
	s_cbranch_execz .LBB477_43
; %bb.38:                               ;   in Loop: Header=BB477_5 Depth=1
	s_clause 0x3
	global_load_u16 v47, v[8:9], off offset:64
	global_load_u16 v48, v[10:11], off offset:64
	global_load_u16 v49, v[12:13], off offset:64
	global_load_u16 v50, v[14:15], off offset:64
	s_and_saveexec_b32 s8, s3
	s_cbranch_execz .LBB477_42
; %bb.39:                               ;   in Loop: Header=BB477_5 Depth=1
	s_clause 0x3
	global_load_u16 v51, v[8:9], off offset:128
	global_load_u16 v52, v[10:11], off offset:128
	global_load_u16 v53, v[12:13], off offset:128
	global_load_u16 v54, v[14:15], off offset:128
	s_and_saveexec_b32 s52, s4
	s_cbranch_execz .LBB477_41
; %bb.40:                               ;   in Loop: Header=BB477_5 Depth=1
	s_clause 0x3
	global_load_u16 v8, v[8:9], off offset:192
	global_load_u16 v9, v[10:11], off offset:192
	global_load_u16 v10, v[12:13], off offset:192
	global_load_u16 v11, v[14:15], off offset:192
	s_wait_loadcnt 0x3
	v_fma_mix_f32 v8, v43, v8, v38 op_sel_hi:[0,1,0]
	s_wait_loadcnt 0x2
	s_delay_alu instid0(VALU_DEP_1) | instskip(SKIP_1) | instid1(VALU_DEP_1)
	v_fma_mix_f32 v8, v42, v9, v8 op_sel_hi:[0,1,0]
	s_wait_loadcnt 0x1
	v_fma_mix_f32 v8, v41, v10, v8 op_sel_hi:[0,1,0]
	s_wait_loadcnt 0x0
	s_delay_alu instid0(VALU_DEP_1)
	v_fma_mix_f32 v38, v40, v11, v8 op_sel_hi:[0,1,0]
.LBB477_41:                             ;   in Loop: Header=BB477_5 Depth=1
	s_wait_alu 0xfffe
	s_or_b32 exec_lo, exec_lo, s52
	s_wait_loadcnt 0x3
	v_fma_mix_f32 v8, v43, v51, v37 op_sel_hi:[0,1,0]
	s_wait_loadcnt 0x2
	s_delay_alu instid0(VALU_DEP_1) | instskip(SKIP_1) | instid1(VALU_DEP_1)
	v_fma_mix_f32 v8, v42, v52, v8 op_sel_hi:[0,1,0]
	s_wait_loadcnt 0x1
	v_fma_mix_f32 v8, v41, v53, v8 op_sel_hi:[0,1,0]
	s_wait_loadcnt 0x0
	s_delay_alu instid0(VALU_DEP_1)
	v_fma_mix_f32 v37, v40, v54, v8 op_sel_hi:[0,1,0]
.LBB477_42:                             ;   in Loop: Header=BB477_5 Depth=1
	s_wait_alu 0xfffe
	s_or_b32 exec_lo, exec_lo, s8
	s_wait_loadcnt 0x3
	v_fma_mix_f32 v8, v43, v47, v36 op_sel_hi:[0,1,0]
	s_wait_loadcnt 0x2
	s_delay_alu instid0(VALU_DEP_1) | instskip(SKIP_1) | instid1(VALU_DEP_1)
	v_fma_mix_f32 v8, v42, v48, v8 op_sel_hi:[0,1,0]
	s_wait_loadcnt 0x1
	v_fma_mix_f32 v8, v41, v49, v8 op_sel_hi:[0,1,0]
	s_wait_loadcnt 0x0
	s_delay_alu instid0(VALU_DEP_1)
	v_fma_mix_f32 v36, v40, v50, v8 op_sel_hi:[0,1,0]
.LBB477_43:                             ;   in Loop: Header=BB477_5 Depth=1
	s_wait_alu 0xfffe
	s_or_b32 exec_lo, exec_lo, s7
	s_wait_loadcnt 0x3
	v_fma_mix_f32 v8, v43, v39, v35 op_sel_hi:[0,1,0]
	s_wait_loadcnt 0x2
	s_delay_alu instid0(VALU_DEP_1) | instskip(SKIP_1) | instid1(VALU_DEP_1)
	v_fma_mix_f32 v8, v42, v44, v8 op_sel_hi:[0,1,0]
	s_wait_loadcnt 0x1
	v_fma_mix_f32 v8, v41, v45, v8 op_sel_hi:[0,1,0]
	s_wait_loadcnt 0x0
	s_delay_alu instid0(VALU_DEP_1)
	v_fma_mix_f32 v35, v40, v46, v8 op_sel_hi:[0,1,0]
.LBB477_44:                             ;   in Loop: Header=BB477_5 Depth=1
	s_wait_alu 0xfffe
	s_or_b32 exec_lo, exec_lo, s9
.LBB477_45:                             ;   in Loop: Header=BB477_5 Depth=1
	ds_store_2addr_b32 v17, v35, v36 offset1:32
	ds_store_2addr_b32 v17, v37, v38 offset0:64 offset1:96
	s_wait_dscnt 0x0
	s_barrier_signal -1
	s_barrier_wait -1
	global_inv scope:SCOPE_SE
                                        ; implicit-def: $vgpr10
	s_and_saveexec_b32 s7, s0
	s_cbranch_execz .LBB477_51
; %bb.46:                               ;   in Loop: Header=BB477_5 Depth=1
	ds_load_2addr_stride64_b32 v[8:9], v18 offset1:2
	ds_load_2addr_stride64_b32 v[10:11], v18 offset0:4 offset1:6
	ds_load_2addr_stride64_b32 v[12:13], v18 offset0:8 offset1:10
	s_mov_b32 s9, s51
	s_wait_dscnt 0x2
	v_add_f32_e32 v14, v8, v9
	ds_load_2addr_stride64_b32 v[8:9], v18 offset0:12 offset1:14
	s_wait_dscnt 0x2
	v_add_f32_e32 v10, v10, v14
	s_delay_alu instid0(VALU_DEP_1) | instskip(SKIP_3) | instid1(VALU_DEP_1)
	v_add_f32_e32 v14, v11, v10
	ds_load_2addr_stride64_b32 v[10:11], v18 offset0:16 offset1:18
	s_wait_dscnt 0x2
	v_add_f32_e32 v12, v12, v14
	v_add_f32_e32 v14, v13, v12
	ds_load_2addr_stride64_b32 v[12:13], v18 offset0:20 offset1:22
	s_wait_dscnt 0x2
	v_add_f32_e32 v8, v8, v14
	s_delay_alu instid0(VALU_DEP_1) | instskip(SKIP_1) | instid1(VALU_DEP_1)
	v_add_f32_e32 v8, v9, v8
	s_wait_dscnt 0x1
	v_add_f32_e32 v10, v10, v8
	ds_load_2addr_stride64_b32 v[8:9], v18 offset0:24 offset1:26
	v_add_f32_e32 v10, v11, v10
	s_wait_dscnt 0x1
	s_delay_alu instid0(VALU_DEP_1) | instskip(SKIP_3) | instid1(VALU_DEP_1)
	v_add_f32_e32 v12, v12, v10
	ds_load_2addr_stride64_b32 v[10:11], v18 offset0:28 offset1:30
	v_add_f32_e32 v12, v13, v12
	s_wait_dscnt 0x1
	v_add_f32_e32 v8, v8, v12
	s_delay_alu instid0(VALU_DEP_1) | instskip(SKIP_1) | instid1(VALU_DEP_1)
	v_add_f32_e32 v8, v9, v8
	s_wait_dscnt 0x0
	v_add_f32_e32 v8, v10, v8
                                        ; implicit-def: $vgpr10
	s_delay_alu instid0(VALU_DEP_1)
	v_add_f32_e32 v8, v11, v8
	ds_store_b32 v18, v8
	s_and_saveexec_b32 s8, s6
	s_cbranch_execz .LBB477_50
; %bb.47:                               ;   in Loop: Header=BB477_5 Depth=1
	v_mul_f32_e32 v10, s38, v8
	s_and_not1_b32 vcc_lo, exec_lo, s48
	s_wait_alu 0xfffe
	s_cbranch_vccnz .LBB477_49
; %bb.48:                               ;   in Loop: Header=BB477_5 Depth=1
	v_lshlrev_b64_e32 v[8:9], 2, v[2:3]
	s_delay_alu instid0(VALU_DEP_1) | instskip(SKIP_1) | instid1(VALU_DEP_2)
	v_add_co_u32 v8, vcc_lo, s44, v8
	s_wait_alu 0xfffd
	v_add_co_ci_u32_e64 v9, null, s45, v9, vcc_lo
	global_load_b32 v8, v[8:9], off
	s_wait_loadcnt 0x0
	v_fmac_f32_e32 v10, s39, v8
.LBB477_49:                             ;   in Loop: Header=BB477_5 Depth=1
	s_or_b32 s9, s51, exec_lo
.LBB477_50:                             ;   in Loop: Header=BB477_5 Depth=1
	s_wait_alu 0xfffe
	s_or_b32 exec_lo, exec_lo, s8
	s_delay_alu instid0(SALU_CYCLE_1)
	s_and_not1_b32 s8, s51, exec_lo
	s_and_b32 s9, s9, exec_lo
	s_wait_alu 0xfffe
	s_or_b32 s51, s8, s9
.LBB477_51:                             ;   in Loop: Header=BB477_5 Depth=1
	s_wait_alu 0xfffe
	s_or_b32 exec_lo, exec_lo, s7
	v_dual_mov_b32 v9, v3 :: v_dual_mov_b32 v8, v2
	s_and_saveexec_b32 s7, s51
	s_cbranch_execz .LBB477_3
.LBB477_52:                             ;   in Loop: Header=BB477_5 Depth=1
	s_delay_alu instid0(VALU_DEP_1) | instskip(SKIP_1) | instid1(VALU_DEP_1)
	v_lshlrev_b64_e32 v[8:9], 2, v[8:9]
	s_wait_alu 0xfffe
	v_add_co_u32 v8, vcc_lo, s44, v8
	s_wait_alu 0xfffd
	s_delay_alu instid0(VALU_DEP_2)
	v_add_co_ci_u32_e64 v9, null, s45, v9, vcc_lo
	global_store_b32 v[8:9], v10, off
	s_branch .LBB477_3
.LBB477_53:
	s_endpgm
	.section	.rodata,"a",@progbits
	.p2align	6, 0x0
	.amdhsa_kernel _ZL20rocblas_gemvn_kernelILi32ELi16ElDF16_ffEviiT3_lPKT2_lT1_lS3_lS4_lS0_lPT4_lS4_li
		.amdhsa_group_segment_fixed_size 8192
		.amdhsa_private_segment_fixed_size 0
		.amdhsa_kernarg_size 400
		.amdhsa_user_sgpr_count 2
		.amdhsa_user_sgpr_dispatch_ptr 0
		.amdhsa_user_sgpr_queue_ptr 0
		.amdhsa_user_sgpr_kernarg_segment_ptr 1
		.amdhsa_user_sgpr_dispatch_id 0
		.amdhsa_user_sgpr_private_segment_size 0
		.amdhsa_wavefront_size32 1
		.amdhsa_uses_dynamic_stack 0
		.amdhsa_enable_private_segment 0
		.amdhsa_system_sgpr_workgroup_id_x 1
		.amdhsa_system_sgpr_workgroup_id_y 0
		.amdhsa_system_sgpr_workgroup_id_z 1
		.amdhsa_system_sgpr_workgroup_info 0
		.amdhsa_system_vgpr_workitem_id 1
		.amdhsa_next_free_vgpr 76
		.amdhsa_next_free_sgpr 56
		.amdhsa_reserve_vcc 1
		.amdhsa_float_round_mode_32 0
		.amdhsa_float_round_mode_16_64 0
		.amdhsa_float_denorm_mode_32 3
		.amdhsa_float_denorm_mode_16_64 3
		.amdhsa_fp16_overflow 0
		.amdhsa_workgroup_processor_mode 1
		.amdhsa_memory_ordered 1
		.amdhsa_forward_progress 1
		.amdhsa_inst_pref_size 32
		.amdhsa_round_robin_scheduling 0
		.amdhsa_exception_fp_ieee_invalid_op 0
		.amdhsa_exception_fp_denorm_src 0
		.amdhsa_exception_fp_ieee_div_zero 0
		.amdhsa_exception_fp_ieee_overflow 0
		.amdhsa_exception_fp_ieee_underflow 0
		.amdhsa_exception_fp_ieee_inexact 0
		.amdhsa_exception_int_div_zero 0
	.end_amdhsa_kernel
	.section	.text._ZL20rocblas_gemvn_kernelILi32ELi16ElDF16_ffEviiT3_lPKT2_lT1_lS3_lS4_lS0_lPT4_lS4_li,"axG",@progbits,_ZL20rocblas_gemvn_kernelILi32ELi16ElDF16_ffEviiT3_lPKT2_lT1_lS3_lS4_lS0_lPT4_lS4_li,comdat
.Lfunc_end477:
	.size	_ZL20rocblas_gemvn_kernelILi32ELi16ElDF16_ffEviiT3_lPKT2_lT1_lS3_lS4_lS0_lPT4_lS4_li, .Lfunc_end477-_ZL20rocblas_gemvn_kernelILi32ELi16ElDF16_ffEviiT3_lPKT2_lT1_lS3_lS4_lS0_lPT4_lS4_li
                                        ; -- End function
	.set _ZL20rocblas_gemvn_kernelILi32ELi16ElDF16_ffEviiT3_lPKT2_lT1_lS3_lS4_lS0_lPT4_lS4_li.num_vgpr, 76
	.set _ZL20rocblas_gemvn_kernelILi32ELi16ElDF16_ffEviiT3_lPKT2_lT1_lS3_lS4_lS0_lPT4_lS4_li.num_agpr, 0
	.set _ZL20rocblas_gemvn_kernelILi32ELi16ElDF16_ffEviiT3_lPKT2_lT1_lS3_lS4_lS0_lPT4_lS4_li.numbered_sgpr, 56
	.set _ZL20rocblas_gemvn_kernelILi32ELi16ElDF16_ffEviiT3_lPKT2_lT1_lS3_lS4_lS0_lPT4_lS4_li.num_named_barrier, 0
	.set _ZL20rocblas_gemvn_kernelILi32ELi16ElDF16_ffEviiT3_lPKT2_lT1_lS3_lS4_lS0_lPT4_lS4_li.private_seg_size, 0
	.set _ZL20rocblas_gemvn_kernelILi32ELi16ElDF16_ffEviiT3_lPKT2_lT1_lS3_lS4_lS0_lPT4_lS4_li.uses_vcc, 1
	.set _ZL20rocblas_gemvn_kernelILi32ELi16ElDF16_ffEviiT3_lPKT2_lT1_lS3_lS4_lS0_lPT4_lS4_li.uses_flat_scratch, 0
	.set _ZL20rocblas_gemvn_kernelILi32ELi16ElDF16_ffEviiT3_lPKT2_lT1_lS3_lS4_lS0_lPT4_lS4_li.has_dyn_sized_stack, 0
	.set _ZL20rocblas_gemvn_kernelILi32ELi16ElDF16_ffEviiT3_lPKT2_lT1_lS3_lS4_lS0_lPT4_lS4_li.has_recursion, 0
	.set _ZL20rocblas_gemvn_kernelILi32ELi16ElDF16_ffEviiT3_lPKT2_lT1_lS3_lS4_lS0_lPT4_lS4_li.has_indirect_call, 0
	.section	.AMDGPU.csdata,"",@progbits
; Kernel info:
; codeLenInByte = 3996
; TotalNumSgprs: 58
; NumVgprs: 76
; ScratchSize: 0
; MemoryBound: 0
; FloatMode: 240
; IeeeMode: 1
; LDSByteSize: 8192 bytes/workgroup (compile time only)
; SGPRBlocks: 0
; VGPRBlocks: 9
; NumSGPRsForWavesPerEU: 58
; NumVGPRsForWavesPerEU: 76
; Occupancy: 16
; WaveLimiterHint : 1
; COMPUTE_PGM_RSRC2:SCRATCH_EN: 0
; COMPUTE_PGM_RSRC2:USER_SGPR: 2
; COMPUTE_PGM_RSRC2:TRAP_HANDLER: 0
; COMPUTE_PGM_RSRC2:TGID_X_EN: 1
; COMPUTE_PGM_RSRC2:TGID_Y_EN: 0
; COMPUTE_PGM_RSRC2:TGID_Z_EN: 1
; COMPUTE_PGM_RSRC2:TIDIG_COMP_CNT: 1
	.section	.text._ZL20rocblas_gemvn_kernelILi64ELi16EiDF16_PKffEviiT3_lPKT2_lT1_lS5_lS6_lS2_lPT4_lS6_li,"axG",@progbits,_ZL20rocblas_gemvn_kernelILi64ELi16EiDF16_PKffEviiT3_lPKT2_lT1_lS5_lS6_lS2_lPT4_lS6_li,comdat
	.globl	_ZL20rocblas_gemvn_kernelILi64ELi16EiDF16_PKffEviiT3_lPKT2_lT1_lS5_lS6_lS2_lPT4_lS6_li ; -- Begin function _ZL20rocblas_gemvn_kernelILi64ELi16EiDF16_PKffEviiT3_lPKT2_lT1_lS5_lS6_lS2_lPT4_lS6_li
	.p2align	8
	.type	_ZL20rocblas_gemvn_kernelILi64ELi16EiDF16_PKffEviiT3_lPKT2_lT1_lS5_lS6_lS2_lPT4_lS6_li,@function
_ZL20rocblas_gemvn_kernelILi64ELi16EiDF16_PKffEviiT3_lPKT2_lT1_lS5_lS6_lS2_lPT4_lS6_li: ; @_ZL20rocblas_gemvn_kernelILi64ELi16EiDF16_PKffEviiT3_lPKT2_lT1_lS5_lS6_lS2_lPT4_lS6_li
; %bb.0:
	s_load_b64 s[2:3], s[0:1], 0x9c
	s_wait_kmcnt 0x0
	s_lshr_b32 s4, s2, 16
	s_and_b32 s2, s2, 0xffff
	s_and_b32 s3, s3, 0xffff
	s_mul_i32 s2, s4, s2
	s_delay_alu instid0(SALU_CYCLE_1) | instskip(NEXT) | instid1(SALU_CYCLE_1)
	s_mul_i32 s2, s2, s3
	s_cmp_lg_u32 s2, 0x400
	s_cbranch_scc1 .LBB478_53
; %bb.1:
	s_load_b32 s31, s[0:1], 0x88
	s_lshr_b32 s34, ttmp7, 16
	s_wait_kmcnt 0x0
	s_cmp_ge_u32 s34, s31
	s_cbranch_scc1 .LBB478_53
; %bb.2:
	s_clause 0x3
	s_load_b96 s[4:6], s[0:1], 0x70
	s_load_b256 s[8:15], s[0:1], 0x8
	s_load_b96 s[28:30], s[0:1], 0x40
	s_load_b64 s[36:37], s[0:1], 0x0
	v_and_b32_e32 v9, 0x3ff, v0
	v_bfe_u32 v8, v0, 10, 10
	s_clause 0x2
	s_load_b32 s33, s[0:1], 0x28
	s_load_b128 s[24:27], s[0:1], 0x30
	s_load_b256 s[16:23], s[0:1], 0x50
	s_lshl_b32 s42, ttmp9, 8
	v_mov_b32_e32 v1, 0
	v_add_nc_u32_e32 v19, s42, v9
	v_lshl_add_u32 v5, v8, 6, v9
	v_lshlrev_b32_e32 v20, 2, v8
	s_load_b64 s[38:39], s[0:1], 0x80
	s_mov_b32 s35, 0
	v_add_nc_u32_e32 v7, 0x80, v19
	v_add_nc_u32_e32 v0, s42, v5
	v_or_b32_e32 v11, s42, v5
	v_add_nc_u32_e32 v6, 64, v19
	v_add_nc_u32_e32 v10, 0xc0, v19
	v_or_b32_e32 v12, 3, v20
	s_wait_kmcnt 0x0
	v_mad_co_u64_u32 v[2:3], null, s6, v0, 0
	s_lshl_b64 s[2:3], s[14:15], 1
	s_ashr_i32 s1, s6, 31
	s_ashr_i32 s7, s37, 31
	s_add_nc_u64 s[12:13], s[12:13], s[2:3]
	v_cmp_gt_i32_e64 s3, s36, v7
	v_mul_lo_u32 v7, s33, v20
	s_lshl_b64 s[4:5], s[4:5], 2
	s_wait_alu 0xfffe
	s_lshr_b32 s2, s7, 26
	v_mad_co_u64_u32 v[3:4], null, s1, v0, v[3:4]
	v_mul_lo_u32 v4, s6, v11
	v_cmp_gt_i32_e64 s6, s36, v11
	v_mul_lo_u32 v11, v8, s33
	s_add_co_i32 s43, s37, s2
	s_add_nc_u64 s[22:23], s[22:23], s[4:5]
	v_cmp_gt_i32_e64 s2, s36, v6
	v_cmp_gt_i32_e64 s4, s36, v10
	v_lshlrev_b32_e32 v6, 2, v9
	v_or_b32_e32 v10, 2, v20
	v_mul_lo_u32 v13, v8, s30
	s_lshl_b64 s[14:15], s[28:29], 1
	s_ashr_i32 s29, s36, 31
	s_mov_b32 s28, s36
	s_wait_alu 0xfffe
	s_and_not1_b32 s43, s43, 63
	s_add_nc_u64 s[14:15], s[26:27], s[14:15]
	v_cmp_gt_i64_e32 vcc_lo, s[28:29], v[0:1]
	v_lshl_add_u32 v0, v8, 10, v6
	v_lshl_add_u32 v21, v8, 8, v6
	v_add3_u32 v22, v7, s33, v9
	v_mad_co_u64_u32 v[6:7], null, s33, v10, v[9:10]
	s_mov_b32 s26, s30
	s_wait_alu 0xfffe
	s_sub_co_i32 s5, s37, s43
	v_mad_co_u64_u32 v[7:8], null, s33, v12, v[9:10]
	v_lshl_add_u32 v23, v11, 2, v9
	v_mad_co_u64_u32 v[8:9], null, s30, v20, s[26:27]
	v_mul_lo_u32 v24, s30, v10
	v_mul_lo_u32 v25, s30, v12
	s_cmp_gt_i32 s5, 0
	v_cmp_gt_u32_e64 s5, 0x100, v5
	v_lshlrev_b64_e32 v[9:10], 2, v[2:3]
	v_cmp_gt_i32_e64 s0, s36, v19
	v_cmp_gt_i32_e64 s1, s43, v20
	v_ashrrev_i32_e32 v5, 31, v4
	v_lshlrev_b32_e32 v26, 2, v13
	s_cselect_b32 s36, -1, 0
	s_and_b32 s44, s5, vcc_lo
	s_lshl_b32 s45, s33, 6
	s_lshl_b32 s46, s30, 6
	s_branch .LBB478_5
.LBB478_3:                              ;   in Loop: Header=BB478_5 Depth=1
	s_wait_alu 0xfffe
	s_or_b32 exec_lo, exec_lo, s7
.LBB478_4:                              ;   in Loop: Header=BB478_5 Depth=1
	s_add_co_i32 s34, s34, 0x10000
	s_delay_alu instid0(SALU_CYCLE_1)
	s_cmp_lt_u32 s34, s31
	s_cbranch_scc0 .LBB478_53
.LBB478_5:                              ; =>This Loop Header: Depth=1
                                        ;     Child Loop BB478_21 Depth 2
	s_mul_u64 s[26:27], s[10:11], s[34:35]
	s_mul_u64 s[28:29], s[20:21], s[34:35]
	s_wait_alu 0xfffe
	s_lshl_b64 s[26:27], s[26:27], 2
	s_lshl_b64 s[28:29], s[28:29], 2
	s_wait_alu 0xfffe
	s_add_nc_u64 s[26:27], s[8:9], s[26:27]
	s_add_nc_u64 s[28:29], s[18:19], s[28:29]
	s_clause 0x1
	global_load_b32 v27, v1, s[26:27]
	global_load_b32 v11, v1, s[28:29]
	s_wait_loadcnt 0x1
	v_cmp_eq_f32_e32 vcc_lo, 0, v27
	s_wait_loadcnt 0x0
	v_cmp_eq_f32_e64 s7, 1.0, v11
	v_readfirstlane_b32 s47, v11
	s_and_b32 s7, vcc_lo, s7
	s_wait_alu 0xfffe
	s_and_b32 vcc_lo, exec_lo, s7
	s_wait_alu 0xfffe
	s_cbranch_vccnz .LBB478_4
; %bb.6:                                ;   in Loop: Header=BB478_5 Depth=1
	v_cmp_neq_f32_e32 vcc_lo, 0, v27
	s_mul_u64 s[26:27], s[38:39], s[34:35]
	s_wait_alu 0xfffe
	s_lshl_b64 s[26:27], s[26:27], 2
	s_wait_alu 0xfffe
	s_add_nc_u64 s[26:27], s[22:23], s[26:27]
	s_cbranch_vccnz .LBB478_10
; %bb.7:                                ;   in Loop: Header=BB478_5 Depth=1
	s_mov_b32 s7, 0
	s_mov_b32 s48, 0
                                        ; implicit-def: $vgpr13
	s_and_saveexec_b32 s28, s44
	s_cbranch_execz .LBB478_11
; %bb.8:                                ;   in Loop: Header=BB478_5 Depth=1
	s_cmp_eq_f32 s47, 0
	s_cbranch_scc1 .LBB478_13
; %bb.9:                                ;   in Loop: Header=BB478_5 Depth=1
	s_wait_alu 0xfffe
	v_add_co_u32 v11, vcc_lo, s26, v9
	s_wait_alu 0xfffd
	v_add_co_ci_u32_e64 v12, null, s27, v10, vcc_lo
	global_load_b32 v11, v[11:12], off
	s_wait_loadcnt 0x0
	v_mul_f32_e32 v13, s47, v11
	s_branch .LBB478_14
.LBB478_10:                             ;   in Loop: Header=BB478_5 Depth=1
	s_mov_b32 s48, 0
                                        ; implicit-def: $vgpr13
	s_cbranch_execz .LBB478_12
	s_branch .LBB478_15
.LBB478_11:                             ;   in Loop: Header=BB478_5 Depth=1
	s_wait_alu 0xfffe
	s_or_b32 exec_lo, exec_lo, s28
	s_delay_alu instid0(SALU_CYCLE_1)
	s_and_b32 vcc_lo, exec_lo, s7
	s_wait_alu 0xfffe
	s_cbranch_vccnz .LBB478_15
.LBB478_12:                             ;   in Loop: Header=BB478_5 Depth=1
	v_dual_mov_b32 v12, v3 :: v_dual_mov_b32 v11, v2
	s_and_saveexec_b32 s7, s48
	s_cbranch_execz .LBB478_3
	s_branch .LBB478_52
.LBB478_13:                             ;   in Loop: Header=BB478_5 Depth=1
	v_mov_b32_e32 v13, 0
.LBB478_14:                             ;   in Loop: Header=BB478_5 Depth=1
	s_mov_b32 s48, exec_lo
	s_wait_alu 0xfffe
	s_or_b32 exec_lo, exec_lo, s28
	s_delay_alu instid0(SALU_CYCLE_1)
	s_and_b32 vcc_lo, exec_lo, s7
	s_wait_alu 0xfffe
	s_cbranch_vccz .LBB478_12
.LBB478_15:                             ;   in Loop: Header=BB478_5 Depth=1
	s_mul_u64 s[28:29], s[24:25], s[34:35]
	s_mul_u64 s[40:41], s[16:17], s[34:35]
	v_dual_mov_b32 v28, 0 :: v_dual_mov_b32 v29, 0
	v_dual_mov_b32 v32, v20 :: v_dual_mov_b32 v31, 0
	v_mov_b32_e32 v30, 0
	s_wait_alu 0xfffe
	s_lshl_b64 s[28:29], s[28:29], 1
	s_lshl_b64 s[40:41], s[40:41], 1
	s_wait_alu 0xfffe
	s_add_nc_u64 s[28:29], s[12:13], s[28:29]
	s_add_nc_u64 s[40:41], s[14:15], s[40:41]
	s_and_saveexec_b32 s7, s1
	s_cbranch_execz .LBB478_27
; %bb.16:                               ;   in Loop: Header=BB478_5 Depth=1
	v_dual_mov_b32 v28, 0 :: v_dual_mov_b32 v33, v23
	v_dual_mov_b32 v34, v7 :: v_dual_mov_b32 v35, v6
	;; [unrolled: 1-line block ×4, first 2 shown]
	v_mov_b32_e32 v30, 0
	s_mov_b32 s49, 0
	s_mov_b32 s50, 0
	s_branch .LBB478_21
.LBB478_17:                             ;   in Loop: Header=BB478_21 Depth=2
	s_or_b32 exec_lo, exec_lo, s54
	s_wait_loadcnt 0x3
	v_fma_mix_f32 v11, v49, v53, v30 op_sel_hi:[0,1,0]
	s_wait_loadcnt 0x2
	s_delay_alu instid0(VALU_DEP_1) | instskip(SKIP_1) | instid1(VALU_DEP_1)
	v_fma_mix_f32 v11, v50, v54, v11 op_sel_hi:[0,1,0]
	s_wait_loadcnt 0x1
	v_fma_mix_f32 v11, v51, v55, v11 op_sel_hi:[0,1,0]
	s_wait_loadcnt 0x0
	s_delay_alu instid0(VALU_DEP_1)
	v_fma_mix_f32 v30, v52, v56, v11 op_sel_hi:[0,1,0]
.LBB478_18:                             ;   in Loop: Header=BB478_21 Depth=2
	s_or_b32 exec_lo, exec_lo, s53
	s_wait_loadcnt 0x3
	v_fma_mix_f32 v11, v49, v45, v29 op_sel_hi:[0,1,0]
	s_wait_loadcnt 0x2
	s_delay_alu instid0(VALU_DEP_1) | instskip(SKIP_1) | instid1(VALU_DEP_1)
	v_fma_mix_f32 v11, v50, v46, v11 op_sel_hi:[0,1,0]
	s_wait_loadcnt 0x1
	v_fma_mix_f32 v11, v51, v47, v11 op_sel_hi:[0,1,0]
	s_wait_loadcnt 0x0
	s_delay_alu instid0(VALU_DEP_1)
	v_fma_mix_f32 v29, v52, v48, v11 op_sel_hi:[0,1,0]
.LBB478_19:                             ;   in Loop: Header=BB478_21 Depth=2
	s_or_b32 exec_lo, exec_lo, s52
	s_wait_loadcnt 0x3
	v_fma_mix_f32 v11, v37, v41, v28 op_sel_hi:[1,1,0]
	s_wait_loadcnt 0x2
	s_delay_alu instid0(VALU_DEP_1) | instskip(SKIP_1) | instid1(VALU_DEP_1)
	v_fma_mix_f32 v11, v38, v42, v11 op_sel_hi:[1,1,0]
	s_wait_loadcnt 0x1
	v_fma_mix_f32 v11, v39, v43, v11 op_sel_hi:[1,1,0]
	s_wait_loadcnt 0x0
	s_delay_alu instid0(VALU_DEP_1)
	v_fma_mix_f32 v28, v40, v44, v11 op_sel_hi:[1,1,0]
.LBB478_20:                             ;   in Loop: Header=BB478_21 Depth=2
	s_wait_alu 0xfffe
	s_or_b32 exec_lo, exec_lo, s51
	v_add_nc_u32_e32 v32, 64, v32
	v_add_nc_u32_e32 v36, s45, v36
	;; [unrolled: 1-line block ×5, first 2 shown]
	v_cmp_le_i32_e32 vcc_lo, s43, v32
	s_add_co_i32 s50, s50, s46
	s_or_b32 s49, vcc_lo, s49
	s_delay_alu instid0(SALU_CYCLE_1)
	s_and_not1_b32 exec_lo, exec_lo, s49
	s_cbranch_execz .LBB478_26
.LBB478_21:                             ;   Parent Loop BB478_5 Depth=1
                                        ; =>  This Inner Loop Header: Depth=2
	s_and_saveexec_b32 s51, s0
	s_cbranch_execz .LBB478_20
; %bb.22:                               ;   in Loop: Header=BB478_21 Depth=2
	s_wait_alu 0xfffe
	v_add_nc_u32_e32 v11, s50, v26
	v_add_nc_u32_e32 v13, s50, v8
	;; [unrolled: 1-line block ×5, first 2 shown]
	v_ashrrev_i32_e32 v12, 31, v11
	v_ashrrev_i32_e32 v14, 31, v13
	;; [unrolled: 1-line block ×5, first 2 shown]
	v_lshlrev_b64_e32 v[11:12], 1, v[11:12]
	v_lshlrev_b64_e32 v[13:14], 1, v[13:14]
	;; [unrolled: 1-line block ×3, first 2 shown]
	s_delay_alu instid0(VALU_DEP_3) | instskip(SKIP_1) | instid1(VALU_DEP_4)
	v_add_co_u32 v39, vcc_lo, s40, v11
	s_wait_alu 0xfffd
	v_add_co_ci_u32_e64 v40, null, s41, v12, vcc_lo
	s_delay_alu instid0(VALU_DEP_4)
	v_add_co_u32 v41, vcc_lo, s40, v13
	v_add_nc_u32_e32 v13, s42, v36
	s_wait_alu 0xfffd
	v_add_co_ci_u32_e64 v42, null, s41, v14, vcc_lo
	v_lshlrev_b64_e32 v[11:12], 1, v[17:18]
	v_add_co_u32 v43, vcc_lo, s40, v15
	v_add_nc_u32_e32 v17, s42, v35
	s_wait_alu 0xfffd
	v_add_co_ci_u32_e64 v44, null, s41, v16, vcc_lo
	v_lshlrev_b64_e32 v[15:16], 1, v[37:38]
	v_add_nc_u32_e32 v37, s42, v34
	v_ashrrev_i32_e32 v14, 31, v13
	v_ashrrev_i32_e32 v18, 31, v17
	v_add_co_u32 v45, vcc_lo, s40, v11
	s_delay_alu instid0(VALU_DEP_4)
	v_ashrrev_i32_e32 v38, 31, v37
	s_wait_alu 0xfffd
	v_add_co_ci_u32_e64 v46, null, s41, v12, vcc_lo
	v_lshlrev_b64_e32 v[13:14], 1, v[13:14]
	v_add_co_u32 v11, vcc_lo, s28, v15
	s_wait_alu 0xfffd
	v_add_co_ci_u32_e64 v12, null, s29, v16, vcc_lo
	v_lshlrev_b64_e32 v[15:16], 1, v[17:18]
	v_lshlrev_b64_e32 v[17:18], 1, v[37:38]
	v_add_co_u32 v13, vcc_lo, s28, v13
	s_wait_alu 0xfffd
	v_add_co_ci_u32_e64 v14, null, s29, v14, vcc_lo
	s_delay_alu instid0(VALU_DEP_4)
	v_add_co_u32 v15, vcc_lo, s28, v15
	s_wait_alu 0xfffd
	v_add_co_ci_u32_e64 v16, null, s29, v16, vcc_lo
	v_add_co_u32 v17, vcc_lo, s28, v17
	s_wait_alu 0xfffd
	v_add_co_ci_u32_e64 v18, null, s29, v18, vcc_lo
	s_clause 0x3
	global_load_u16 v37, v[39:40], off
	global_load_u16 v38, v[41:42], off
	;; [unrolled: 1-line block ×4, first 2 shown]
	s_clause 0x3
	global_load_u16 v41, v[11:12], off
	global_load_u16 v42, v[13:14], off
	;; [unrolled: 1-line block ×4, first 2 shown]
	s_and_saveexec_b32 s52, s2
	s_cbranch_execz .LBB478_19
; %bb.23:                               ;   in Loop: Header=BB478_21 Depth=2
	s_clause 0x3
	global_load_u16 v45, v[11:12], off offset:128
	global_load_u16 v46, v[13:14], off offset:128
	;; [unrolled: 1-line block ×4, first 2 shown]
	s_wait_loadcnt 0xb
	v_cvt_f32_f16_e32 v49, v37
	s_wait_loadcnt 0xa
	v_cvt_f32_f16_e32 v50, v38
	;; [unrolled: 2-line block ×4, first 2 shown]
	s_and_saveexec_b32 s53, s3
	s_cbranch_execz .LBB478_18
; %bb.24:                               ;   in Loop: Header=BB478_21 Depth=2
	s_clause 0x3
	global_load_u16 v53, v[11:12], off offset:256
	global_load_u16 v54, v[13:14], off offset:256
	;; [unrolled: 1-line block ×4, first 2 shown]
	s_and_saveexec_b32 s54, s4
	s_cbranch_execz .LBB478_17
; %bb.25:                               ;   in Loop: Header=BB478_21 Depth=2
	s_clause 0x3
	global_load_u16 v11, v[11:12], off offset:384
	global_load_u16 v12, v[13:14], off offset:384
	;; [unrolled: 1-line block ×4, first 2 shown]
	s_wait_loadcnt 0x3
	v_fma_mix_f32 v11, v49, v11, v31 op_sel_hi:[0,1,0]
	s_wait_loadcnt 0x2
	s_delay_alu instid0(VALU_DEP_1) | instskip(SKIP_1) | instid1(VALU_DEP_1)
	v_fma_mix_f32 v11, v50, v12, v11 op_sel_hi:[0,1,0]
	s_wait_loadcnt 0x1
	v_fma_mix_f32 v11, v51, v13, v11 op_sel_hi:[0,1,0]
	s_wait_loadcnt 0x0
	s_delay_alu instid0(VALU_DEP_1)
	v_fma_mix_f32 v31, v52, v14, v11 op_sel_hi:[0,1,0]
	s_branch .LBB478_17
.LBB478_26:                             ;   in Loop: Header=BB478_5 Depth=1
	s_or_b32 exec_lo, exec_lo, s49
.LBB478_27:                             ;   in Loop: Header=BB478_5 Depth=1
	s_wait_alu 0xfffe
	s_or_b32 exec_lo, exec_lo, s7
	s_delay_alu instid0(SALU_CYCLE_1)
	s_and_not1_b32 vcc_lo, exec_lo, s36
	s_wait_alu 0xfffe
	s_cbranch_vccnz .LBB478_45
; %bb.28:                               ;   in Loop: Header=BB478_5 Depth=1
	v_cmp_gt_i32_e32 vcc_lo, s37, v32
	v_dual_mov_b32 v33, 0 :: v_dual_mov_b32 v34, 0
	v_or_b32_e32 v11, 1, v32
	v_dual_mov_b32 v35, 0 :: v_dual_mov_b32 v36, 0
	s_and_saveexec_b32 s49, vcc_lo
	s_cbranch_execz .LBB478_36
; %bb.29:                               ;   in Loop: Header=BB478_5 Depth=1
	v_mul_lo_u32 v12, v32, s30
	v_dual_mov_b32 v35, 0 :: v_dual_mov_b32 v34, 0
	v_mov_b32_e32 v33, 0
	s_mov_b32 s50, exec_lo
	s_delay_alu instid0(VALU_DEP_3) | instskip(NEXT) | instid1(VALU_DEP_1)
	v_ashrrev_i32_e32 v13, 31, v12
	v_lshlrev_b64_e32 v[12:13], 1, v[12:13]
	s_delay_alu instid0(VALU_DEP_1) | instskip(SKIP_1) | instid1(VALU_DEP_2)
	v_add_co_u32 v12, s7, s40, v12
	s_wait_alu 0xf1ff
	v_add_co_ci_u32_e64 v13, null, s41, v13, s7
	global_load_u16 v12, v[12:13], off
	v_cmpx_gt_i32_e64 s37, v11
	s_cbranch_execz .LBB478_35
; %bb.30:                               ;   in Loop: Header=BB478_5 Depth=1
	v_mul_lo_u32 v13, v11, s30
	v_dual_mov_b32 v34, 0 :: v_dual_mov_b32 v33, 0
	s_mov_b32 s51, exec_lo
	s_delay_alu instid0(VALU_DEP_2) | instskip(NEXT) | instid1(VALU_DEP_1)
	v_ashrrev_i32_e32 v14, 31, v13
	v_lshlrev_b64_e32 v[13:14], 1, v[13:14]
	s_delay_alu instid0(VALU_DEP_1) | instskip(SKIP_1) | instid1(VALU_DEP_2)
	v_add_co_u32 v13, s7, s40, v13
	s_wait_alu 0xf1ff
	v_add_co_ci_u32_e64 v14, null, s41, v14, s7
	global_load_u16 v13, v[13:14], off
	v_or_b32_e32 v14, 2, v32
	s_delay_alu instid0(VALU_DEP_1)
	v_cmpx_gt_i32_e64 s37, v14
	s_cbranch_execz .LBB478_34
; %bb.31:                               ;   in Loop: Header=BB478_5 Depth=1
	v_mul_lo_u32 v14, v14, s30
	v_mov_b32_e32 v33, 0
	s_mov_b32 s52, exec_lo
	s_delay_alu instid0(VALU_DEP_2) | instskip(NEXT) | instid1(VALU_DEP_1)
	v_ashrrev_i32_e32 v15, 31, v14
	v_lshlrev_b64_e32 v[14:15], 1, v[14:15]
	s_delay_alu instid0(VALU_DEP_1) | instskip(SKIP_1) | instid1(VALU_DEP_2)
	v_add_co_u32 v14, s7, s40, v14
	s_wait_alu 0xf1ff
	v_add_co_ci_u32_e64 v15, null, s41, v15, s7
	global_load_u16 v14, v[14:15], off
	v_or_b32_e32 v15, 3, v32
	s_delay_alu instid0(VALU_DEP_1)
	v_cmpx_gt_i32_e64 s37, v15
	s_cbranch_execz .LBB478_33
; %bb.32:                               ;   in Loop: Header=BB478_5 Depth=1
	v_mul_lo_u32 v15, v15, s30
	s_delay_alu instid0(VALU_DEP_1) | instskip(NEXT) | instid1(VALU_DEP_1)
	v_ashrrev_i32_e32 v16, 31, v15
	v_lshlrev_b64_e32 v[15:16], 1, v[15:16]
	s_delay_alu instid0(VALU_DEP_1) | instskip(SKIP_1) | instid1(VALU_DEP_2)
	v_add_co_u32 v15, s7, s40, v15
	s_wait_alu 0xf1ff
	v_add_co_ci_u32_e64 v16, null, s41, v16, s7
	global_load_u16 v15, v[15:16], off
	s_wait_loadcnt 0x0
	v_cvt_f32_f16_e32 v33, v15
.LBB478_33:                             ;   in Loop: Header=BB478_5 Depth=1
	s_or_b32 exec_lo, exec_lo, s52
	s_wait_loadcnt 0x0
	v_cvt_f32_f16_e32 v34, v14
.LBB478_34:                             ;   in Loop: Header=BB478_5 Depth=1
	s_wait_alu 0xfffe
	s_or_b32 exec_lo, exec_lo, s51
	s_wait_loadcnt 0x0
	v_cvt_f32_f16_e32 v35, v13
.LBB478_35:                             ;   in Loop: Header=BB478_5 Depth=1
	s_wait_alu 0xfffe
	s_or_b32 exec_lo, exec_lo, s50
	s_wait_loadcnt 0x0
	v_cvt_f32_f16_e32 v36, v12
.LBB478_36:                             ;   in Loop: Header=BB478_5 Depth=1
	s_or_b32 exec_lo, exec_lo, s49
	s_and_saveexec_b32 s7, s0
	s_cbranch_execz .LBB478_44
; %bb.37:                               ;   in Loop: Header=BB478_5 Depth=1
	v_mul_lo_u32 v13, v32, s33
	v_or_b32_e32 v12, 2, v32
	v_mul_lo_u32 v15, v11, s33
	v_or_b32_e32 v14, 3, v32
	s_delay_alu instid0(VALU_DEP_3) | instskip(NEXT) | instid1(VALU_DEP_2)
	v_mul_lo_u32 v16, v12, s33
	v_mul_lo_u32 v17, v14, s33
	v_cndmask_b32_e32 v13, 0, v13, vcc_lo
	v_cmp_gt_i32_e32 vcc_lo, s37, v11
	s_wait_alu 0xfffd
	v_cndmask_b32_e32 v15, 0, v15, vcc_lo
	v_cmp_gt_i32_e32 vcc_lo, s37, v12
	s_wait_alu 0xfffd
	;; [unrolled: 3-line block ×3, first 2 shown]
	v_dual_cndmask_b32 v14, 0, v17 :: v_dual_add_nc_u32 v11, v13, v19
	v_add_nc_u32_e32 v13, v15, v19
	v_add_nc_u32_e32 v15, v12, v19
	s_delay_alu instid0(VALU_DEP_3) | instskip(NEXT) | instid1(VALU_DEP_4)
	v_ashrrev_i32_e32 v12, 31, v11
	v_add_nc_u32_e32 v17, v14, v19
	s_delay_alu instid0(VALU_DEP_4) | instskip(NEXT) | instid1(VALU_DEP_4)
	v_ashrrev_i32_e32 v14, 31, v13
	v_ashrrev_i32_e32 v16, 31, v15
	s_delay_alu instid0(VALU_DEP_4) | instskip(NEXT) | instid1(VALU_DEP_4)
	v_lshlrev_b64_e32 v[11:12], 1, v[11:12]
	v_ashrrev_i32_e32 v18, 31, v17
	s_delay_alu instid0(VALU_DEP_4) | instskip(NEXT) | instid1(VALU_DEP_4)
	v_lshlrev_b64_e32 v[13:14], 1, v[13:14]
	v_lshlrev_b64_e32 v[15:16], 1, v[15:16]
	s_delay_alu instid0(VALU_DEP_4) | instskip(NEXT) | instid1(VALU_DEP_4)
	v_add_co_u32 v11, vcc_lo, s28, v11
	v_lshlrev_b64_e32 v[17:18], 1, v[17:18]
	s_wait_alu 0xfffd
	v_add_co_ci_u32_e64 v12, null, s29, v12, vcc_lo
	v_add_co_u32 v13, vcc_lo, s28, v13
	s_wait_alu 0xfffd
	v_add_co_ci_u32_e64 v14, null, s29, v14, vcc_lo
	v_add_co_u32 v15, vcc_lo, s28, v15
	;; [unrolled: 3-line block ×3, first 2 shown]
	s_wait_alu 0xfffd
	v_add_co_ci_u32_e64 v18, null, s29, v18, vcc_lo
	s_clause 0x3
	global_load_u16 v32, v[11:12], off
	global_load_u16 v37, v[13:14], off
	;; [unrolled: 1-line block ×4, first 2 shown]
	s_and_saveexec_b32 s28, s2
	s_cbranch_execz .LBB478_43
; %bb.38:                               ;   in Loop: Header=BB478_5 Depth=1
	s_clause 0x3
	global_load_u16 v40, v[11:12], off offset:128
	global_load_u16 v41, v[13:14], off offset:128
	global_load_u16 v42, v[15:16], off offset:128
	global_load_u16 v43, v[17:18], off offset:128
	s_and_saveexec_b32 s29, s3
	s_cbranch_execz .LBB478_42
; %bb.39:                               ;   in Loop: Header=BB478_5 Depth=1
	s_clause 0x3
	global_load_u16 v44, v[11:12], off offset:256
	global_load_u16 v45, v[13:14], off offset:256
	global_load_u16 v46, v[15:16], off offset:256
	global_load_u16 v47, v[17:18], off offset:256
	;; [unrolled: 8-line block ×3, first 2 shown]
	s_wait_loadcnt 0x3
	v_fma_mix_f32 v11, v36, v11, v31 op_sel_hi:[0,1,0]
	s_wait_loadcnt 0x2
	s_delay_alu instid0(VALU_DEP_1) | instskip(SKIP_1) | instid1(VALU_DEP_1)
	v_fma_mix_f32 v11, v35, v12, v11 op_sel_hi:[0,1,0]
	s_wait_loadcnt 0x1
	v_fma_mix_f32 v11, v34, v13, v11 op_sel_hi:[0,1,0]
	s_wait_loadcnt 0x0
	s_delay_alu instid0(VALU_DEP_1)
	v_fma_mix_f32 v31, v33, v14, v11 op_sel_hi:[0,1,0]
.LBB478_41:                             ;   in Loop: Header=BB478_5 Depth=1
	s_wait_alu 0xfffe
	s_or_b32 exec_lo, exec_lo, s40
	s_wait_loadcnt 0x3
	v_fma_mix_f32 v11, v36, v44, v30 op_sel_hi:[0,1,0]
	s_wait_loadcnt 0x2
	s_delay_alu instid0(VALU_DEP_1) | instskip(SKIP_1) | instid1(VALU_DEP_1)
	v_fma_mix_f32 v11, v35, v45, v11 op_sel_hi:[0,1,0]
	s_wait_loadcnt 0x1
	v_fma_mix_f32 v11, v34, v46, v11 op_sel_hi:[0,1,0]
	s_wait_loadcnt 0x0
	s_delay_alu instid0(VALU_DEP_1)
	v_fma_mix_f32 v30, v33, v47, v11 op_sel_hi:[0,1,0]
.LBB478_42:                             ;   in Loop: Header=BB478_5 Depth=1
	s_wait_alu 0xfffe
	s_or_b32 exec_lo, exec_lo, s29
	s_wait_loadcnt 0x3
	v_fma_mix_f32 v11, v36, v40, v29 op_sel_hi:[0,1,0]
	s_wait_loadcnt 0x2
	s_delay_alu instid0(VALU_DEP_1) | instskip(SKIP_1) | instid1(VALU_DEP_1)
	v_fma_mix_f32 v11, v35, v41, v11 op_sel_hi:[0,1,0]
	s_wait_loadcnt 0x1
	v_fma_mix_f32 v11, v34, v42, v11 op_sel_hi:[0,1,0]
	s_wait_loadcnt 0x0
	s_delay_alu instid0(VALU_DEP_1)
	v_fma_mix_f32 v29, v33, v43, v11 op_sel_hi:[0,1,0]
.LBB478_43:                             ;   in Loop: Header=BB478_5 Depth=1
	s_wait_alu 0xfffe
	s_or_b32 exec_lo, exec_lo, s28
	s_wait_loadcnt 0x3
	v_fma_mix_f32 v11, v36, v32, v28 op_sel_hi:[0,1,0]
	s_wait_loadcnt 0x2
	s_delay_alu instid0(VALU_DEP_1) | instskip(SKIP_1) | instid1(VALU_DEP_1)
	v_fma_mix_f32 v11, v35, v37, v11 op_sel_hi:[0,1,0]
	s_wait_loadcnt 0x1
	v_fma_mix_f32 v11, v34, v38, v11 op_sel_hi:[0,1,0]
	s_wait_loadcnt 0x0
	s_delay_alu instid0(VALU_DEP_1)
	v_fma_mix_f32 v28, v33, v39, v11 op_sel_hi:[0,1,0]
.LBB478_44:                             ;   in Loop: Header=BB478_5 Depth=1
	s_wait_alu 0xfffe
	s_or_b32 exec_lo, exec_lo, s7
.LBB478_45:                             ;   in Loop: Header=BB478_5 Depth=1
	ds_store_2addr_stride64_b32 v0, v28, v29 offset1:1
	ds_store_2addr_stride64_b32 v0, v30, v31 offset0:2 offset1:3
	s_wait_dscnt 0x0
	s_barrier_signal -1
	s_barrier_wait -1
	global_inv scope:SCOPE_SE
                                        ; implicit-def: $vgpr13
	s_and_saveexec_b32 s7, s5
	s_cbranch_execz .LBB478_51
; %bb.46:                               ;   in Loop: Header=BB478_5 Depth=1
	ds_load_2addr_stride64_b32 v[11:12], v21 offset1:4
	ds_load_2addr_stride64_b32 v[13:14], v21 offset0:8 offset1:12
	ds_load_2addr_stride64_b32 v[15:16], v21 offset0:16 offset1:20
	s_mov_b32 s29, s48
	s_wait_dscnt 0x2
	v_add_f32_e32 v17, v11, v12
	ds_load_2addr_stride64_b32 v[11:12], v21 offset0:24 offset1:28
	s_wait_dscnt 0x2
	v_add_f32_e32 v13, v13, v17
	s_delay_alu instid0(VALU_DEP_1) | instskip(SKIP_3) | instid1(VALU_DEP_1)
	v_add_f32_e32 v17, v14, v13
	ds_load_2addr_stride64_b32 v[13:14], v21 offset0:32 offset1:36
	s_wait_dscnt 0x2
	v_add_f32_e32 v15, v15, v17
	v_add_f32_e32 v17, v16, v15
	ds_load_2addr_stride64_b32 v[15:16], v21 offset0:40 offset1:44
	s_wait_dscnt 0x2
	v_add_f32_e32 v11, v11, v17
	s_delay_alu instid0(VALU_DEP_1) | instskip(SKIP_1) | instid1(VALU_DEP_1)
	v_add_f32_e32 v11, v12, v11
	s_wait_dscnt 0x1
	v_add_f32_e32 v13, v13, v11
	ds_load_2addr_stride64_b32 v[11:12], v21 offset0:48 offset1:52
	v_add_f32_e32 v13, v14, v13
	s_wait_dscnt 0x1
	s_delay_alu instid0(VALU_DEP_1) | instskip(SKIP_3) | instid1(VALU_DEP_1)
	v_add_f32_e32 v15, v15, v13
	ds_load_2addr_stride64_b32 v[13:14], v21 offset0:56 offset1:60
	v_add_f32_e32 v15, v16, v15
	s_wait_dscnt 0x1
	v_add_f32_e32 v11, v11, v15
	s_delay_alu instid0(VALU_DEP_1) | instskip(SKIP_1) | instid1(VALU_DEP_1)
	v_add_f32_e32 v11, v12, v11
	s_wait_dscnt 0x0
	v_add_f32_e32 v11, v13, v11
                                        ; implicit-def: $vgpr13
	s_delay_alu instid0(VALU_DEP_1)
	v_add_f32_e32 v11, v14, v11
	ds_store_b32 v21, v11
	s_and_saveexec_b32 s28, s6
	s_cbranch_execz .LBB478_50
; %bb.47:                               ;   in Loop: Header=BB478_5 Depth=1
	v_mul_f32_e32 v13, v27, v11
	s_cmp_eq_f32 s47, 0
	s_cbranch_scc1 .LBB478_49
; %bb.48:                               ;   in Loop: Header=BB478_5 Depth=1
	v_lshlrev_b64_e32 v[11:12], 2, v[4:5]
	s_delay_alu instid0(VALU_DEP_1) | instskip(SKIP_1) | instid1(VALU_DEP_2)
	v_add_co_u32 v11, vcc_lo, s26, v11
	s_wait_alu 0xfffd
	v_add_co_ci_u32_e64 v12, null, s27, v12, vcc_lo
	global_load_b32 v11, v[11:12], off
	s_wait_loadcnt 0x0
	v_fmac_f32_e32 v13, s47, v11
.LBB478_49:                             ;   in Loop: Header=BB478_5 Depth=1
	s_or_b32 s29, s48, exec_lo
.LBB478_50:                             ;   in Loop: Header=BB478_5 Depth=1
	s_wait_alu 0xfffe
	s_or_b32 exec_lo, exec_lo, s28
	s_delay_alu instid0(SALU_CYCLE_1)
	s_and_not1_b32 s28, s48, exec_lo
	s_and_b32 s29, s29, exec_lo
	s_wait_alu 0xfffe
	s_or_b32 s48, s28, s29
.LBB478_51:                             ;   in Loop: Header=BB478_5 Depth=1
	s_wait_alu 0xfffe
	s_or_b32 exec_lo, exec_lo, s7
	v_dual_mov_b32 v12, v5 :: v_dual_mov_b32 v11, v4
	s_and_saveexec_b32 s7, s48
	s_cbranch_execz .LBB478_3
.LBB478_52:                             ;   in Loop: Header=BB478_5 Depth=1
	s_delay_alu instid0(VALU_DEP_1) | instskip(SKIP_1) | instid1(VALU_DEP_1)
	v_lshlrev_b64_e32 v[11:12], 2, v[11:12]
	s_wait_alu 0xfffe
	v_add_co_u32 v11, vcc_lo, s26, v11
	s_wait_alu 0xfffd
	s_delay_alu instid0(VALU_DEP_2)
	v_add_co_ci_u32_e64 v12, null, s27, v12, vcc_lo
	global_store_b32 v[11:12], v13, off
	s_branch .LBB478_3
.LBB478_53:
	s_endpgm
	.section	.rodata,"a",@progbits
	.p2align	6, 0x0
	.amdhsa_kernel _ZL20rocblas_gemvn_kernelILi64ELi16EiDF16_PKffEviiT3_lPKT2_lT1_lS5_lS6_lS2_lPT4_lS6_li
		.amdhsa_group_segment_fixed_size 16384
		.amdhsa_private_segment_fixed_size 0
		.amdhsa_kernarg_size 400
		.amdhsa_user_sgpr_count 2
		.amdhsa_user_sgpr_dispatch_ptr 0
		.amdhsa_user_sgpr_queue_ptr 0
		.amdhsa_user_sgpr_kernarg_segment_ptr 1
		.amdhsa_user_sgpr_dispatch_id 0
		.amdhsa_user_sgpr_private_segment_size 0
		.amdhsa_wavefront_size32 1
		.amdhsa_uses_dynamic_stack 0
		.amdhsa_enable_private_segment 0
		.amdhsa_system_sgpr_workgroup_id_x 1
		.amdhsa_system_sgpr_workgroup_id_y 0
		.amdhsa_system_sgpr_workgroup_id_z 1
		.amdhsa_system_sgpr_workgroup_info 0
		.amdhsa_system_vgpr_workitem_id 1
		.amdhsa_next_free_vgpr 57
		.amdhsa_next_free_sgpr 55
		.amdhsa_reserve_vcc 1
		.amdhsa_float_round_mode_32 0
		.amdhsa_float_round_mode_16_64 0
		.amdhsa_float_denorm_mode_32 3
		.amdhsa_float_denorm_mode_16_64 3
		.amdhsa_fp16_overflow 0
		.amdhsa_workgroup_processor_mode 1
		.amdhsa_memory_ordered 1
		.amdhsa_forward_progress 1
		.amdhsa_inst_pref_size 27
		.amdhsa_round_robin_scheduling 0
		.amdhsa_exception_fp_ieee_invalid_op 0
		.amdhsa_exception_fp_denorm_src 0
		.amdhsa_exception_fp_ieee_div_zero 0
		.amdhsa_exception_fp_ieee_overflow 0
		.amdhsa_exception_fp_ieee_underflow 0
		.amdhsa_exception_fp_ieee_inexact 0
		.amdhsa_exception_int_div_zero 0
	.end_amdhsa_kernel
	.section	.text._ZL20rocblas_gemvn_kernelILi64ELi16EiDF16_PKffEviiT3_lPKT2_lT1_lS5_lS6_lS2_lPT4_lS6_li,"axG",@progbits,_ZL20rocblas_gemvn_kernelILi64ELi16EiDF16_PKffEviiT3_lPKT2_lT1_lS5_lS6_lS2_lPT4_lS6_li,comdat
.Lfunc_end478:
	.size	_ZL20rocblas_gemvn_kernelILi64ELi16EiDF16_PKffEviiT3_lPKT2_lT1_lS5_lS6_lS2_lPT4_lS6_li, .Lfunc_end478-_ZL20rocblas_gemvn_kernelILi64ELi16EiDF16_PKffEviiT3_lPKT2_lT1_lS5_lS6_lS2_lPT4_lS6_li
                                        ; -- End function
	.set _ZL20rocblas_gemvn_kernelILi64ELi16EiDF16_PKffEviiT3_lPKT2_lT1_lS5_lS6_lS2_lPT4_lS6_li.num_vgpr, 57
	.set _ZL20rocblas_gemvn_kernelILi64ELi16EiDF16_PKffEviiT3_lPKT2_lT1_lS5_lS6_lS2_lPT4_lS6_li.num_agpr, 0
	.set _ZL20rocblas_gemvn_kernelILi64ELi16EiDF16_PKffEviiT3_lPKT2_lT1_lS5_lS6_lS2_lPT4_lS6_li.numbered_sgpr, 55
	.set _ZL20rocblas_gemvn_kernelILi64ELi16EiDF16_PKffEviiT3_lPKT2_lT1_lS5_lS6_lS2_lPT4_lS6_li.num_named_barrier, 0
	.set _ZL20rocblas_gemvn_kernelILi64ELi16EiDF16_PKffEviiT3_lPKT2_lT1_lS5_lS6_lS2_lPT4_lS6_li.private_seg_size, 0
	.set _ZL20rocblas_gemvn_kernelILi64ELi16EiDF16_PKffEviiT3_lPKT2_lT1_lS5_lS6_lS2_lPT4_lS6_li.uses_vcc, 1
	.set _ZL20rocblas_gemvn_kernelILi64ELi16EiDF16_PKffEviiT3_lPKT2_lT1_lS5_lS6_lS2_lPT4_lS6_li.uses_flat_scratch, 0
	.set _ZL20rocblas_gemvn_kernelILi64ELi16EiDF16_PKffEviiT3_lPKT2_lT1_lS5_lS6_lS2_lPT4_lS6_li.has_dyn_sized_stack, 0
	.set _ZL20rocblas_gemvn_kernelILi64ELi16EiDF16_PKffEviiT3_lPKT2_lT1_lS5_lS6_lS2_lPT4_lS6_li.has_recursion, 0
	.set _ZL20rocblas_gemvn_kernelILi64ELi16EiDF16_PKffEviiT3_lPKT2_lT1_lS5_lS6_lS2_lPT4_lS6_li.has_indirect_call, 0
	.section	.AMDGPU.csdata,"",@progbits
; Kernel info:
; codeLenInByte = 3424
; TotalNumSgprs: 57
; NumVgprs: 57
; ScratchSize: 0
; MemoryBound: 0
; FloatMode: 240
; IeeeMode: 1
; LDSByteSize: 16384 bytes/workgroup (compile time only)
; SGPRBlocks: 0
; VGPRBlocks: 7
; NumSGPRsForWavesPerEU: 57
; NumVGPRsForWavesPerEU: 57
; Occupancy: 16
; WaveLimiterHint : 1
; COMPUTE_PGM_RSRC2:SCRATCH_EN: 0
; COMPUTE_PGM_RSRC2:USER_SGPR: 2
; COMPUTE_PGM_RSRC2:TRAP_HANDLER: 0
; COMPUTE_PGM_RSRC2:TGID_X_EN: 1
; COMPUTE_PGM_RSRC2:TGID_Y_EN: 0
; COMPUTE_PGM_RSRC2:TGID_Z_EN: 1
; COMPUTE_PGM_RSRC2:TIDIG_COMP_CNT: 1
	.section	.text._ZL20rocblas_gemvn_kernelILi64ELi16ElDF16_PKffEviiT3_lPKT2_lT1_lS5_lS6_lS2_lPT4_lS6_li,"axG",@progbits,_ZL20rocblas_gemvn_kernelILi64ELi16ElDF16_PKffEviiT3_lPKT2_lT1_lS5_lS6_lS2_lPT4_lS6_li,comdat
	.globl	_ZL20rocblas_gemvn_kernelILi64ELi16ElDF16_PKffEviiT3_lPKT2_lT1_lS5_lS6_lS2_lPT4_lS6_li ; -- Begin function _ZL20rocblas_gemvn_kernelILi64ELi16ElDF16_PKffEviiT3_lPKT2_lT1_lS5_lS6_lS2_lPT4_lS6_li
	.p2align	8
	.type	_ZL20rocblas_gemvn_kernelILi64ELi16ElDF16_PKffEviiT3_lPKT2_lT1_lS5_lS6_lS2_lPT4_lS6_li,@function
_ZL20rocblas_gemvn_kernelILi64ELi16ElDF16_PKffEviiT3_lPKT2_lT1_lS5_lS6_lS2_lPT4_lS6_li: ; @_ZL20rocblas_gemvn_kernelILi64ELi16ElDF16_PKffEviiT3_lPKT2_lT1_lS5_lS6_lS2_lPT4_lS6_li
; %bb.0:
	s_load_b64 s[2:3], s[0:1], 0x9c
	s_wait_kmcnt 0x0
	s_lshr_b32 s4, s2, 16
	s_and_b32 s2, s2, 0xffff
	s_and_b32 s3, s3, 0xffff
	s_mul_i32 s2, s4, s2
	s_delay_alu instid0(SALU_CYCLE_1) | instskip(NEXT) | instid1(SALU_CYCLE_1)
	s_mul_i32 s2, s2, s3
	s_cmp_lg_u32 s2, 0x400
	s_cbranch_scc1 .LBB479_53
; %bb.1:
	s_load_b32 s33, s[0:1], 0x88
	s_lshr_b32 s10, ttmp7, 16
	s_wait_kmcnt 0x0
	s_cmp_ge_u32 s10, s33
	s_cbranch_scc1 .LBB479_53
; %bb.2:
	s_clause 0x2
	s_load_b512 s[12:27], s[0:1], 0x8
	s_load_b512 s[36:51], s[0:1], 0x48
	s_load_b64 s[8:9], s[0:1], 0x0
	v_and_b32_e32 v5, 0x3ff, v0
	v_bfe_u32 v17, v0, 10, 10
	s_lshl_b32 s34, ttmp9, 8
	s_mov_b32 s11, 0
	s_delay_alu instid0(VALU_DEP_2) | instskip(NEXT) | instid1(VALU_DEP_2)
	v_dual_mov_b32 v1, 0 :: v_dual_add_nc_u32 v6, s34, v5
	v_lshlrev_b32_e32 v18, 2, v17
	v_lshl_add_u32 v10, v17, 6, v5
	s_delay_alu instid0(VALU_DEP_3) | instskip(SKIP_1) | instid1(VALU_DEP_4)
	v_add_nc_u32_e32 v8, 0x80, v6
	v_add_nc_u32_e32 v9, 0xc0, v6
	v_or_b32_e32 v20, 3, v18
	s_delay_alu instid0(VALU_DEP_4)
	v_add_nc_u32_e32 v0, s34, v10
	v_or_b32_e32 v21, s34, v10
	v_ashrrev_i32_e32 v7, 31, v6
	s_wait_kmcnt 0x0
	s_lshl_b64 s[4:5], s[18:19], 1
	s_lshl_b64 s[18:19], s[26:27], 1
	s_ashr_i32 s28, s9, 31
	s_add_nc_u64 s[16:17], s[16:17], s[4:5]
	s_lshr_b32 s4, s28, 26
	s_lshl_b64 s[6:7], s[46:47], 2
	s_add_co_i32 s52, s9, s4
	s_ashr_i32 s31, s8, 31
	s_and_not1_b32 s52, s52, 63
	v_cmp_gt_i32_e64 s2, s8, v8
	s_sub_co_i32 s5, s9, s52
	v_cmp_gt_i32_e64 s3, s8, v9
	s_cmp_gt_i32 s5, 0
	v_mad_co_u64_u32 v[8:9], null, s36, v17, 0
	v_cmp_gt_u32_e64 s5, 0x100, v10
	v_mad_co_u64_u32 v[10:11], null, s20, v20, 0
	s_mov_b32 s30, s8
	s_add_nc_u64 s[28:29], s[44:45], s[6:7]
	s_cselect_b32 s53, -1, 0
	v_mul_lo_u32 v22, s49, v21
	s_ashr_i32 s6, s34, 31
	v_cmp_gt_i32_e64 s0, s8, v6
	v_mad_co_u64_u32 v[12:13], null, s37, v17, v[9:10]
	v_mov_b32_e32 v9, v11
	v_mad_co_u64_u32 v[13:14], null, s36, v20, 0
	v_or_b32_e32 v24, 2, v18
	s_mul_i32 s7, s48, s6
	s_delay_alu instid0(VALU_DEP_3)
	v_mad_co_u64_u32 v[15:16], null, s21, v20, v[9:10]
	v_mov_b32_e32 v9, v12
	v_mad_co_u64_u32 v[2:3], null, s48, v0, 0
	v_add_nc_u32_e32 v4, 64, v6
	v_mov_b32_e32 v12, v14
	v_cmp_gt_i64_e32 vcc_lo, s[30:31], v[0:1]
	v_lshlrev_b64_e32 v[8:9], 3, v[8:9]
	v_mov_b32_e32 v11, v15
	v_cmp_gt_i32_e64 s1, s8, v4
	v_mad_co_u64_u32 v[3:4], null, s49, v0, v[3:4]
	v_lshlrev_b32_e32 v4, 2, v5
	v_mad_co_u64_u32 v[14:15], null, s37, v20, v[12:13]
	v_mad_co_u64_u32 v[15:16], null, s20, v17, 0
	s_delay_alu instid0(VALU_DEP_3)
	v_lshl_add_u32 v0, v17, 10, v4
	v_lshl_add_u32 v19, v17, 8, v4
	v_mad_co_u64_u32 v[4:5], null, s48, v21, 0
	s_and_b32 s54, s5, vcc_lo
	v_add_co_u32 v20, vcc_lo, s24, v8
	v_cmp_gt_i32_e64 s6, s8, v21
	v_add_co_ci_u32_e64 v21, null, s25, v9, vcc_lo
	v_lshlrev_b64_e32 v[8:9], 1, v[10:11]
	v_mad_co_u64_u32 v[11:12], null, s20, v24, 0
	v_mov_b32_e32 v10, v16
	v_add3_u32 v5, v5, s7, v22
	v_mad_co_u64_u32 v[28:29], null, s36, v24, 0
	v_add_co_u32 v22, vcc_lo, s16, v8
	s_delay_alu instid0(VALU_DEP_4)
	v_mad_co_u64_u32 v[16:17], null, s21, v17, v[10:11]
	s_wait_alu 0xfffd
	v_add_co_ci_u32_e64 v23, null, s17, v9, vcc_lo
	v_lshlrev_b64_e32 v[9:10], 1, v[13:14]
	v_mov_b32_e32 v8, v12
	v_mov_b32_e32 v12, v29
	v_mad_co_u64_u32 v[30:31], null, s36, v18, s[36:37]
	v_mad_co_u64_u32 v[32:33], null, s20, v18, s[20:21]
	s_delay_alu instid0(VALU_DEP_4)
	v_mad_co_u64_u32 v[13:14], null, s21, v24, v[8:9]
	v_lshlrev_b64_e32 v[6:7], 1, v[6:7]
	v_cmp_gt_i32_e64 s4, s52, v18
	v_mov_b32_e32 v8, v31
	s_add_nc_u64 s[26:27], s[24:25], s[18:19]
	s_lshl_b64 s[30:31], s[38:39], 1
	s_lshl_b64 s[34:35], s[22:23], 1
	v_mad_co_u64_u32 v[26:27], null, s37, v24, v[12:13]
	v_add_co_u32 v24, vcc_lo, s24, v9
	s_wait_alu 0xfffd
	v_add_co_ci_u32_e64 v25, null, s25, v10, vcc_lo
	v_lshlrev_b64_e32 v[9:10], 3, v[15:16]
	s_delay_alu instid0(VALU_DEP_4) | instskip(SKIP_1) | instid1(VALU_DEP_2)
	v_dual_mov_b32 v12, v13 :: v_dual_mov_b32 v29, v26
	s_lshl_b64 s[44:45], s[20:21], 7
	v_add_co_u32 v26, vcc_lo, s16, v9
	v_mad_co_u64_u32 v[13:14], null, s37, v18, v[8:9]
	s_wait_alu 0xfffd
	v_add_co_ci_u32_e64 v27, null, s17, v10, vcc_lo
	v_lshlrev_b64_e32 v[9:10], 1, v[11:12]
	v_mov_b32_e32 v8, v33
	v_lshlrev_b64_e32 v[14:15], 1, v[28:29]
	v_mov_b32_e32 v31, v13
	s_delay_alu instid0(VALU_DEP_3) | instskip(SKIP_1) | instid1(VALU_DEP_3)
	v_mad_co_u64_u32 v[11:12], null, s21, v18, v[8:9]
	v_add_co_u32 v28, vcc_lo, s16, v9
	v_lshlrev_b64_e32 v[8:9], 1, v[30:31]
	s_wait_alu 0xfffd
	v_add_co_ci_u32_e64 v29, null, s17, v10, vcc_lo
	v_add_co_u32 v30, vcc_lo, s24, v14
	v_mov_b32_e32 v33, v11
	s_wait_alu 0xfffd
	v_add_co_ci_u32_e64 v31, null, s25, v15, vcc_lo
	s_delay_alu instid0(VALU_DEP_2) | instskip(SKIP_4) | instid1(VALU_DEP_4)
	v_lshlrev_b64_e32 v[10:11], 1, v[32:33]
	v_add_co_u32 v32, vcc_lo, s24, v8
	s_wait_alu 0xfffd
	v_add_co_ci_u32_e64 v33, null, s25, v9, vcc_lo
	v_lshlrev_b64_e32 v[8:9], 2, v[2:3]
	v_add_co_u32 v34, vcc_lo, s16, v10
	s_wait_alu 0xfffd
	v_add_co_ci_u32_e64 v35, null, s17, v11, vcc_lo
	s_lshl_b64 s[24:25], s[36:37], 7
	s_branch .LBB479_5
.LBB479_3:                              ;   in Loop: Header=BB479_5 Depth=1
	s_wait_alu 0xfffe
	s_or_b32 exec_lo, exec_lo, s7
.LBB479_4:                              ;   in Loop: Header=BB479_5 Depth=1
	s_add_co_i32 s10, s10, 0x10000
	s_delay_alu instid0(SALU_CYCLE_1)
	s_cmp_lt_u32 s10, s33
	s_cbranch_scc0 .LBB479_53
.LBB479_5:                              ; =>This Loop Header: Depth=1
                                        ;     Child Loop BB479_21 Depth 2
	s_mul_u64 s[46:47], s[14:15], s[10:11]
	s_mul_u64 s[48:49], s[42:43], s[10:11]
	s_wait_alu 0xfffe
	s_lshl_b64 s[46:47], s[46:47], 2
	s_lshl_b64 s[48:49], s[48:49], 2
	s_wait_alu 0xfffe
	s_add_nc_u64 s[46:47], s[12:13], s[46:47]
	s_add_nc_u64 s[48:49], s[40:41], s[48:49]
	s_clause 0x1
	global_load_b32 v36, v1, s[46:47]
	global_load_b32 v10, v1, s[48:49]
	s_wait_loadcnt 0x1
	v_cmp_eq_f32_e32 vcc_lo, 0, v36
	s_wait_loadcnt 0x0
	v_cmp_eq_f32_e64 s7, 1.0, v10
	v_readfirstlane_b32 s55, v10
	s_and_b32 s7, vcc_lo, s7
	s_wait_alu 0xfffe
	s_and_b32 vcc_lo, exec_lo, s7
	s_wait_alu 0xfffe
	s_cbranch_vccnz .LBB479_4
; %bb.6:                                ;   in Loop: Header=BB479_5 Depth=1
	v_cmp_neq_f32_e32 vcc_lo, 0, v36
	s_mul_u64 s[46:47], s[50:51], s[10:11]
	s_wait_alu 0xfffe
	s_lshl_b64 s[46:47], s[46:47], 2
	s_wait_alu 0xfffe
	s_add_nc_u64 s[46:47], s[28:29], s[46:47]
	s_cbranch_vccnz .LBB479_10
; %bb.7:                                ;   in Loop: Header=BB479_5 Depth=1
	s_mov_b32 s7, 0
	s_mov_b32 s56, 0
                                        ; implicit-def: $vgpr12
	s_and_saveexec_b32 s8, s54
	s_cbranch_execz .LBB479_11
; %bb.8:                                ;   in Loop: Header=BB479_5 Depth=1
	s_cmp_eq_f32 s55, 0
	s_cbranch_scc1 .LBB479_13
; %bb.9:                                ;   in Loop: Header=BB479_5 Depth=1
	s_wait_alu 0xfffe
	v_add_co_u32 v10, vcc_lo, s46, v8
	s_wait_alu 0xfffd
	v_add_co_ci_u32_e64 v11, null, s47, v9, vcc_lo
	global_load_b32 v10, v[10:11], off
	s_wait_loadcnt 0x0
	v_mul_f32_e32 v12, s55, v10
	s_branch .LBB479_14
.LBB479_10:                             ;   in Loop: Header=BB479_5 Depth=1
	s_mov_b32 s56, 0
                                        ; implicit-def: $vgpr12
	s_cbranch_execz .LBB479_12
	s_branch .LBB479_15
.LBB479_11:                             ;   in Loop: Header=BB479_5 Depth=1
	s_wait_alu 0xfffe
	s_or_b32 exec_lo, exec_lo, s8
	s_delay_alu instid0(SALU_CYCLE_1)
	s_and_b32 vcc_lo, exec_lo, s7
	s_wait_alu 0xfffe
	s_cbranch_vccnz .LBB479_15
.LBB479_12:                             ;   in Loop: Header=BB479_5 Depth=1
	v_dual_mov_b32 v11, v3 :: v_dual_mov_b32 v10, v2
	s_and_saveexec_b32 s7, s56
	s_cbranch_execz .LBB479_3
	s_branch .LBB479_52
.LBB479_13:                             ;   in Loop: Header=BB479_5 Depth=1
	v_mov_b32_e32 v12, 0
.LBB479_14:                             ;   in Loop: Header=BB479_5 Depth=1
	s_mov_b32 s56, exec_lo
	s_wait_alu 0xfffe
	s_or_b32 exec_lo, exec_lo, s8
	s_delay_alu instid0(SALU_CYCLE_1)
	s_and_b32 vcc_lo, exec_lo, s7
	s_wait_alu 0xfffe
	s_cbranch_vccz .LBB479_12
.LBB479_15:                             ;   in Loop: Header=BB479_5 Depth=1
	v_dual_mov_b32 v37, 0 :: v_dual_mov_b32 v38, 0
	v_dual_mov_b32 v41, v18 :: v_dual_mov_b32 v40, 0
	v_mov_b32_e32 v39, 0
	s_and_saveexec_b32 s8, s4
	s_cbranch_execz .LBB479_27
; %bb.16:                               ;   in Loop: Header=BB479_5 Depth=1
	s_mul_u64 s[48:49], s[30:31], s[10:11]
	s_mul_u64 s[58:59], s[34:35], s[10:11]
	s_wait_alu 0xfffe
	v_add_co_u32 v42, vcc_lo, v20, s48
	s_wait_alu 0xfffd
	v_add_co_ci_u32_e64 v43, null, s49, v21, vcc_lo
	v_add_co_u32 v44, vcc_lo, v22, s58
	s_wait_alu 0xfffd
	v_add_co_ci_u32_e64 v45, null, s59, v23, vcc_lo
	;; [unrolled: 3-line block ×8, first 2 shown]
	v_dual_mov_b32 v37, 0 :: v_dual_mov_b32 v38, 0
	v_dual_mov_b32 v41, v18 :: v_dual_mov_b32 v40, 0
	v_mov_b32_e32 v39, 0
	s_mov_b32 s48, 0
	s_branch .LBB479_21
.LBB479_17:                             ;   in Loop: Header=BB479_21 Depth=2
	s_wait_alu 0xfffe
	s_or_b32 exec_lo, exec_lo, s58
	s_wait_loadcnt 0x3
	v_fma_mix_f32 v10, v70, v74, v39 op_sel_hi:[0,1,0]
	s_wait_loadcnt 0x2
	s_delay_alu instid0(VALU_DEP_1) | instskip(SKIP_1) | instid1(VALU_DEP_1)
	v_fma_mix_f32 v10, v71, v75, v10 op_sel_hi:[0,1,0]
	s_wait_loadcnt 0x1
	v_fma_mix_f32 v10, v72, v76, v10 op_sel_hi:[0,1,0]
	s_wait_loadcnt 0x0
	s_delay_alu instid0(VALU_DEP_1)
	v_fma_mix_f32 v39, v73, v77, v10 op_sel_hi:[0,1,0]
.LBB479_18:                             ;   in Loop: Header=BB479_21 Depth=2
	s_or_b32 exec_lo, exec_lo, s57
	s_wait_loadcnt 0x3
	v_fma_mix_f32 v10, v70, v66, v38 op_sel_hi:[0,1,0]
	s_wait_loadcnt 0x2
	s_delay_alu instid0(VALU_DEP_1) | instskip(SKIP_1) | instid1(VALU_DEP_1)
	v_fma_mix_f32 v10, v71, v67, v10 op_sel_hi:[0,1,0]
	s_wait_loadcnt 0x1
	v_fma_mix_f32 v10, v72, v68, v10 op_sel_hi:[0,1,0]
	s_wait_loadcnt 0x0
	s_delay_alu instid0(VALU_DEP_1)
	v_fma_mix_f32 v38, v73, v69, v10 op_sel_hi:[0,1,0]
.LBB479_19:                             ;   in Loop: Header=BB479_21 Depth=2
	s_wait_alu 0xfffe
	s_or_b32 exec_lo, exec_lo, s49
	s_wait_loadcnt 0x3
	v_fma_mix_f32 v10, v58, v62, v37 op_sel_hi:[1,1,0]
	s_wait_loadcnt 0x2
	s_delay_alu instid0(VALU_DEP_1) | instskip(SKIP_1) | instid1(VALU_DEP_1)
	v_fma_mix_f32 v10, v59, v63, v10 op_sel_hi:[1,1,0]
	s_wait_loadcnt 0x1
	v_fma_mix_f32 v10, v60, v64, v10 op_sel_hi:[1,1,0]
	s_wait_loadcnt 0x0
	s_delay_alu instid0(VALU_DEP_1)
	v_fma_mix_f32 v37, v61, v65, v10 op_sel_hi:[1,1,0]
.LBB479_20:                             ;   in Loop: Header=BB479_21 Depth=2
	s_wait_alu 0xfffe
	s_or_b32 exec_lo, exec_lo, s7
	v_add_co_u32 v42, vcc_lo, v42, s24
	s_wait_alu 0xfffd
	v_add_co_ci_u32_e64 v43, null, s25, v43, vcc_lo
	v_add_co_u32 v44, vcc_lo, v44, s44
	s_wait_alu 0xfffd
	v_add_co_ci_u32_e64 v45, null, s45, v45, vcc_lo
	;; [unrolled: 3-line block ×4, first 2 shown]
	v_add_co_u32 v50, vcc_lo, v50, s44
	v_add_nc_u32_e32 v41, 64, v41
	s_wait_alu 0xfffd
	v_add_co_ci_u32_e64 v51, null, s45, v51, vcc_lo
	v_add_co_u32 v52, vcc_lo, v52, s24
	s_wait_alu 0xfffd
	v_add_co_ci_u32_e64 v53, null, s25, v53, vcc_lo
	v_add_co_u32 v54, vcc_lo, v54, s24
	s_wait_alu 0xfffd
	v_add_co_ci_u32_e64 v55, null, s25, v55, vcc_lo
	v_cmp_le_i32_e32 vcc_lo, s52, v41
	v_add_co_u32 v56, s7, v56, s44
	s_wait_alu 0xf1ff
	v_add_co_ci_u32_e64 v57, null, s45, v57, s7
	s_or_b32 s48, vcc_lo, s48
	s_wait_alu 0xfffe
	s_and_not1_b32 exec_lo, exec_lo, s48
	s_cbranch_execz .LBB479_26
.LBB479_21:                             ;   Parent Loop BB479_5 Depth=1
                                        ; =>  This Inner Loop Header: Depth=2
	s_and_saveexec_b32 s7, s0
	s_cbranch_execz .LBB479_20
; %bb.22:                               ;   in Loop: Header=BB479_21 Depth=2
	v_add_co_u32 v10, vcc_lo, v42, s18
	s_wait_alu 0xfffd
	v_add_co_ci_u32_e64 v11, null, s19, v43, vcc_lo
	v_add_co_u32 v12, vcc_lo, v54, s18
	s_wait_alu 0xfffd
	v_add_co_ci_u32_e64 v13, null, s19, v55, vcc_lo
	;; [unrolled: 3-line block ×3, first 2 shown]
	v_add_co_u32 v61, vcc_lo, v46, s18
	global_load_u16 v58, v[10:11], off
	global_load_u16 v59, v[12:13], off
	;; [unrolled: 1-line block ×3, first 2 shown]
	s_wait_alu 0xfffd
	v_add_co_ci_u32_e64 v62, null, s19, v47, vcc_lo
	v_add_co_u32 v10, vcc_lo, v48, v6
	s_wait_alu 0xfffd
	v_add_co_ci_u32_e64 v11, null, v49, v7, vcc_lo
	v_add_co_u32 v12, vcc_lo, v56, v6
	;; [unrolled: 3-line block ×4, first 2 shown]
	s_wait_alu 0xfffd
	v_add_co_ci_u32_e64 v17, null, v45, v7, vcc_lo
	global_load_u16 v61, v[61:62], off
	global_load_u16 v62, v[10:11], off
	;; [unrolled: 1-line block ×5, first 2 shown]
	s_and_saveexec_b32 s49, s1
	s_cbranch_execz .LBB479_19
; %bb.23:                               ;   in Loop: Header=BB479_21 Depth=2
	global_load_u16 v66, v[10:11], off offset:128
	global_load_u16 v67, v[12:13], off offset:128
	;; [unrolled: 1-line block ×4, first 2 shown]
	s_wait_loadcnt 0xb
	v_cvt_f32_f16_e32 v70, v58
	s_wait_loadcnt 0xa
	v_cvt_f32_f16_e32 v71, v59
	;; [unrolled: 2-line block ×4, first 2 shown]
	s_and_saveexec_b32 s57, s2
	s_cbranch_execz .LBB479_18
; %bb.24:                               ;   in Loop: Header=BB479_21 Depth=2
	global_load_u16 v74, v[10:11], off offset:256
	global_load_u16 v75, v[12:13], off offset:256
	;; [unrolled: 1-line block ×4, first 2 shown]
	s_and_saveexec_b32 s58, s3
	s_cbranch_execz .LBB479_17
; %bb.25:                               ;   in Loop: Header=BB479_21 Depth=2
	global_load_u16 v10, v[10:11], off offset:384
	global_load_u16 v11, v[12:13], off offset:384
	;; [unrolled: 1-line block ×4, first 2 shown]
	s_wait_loadcnt 0x3
	v_fma_mix_f32 v10, v70, v10, v40 op_sel_hi:[0,1,0]
	s_wait_loadcnt 0x2
	s_delay_alu instid0(VALU_DEP_1) | instskip(SKIP_1) | instid1(VALU_DEP_1)
	v_fma_mix_f32 v10, v71, v11, v10 op_sel_hi:[0,1,0]
	s_wait_loadcnt 0x1
	v_fma_mix_f32 v10, v72, v12, v10 op_sel_hi:[0,1,0]
	s_wait_loadcnt 0x0
	s_delay_alu instid0(VALU_DEP_1)
	v_fma_mix_f32 v40, v73, v13, v10 op_sel_hi:[0,1,0]
	s_branch .LBB479_17
.LBB479_26:                             ;   in Loop: Header=BB479_5 Depth=1
	s_or_b32 exec_lo, exec_lo, s48
.LBB479_27:                             ;   in Loop: Header=BB479_5 Depth=1
	s_wait_alu 0xfffe
	s_or_b32 exec_lo, exec_lo, s8
	s_delay_alu instid0(SALU_CYCLE_1)
	s_and_not1_b32 vcc_lo, exec_lo, s53
	s_wait_alu 0xfffe
	s_cbranch_vccnz .LBB479_45
; %bb.28:                               ;   in Loop: Header=BB479_5 Depth=1
	v_cmp_gt_i32_e32 vcc_lo, s9, v41
	v_dual_mov_b32 v42, 0 :: v_dual_mov_b32 v43, 0
	v_or_b32_e32 v10, 1, v41
	v_dual_mov_b32 v44, 0 :: v_dual_mov_b32 v45, 0
	s_and_saveexec_b32 s8, vcc_lo
	s_cbranch_execz .LBB479_36
; %bb.29:                               ;   in Loop: Header=BB479_5 Depth=1
	v_mad_co_u64_u32 v[11:12], null, s36, v41, 0
	s_mul_u64 s[48:49], s[38:39], s[10:11]
	v_dual_mov_b32 v44, 0 :: v_dual_mov_b32 v43, 0
	s_wait_alu 0xfffe
	s_lshl_b64 s[48:49], s[48:49], 1
	v_mov_b32_e32 v42, 0
	s_wait_alu 0xfffe
	s_add_nc_u64 s[48:49], s[26:27], s[48:49]
	v_mad_co_u64_u32 v[12:13], null, s37, v41, v[12:13]
	s_mov_b32 s57, exec_lo
	v_lshlrev_b64_e32 v[11:12], 1, v[11:12]
	s_wait_alu 0xfffe
	s_delay_alu instid0(VALU_DEP_1) | instskip(SKIP_1) | instid1(VALU_DEP_2)
	v_add_co_u32 v11, s7, s48, v11
	s_wait_alu 0xf1ff
	v_add_co_ci_u32_e64 v12, null, s49, v12, s7
	global_load_u16 v11, v[11:12], off
	v_cmpx_gt_i32_e64 s9, v10
	s_cbranch_execz .LBB479_35
; %bb.30:                               ;   in Loop: Header=BB479_5 Depth=1
	v_mad_co_u64_u32 v[12:13], null, s36, v10, 0
	v_dual_mov_b32 v43, 0 :: v_dual_mov_b32 v42, 0
	s_mov_b32 s58, exec_lo
	s_delay_alu instid0(VALU_DEP_2) | instskip(NEXT) | instid1(VALU_DEP_1)
	v_mad_co_u64_u32 v[13:14], null, s37, v10, v[13:14]
	v_lshlrev_b64_e32 v[12:13], 1, v[12:13]
	s_delay_alu instid0(VALU_DEP_1) | instskip(SKIP_1) | instid1(VALU_DEP_2)
	v_add_co_u32 v12, s7, s48, v12
	s_wait_alu 0xf1ff
	v_add_co_ci_u32_e64 v13, null, s49, v13, s7
	global_load_u16 v12, v[12:13], off
	v_or_b32_e32 v13, 2, v41
	s_delay_alu instid0(VALU_DEP_1)
	v_cmpx_gt_i32_e64 s9, v13
	s_cbranch_execz .LBB479_34
; %bb.31:                               ;   in Loop: Header=BB479_5 Depth=1
	v_mad_co_u64_u32 v[14:15], null, s36, v13, 0
	v_mov_b32_e32 v42, 0
	s_mov_b32 s59, exec_lo
	s_delay_alu instid0(VALU_DEP_2) | instskip(NEXT) | instid1(VALU_DEP_1)
	v_mad_co_u64_u32 v[15:16], null, s37, v13, v[15:16]
	v_lshlrev_b64_e32 v[13:14], 1, v[14:15]
	s_delay_alu instid0(VALU_DEP_1) | instskip(SKIP_1) | instid1(VALU_DEP_2)
	v_add_co_u32 v13, s7, s48, v13
	s_wait_alu 0xf1ff
	v_add_co_ci_u32_e64 v14, null, s49, v14, s7
	global_load_u16 v13, v[13:14], off
	v_or_b32_e32 v14, 3, v41
	s_delay_alu instid0(VALU_DEP_1)
	v_cmpx_gt_i32_e64 s9, v14
	s_cbranch_execz .LBB479_33
; %bb.32:                               ;   in Loop: Header=BB479_5 Depth=1
	v_mad_co_u64_u32 v[15:16], null, s36, v14, 0
	s_delay_alu instid0(VALU_DEP_1) | instskip(NEXT) | instid1(VALU_DEP_1)
	v_mad_co_u64_u32 v[16:17], null, s37, v14, v[16:17]
	v_lshlrev_b64_e32 v[14:15], 1, v[15:16]
	s_delay_alu instid0(VALU_DEP_1) | instskip(SKIP_1) | instid1(VALU_DEP_2)
	v_add_co_u32 v14, s7, s48, v14
	s_wait_alu 0xf1ff
	v_add_co_ci_u32_e64 v15, null, s49, v15, s7
	global_load_u16 v14, v[14:15], off
	s_wait_loadcnt 0x0
	v_cvt_f32_f16_e32 v42, v14
.LBB479_33:                             ;   in Loop: Header=BB479_5 Depth=1
	s_wait_alu 0xfffe
	s_or_b32 exec_lo, exec_lo, s59
	s_wait_loadcnt 0x0
	v_cvt_f32_f16_e32 v43, v13
.LBB479_34:                             ;   in Loop: Header=BB479_5 Depth=1
	s_wait_alu 0xfffe
	s_or_b32 exec_lo, exec_lo, s58
	s_wait_loadcnt 0x0
	v_cvt_f32_f16_e32 v44, v12
.LBB479_35:                             ;   in Loop: Header=BB479_5 Depth=1
	s_or_b32 exec_lo, exec_lo, s57
	s_wait_loadcnt 0x0
	v_cvt_f32_f16_e32 v45, v11
.LBB479_36:                             ;   in Loop: Header=BB479_5 Depth=1
	s_wait_alu 0xfffe
	s_or_b32 exec_lo, exec_lo, s8
	s_and_saveexec_b32 s48, s0
	s_cbranch_execz .LBB479_44
; %bb.37:                               ;   in Loop: Header=BB479_5 Depth=1
	v_mad_co_u64_u32 v[11:12], null, s20, v41, 0
	v_mad_co_u64_u32 v[13:14], null, s20, v10, 0
	v_or_b32_e32 v50, 2, v41
	v_or_b32_e32 v51, 3, v41
	s_mul_u64 s[58:59], s[22:23], s[10:11]
	s_wait_alu 0xfffe
	s_lshl_b64 s[58:59], s[58:59], 1
	v_cmp_gt_i32_e64 s7, s9, v50
	s_delay_alu instid0(VALU_DEP_4) | instskip(SKIP_4) | instid1(VALU_DEP_2)
	v_mad_co_u64_u32 v[15:16], null, s21, v41, v[12:13]
	v_mad_co_u64_u32 v[16:17], null, s20, v50, 0
	;; [unrolled: 1-line block ×3, first 2 shown]
	s_wait_alu 0xfffe
	s_add_nc_u64 s[58:59], s[16:17], s[58:59]
	v_dual_cndmask_b32 v12, 0, v15 :: v_dual_mov_b32 v15, v17
	s_delay_alu instid0(VALU_DEP_2) | instskip(NEXT) | instid1(VALU_DEP_2)
	v_mov_b32_e32 v17, v47
	v_mad_co_u64_u32 v[48:49], null, s21, v10, v[14:15]
	v_cndmask_b32_e32 v11, 0, v11, vcc_lo
	v_cmp_gt_i32_e32 vcc_lo, s9, v10
	s_wait_alu 0xfffd
	s_delay_alu instid0(VALU_DEP_3) | instskip(NEXT) | instid1(VALU_DEP_3)
	v_dual_cndmask_b32 v13, 0, v13 :: v_dual_cndmask_b32 v14, 0, v48
	v_lshlrev_b64_e32 v[11:12], 1, v[11:12]
	s_wait_alu 0xfffe
	s_delay_alu instid0(VALU_DEP_1) | instskip(SKIP_1) | instid1(VALU_DEP_2)
	v_add_co_u32 v10, s8, s58, v11
	s_wait_alu 0xf1ff
	v_add_co_ci_u32_e64 v11, null, s59, v12, s8
	v_lshlrev_b64_e32 v[12:13], 1, v[13:14]
	s_delay_alu instid0(VALU_DEP_3) | instskip(SKIP_1) | instid1(VALU_DEP_3)
	v_add_co_u32 v10, vcc_lo, v10, v6
	s_wait_alu 0xfffd
	v_add_co_ci_u32_e64 v11, null, v11, v7, vcc_lo
	v_cmp_gt_i32_e32 vcc_lo, s9, v51
	v_cndmask_b32_e64 v14, 0, v16, s7
	s_wait_alu 0xfffd
	v_cndmask_b32_e32 v46, 0, v46, vcc_lo
	v_mad_co_u64_u32 v[49:50], null, s21, v50, v[15:16]
	v_mad_co_u64_u32 v[16:17], null, s21, v51, v[17:18]
	s_delay_alu instid0(VALU_DEP_2) | instskip(SKIP_1) | instid1(VALU_DEP_3)
	v_cndmask_b32_e64 v15, 0, v49, s7
	v_add_co_u32 v12, s7, s58, v12
	v_cndmask_b32_e32 v47, 0, v16, vcc_lo
	s_wait_alu 0xf1ff
	v_add_co_ci_u32_e64 v13, null, s59, v13, s7
	v_lshlrev_b64_e32 v[14:15], 1, v[14:15]
	v_add_co_u32 v12, vcc_lo, v12, v6
	v_lshlrev_b64_e32 v[16:17], 1, v[46:47]
	s_wait_alu 0xfffd
	v_add_co_ci_u32_e64 v13, null, v13, v7, vcc_lo
	s_delay_alu instid0(VALU_DEP_4)
	v_add_co_u32 v14, vcc_lo, s58, v14
	s_wait_alu 0xfffd
	v_add_co_ci_u32_e64 v15, null, s59, v15, vcc_lo
	v_add_co_u32 v16, vcc_lo, s58, v16
	s_wait_alu 0xfffd
	v_add_co_ci_u32_e64 v17, null, s59, v17, vcc_lo
	;; [unrolled: 3-line block ×4, first 2 shown]
	s_clause 0x3
	global_load_u16 v41, v[10:11], off
	global_load_u16 v46, v[12:13], off
	global_load_u16 v47, v[14:15], off
	global_load_u16 v48, v[16:17], off
	s_and_saveexec_b32 s7, s1
	s_cbranch_execz .LBB479_43
; %bb.38:                               ;   in Loop: Header=BB479_5 Depth=1
	s_clause 0x3
	global_load_u16 v49, v[10:11], off offset:128
	global_load_u16 v50, v[12:13], off offset:128
	global_load_u16 v51, v[14:15], off offset:128
	global_load_u16 v52, v[16:17], off offset:128
	s_and_saveexec_b32 s8, s2
	s_cbranch_execz .LBB479_42
; %bb.39:                               ;   in Loop: Header=BB479_5 Depth=1
	s_clause 0x3
	global_load_u16 v53, v[10:11], off offset:256
	global_load_u16 v54, v[12:13], off offset:256
	global_load_u16 v55, v[14:15], off offset:256
	global_load_u16 v56, v[16:17], off offset:256
	;; [unrolled: 8-line block ×3, first 2 shown]
	s_wait_loadcnt 0x3
	v_fma_mix_f32 v10, v45, v10, v40 op_sel_hi:[0,1,0]
	s_wait_loadcnt 0x2
	s_delay_alu instid0(VALU_DEP_1) | instskip(SKIP_1) | instid1(VALU_DEP_1)
	v_fma_mix_f32 v10, v44, v11, v10 op_sel_hi:[0,1,0]
	s_wait_loadcnt 0x1
	v_fma_mix_f32 v10, v43, v12, v10 op_sel_hi:[0,1,0]
	s_wait_loadcnt 0x0
	s_delay_alu instid0(VALU_DEP_1)
	v_fma_mix_f32 v40, v42, v13, v10 op_sel_hi:[0,1,0]
.LBB479_41:                             ;   in Loop: Header=BB479_5 Depth=1
	s_wait_alu 0xfffe
	s_or_b32 exec_lo, exec_lo, s49
	s_wait_loadcnt 0x3
	v_fma_mix_f32 v10, v45, v53, v39 op_sel_hi:[0,1,0]
	s_wait_loadcnt 0x2
	s_delay_alu instid0(VALU_DEP_1) | instskip(SKIP_1) | instid1(VALU_DEP_1)
	v_fma_mix_f32 v10, v44, v54, v10 op_sel_hi:[0,1,0]
	s_wait_loadcnt 0x1
	v_fma_mix_f32 v10, v43, v55, v10 op_sel_hi:[0,1,0]
	s_wait_loadcnt 0x0
	s_delay_alu instid0(VALU_DEP_1)
	v_fma_mix_f32 v39, v42, v56, v10 op_sel_hi:[0,1,0]
.LBB479_42:                             ;   in Loop: Header=BB479_5 Depth=1
	s_wait_alu 0xfffe
	s_or_b32 exec_lo, exec_lo, s8
	s_wait_loadcnt 0x3
	v_fma_mix_f32 v10, v45, v49, v38 op_sel_hi:[0,1,0]
	s_wait_loadcnt 0x2
	s_delay_alu instid0(VALU_DEP_1) | instskip(SKIP_1) | instid1(VALU_DEP_1)
	v_fma_mix_f32 v10, v44, v50, v10 op_sel_hi:[0,1,0]
	s_wait_loadcnt 0x1
	v_fma_mix_f32 v10, v43, v51, v10 op_sel_hi:[0,1,0]
	s_wait_loadcnt 0x0
	s_delay_alu instid0(VALU_DEP_1)
	v_fma_mix_f32 v38, v42, v52, v10 op_sel_hi:[0,1,0]
.LBB479_43:                             ;   in Loop: Header=BB479_5 Depth=1
	s_wait_alu 0xfffe
	s_or_b32 exec_lo, exec_lo, s7
	s_wait_loadcnt 0x3
	v_fma_mix_f32 v10, v45, v41, v37 op_sel_hi:[0,1,0]
	s_wait_loadcnt 0x2
	s_delay_alu instid0(VALU_DEP_1) | instskip(SKIP_1) | instid1(VALU_DEP_1)
	v_fma_mix_f32 v10, v44, v46, v10 op_sel_hi:[0,1,0]
	s_wait_loadcnt 0x1
	v_fma_mix_f32 v10, v43, v47, v10 op_sel_hi:[0,1,0]
	s_wait_loadcnt 0x0
	s_delay_alu instid0(VALU_DEP_1)
	v_fma_mix_f32 v37, v42, v48, v10 op_sel_hi:[0,1,0]
.LBB479_44:                             ;   in Loop: Header=BB479_5 Depth=1
	s_wait_alu 0xfffe
	s_or_b32 exec_lo, exec_lo, s48
.LBB479_45:                             ;   in Loop: Header=BB479_5 Depth=1
	ds_store_2addr_stride64_b32 v0, v37, v38 offset1:1
	ds_store_2addr_stride64_b32 v0, v39, v40 offset0:2 offset1:3
	s_wait_dscnt 0x0
	s_barrier_signal -1
	s_barrier_wait -1
	global_inv scope:SCOPE_SE
                                        ; implicit-def: $vgpr12
	s_and_saveexec_b32 s7, s5
	s_cbranch_execz .LBB479_51
; %bb.46:                               ;   in Loop: Header=BB479_5 Depth=1
	ds_load_2addr_stride64_b32 v[10:11], v19 offset1:4
	ds_load_2addr_stride64_b32 v[12:13], v19 offset0:8 offset1:12
	ds_load_2addr_stride64_b32 v[14:15], v19 offset0:16 offset1:20
	s_mov_b32 s48, s56
	s_wait_dscnt 0x2
	v_add_f32_e32 v16, v10, v11
	ds_load_2addr_stride64_b32 v[10:11], v19 offset0:24 offset1:28
	s_wait_dscnt 0x2
	v_add_f32_e32 v12, v12, v16
	s_delay_alu instid0(VALU_DEP_1) | instskip(SKIP_3) | instid1(VALU_DEP_1)
	v_add_f32_e32 v16, v13, v12
	ds_load_2addr_stride64_b32 v[12:13], v19 offset0:32 offset1:36
	s_wait_dscnt 0x2
	v_add_f32_e32 v14, v14, v16
	v_add_f32_e32 v16, v15, v14
	ds_load_2addr_stride64_b32 v[14:15], v19 offset0:40 offset1:44
	s_wait_dscnt 0x2
	v_add_f32_e32 v10, v10, v16
	s_delay_alu instid0(VALU_DEP_1) | instskip(SKIP_1) | instid1(VALU_DEP_1)
	v_add_f32_e32 v10, v11, v10
	s_wait_dscnt 0x1
	v_add_f32_e32 v12, v12, v10
	ds_load_2addr_stride64_b32 v[10:11], v19 offset0:48 offset1:52
	v_add_f32_e32 v12, v13, v12
	s_wait_dscnt 0x1
	s_delay_alu instid0(VALU_DEP_1) | instskip(SKIP_3) | instid1(VALU_DEP_1)
	v_add_f32_e32 v14, v14, v12
	ds_load_2addr_stride64_b32 v[12:13], v19 offset0:56 offset1:60
	v_add_f32_e32 v14, v15, v14
	s_wait_dscnt 0x1
	v_add_f32_e32 v10, v10, v14
	s_delay_alu instid0(VALU_DEP_1) | instskip(SKIP_1) | instid1(VALU_DEP_1)
	v_add_f32_e32 v10, v11, v10
	s_wait_dscnt 0x0
	v_add_f32_e32 v10, v12, v10
                                        ; implicit-def: $vgpr12
	s_delay_alu instid0(VALU_DEP_1)
	v_add_f32_e32 v10, v13, v10
	ds_store_b32 v19, v10
	s_and_saveexec_b32 s8, s6
	s_cbranch_execz .LBB479_50
; %bb.47:                               ;   in Loop: Header=BB479_5 Depth=1
	v_mul_f32_e32 v12, v36, v10
	s_cmp_eq_f32 s55, 0
	s_cbranch_scc1 .LBB479_49
; %bb.48:                               ;   in Loop: Header=BB479_5 Depth=1
	v_lshlrev_b64_e32 v[10:11], 2, v[4:5]
	s_delay_alu instid0(VALU_DEP_1) | instskip(SKIP_1) | instid1(VALU_DEP_2)
	v_add_co_u32 v10, vcc_lo, s46, v10
	s_wait_alu 0xfffd
	v_add_co_ci_u32_e64 v11, null, s47, v11, vcc_lo
	global_load_b32 v10, v[10:11], off
	s_wait_loadcnt 0x0
	v_fmac_f32_e32 v12, s55, v10
.LBB479_49:                             ;   in Loop: Header=BB479_5 Depth=1
	s_or_b32 s48, s56, exec_lo
.LBB479_50:                             ;   in Loop: Header=BB479_5 Depth=1
	s_wait_alu 0xfffe
	s_or_b32 exec_lo, exec_lo, s8
	s_delay_alu instid0(SALU_CYCLE_1)
	s_and_not1_b32 s8, s56, exec_lo
	s_and_b32 s48, s48, exec_lo
	s_wait_alu 0xfffe
	s_or_b32 s56, s8, s48
.LBB479_51:                             ;   in Loop: Header=BB479_5 Depth=1
	s_wait_alu 0xfffe
	s_or_b32 exec_lo, exec_lo, s7
	v_dual_mov_b32 v11, v5 :: v_dual_mov_b32 v10, v4
	s_and_saveexec_b32 s7, s56
	s_cbranch_execz .LBB479_3
.LBB479_52:                             ;   in Loop: Header=BB479_5 Depth=1
	s_delay_alu instid0(VALU_DEP_1) | instskip(SKIP_1) | instid1(VALU_DEP_1)
	v_lshlrev_b64_e32 v[10:11], 2, v[10:11]
	s_wait_alu 0xfffe
	v_add_co_u32 v10, vcc_lo, s46, v10
	s_wait_alu 0xfffd
	s_delay_alu instid0(VALU_DEP_2)
	v_add_co_ci_u32_e64 v11, null, s47, v11, vcc_lo
	global_store_b32 v[10:11], v12, off
	s_branch .LBB479_3
.LBB479_53:
	s_endpgm
	.section	.rodata,"a",@progbits
	.p2align	6, 0x0
	.amdhsa_kernel _ZL20rocblas_gemvn_kernelILi64ELi16ElDF16_PKffEviiT3_lPKT2_lT1_lS5_lS6_lS2_lPT4_lS6_li
		.amdhsa_group_segment_fixed_size 16384
		.amdhsa_private_segment_fixed_size 0
		.amdhsa_kernarg_size 400
		.amdhsa_user_sgpr_count 2
		.amdhsa_user_sgpr_dispatch_ptr 0
		.amdhsa_user_sgpr_queue_ptr 0
		.amdhsa_user_sgpr_kernarg_segment_ptr 1
		.amdhsa_user_sgpr_dispatch_id 0
		.amdhsa_user_sgpr_private_segment_size 0
		.amdhsa_wavefront_size32 1
		.amdhsa_uses_dynamic_stack 0
		.amdhsa_enable_private_segment 0
		.amdhsa_system_sgpr_workgroup_id_x 1
		.amdhsa_system_sgpr_workgroup_id_y 0
		.amdhsa_system_sgpr_workgroup_id_z 1
		.amdhsa_system_sgpr_workgroup_info 0
		.amdhsa_system_vgpr_workitem_id 1
		.amdhsa_next_free_vgpr 78
		.amdhsa_next_free_sgpr 60
		.amdhsa_reserve_vcc 1
		.amdhsa_float_round_mode_32 0
		.amdhsa_float_round_mode_16_64 0
		.amdhsa_float_denorm_mode_32 3
		.amdhsa_float_denorm_mode_16_64 3
		.amdhsa_fp16_overflow 0
		.amdhsa_workgroup_processor_mode 1
		.amdhsa_memory_ordered 1
		.amdhsa_forward_progress 1
		.amdhsa_inst_pref_size 32
		.amdhsa_round_robin_scheduling 0
		.amdhsa_exception_fp_ieee_invalid_op 0
		.amdhsa_exception_fp_denorm_src 0
		.amdhsa_exception_fp_ieee_div_zero 0
		.amdhsa_exception_fp_ieee_overflow 0
		.amdhsa_exception_fp_ieee_underflow 0
		.amdhsa_exception_fp_ieee_inexact 0
		.amdhsa_exception_int_div_zero 0
	.end_amdhsa_kernel
	.section	.text._ZL20rocblas_gemvn_kernelILi64ELi16ElDF16_PKffEviiT3_lPKT2_lT1_lS5_lS6_lS2_lPT4_lS6_li,"axG",@progbits,_ZL20rocblas_gemvn_kernelILi64ELi16ElDF16_PKffEviiT3_lPKT2_lT1_lS5_lS6_lS2_lPT4_lS6_li,comdat
.Lfunc_end479:
	.size	_ZL20rocblas_gemvn_kernelILi64ELi16ElDF16_PKffEviiT3_lPKT2_lT1_lS5_lS6_lS2_lPT4_lS6_li, .Lfunc_end479-_ZL20rocblas_gemvn_kernelILi64ELi16ElDF16_PKffEviiT3_lPKT2_lT1_lS5_lS6_lS2_lPT4_lS6_li
                                        ; -- End function
	.set _ZL20rocblas_gemvn_kernelILi64ELi16ElDF16_PKffEviiT3_lPKT2_lT1_lS5_lS6_lS2_lPT4_lS6_li.num_vgpr, 78
	.set _ZL20rocblas_gemvn_kernelILi64ELi16ElDF16_PKffEviiT3_lPKT2_lT1_lS5_lS6_lS2_lPT4_lS6_li.num_agpr, 0
	.set _ZL20rocblas_gemvn_kernelILi64ELi16ElDF16_PKffEviiT3_lPKT2_lT1_lS5_lS6_lS2_lPT4_lS6_li.numbered_sgpr, 60
	.set _ZL20rocblas_gemvn_kernelILi64ELi16ElDF16_PKffEviiT3_lPKT2_lT1_lS5_lS6_lS2_lPT4_lS6_li.num_named_barrier, 0
	.set _ZL20rocblas_gemvn_kernelILi64ELi16ElDF16_PKffEviiT3_lPKT2_lT1_lS5_lS6_lS2_lPT4_lS6_li.private_seg_size, 0
	.set _ZL20rocblas_gemvn_kernelILi64ELi16ElDF16_PKffEviiT3_lPKT2_lT1_lS5_lS6_lS2_lPT4_lS6_li.uses_vcc, 1
	.set _ZL20rocblas_gemvn_kernelILi64ELi16ElDF16_PKffEviiT3_lPKT2_lT1_lS5_lS6_lS2_lPT4_lS6_li.uses_flat_scratch, 0
	.set _ZL20rocblas_gemvn_kernelILi64ELi16ElDF16_PKffEviiT3_lPKT2_lT1_lS5_lS6_lS2_lPT4_lS6_li.has_dyn_sized_stack, 0
	.set _ZL20rocblas_gemvn_kernelILi64ELi16ElDF16_PKffEviiT3_lPKT2_lT1_lS5_lS6_lS2_lPT4_lS6_li.has_recursion, 0
	.set _ZL20rocblas_gemvn_kernelILi64ELi16ElDF16_PKffEviiT3_lPKT2_lT1_lS5_lS6_lS2_lPT4_lS6_li.has_indirect_call, 0
	.section	.AMDGPU.csdata,"",@progbits
; Kernel info:
; codeLenInByte = 4032
; TotalNumSgprs: 62
; NumVgprs: 78
; ScratchSize: 0
; MemoryBound: 0
; FloatMode: 240
; IeeeMode: 1
; LDSByteSize: 16384 bytes/workgroup (compile time only)
; SGPRBlocks: 0
; VGPRBlocks: 9
; NumSGPRsForWavesPerEU: 62
; NumVGPRsForWavesPerEU: 78
; Occupancy: 16
; WaveLimiterHint : 1
; COMPUTE_PGM_RSRC2:SCRATCH_EN: 0
; COMPUTE_PGM_RSRC2:USER_SGPR: 2
; COMPUTE_PGM_RSRC2:TRAP_HANDLER: 0
; COMPUTE_PGM_RSRC2:TGID_X_EN: 1
; COMPUTE_PGM_RSRC2:TGID_Y_EN: 0
; COMPUTE_PGM_RSRC2:TGID_Z_EN: 1
; COMPUTE_PGM_RSRC2:TIDIG_COMP_CNT: 1
	.section	.text._ZL20rocblas_gemvn_kernelILi64ELi16EiDF16_ffEviiT3_lPKT2_lT1_lS3_lS4_lS0_lPT4_lS4_li,"axG",@progbits,_ZL20rocblas_gemvn_kernelILi64ELi16EiDF16_ffEviiT3_lPKT2_lT1_lS3_lS4_lS0_lPT4_lS4_li,comdat
	.globl	_ZL20rocblas_gemvn_kernelILi64ELi16EiDF16_ffEviiT3_lPKT2_lT1_lS3_lS4_lS0_lPT4_lS4_li ; -- Begin function _ZL20rocblas_gemvn_kernelILi64ELi16EiDF16_ffEviiT3_lPKT2_lT1_lS3_lS4_lS0_lPT4_lS4_li
	.p2align	8
	.type	_ZL20rocblas_gemvn_kernelILi64ELi16EiDF16_ffEviiT3_lPKT2_lT1_lS3_lS4_lS0_lPT4_lS4_li,@function
_ZL20rocblas_gemvn_kernelILi64ELi16EiDF16_ffEviiT3_lPKT2_lT1_lS3_lS4_lS0_lPT4_lS4_li: ; @_ZL20rocblas_gemvn_kernelILi64ELi16EiDF16_ffEviiT3_lPKT2_lT1_lS3_lS4_lS0_lPT4_lS4_li
; %bb.0:
	s_load_b64 s[2:3], s[0:1], 0x9c
	s_wait_kmcnt 0x0
	s_lshr_b32 s4, s2, 16
	s_and_b32 s2, s2, 0xffff
	s_and_b32 s3, s3, 0xffff
	s_mul_i32 s2, s4, s2
	s_delay_alu instid0(SALU_CYCLE_1) | instskip(NEXT) | instid1(SALU_CYCLE_1)
	s_mul_i32 s2, s2, s3
	s_cmp_lg_u32 s2, 0x400
	s_cbranch_scc1 .LBB480_53
; %bb.1:
	s_load_b32 s19, s[0:1], 0x88
	s_lshr_b32 s28, ttmp7, 16
	s_wait_kmcnt 0x0
	s_cmp_ge_u32 s28, s19
	s_cbranch_scc1 .LBB480_53
; %bb.2:
	s_clause 0x8
	s_load_b128 s[4:7], s[0:1], 0x18
	s_load_b96 s[16:18], s[0:1], 0x40
	s_load_b128 s[12:15], s[0:1], 0x68
	s_load_b32 s34, s[0:1], 0x78
	s_load_b96 s[20:22], s[0:1], 0x0
	s_load_b32 s23, s[0:1], 0x28
	s_load_b128 s[8:11], s[0:1], 0x30
	s_load_b96 s[24:26], s[0:1], 0x50
	s_load_b64 s[30:31], s[0:1], 0x80
	v_dual_mov_b32 v4, 0 :: v_dual_and_b32 v7, 0x3ff, v0
	v_bfe_u32 v6, v0, 10, 10
	s_mov_b32 s29, 0
	s_delay_alu instid0(VALU_DEP_2) | instskip(NEXT) | instid1(VALU_DEP_2)
	v_lshlrev_b32_e32 v5, 2, v7
	v_lshl_add_u32 v8, v6, 6, v7
	v_lshlrev_b32_e32 v17, 2, v6
	s_delay_alu instid0(VALU_DEP_3)
	v_lshl_add_u32 v18, v6, 10, v5
	s_wait_kmcnt 0x0
	s_lshl_b64 s[0:1], s[6:7], 1
	s_lshl_b64 s[2:3], s[16:17], 1
	;; [unrolled: 1-line block ×3, first 2 shown]
	s_ashr_i32 s35, s34, 31
	s_cmp_eq_f32 s22, 0
	s_add_nc_u64 s[14:15], s[4:5], s[0:1]
	v_mul_lo_u32 v9, s23, v17
	s_mov_b32 s16, s20
	s_cselect_b32 s27, -1, 0
	s_cmp_neq_f32 s22, 0
	s_add_nc_u64 s[12:13], s[12:13], s[6:7]
	v_lshl_add_u32 v20, v6, 8, v5
	s_add_nc_u64 s[10:11], s[10:11], s[2:3]
	s_cselect_b32 s36, -1, 0
	s_cmp_neq_f32 s26, 1.0
	v_add3_u32 v21, v9, s23, v7
	v_or_b32_e32 v9, 3, v17
	s_cselect_b32 s0, -1, 0
	s_lshl_b32 s33, ttmp9, 8
	s_ashr_i32 s17, s20, 31
	v_add_nc_u32_e32 v3, s33, v8
	v_or_b32_e32 v10, s33, v8
	s_or_b32 s38, s36, s0
	s_cmp_neq_f32 s26, 0
	v_add_nc_u32_e32 v19, s33, v7
	v_mad_co_u64_u32 v[0:1], null, s34, v3, 0
	v_mul_lo_u32 v2, s34, v10
	s_cselect_b32 s39, -1, 0
	s_ashr_i32 s1, s21, 31
	v_cmp_gt_i64_e32 vcc_lo, s[16:17], v[3:4]
	s_lshr_b32 s1, s1, 26
	v_add_nc_u32_e32 v11, 64, v19
	s_add_co_i32 s40, s21, s1
	v_cmp_gt_i32_e64 s6, s20, v10
	v_mad_co_u64_u32 v[3:4], null, s35, v3, v[1:2]
	s_and_not1_b32 s40, s40, 63
	v_mul_lo_u32 v10, v6, s23
	s_sub_co_i32 s5, s21, s40
	v_cmp_gt_i32_e64 s1, s20, v11
	s_cmp_gt_i32 s5, 0
	v_cmp_gt_u32_e64 s5, 0x100, v8
	v_or_b32_e32 v8, 2, v17
	v_mul_lo_u32 v11, v6, s18
	v_dual_mov_b32 v1, v3 :: v_dual_add_nc_u32 v12, 0x80, v19
	v_add_nc_u32_e32 v13, 0xc0, v19
	s_delay_alu instid0(VALU_DEP_4)
	v_mad_co_u64_u32 v[4:5], null, s23, v8, v[7:8]
	s_mov_b32 s16, s18
	v_mad_co_u64_u32 v[5:6], null, s23, v9, v[7:8]
	v_lshl_add_u32 v22, v10, 2, v7
	s_wait_alu 0xfffe
	v_mad_co_u64_u32 v[6:7], null, s18, v17, s[16:17]
	v_mul_lo_u32 v23, s18, v8
	v_mul_lo_u32 v24, s18, v9
	v_lshlrev_b64_e32 v[7:8], 2, v[0:1]
	v_cmp_gt_i32_e64 s0, s20, v19
	v_cmp_gt_i32_e64 s2, s20, v12
	;; [unrolled: 1-line block ×4, first 2 shown]
	v_ashrrev_i32_e32 v3, 31, v2
	v_lshlrev_b32_e32 v25, 2, v11
	s_cselect_b32 s20, -1, 0
	s_and_b32 s41, s5, vcc_lo
	s_lshl_b32 s42, s23, 6
	s_lshl_b32 s43, s18, 6
	s_branch .LBB480_5
.LBB480_3:                              ;   in Loop: Header=BB480_5 Depth=1
	s_wait_alu 0xfffe
	s_or_b32 exec_lo, exec_lo, s7
.LBB480_4:                              ;   in Loop: Header=BB480_5 Depth=1
	s_add_co_i32 s28, s28, 0x10000
	s_delay_alu instid0(SALU_CYCLE_1)
	s_cmp_lt_u32 s28, s19
	s_cbranch_scc0 .LBB480_53
.LBB480_5:                              ; =>This Loop Header: Depth=1
                                        ;     Child Loop BB480_21 Depth 2
	s_and_not1_b32 vcc_lo, exec_lo, s38
	s_wait_alu 0xfffe
	s_cbranch_vccnz .LBB480_4
; %bb.6:                                ;   in Loop: Header=BB480_5 Depth=1
	s_mul_u64 s[16:17], s[30:31], s[28:29]
	s_and_not1_b32 vcc_lo, exec_lo, s27
	s_wait_alu 0xfffe
	s_lshl_b64 s[16:17], s[16:17], 2
	s_wait_alu 0xfffe
	s_add_nc_u64 s[16:17], s[12:13], s[16:17]
	s_cbranch_vccnz .LBB480_10
; %bb.7:                                ;   in Loop: Header=BB480_5 Depth=1
	s_mov_b32 s7, 0
	s_mov_b32 s44, 0
                                        ; implicit-def: $vgpr11
	s_and_saveexec_b32 s34, s41
	s_cbranch_execz .LBB480_11
; %bb.8:                                ;   in Loop: Header=BB480_5 Depth=1
	s_and_not1_b32 vcc_lo, exec_lo, s39
	s_wait_alu 0xfffe
	s_cbranch_vccnz .LBB480_13
; %bb.9:                                ;   in Loop: Header=BB480_5 Depth=1
	v_add_co_u32 v9, vcc_lo, s16, v7
	s_wait_alu 0xfffd
	v_add_co_ci_u32_e64 v10, null, s17, v8, vcc_lo
	global_load_b32 v9, v[9:10], off
	s_wait_loadcnt 0x0
	v_mul_f32_e32 v11, s26, v9
	s_branch .LBB480_14
.LBB480_10:                             ;   in Loop: Header=BB480_5 Depth=1
	s_mov_b32 s44, 0
                                        ; implicit-def: $vgpr11
	s_cbranch_execz .LBB480_12
	s_branch .LBB480_15
.LBB480_11:                             ;   in Loop: Header=BB480_5 Depth=1
	s_wait_alu 0xfffe
	s_or_b32 exec_lo, exec_lo, s34
	s_delay_alu instid0(SALU_CYCLE_1)
	s_and_b32 vcc_lo, exec_lo, s7
	s_wait_alu 0xfffe
	s_cbranch_vccnz .LBB480_15
.LBB480_12:                             ;   in Loop: Header=BB480_5 Depth=1
	v_dual_mov_b32 v10, v1 :: v_dual_mov_b32 v9, v0
	s_and_saveexec_b32 s7, s44
	s_cbranch_execz .LBB480_3
	s_branch .LBB480_52
.LBB480_13:                             ;   in Loop: Header=BB480_5 Depth=1
	v_mov_b32_e32 v11, 0
.LBB480_14:                             ;   in Loop: Header=BB480_5 Depth=1
	s_mov_b32 s44, exec_lo
	s_wait_alu 0xfffe
	s_or_b32 exec_lo, exec_lo, s34
	s_delay_alu instid0(SALU_CYCLE_1)
	s_and_b32 vcc_lo, exec_lo, s7
	s_wait_alu 0xfffe
	s_cbranch_vccz .LBB480_12
.LBB480_15:                             ;   in Loop: Header=BB480_5 Depth=1
	s_mul_u64 s[34:35], s[8:9], s[28:29]
	s_mul_u64 s[36:37], s[24:25], s[28:29]
	v_dual_mov_b32 v26, 0 :: v_dual_mov_b32 v27, 0
	v_dual_mov_b32 v30, v17 :: v_dual_mov_b32 v29, 0
	v_mov_b32_e32 v28, 0
	s_wait_alu 0xfffe
	s_lshl_b64 s[34:35], s[34:35], 1
	s_lshl_b64 s[36:37], s[36:37], 1
	s_wait_alu 0xfffe
	s_add_nc_u64 s[34:35], s[14:15], s[34:35]
	s_add_nc_u64 s[36:37], s[10:11], s[36:37]
	s_and_saveexec_b32 s7, s4
	s_cbranch_execz .LBB480_27
; %bb.16:                               ;   in Loop: Header=BB480_5 Depth=1
	v_dual_mov_b32 v26, 0 :: v_dual_mov_b32 v31, v22
	v_dual_mov_b32 v32, v5 :: v_dual_mov_b32 v33, v4
	;; [unrolled: 1-line block ×4, first 2 shown]
	v_mov_b32_e32 v28, 0
	s_mov_b32 s45, 0
	s_mov_b32 s46, 0
	s_branch .LBB480_21
.LBB480_17:                             ;   in Loop: Header=BB480_21 Depth=2
	s_or_b32 exec_lo, exec_lo, s50
	s_wait_loadcnt 0x3
	v_fma_mix_f32 v9, v47, v51, v28 op_sel_hi:[0,1,0]
	s_wait_loadcnt 0x2
	s_delay_alu instid0(VALU_DEP_1) | instskip(SKIP_1) | instid1(VALU_DEP_1)
	v_fma_mix_f32 v9, v48, v52, v9 op_sel_hi:[0,1,0]
	s_wait_loadcnt 0x1
	v_fma_mix_f32 v9, v49, v53, v9 op_sel_hi:[0,1,0]
	s_wait_loadcnt 0x0
	s_delay_alu instid0(VALU_DEP_1)
	v_fma_mix_f32 v28, v50, v54, v9 op_sel_hi:[0,1,0]
.LBB480_18:                             ;   in Loop: Header=BB480_21 Depth=2
	s_or_b32 exec_lo, exec_lo, s49
	s_wait_loadcnt 0x3
	v_fma_mix_f32 v9, v47, v43, v27 op_sel_hi:[0,1,0]
	s_wait_loadcnt 0x2
	s_delay_alu instid0(VALU_DEP_1) | instskip(SKIP_1) | instid1(VALU_DEP_1)
	v_fma_mix_f32 v9, v48, v44, v9 op_sel_hi:[0,1,0]
	s_wait_loadcnt 0x1
	v_fma_mix_f32 v9, v49, v45, v9 op_sel_hi:[0,1,0]
	s_wait_loadcnt 0x0
	s_delay_alu instid0(VALU_DEP_1)
	v_fma_mix_f32 v27, v50, v46, v9 op_sel_hi:[0,1,0]
.LBB480_19:                             ;   in Loop: Header=BB480_21 Depth=2
	s_or_b32 exec_lo, exec_lo, s48
	s_wait_loadcnt 0x3
	v_fma_mix_f32 v9, v35, v39, v26 op_sel_hi:[1,1,0]
	s_wait_loadcnt 0x2
	s_delay_alu instid0(VALU_DEP_1) | instskip(SKIP_1) | instid1(VALU_DEP_1)
	v_fma_mix_f32 v9, v36, v40, v9 op_sel_hi:[1,1,0]
	s_wait_loadcnt 0x1
	v_fma_mix_f32 v9, v37, v41, v9 op_sel_hi:[1,1,0]
	s_wait_loadcnt 0x0
	s_delay_alu instid0(VALU_DEP_1)
	v_fma_mix_f32 v26, v38, v42, v9 op_sel_hi:[1,1,0]
.LBB480_20:                             ;   in Loop: Header=BB480_21 Depth=2
	s_wait_alu 0xfffe
	s_or_b32 exec_lo, exec_lo, s47
	v_add_nc_u32_e32 v30, 64, v30
	v_add_nc_u32_e32 v34, s42, v34
	;; [unrolled: 1-line block ×5, first 2 shown]
	v_cmp_le_i32_e32 vcc_lo, s40, v30
	s_add_co_i32 s46, s46, s43
	s_or_b32 s45, vcc_lo, s45
	s_delay_alu instid0(SALU_CYCLE_1)
	s_and_not1_b32 exec_lo, exec_lo, s45
	s_cbranch_execz .LBB480_26
.LBB480_21:                             ;   Parent Loop BB480_5 Depth=1
                                        ; =>  This Inner Loop Header: Depth=2
	s_and_saveexec_b32 s47, s0
	s_cbranch_execz .LBB480_20
; %bb.22:                               ;   in Loop: Header=BB480_21 Depth=2
	s_wait_alu 0xfffe
	v_add_nc_u32_e32 v9, s46, v25
	v_add_nc_u32_e32 v11, s46, v6
	;; [unrolled: 1-line block ×5, first 2 shown]
	v_ashrrev_i32_e32 v10, 31, v9
	v_ashrrev_i32_e32 v12, 31, v11
	;; [unrolled: 1-line block ×5, first 2 shown]
	v_lshlrev_b64_e32 v[9:10], 1, v[9:10]
	v_lshlrev_b64_e32 v[11:12], 1, v[11:12]
	;; [unrolled: 1-line block ×3, first 2 shown]
	s_delay_alu instid0(VALU_DEP_3) | instskip(SKIP_1) | instid1(VALU_DEP_4)
	v_add_co_u32 v37, vcc_lo, s36, v9
	s_wait_alu 0xfffd
	v_add_co_ci_u32_e64 v38, null, s37, v10, vcc_lo
	s_delay_alu instid0(VALU_DEP_4)
	v_add_co_u32 v39, vcc_lo, s36, v11
	v_add_nc_u32_e32 v11, s33, v34
	s_wait_alu 0xfffd
	v_add_co_ci_u32_e64 v40, null, s37, v12, vcc_lo
	v_lshlrev_b64_e32 v[9:10], 1, v[15:16]
	v_add_co_u32 v41, vcc_lo, s36, v13
	v_add_nc_u32_e32 v15, s33, v33
	s_wait_alu 0xfffd
	v_add_co_ci_u32_e64 v42, null, s37, v14, vcc_lo
	v_lshlrev_b64_e32 v[13:14], 1, v[35:36]
	v_add_nc_u32_e32 v35, s33, v32
	v_ashrrev_i32_e32 v12, 31, v11
	v_ashrrev_i32_e32 v16, 31, v15
	v_add_co_u32 v43, vcc_lo, s36, v9
	s_delay_alu instid0(VALU_DEP_4)
	v_ashrrev_i32_e32 v36, 31, v35
	s_wait_alu 0xfffd
	v_add_co_ci_u32_e64 v44, null, s37, v10, vcc_lo
	v_lshlrev_b64_e32 v[11:12], 1, v[11:12]
	v_add_co_u32 v9, vcc_lo, s34, v13
	s_wait_alu 0xfffd
	v_add_co_ci_u32_e64 v10, null, s35, v14, vcc_lo
	v_lshlrev_b64_e32 v[13:14], 1, v[15:16]
	v_lshlrev_b64_e32 v[15:16], 1, v[35:36]
	v_add_co_u32 v11, vcc_lo, s34, v11
	s_wait_alu 0xfffd
	v_add_co_ci_u32_e64 v12, null, s35, v12, vcc_lo
	s_delay_alu instid0(VALU_DEP_4)
	v_add_co_u32 v13, vcc_lo, s34, v13
	s_wait_alu 0xfffd
	v_add_co_ci_u32_e64 v14, null, s35, v14, vcc_lo
	v_add_co_u32 v15, vcc_lo, s34, v15
	s_wait_alu 0xfffd
	v_add_co_ci_u32_e64 v16, null, s35, v16, vcc_lo
	s_clause 0x3
	global_load_u16 v35, v[37:38], off
	global_load_u16 v36, v[39:40], off
	;; [unrolled: 1-line block ×4, first 2 shown]
	s_clause 0x3
	global_load_u16 v39, v[9:10], off
	global_load_u16 v40, v[11:12], off
	;; [unrolled: 1-line block ×4, first 2 shown]
	s_and_saveexec_b32 s48, s1
	s_cbranch_execz .LBB480_19
; %bb.23:                               ;   in Loop: Header=BB480_21 Depth=2
	s_clause 0x3
	global_load_u16 v43, v[9:10], off offset:128
	global_load_u16 v44, v[11:12], off offset:128
	;; [unrolled: 1-line block ×4, first 2 shown]
	s_wait_loadcnt 0xb
	v_cvt_f32_f16_e32 v47, v35
	s_wait_loadcnt 0xa
	v_cvt_f32_f16_e32 v48, v36
	;; [unrolled: 2-line block ×4, first 2 shown]
	s_and_saveexec_b32 s49, s2
	s_cbranch_execz .LBB480_18
; %bb.24:                               ;   in Loop: Header=BB480_21 Depth=2
	s_clause 0x3
	global_load_u16 v51, v[9:10], off offset:256
	global_load_u16 v52, v[11:12], off offset:256
	;; [unrolled: 1-line block ×4, first 2 shown]
	s_and_saveexec_b32 s50, s3
	s_cbranch_execz .LBB480_17
; %bb.25:                               ;   in Loop: Header=BB480_21 Depth=2
	s_clause 0x3
	global_load_u16 v9, v[9:10], off offset:384
	global_load_u16 v10, v[11:12], off offset:384
	global_load_u16 v11, v[13:14], off offset:384
	global_load_u16 v12, v[15:16], off offset:384
	s_wait_loadcnt 0x3
	v_fma_mix_f32 v9, v47, v9, v29 op_sel_hi:[0,1,0]
	s_wait_loadcnt 0x2
	s_delay_alu instid0(VALU_DEP_1) | instskip(SKIP_1) | instid1(VALU_DEP_1)
	v_fma_mix_f32 v9, v48, v10, v9 op_sel_hi:[0,1,0]
	s_wait_loadcnt 0x1
	v_fma_mix_f32 v9, v49, v11, v9 op_sel_hi:[0,1,0]
	s_wait_loadcnt 0x0
	s_delay_alu instid0(VALU_DEP_1)
	v_fma_mix_f32 v29, v50, v12, v9 op_sel_hi:[0,1,0]
	s_branch .LBB480_17
.LBB480_26:                             ;   in Loop: Header=BB480_5 Depth=1
	s_or_b32 exec_lo, exec_lo, s45
.LBB480_27:                             ;   in Loop: Header=BB480_5 Depth=1
	s_wait_alu 0xfffe
	s_or_b32 exec_lo, exec_lo, s7
	s_delay_alu instid0(SALU_CYCLE_1)
	s_and_not1_b32 vcc_lo, exec_lo, s20
	s_wait_alu 0xfffe
	s_cbranch_vccnz .LBB480_45
; %bb.28:                               ;   in Loop: Header=BB480_5 Depth=1
	v_cmp_gt_i32_e32 vcc_lo, s21, v30
	v_dual_mov_b32 v31, 0 :: v_dual_mov_b32 v32, 0
	v_or_b32_e32 v9, 1, v30
	v_dual_mov_b32 v33, 0 :: v_dual_mov_b32 v34, 0
	s_and_saveexec_b32 s45, vcc_lo
	s_cbranch_execz .LBB480_36
; %bb.29:                               ;   in Loop: Header=BB480_5 Depth=1
	v_mul_lo_u32 v10, v30, s18
	v_dual_mov_b32 v33, 0 :: v_dual_mov_b32 v32, 0
	v_mov_b32_e32 v31, 0
	s_mov_b32 s46, exec_lo
	s_delay_alu instid0(VALU_DEP_3) | instskip(NEXT) | instid1(VALU_DEP_1)
	v_ashrrev_i32_e32 v11, 31, v10
	v_lshlrev_b64_e32 v[10:11], 1, v[10:11]
	s_delay_alu instid0(VALU_DEP_1) | instskip(SKIP_1) | instid1(VALU_DEP_2)
	v_add_co_u32 v10, s7, s36, v10
	s_wait_alu 0xf1ff
	v_add_co_ci_u32_e64 v11, null, s37, v11, s7
	global_load_u16 v10, v[10:11], off
	v_cmpx_gt_i32_e64 s21, v9
	s_cbranch_execz .LBB480_35
; %bb.30:                               ;   in Loop: Header=BB480_5 Depth=1
	v_mul_lo_u32 v11, v9, s18
	v_dual_mov_b32 v32, 0 :: v_dual_mov_b32 v31, 0
	s_mov_b32 s47, exec_lo
	s_delay_alu instid0(VALU_DEP_2) | instskip(NEXT) | instid1(VALU_DEP_1)
	v_ashrrev_i32_e32 v12, 31, v11
	v_lshlrev_b64_e32 v[11:12], 1, v[11:12]
	s_delay_alu instid0(VALU_DEP_1) | instskip(SKIP_1) | instid1(VALU_DEP_2)
	v_add_co_u32 v11, s7, s36, v11
	s_wait_alu 0xf1ff
	v_add_co_ci_u32_e64 v12, null, s37, v12, s7
	global_load_u16 v11, v[11:12], off
	v_or_b32_e32 v12, 2, v30
	s_delay_alu instid0(VALU_DEP_1)
	v_cmpx_gt_i32_e64 s21, v12
	s_cbranch_execz .LBB480_34
; %bb.31:                               ;   in Loop: Header=BB480_5 Depth=1
	v_mul_lo_u32 v12, v12, s18
	v_mov_b32_e32 v31, 0
	s_mov_b32 s48, exec_lo
	s_delay_alu instid0(VALU_DEP_2) | instskip(NEXT) | instid1(VALU_DEP_1)
	v_ashrrev_i32_e32 v13, 31, v12
	v_lshlrev_b64_e32 v[12:13], 1, v[12:13]
	s_delay_alu instid0(VALU_DEP_1) | instskip(SKIP_1) | instid1(VALU_DEP_2)
	v_add_co_u32 v12, s7, s36, v12
	s_wait_alu 0xf1ff
	v_add_co_ci_u32_e64 v13, null, s37, v13, s7
	global_load_u16 v12, v[12:13], off
	v_or_b32_e32 v13, 3, v30
	s_delay_alu instid0(VALU_DEP_1)
	v_cmpx_gt_i32_e64 s21, v13
	s_cbranch_execz .LBB480_33
; %bb.32:                               ;   in Loop: Header=BB480_5 Depth=1
	v_mul_lo_u32 v13, v13, s18
	s_delay_alu instid0(VALU_DEP_1) | instskip(NEXT) | instid1(VALU_DEP_1)
	v_ashrrev_i32_e32 v14, 31, v13
	v_lshlrev_b64_e32 v[13:14], 1, v[13:14]
	s_delay_alu instid0(VALU_DEP_1) | instskip(SKIP_1) | instid1(VALU_DEP_2)
	v_add_co_u32 v13, s7, s36, v13
	s_wait_alu 0xf1ff
	v_add_co_ci_u32_e64 v14, null, s37, v14, s7
	global_load_u16 v13, v[13:14], off
	s_wait_loadcnt 0x0
	v_cvt_f32_f16_e32 v31, v13
.LBB480_33:                             ;   in Loop: Header=BB480_5 Depth=1
	s_or_b32 exec_lo, exec_lo, s48
	s_wait_loadcnt 0x0
	v_cvt_f32_f16_e32 v32, v12
.LBB480_34:                             ;   in Loop: Header=BB480_5 Depth=1
	s_wait_alu 0xfffe
	s_or_b32 exec_lo, exec_lo, s47
	s_wait_loadcnt 0x0
	v_cvt_f32_f16_e32 v33, v11
.LBB480_35:                             ;   in Loop: Header=BB480_5 Depth=1
	s_wait_alu 0xfffe
	s_or_b32 exec_lo, exec_lo, s46
	s_wait_loadcnt 0x0
	v_cvt_f32_f16_e32 v34, v10
.LBB480_36:                             ;   in Loop: Header=BB480_5 Depth=1
	s_or_b32 exec_lo, exec_lo, s45
	s_and_saveexec_b32 s7, s0
	s_cbranch_execz .LBB480_44
; %bb.37:                               ;   in Loop: Header=BB480_5 Depth=1
	v_mul_lo_u32 v11, v30, s23
	v_or_b32_e32 v10, 2, v30
	v_mul_lo_u32 v13, v9, s23
	v_or_b32_e32 v12, 3, v30
	s_delay_alu instid0(VALU_DEP_3) | instskip(NEXT) | instid1(VALU_DEP_2)
	v_mul_lo_u32 v14, v10, s23
	v_mul_lo_u32 v15, v12, s23
	v_cndmask_b32_e32 v11, 0, v11, vcc_lo
	v_cmp_gt_i32_e32 vcc_lo, s21, v9
	s_wait_alu 0xfffd
	v_cndmask_b32_e32 v13, 0, v13, vcc_lo
	v_cmp_gt_i32_e32 vcc_lo, s21, v10
	s_wait_alu 0xfffd
	v_cndmask_b32_e32 v10, 0, v14, vcc_lo
	v_cmp_gt_i32_e32 vcc_lo, s21, v12
	v_add_nc_u32_e32 v9, v11, v19
	s_wait_alu 0xfffd
	v_cndmask_b32_e32 v12, 0, v15, vcc_lo
	v_add_nc_u32_e32 v11, v13, v19
	v_add_nc_u32_e32 v13, v10, v19
	v_ashrrev_i32_e32 v10, 31, v9
	s_delay_alu instid0(VALU_DEP_4) | instskip(NEXT) | instid1(VALU_DEP_4)
	v_add_nc_u32_e32 v15, v12, v19
	v_ashrrev_i32_e32 v12, 31, v11
	s_delay_alu instid0(VALU_DEP_4) | instskip(NEXT) | instid1(VALU_DEP_4)
	v_ashrrev_i32_e32 v14, 31, v13
	v_lshlrev_b64_e32 v[9:10], 1, v[9:10]
	s_delay_alu instid0(VALU_DEP_4) | instskip(NEXT) | instid1(VALU_DEP_4)
	v_ashrrev_i32_e32 v16, 31, v15
	v_lshlrev_b64_e32 v[11:12], 1, v[11:12]
	s_delay_alu instid0(VALU_DEP_4) | instskip(NEXT) | instid1(VALU_DEP_4)
	v_lshlrev_b64_e32 v[13:14], 1, v[13:14]
	v_add_co_u32 v9, vcc_lo, s34, v9
	s_delay_alu instid0(VALU_DEP_4)
	v_lshlrev_b64_e32 v[15:16], 1, v[15:16]
	s_wait_alu 0xfffd
	v_add_co_ci_u32_e64 v10, null, s35, v10, vcc_lo
	v_add_co_u32 v11, vcc_lo, s34, v11
	s_wait_alu 0xfffd
	v_add_co_ci_u32_e64 v12, null, s35, v12, vcc_lo
	v_add_co_u32 v13, vcc_lo, s34, v13
	;; [unrolled: 3-line block ×3, first 2 shown]
	s_wait_alu 0xfffd
	v_add_co_ci_u32_e64 v16, null, s35, v16, vcc_lo
	s_clause 0x3
	global_load_u16 v30, v[9:10], off
	global_load_u16 v35, v[11:12], off
	;; [unrolled: 1-line block ×4, first 2 shown]
	s_and_saveexec_b32 s34, s1
	s_cbranch_execz .LBB480_43
; %bb.38:                               ;   in Loop: Header=BB480_5 Depth=1
	s_clause 0x3
	global_load_u16 v38, v[9:10], off offset:128
	global_load_u16 v39, v[11:12], off offset:128
	global_load_u16 v40, v[13:14], off offset:128
	global_load_u16 v41, v[15:16], off offset:128
	s_and_saveexec_b32 s35, s2
	s_cbranch_execz .LBB480_42
; %bb.39:                               ;   in Loop: Header=BB480_5 Depth=1
	s_clause 0x3
	global_load_u16 v42, v[9:10], off offset:256
	global_load_u16 v43, v[11:12], off offset:256
	global_load_u16 v44, v[13:14], off offset:256
	global_load_u16 v45, v[15:16], off offset:256
	;; [unrolled: 8-line block ×3, first 2 shown]
	s_wait_loadcnt 0x3
	v_fma_mix_f32 v9, v34, v9, v29 op_sel_hi:[0,1,0]
	s_wait_loadcnt 0x2
	s_delay_alu instid0(VALU_DEP_1) | instskip(SKIP_1) | instid1(VALU_DEP_1)
	v_fma_mix_f32 v9, v33, v10, v9 op_sel_hi:[0,1,0]
	s_wait_loadcnt 0x1
	v_fma_mix_f32 v9, v32, v11, v9 op_sel_hi:[0,1,0]
	s_wait_loadcnt 0x0
	s_delay_alu instid0(VALU_DEP_1)
	v_fma_mix_f32 v29, v31, v12, v9 op_sel_hi:[0,1,0]
.LBB480_41:                             ;   in Loop: Header=BB480_5 Depth=1
	s_wait_alu 0xfffe
	s_or_b32 exec_lo, exec_lo, s36
	s_wait_loadcnt 0x3
	v_fma_mix_f32 v9, v34, v42, v28 op_sel_hi:[0,1,0]
	s_wait_loadcnt 0x2
	s_delay_alu instid0(VALU_DEP_1) | instskip(SKIP_1) | instid1(VALU_DEP_1)
	v_fma_mix_f32 v9, v33, v43, v9 op_sel_hi:[0,1,0]
	s_wait_loadcnt 0x1
	v_fma_mix_f32 v9, v32, v44, v9 op_sel_hi:[0,1,0]
	s_wait_loadcnt 0x0
	s_delay_alu instid0(VALU_DEP_1)
	v_fma_mix_f32 v28, v31, v45, v9 op_sel_hi:[0,1,0]
.LBB480_42:                             ;   in Loop: Header=BB480_5 Depth=1
	s_wait_alu 0xfffe
	s_or_b32 exec_lo, exec_lo, s35
	s_wait_loadcnt 0x3
	v_fma_mix_f32 v9, v34, v38, v27 op_sel_hi:[0,1,0]
	s_wait_loadcnt 0x2
	s_delay_alu instid0(VALU_DEP_1) | instskip(SKIP_1) | instid1(VALU_DEP_1)
	v_fma_mix_f32 v9, v33, v39, v9 op_sel_hi:[0,1,0]
	s_wait_loadcnt 0x1
	v_fma_mix_f32 v9, v32, v40, v9 op_sel_hi:[0,1,0]
	s_wait_loadcnt 0x0
	s_delay_alu instid0(VALU_DEP_1)
	v_fma_mix_f32 v27, v31, v41, v9 op_sel_hi:[0,1,0]
.LBB480_43:                             ;   in Loop: Header=BB480_5 Depth=1
	s_wait_alu 0xfffe
	s_or_b32 exec_lo, exec_lo, s34
	s_wait_loadcnt 0x3
	v_fma_mix_f32 v9, v34, v30, v26 op_sel_hi:[0,1,0]
	s_wait_loadcnt 0x2
	s_delay_alu instid0(VALU_DEP_1) | instskip(SKIP_1) | instid1(VALU_DEP_1)
	v_fma_mix_f32 v9, v33, v35, v9 op_sel_hi:[0,1,0]
	s_wait_loadcnt 0x1
	v_fma_mix_f32 v9, v32, v36, v9 op_sel_hi:[0,1,0]
	s_wait_loadcnt 0x0
	s_delay_alu instid0(VALU_DEP_1)
	v_fma_mix_f32 v26, v31, v37, v9 op_sel_hi:[0,1,0]
.LBB480_44:                             ;   in Loop: Header=BB480_5 Depth=1
	s_wait_alu 0xfffe
	s_or_b32 exec_lo, exec_lo, s7
.LBB480_45:                             ;   in Loop: Header=BB480_5 Depth=1
	ds_store_2addr_stride64_b32 v18, v26, v27 offset1:1
	ds_store_2addr_stride64_b32 v18, v28, v29 offset0:2 offset1:3
	s_wait_dscnt 0x0
	s_barrier_signal -1
	s_barrier_wait -1
	global_inv scope:SCOPE_SE
                                        ; implicit-def: $vgpr11
	s_and_saveexec_b32 s7, s5
	s_cbranch_execz .LBB480_51
; %bb.46:                               ;   in Loop: Header=BB480_5 Depth=1
	ds_load_2addr_stride64_b32 v[9:10], v20 offset1:4
	ds_load_2addr_stride64_b32 v[11:12], v20 offset0:8 offset1:12
	ds_load_2addr_stride64_b32 v[13:14], v20 offset0:16 offset1:20
	s_mov_b32 s35, s44
	s_wait_dscnt 0x2
	v_add_f32_e32 v15, v9, v10
	ds_load_2addr_stride64_b32 v[9:10], v20 offset0:24 offset1:28
	s_wait_dscnt 0x2
	v_add_f32_e32 v11, v11, v15
	s_delay_alu instid0(VALU_DEP_1) | instskip(SKIP_3) | instid1(VALU_DEP_1)
	v_add_f32_e32 v15, v12, v11
	ds_load_2addr_stride64_b32 v[11:12], v20 offset0:32 offset1:36
	s_wait_dscnt 0x2
	v_add_f32_e32 v13, v13, v15
	v_add_f32_e32 v15, v14, v13
	ds_load_2addr_stride64_b32 v[13:14], v20 offset0:40 offset1:44
	s_wait_dscnt 0x2
	v_add_f32_e32 v9, v9, v15
	s_delay_alu instid0(VALU_DEP_1) | instskip(SKIP_1) | instid1(VALU_DEP_1)
	v_add_f32_e32 v9, v10, v9
	s_wait_dscnt 0x1
	v_add_f32_e32 v11, v11, v9
	ds_load_2addr_stride64_b32 v[9:10], v20 offset0:48 offset1:52
	v_add_f32_e32 v11, v12, v11
	s_wait_dscnt 0x1
	s_delay_alu instid0(VALU_DEP_1) | instskip(SKIP_3) | instid1(VALU_DEP_1)
	v_add_f32_e32 v13, v13, v11
	ds_load_2addr_stride64_b32 v[11:12], v20 offset0:56 offset1:60
	v_add_f32_e32 v13, v14, v13
	s_wait_dscnt 0x1
	v_add_f32_e32 v9, v9, v13
	s_delay_alu instid0(VALU_DEP_1) | instskip(SKIP_1) | instid1(VALU_DEP_1)
	v_add_f32_e32 v9, v10, v9
	s_wait_dscnt 0x0
	v_add_f32_e32 v9, v11, v9
                                        ; implicit-def: $vgpr11
	s_delay_alu instid0(VALU_DEP_1)
	v_add_f32_e32 v9, v12, v9
	ds_store_b32 v20, v9
	s_and_saveexec_b32 s34, s6
	s_cbranch_execz .LBB480_50
; %bb.47:                               ;   in Loop: Header=BB480_5 Depth=1
	v_mul_f32_e32 v11, s22, v9
	s_and_not1_b32 vcc_lo, exec_lo, s39
	s_wait_alu 0xfffe
	s_cbranch_vccnz .LBB480_49
; %bb.48:                               ;   in Loop: Header=BB480_5 Depth=1
	v_lshlrev_b64_e32 v[9:10], 2, v[2:3]
	s_delay_alu instid0(VALU_DEP_1) | instskip(SKIP_1) | instid1(VALU_DEP_2)
	v_add_co_u32 v9, vcc_lo, s16, v9
	s_wait_alu 0xfffd
	v_add_co_ci_u32_e64 v10, null, s17, v10, vcc_lo
	global_load_b32 v9, v[9:10], off
	s_wait_loadcnt 0x0
	v_fmac_f32_e32 v11, s26, v9
.LBB480_49:                             ;   in Loop: Header=BB480_5 Depth=1
	s_or_b32 s35, s44, exec_lo
.LBB480_50:                             ;   in Loop: Header=BB480_5 Depth=1
	s_wait_alu 0xfffe
	s_or_b32 exec_lo, exec_lo, s34
	s_delay_alu instid0(SALU_CYCLE_1)
	s_and_not1_b32 s34, s44, exec_lo
	s_and_b32 s35, s35, exec_lo
	s_wait_alu 0xfffe
	s_or_b32 s44, s34, s35
.LBB480_51:                             ;   in Loop: Header=BB480_5 Depth=1
	s_wait_alu 0xfffe
	s_or_b32 exec_lo, exec_lo, s7
	v_dual_mov_b32 v10, v3 :: v_dual_mov_b32 v9, v2
	s_and_saveexec_b32 s7, s44
	s_cbranch_execz .LBB480_3
.LBB480_52:                             ;   in Loop: Header=BB480_5 Depth=1
	s_delay_alu instid0(VALU_DEP_1) | instskip(SKIP_1) | instid1(VALU_DEP_1)
	v_lshlrev_b64_e32 v[9:10], 2, v[9:10]
	s_wait_alu 0xfffe
	v_add_co_u32 v9, vcc_lo, s16, v9
	s_wait_alu 0xfffd
	s_delay_alu instid0(VALU_DEP_2)
	v_add_co_ci_u32_e64 v10, null, s17, v10, vcc_lo
	global_store_b32 v[9:10], v11, off
	s_branch .LBB480_3
.LBB480_53:
	s_endpgm
	.section	.rodata,"a",@progbits
	.p2align	6, 0x0
	.amdhsa_kernel _ZL20rocblas_gemvn_kernelILi64ELi16EiDF16_ffEviiT3_lPKT2_lT1_lS3_lS4_lS0_lPT4_lS4_li
		.amdhsa_group_segment_fixed_size 16384
		.amdhsa_private_segment_fixed_size 0
		.amdhsa_kernarg_size 400
		.amdhsa_user_sgpr_count 2
		.amdhsa_user_sgpr_dispatch_ptr 0
		.amdhsa_user_sgpr_queue_ptr 0
		.amdhsa_user_sgpr_kernarg_segment_ptr 1
		.amdhsa_user_sgpr_dispatch_id 0
		.amdhsa_user_sgpr_private_segment_size 0
		.amdhsa_wavefront_size32 1
		.amdhsa_uses_dynamic_stack 0
		.amdhsa_enable_private_segment 0
		.amdhsa_system_sgpr_workgroup_id_x 1
		.amdhsa_system_sgpr_workgroup_id_y 0
		.amdhsa_system_sgpr_workgroup_id_z 1
		.amdhsa_system_sgpr_workgroup_info 0
		.amdhsa_system_vgpr_workitem_id 1
		.amdhsa_next_free_vgpr 55
		.amdhsa_next_free_sgpr 51
		.amdhsa_reserve_vcc 1
		.amdhsa_float_round_mode_32 0
		.amdhsa_float_round_mode_16_64 0
		.amdhsa_float_denorm_mode_32 3
		.amdhsa_float_denorm_mode_16_64 3
		.amdhsa_fp16_overflow 0
		.amdhsa_workgroup_processor_mode 1
		.amdhsa_memory_ordered 1
		.amdhsa_forward_progress 1
		.amdhsa_inst_pref_size 27
		.amdhsa_round_robin_scheduling 0
		.amdhsa_exception_fp_ieee_invalid_op 0
		.amdhsa_exception_fp_denorm_src 0
		.amdhsa_exception_fp_ieee_div_zero 0
		.amdhsa_exception_fp_ieee_overflow 0
		.amdhsa_exception_fp_ieee_underflow 0
		.amdhsa_exception_fp_ieee_inexact 0
		.amdhsa_exception_int_div_zero 0
	.end_amdhsa_kernel
	.section	.text._ZL20rocblas_gemvn_kernelILi64ELi16EiDF16_ffEviiT3_lPKT2_lT1_lS3_lS4_lS0_lPT4_lS4_li,"axG",@progbits,_ZL20rocblas_gemvn_kernelILi64ELi16EiDF16_ffEviiT3_lPKT2_lT1_lS3_lS4_lS0_lPT4_lS4_li,comdat
.Lfunc_end480:
	.size	_ZL20rocblas_gemvn_kernelILi64ELi16EiDF16_ffEviiT3_lPKT2_lT1_lS3_lS4_lS0_lPT4_lS4_li, .Lfunc_end480-_ZL20rocblas_gemvn_kernelILi64ELi16EiDF16_ffEviiT3_lPKT2_lT1_lS3_lS4_lS0_lPT4_lS4_li
                                        ; -- End function
	.set _ZL20rocblas_gemvn_kernelILi64ELi16EiDF16_ffEviiT3_lPKT2_lT1_lS3_lS4_lS0_lPT4_lS4_li.num_vgpr, 55
	.set _ZL20rocblas_gemvn_kernelILi64ELi16EiDF16_ffEviiT3_lPKT2_lT1_lS3_lS4_lS0_lPT4_lS4_li.num_agpr, 0
	.set _ZL20rocblas_gemvn_kernelILi64ELi16EiDF16_ffEviiT3_lPKT2_lT1_lS3_lS4_lS0_lPT4_lS4_li.numbered_sgpr, 51
	.set _ZL20rocblas_gemvn_kernelILi64ELi16EiDF16_ffEviiT3_lPKT2_lT1_lS3_lS4_lS0_lPT4_lS4_li.num_named_barrier, 0
	.set _ZL20rocblas_gemvn_kernelILi64ELi16EiDF16_ffEviiT3_lPKT2_lT1_lS3_lS4_lS0_lPT4_lS4_li.private_seg_size, 0
	.set _ZL20rocblas_gemvn_kernelILi64ELi16EiDF16_ffEviiT3_lPKT2_lT1_lS3_lS4_lS0_lPT4_lS4_li.uses_vcc, 1
	.set _ZL20rocblas_gemvn_kernelILi64ELi16EiDF16_ffEviiT3_lPKT2_lT1_lS3_lS4_lS0_lPT4_lS4_li.uses_flat_scratch, 0
	.set _ZL20rocblas_gemvn_kernelILi64ELi16EiDF16_ffEviiT3_lPKT2_lT1_lS3_lS4_lS0_lPT4_lS4_li.has_dyn_sized_stack, 0
	.set _ZL20rocblas_gemvn_kernelILi64ELi16EiDF16_ffEviiT3_lPKT2_lT1_lS3_lS4_lS0_lPT4_lS4_li.has_recursion, 0
	.set _ZL20rocblas_gemvn_kernelILi64ELi16EiDF16_ffEviiT3_lPKT2_lT1_lS3_lS4_lS0_lPT4_lS4_li.has_indirect_call, 0
	.section	.AMDGPU.csdata,"",@progbits
; Kernel info:
; codeLenInByte = 3384
; TotalNumSgprs: 53
; NumVgprs: 55
; ScratchSize: 0
; MemoryBound: 0
; FloatMode: 240
; IeeeMode: 1
; LDSByteSize: 16384 bytes/workgroup (compile time only)
; SGPRBlocks: 0
; VGPRBlocks: 6
; NumSGPRsForWavesPerEU: 53
; NumVGPRsForWavesPerEU: 55
; Occupancy: 16
; WaveLimiterHint : 1
; COMPUTE_PGM_RSRC2:SCRATCH_EN: 0
; COMPUTE_PGM_RSRC2:USER_SGPR: 2
; COMPUTE_PGM_RSRC2:TRAP_HANDLER: 0
; COMPUTE_PGM_RSRC2:TGID_X_EN: 1
; COMPUTE_PGM_RSRC2:TGID_Y_EN: 0
; COMPUTE_PGM_RSRC2:TGID_Z_EN: 1
; COMPUTE_PGM_RSRC2:TIDIG_COMP_CNT: 1
	.section	.text._ZL20rocblas_gemvn_kernelILi64ELi16ElDF16_ffEviiT3_lPKT2_lT1_lS3_lS4_lS0_lPT4_lS4_li,"axG",@progbits,_ZL20rocblas_gemvn_kernelILi64ELi16ElDF16_ffEviiT3_lPKT2_lT1_lS3_lS4_lS0_lPT4_lS4_li,comdat
	.globl	_ZL20rocblas_gemvn_kernelILi64ELi16ElDF16_ffEviiT3_lPKT2_lT1_lS3_lS4_lS0_lPT4_lS4_li ; -- Begin function _ZL20rocblas_gemvn_kernelILi64ELi16ElDF16_ffEviiT3_lPKT2_lT1_lS3_lS4_lS0_lPT4_lS4_li
	.p2align	8
	.type	_ZL20rocblas_gemvn_kernelILi64ELi16ElDF16_ffEviiT3_lPKT2_lT1_lS3_lS4_lS0_lPT4_lS4_li,@function
_ZL20rocblas_gemvn_kernelILi64ELi16ElDF16_ffEviiT3_lPKT2_lT1_lS3_lS4_lS0_lPT4_lS4_li: ; @_ZL20rocblas_gemvn_kernelILi64ELi16ElDF16_ffEviiT3_lPKT2_lT1_lS3_lS4_lS0_lPT4_lS4_li
; %bb.0:
	s_load_b64 s[2:3], s[0:1], 0x9c
	s_wait_kmcnt 0x0
	s_lshr_b32 s4, s2, 16
	s_and_b32 s2, s2, 0xffff
	s_and_b32 s3, s3, 0xffff
	s_mul_i32 s2, s4, s2
	s_delay_alu instid0(SALU_CYCLE_1) | instskip(NEXT) | instid1(SALU_CYCLE_1)
	s_mul_i32 s2, s2, s3
	s_cmp_lg_u32 s2, 0x400
	s_cbranch_scc1 .LBB481_53
; %bb.1:
	s_load_b32 s33, s[0:1], 0x88
	s_lshr_b32 s34, ttmp7, 16
	s_wait_kmcnt 0x0
	s_cmp_ge_u32 s34, s33
	s_cbranch_scc1 .LBB481_53
; %bb.2:
	s_clause 0x3
	s_load_b512 s[8:23], s[0:1], 0x18
	s_load_b256 s[24:31], s[0:1], 0x68
	s_load_b96 s[36:38], s[0:1], 0x0
	s_load_b32 s39, s[0:1], 0x58
	v_bfe_u32 v15, v0, 10, 10
	v_and_b32_e32 v1, 0x3ff, v0
	s_mov_b32 s35, 0
	s_delay_alu instid0(VALU_DEP_2) | instskip(NEXT) | instid1(VALU_DEP_2)
	v_dual_mov_b32 v3, 0 :: v_dual_lshlrev_b32 v16, 2, v15
	v_lshlrev_b32_e32 v10, 2, v1
	s_delay_alu instid0(VALU_DEP_2) | instskip(NEXT) | instid1(VALU_DEP_2)
	v_or_b32_e32 v19, 3, v16
	v_lshl_add_u32 v17, v15, 10, v10
	v_lshl_add_u32 v18, v15, 8, v10
	s_wait_kmcnt 0x0
	s_lshl_b64 s[2:3], s[10:11], 1
	s_lshl_b64 s[10:11], s[18:19], 1
	;; [unrolled: 1-line block ×3, first 2 shown]
	s_cmp_eq_f32 s38, 0
	s_add_nc_u64 s[18:19], s[8:9], s[2:3]
	v_mad_co_u64_u32 v[4:5], null, s20, v15, 0
	s_cselect_b32 s46, -1, 0
	s_cmp_neq_f32 s38, 0
	v_mad_co_u64_u32 v[6:7], null, s12, v19, 0
	s_add_nc_u64 s[24:25], s[24:25], s[4:5]
	s_cselect_b32 s1, -1, 0
	s_cmp_neq_f32 s39, 1.0
	s_mov_b32 s6, s36
	s_add_nc_u64 s[26:27], s[16:17], s[10:11]
	s_cselect_b32 s2, -1, 0
	s_lshl_b32 s8, ttmp9, 8
	s_ashr_i32 s7, s36, 31
	v_add_nc_u32_e32 v8, s8, v1
	s_or_b32 s47, s1, s2
	s_cmp_neq_f32 s39, 0
	s_delay_alu instid0(VALU_DEP_1) | instskip(SKIP_2) | instid1(SALU_CYCLE_1)
	v_add_nc_u32_e32 v11, 0x80, v8
	s_cselect_b32 s48, -1, 0
	s_ashr_i32 s2, s37, 31
	s_lshr_b32 s2, s2, 26
	s_delay_alu instid0(VALU_DEP_1)
	v_cmp_gt_i32_e64 s3, s36, v11
	v_mad_co_u64_u32 v[10:11], null, s21, v15, v[5:6]
	v_mov_b32_e32 v5, v7
	s_add_co_i32 s49, s37, s2
	v_or_b32_e32 v23, 2, v16
	s_and_not1_b32 s49, s49, 63
	v_mad_co_u64_u32 v[29:30], null, s20, v16, s[20:21]
	v_mad_co_u64_u32 v[13:14], null, s13, v19, v[5:6]
	v_dual_mov_b32 v5, v10 :: v_dual_add_nc_u32 v12, 0xc0, v8
	s_sub_co_i32 s5, s37, s49
	v_ashrrev_i32_e32 v9, 31, v8
	s_cmp_gt_i32 s5, 0
	s_delay_alu instid0(VALU_DEP_2)
	v_lshlrev_b64_e32 v[4:5], 3, v[4:5]
	v_cmp_gt_i32_e64 s4, s36, v12
	v_mad_co_u64_u32 v[11:12], null, s20, v19, 0
	s_cselect_b32 s50, -1, 0
	v_cmp_gt_i32_e64 s1, s36, v8
	v_mov_b32_e32 v7, v13
	v_mad_co_u64_u32 v[27:28], null, s20, v23, 0
	v_mad_co_u64_u32 v[31:32], null, s12, v16, s[12:13]
	v_mov_b32_e32 v10, v12
	v_lshl_add_u32 v0, v15, 6, v1
	v_lshlrev_b64_e32 v[6:7], 1, v[6:7]
	v_cmp_gt_i32_e64 s5, s49, v16
	s_lshl_b64 s[40:41], s[14:15], 1
	v_mad_co_u64_u32 v[12:13], null, s21, v19, v[10:11]
	v_add_nc_u32_e32 v2, s8, v0
	v_cmp_gt_u32_e64 s0, 0x100, v0
	v_or_b32_e32 v20, s8, v0
	v_mad_co_u64_u32 v[13:14], null, s12, v15, 0
	s_delay_alu instid0(VALU_DEP_4)
	v_mad_co_u64_u32 v[0:1], null, s28, v2, 0
	v_cmp_gt_i64_e32 vcc_lo, s[6:7], v[2:3]
	v_add_nc_u32_e32 v3, 64, v8
	s_ashr_i32 s6, s8, 31
	v_mul_lo_u32 v21, s29, v20
	s_wait_alu 0xfffe
	s_mul_i32 s7, s28, s6
	v_cmp_gt_i32_e64 s6, s36, v20
	v_mad_co_u64_u32 v[1:2], null, s29, v2, v[1:2]
	v_cmp_gt_i32_e64 s2, s36, v3
	v_mad_co_u64_u32 v[2:3], null, s28, v20, 0
	s_and_b32 s36, s0, vcc_lo
	v_add_co_u32 v19, vcc_lo, s16, v4
	s_delay_alu instid0(VALU_DEP_1)
	v_add_co_ci_u32_e64 v20, null, s17, v5, vcc_lo
	v_lshlrev_b64_e32 v[4:5], 1, v[8:9]
	v_mad_co_u64_u32 v[9:10], null, s12, v23, 0
	v_mov_b32_e32 v8, v14
	s_wait_alu 0xfffe
	v_add3_u32 v3, v3, s7, v21
	v_add_co_u32 v21, vcc_lo, s18, v6
	s_wait_alu 0xfffd
	v_add_co_ci_u32_e64 v22, null, s19, v7, vcc_lo
	v_mad_co_u64_u32 v[14:15], null, s13, v15, v[8:9]
	v_lshlrev_b64_e32 v[7:8], 1, v[11:12]
	v_mov_b32_e32 v6, v10
	v_mov_b32_e32 v10, v28
	s_lshl_b64 s[28:29], s[22:23], 1
	s_lshl_b64 s[42:43], s[12:13], 7
	s_delay_alu instid0(VALU_DEP_2) | instskip(SKIP_1) | instid1(VALU_DEP_2)
	v_mad_co_u64_u32 v[11:12], null, s13, v23, v[6:7]
	v_mov_b32_e32 v6, v30
	v_mad_co_u64_u32 v[25:26], null, s21, v23, v[10:11]
	v_add_co_u32 v23, vcc_lo, s16, v7
	s_wait_alu 0xfffd
	v_add_co_ci_u32_e64 v24, null, s17, v8, vcc_lo
	v_lshlrev_b64_e32 v[7:8], 3, v[13:14]
	v_mov_b32_e32 v10, v11
	v_mov_b32_e32 v28, v25
	s_delay_alu instid0(VALU_DEP_3)
	v_add_co_u32 v25, vcc_lo, s18, v7
	v_mad_co_u64_u32 v[11:12], null, s21, v16, v[6:7]
	s_wait_alu 0xfffd
	v_add_co_ci_u32_e64 v26, null, s19, v8, vcc_lo
	v_lshlrev_b64_e32 v[7:8], 1, v[9:10]
	v_mov_b32_e32 v6, v32
	v_lshlrev_b64_e32 v[12:13], 1, v[27:28]
	v_mov_b32_e32 v30, v11
	s_delay_alu instid0(VALU_DEP_3) | instskip(SKIP_1) | instid1(VALU_DEP_3)
	v_mad_co_u64_u32 v[9:10], null, s13, v16, v[6:7]
	v_add_co_u32 v27, vcc_lo, s18, v7
	v_lshlrev_b64_e32 v[6:7], 1, v[29:30]
	s_wait_alu 0xfffd
	v_add_co_ci_u32_e64 v28, null, s19, v8, vcc_lo
	v_add_co_u32 v29, vcc_lo, s16, v12
	v_mov_b32_e32 v32, v9
	s_wait_alu 0xfffd
	v_add_co_ci_u32_e64 v30, null, s17, v13, vcc_lo
	s_delay_alu instid0(VALU_DEP_2) | instskip(SKIP_4) | instid1(VALU_DEP_4)
	v_lshlrev_b64_e32 v[8:9], 1, v[31:32]
	v_add_co_u32 v31, vcc_lo, s16, v6
	s_wait_alu 0xfffd
	v_add_co_ci_u32_e64 v32, null, s17, v7, vcc_lo
	v_lshlrev_b64_e32 v[6:7], 2, v[0:1]
	v_add_co_u32 v33, vcc_lo, s18, v8
	s_wait_alu 0xfffd
	v_add_co_ci_u32_e64 v34, null, s19, v9, vcc_lo
	s_lshl_b64 s[16:17], s[20:21], 7
	s_branch .LBB481_5
.LBB481_3:                              ;   in Loop: Header=BB481_5 Depth=1
	s_wait_alu 0xfffe
	s_or_b32 exec_lo, exec_lo, s7
.LBB481_4:                              ;   in Loop: Header=BB481_5 Depth=1
	s_add_co_i32 s34, s34, 0x10000
	s_delay_alu instid0(SALU_CYCLE_1)
	s_cmp_lt_u32 s34, s33
	s_cbranch_scc0 .LBB481_53
.LBB481_5:                              ; =>This Loop Header: Depth=1
                                        ;     Child Loop BB481_21 Depth 2
	s_and_not1_b32 vcc_lo, exec_lo, s47
	s_wait_alu 0xfffe
	s_cbranch_vccnz .LBB481_4
; %bb.6:                                ;   in Loop: Header=BB481_5 Depth=1
	s_mul_u64 s[8:9], s[30:31], s[34:35]
	s_and_not1_b32 vcc_lo, exec_lo, s46
	s_wait_alu 0xfffe
	s_lshl_b64 s[8:9], s[8:9], 2
	s_wait_alu 0xfffe
	s_add_nc_u64 s[44:45], s[24:25], s[8:9]
	s_cbranch_vccnz .LBB481_10
; %bb.7:                                ;   in Loop: Header=BB481_5 Depth=1
	s_mov_b32 s7, 0
	s_mov_b32 s51, 0
                                        ; implicit-def: $vgpr10
	s_and_saveexec_b32 s8, s36
	s_cbranch_execz .LBB481_11
; %bb.8:                                ;   in Loop: Header=BB481_5 Depth=1
	s_and_not1_b32 vcc_lo, exec_lo, s48
	s_wait_alu 0xfffe
	s_cbranch_vccnz .LBB481_13
; %bb.9:                                ;   in Loop: Header=BB481_5 Depth=1
	v_add_co_u32 v8, vcc_lo, s44, v6
	s_wait_alu 0xfffd
	v_add_co_ci_u32_e64 v9, null, s45, v7, vcc_lo
	global_load_b32 v8, v[8:9], off
	s_wait_loadcnt 0x0
	v_mul_f32_e32 v10, s39, v8
	s_branch .LBB481_14
.LBB481_10:                             ;   in Loop: Header=BB481_5 Depth=1
	s_mov_b32 s51, 0
                                        ; implicit-def: $vgpr10
	s_cbranch_execz .LBB481_12
	s_branch .LBB481_15
.LBB481_11:                             ;   in Loop: Header=BB481_5 Depth=1
	s_wait_alu 0xfffe
	s_or_b32 exec_lo, exec_lo, s8
	s_delay_alu instid0(SALU_CYCLE_1)
	s_and_b32 vcc_lo, exec_lo, s7
	s_wait_alu 0xfffe
	s_cbranch_vccnz .LBB481_15
.LBB481_12:                             ;   in Loop: Header=BB481_5 Depth=1
	v_dual_mov_b32 v9, v1 :: v_dual_mov_b32 v8, v0
	s_and_saveexec_b32 s7, s51
	s_cbranch_execz .LBB481_3
	s_branch .LBB481_52
.LBB481_13:                             ;   in Loop: Header=BB481_5 Depth=1
	v_mov_b32_e32 v10, 0
.LBB481_14:                             ;   in Loop: Header=BB481_5 Depth=1
	s_mov_b32 s51, exec_lo
	s_or_b32 exec_lo, exec_lo, s8
	s_delay_alu instid0(SALU_CYCLE_1)
	s_and_b32 vcc_lo, exec_lo, s7
	s_wait_alu 0xfffe
	s_cbranch_vccz .LBB481_12
.LBB481_15:                             ;   in Loop: Header=BB481_5 Depth=1
	v_dual_mov_b32 v35, 0 :: v_dual_mov_b32 v36, 0
	v_dual_mov_b32 v39, v16 :: v_dual_mov_b32 v38, 0
	v_mov_b32_e32 v37, 0
	s_and_saveexec_b32 s8, s5
	s_cbranch_execz .LBB481_27
; %bb.16:                               ;   in Loop: Header=BB481_5 Depth=1
	s_mul_u64 s[52:53], s[28:29], s[34:35]
	s_mul_u64 s[54:55], s[40:41], s[34:35]
	s_wait_alu 0xfffe
	v_add_co_u32 v40, vcc_lo, v19, s52
	s_wait_alu 0xfffd
	v_add_co_ci_u32_e64 v41, null, s53, v20, vcc_lo
	v_add_co_u32 v42, vcc_lo, v21, s54
	s_wait_alu 0xfffd
	v_add_co_ci_u32_e64 v43, null, s55, v22, vcc_lo
	;; [unrolled: 3-line block ×8, first 2 shown]
	v_dual_mov_b32 v35, 0 :: v_dual_mov_b32 v36, 0
	v_dual_mov_b32 v39, v16 :: v_dual_mov_b32 v38, 0
	v_mov_b32_e32 v37, 0
	s_mov_b32 s9, 0
	s_branch .LBB481_21
.LBB481_17:                             ;   in Loop: Header=BB481_21 Depth=2
	s_wait_alu 0xfffe
	s_or_b32 exec_lo, exec_lo, s54
	s_wait_loadcnt 0x3
	v_fma_mix_f32 v8, v68, v72, v37 op_sel_hi:[0,1,0]
	s_wait_loadcnt 0x2
	s_delay_alu instid0(VALU_DEP_1) | instskip(SKIP_1) | instid1(VALU_DEP_1)
	v_fma_mix_f32 v8, v69, v73, v8 op_sel_hi:[0,1,0]
	s_wait_loadcnt 0x1
	v_fma_mix_f32 v8, v70, v74, v8 op_sel_hi:[0,1,0]
	s_wait_loadcnt 0x0
	s_delay_alu instid0(VALU_DEP_1)
	v_fma_mix_f32 v37, v71, v75, v8 op_sel_hi:[0,1,0]
.LBB481_18:                             ;   in Loop: Header=BB481_21 Depth=2
	s_wait_alu 0xfffe
	s_or_b32 exec_lo, exec_lo, s53
	s_wait_loadcnt 0x3
	v_fma_mix_f32 v8, v68, v64, v36 op_sel_hi:[0,1,0]
	s_wait_loadcnt 0x2
	s_delay_alu instid0(VALU_DEP_1) | instskip(SKIP_1) | instid1(VALU_DEP_1)
	v_fma_mix_f32 v8, v69, v65, v8 op_sel_hi:[0,1,0]
	s_wait_loadcnt 0x1
	v_fma_mix_f32 v8, v70, v66, v8 op_sel_hi:[0,1,0]
	s_wait_loadcnt 0x0
	s_delay_alu instid0(VALU_DEP_1)
	v_fma_mix_f32 v36, v71, v67, v8 op_sel_hi:[0,1,0]
.LBB481_19:                             ;   in Loop: Header=BB481_21 Depth=2
	s_wait_alu 0xfffe
	s_or_b32 exec_lo, exec_lo, s52
	s_wait_loadcnt 0x3
	v_fma_mix_f32 v8, v56, v60, v35 op_sel_hi:[1,1,0]
	s_wait_loadcnt 0x2
	s_delay_alu instid0(VALU_DEP_1) | instskip(SKIP_1) | instid1(VALU_DEP_1)
	v_fma_mix_f32 v8, v57, v61, v8 op_sel_hi:[1,1,0]
	s_wait_loadcnt 0x1
	v_fma_mix_f32 v8, v58, v62, v8 op_sel_hi:[1,1,0]
	s_wait_loadcnt 0x0
	s_delay_alu instid0(VALU_DEP_1)
	v_fma_mix_f32 v35, v59, v63, v8 op_sel_hi:[1,1,0]
.LBB481_20:                             ;   in Loop: Header=BB481_21 Depth=2
	s_wait_alu 0xfffe
	s_or_b32 exec_lo, exec_lo, s7
	v_add_co_u32 v40, vcc_lo, v40, s16
	s_wait_alu 0xfffd
	v_add_co_ci_u32_e64 v41, null, s17, v41, vcc_lo
	v_add_co_u32 v42, vcc_lo, v42, s42
	s_wait_alu 0xfffd
	v_add_co_ci_u32_e64 v43, null, s43, v43, vcc_lo
	;; [unrolled: 3-line block ×4, first 2 shown]
	v_add_co_u32 v48, vcc_lo, v48, s42
	v_add_nc_u32_e32 v39, 64, v39
	s_wait_alu 0xfffd
	v_add_co_ci_u32_e64 v49, null, s43, v49, vcc_lo
	v_add_co_u32 v50, vcc_lo, v50, s16
	s_wait_alu 0xfffd
	v_add_co_ci_u32_e64 v51, null, s17, v51, vcc_lo
	v_add_co_u32 v52, vcc_lo, v52, s16
	s_wait_alu 0xfffd
	v_add_co_ci_u32_e64 v53, null, s17, v53, vcc_lo
	v_cmp_le_i32_e32 vcc_lo, s49, v39
	v_add_co_u32 v54, s7, v54, s42
	s_wait_alu 0xf1ff
	v_add_co_ci_u32_e64 v55, null, s43, v55, s7
	s_or_b32 s9, vcc_lo, s9
	s_wait_alu 0xfffe
	s_and_not1_b32 exec_lo, exec_lo, s9
	s_cbranch_execz .LBB481_26
.LBB481_21:                             ;   Parent Loop BB481_5 Depth=1
                                        ; =>  This Inner Loop Header: Depth=2
	s_and_saveexec_b32 s7, s1
	s_cbranch_execz .LBB481_20
; %bb.22:                               ;   in Loop: Header=BB481_21 Depth=2
	v_add_co_u32 v8, vcc_lo, v40, s10
	s_wait_alu 0xfffd
	v_add_co_ci_u32_e64 v9, null, s11, v41, vcc_lo
	v_add_co_u32 v10, vcc_lo, v52, s10
	s_wait_alu 0xfffd
	v_add_co_ci_u32_e64 v11, null, s11, v53, vcc_lo
	;; [unrolled: 3-line block ×3, first 2 shown]
	v_add_co_u32 v59, vcc_lo, v44, s10
	global_load_u16 v56, v[8:9], off
	global_load_u16 v57, v[10:11], off
	;; [unrolled: 1-line block ×3, first 2 shown]
	s_wait_alu 0xfffd
	v_add_co_ci_u32_e64 v60, null, s11, v45, vcc_lo
	v_add_co_u32 v8, vcc_lo, v46, v4
	s_wait_alu 0xfffd
	v_add_co_ci_u32_e64 v9, null, v47, v5, vcc_lo
	v_add_co_u32 v10, vcc_lo, v54, v4
	;; [unrolled: 3-line block ×4, first 2 shown]
	s_wait_alu 0xfffd
	v_add_co_ci_u32_e64 v15, null, v43, v5, vcc_lo
	global_load_u16 v59, v[59:60], off
	global_load_u16 v60, v[8:9], off
	;; [unrolled: 1-line block ×5, first 2 shown]
	s_and_saveexec_b32 s52, s2
	s_cbranch_execz .LBB481_19
; %bb.23:                               ;   in Loop: Header=BB481_21 Depth=2
	global_load_u16 v64, v[8:9], off offset:128
	global_load_u16 v65, v[10:11], off offset:128
	;; [unrolled: 1-line block ×4, first 2 shown]
	s_wait_loadcnt 0xb
	v_cvt_f32_f16_e32 v68, v56
	s_wait_loadcnt 0xa
	v_cvt_f32_f16_e32 v69, v57
	;; [unrolled: 2-line block ×4, first 2 shown]
	s_and_saveexec_b32 s53, s3
	s_cbranch_execz .LBB481_18
; %bb.24:                               ;   in Loop: Header=BB481_21 Depth=2
	global_load_u16 v72, v[8:9], off offset:256
	global_load_u16 v73, v[10:11], off offset:256
	;; [unrolled: 1-line block ×4, first 2 shown]
	s_and_saveexec_b32 s54, s4
	s_cbranch_execz .LBB481_17
; %bb.25:                               ;   in Loop: Header=BB481_21 Depth=2
	global_load_u16 v8, v[8:9], off offset:384
	global_load_u16 v9, v[10:11], off offset:384
	global_load_u16 v10, v[12:13], off offset:384
	global_load_u16 v11, v[14:15], off offset:384
	s_wait_loadcnt 0x3
	v_fma_mix_f32 v8, v68, v8, v38 op_sel_hi:[0,1,0]
	s_wait_loadcnt 0x2
	s_delay_alu instid0(VALU_DEP_1) | instskip(SKIP_1) | instid1(VALU_DEP_1)
	v_fma_mix_f32 v8, v69, v9, v8 op_sel_hi:[0,1,0]
	s_wait_loadcnt 0x1
	v_fma_mix_f32 v8, v70, v10, v8 op_sel_hi:[0,1,0]
	s_wait_loadcnt 0x0
	s_delay_alu instid0(VALU_DEP_1)
	v_fma_mix_f32 v38, v71, v11, v8 op_sel_hi:[0,1,0]
	s_branch .LBB481_17
.LBB481_26:                             ;   in Loop: Header=BB481_5 Depth=1
	s_or_b32 exec_lo, exec_lo, s9
.LBB481_27:                             ;   in Loop: Header=BB481_5 Depth=1
	s_wait_alu 0xfffe
	s_or_b32 exec_lo, exec_lo, s8
	s_delay_alu instid0(SALU_CYCLE_1)
	s_and_not1_b32 vcc_lo, exec_lo, s50
	s_wait_alu 0xfffe
	s_cbranch_vccnz .LBB481_45
; %bb.28:                               ;   in Loop: Header=BB481_5 Depth=1
	v_cmp_gt_i32_e32 vcc_lo, s37, v39
	v_dual_mov_b32 v40, 0 :: v_dual_mov_b32 v41, 0
	v_or_b32_e32 v8, 1, v39
	v_dual_mov_b32 v42, 0 :: v_dual_mov_b32 v43, 0
	s_and_saveexec_b32 s52, vcc_lo
	s_cbranch_execz .LBB481_36
; %bb.29:                               ;   in Loop: Header=BB481_5 Depth=1
	v_mad_co_u64_u32 v[9:10], null, s20, v39, 0
	s_mul_u64 s[8:9], s[22:23], s[34:35]
	v_dual_mov_b32 v42, 0 :: v_dual_mov_b32 v41, 0
	s_wait_alu 0xfffe
	s_lshl_b64 s[8:9], s[8:9], 1
	v_mov_b32_e32 v40, 0
	s_wait_alu 0xfffe
	s_add_nc_u64 s[8:9], s[26:27], s[8:9]
	v_mad_co_u64_u32 v[10:11], null, s21, v39, v[10:11]
	s_mov_b32 s53, exec_lo
	v_lshlrev_b64_e32 v[9:10], 1, v[9:10]
	s_wait_alu 0xfffe
	s_delay_alu instid0(VALU_DEP_1) | instskip(SKIP_1) | instid1(VALU_DEP_2)
	v_add_co_u32 v9, s7, s8, v9
	s_wait_alu 0xf1ff
	v_add_co_ci_u32_e64 v10, null, s9, v10, s7
	global_load_u16 v9, v[9:10], off
	v_cmpx_gt_i32_e64 s37, v8
	s_cbranch_execz .LBB481_35
; %bb.30:                               ;   in Loop: Header=BB481_5 Depth=1
	v_mad_co_u64_u32 v[10:11], null, s20, v8, 0
	v_dual_mov_b32 v41, 0 :: v_dual_mov_b32 v40, 0
	s_mov_b32 s54, exec_lo
	s_delay_alu instid0(VALU_DEP_2) | instskip(NEXT) | instid1(VALU_DEP_1)
	v_mad_co_u64_u32 v[11:12], null, s21, v8, v[11:12]
	v_lshlrev_b64_e32 v[10:11], 1, v[10:11]
	s_delay_alu instid0(VALU_DEP_1) | instskip(SKIP_1) | instid1(VALU_DEP_2)
	v_add_co_u32 v10, s7, s8, v10
	s_wait_alu 0xf1ff
	v_add_co_ci_u32_e64 v11, null, s9, v11, s7
	global_load_u16 v10, v[10:11], off
	v_or_b32_e32 v11, 2, v39
	s_delay_alu instid0(VALU_DEP_1)
	v_cmpx_gt_i32_e64 s37, v11
	s_cbranch_execz .LBB481_34
; %bb.31:                               ;   in Loop: Header=BB481_5 Depth=1
	v_mad_co_u64_u32 v[12:13], null, s20, v11, 0
	v_mov_b32_e32 v40, 0
	s_mov_b32 s55, exec_lo
	s_delay_alu instid0(VALU_DEP_2) | instskip(NEXT) | instid1(VALU_DEP_1)
	v_mad_co_u64_u32 v[13:14], null, s21, v11, v[13:14]
	v_lshlrev_b64_e32 v[11:12], 1, v[12:13]
	s_delay_alu instid0(VALU_DEP_1) | instskip(SKIP_1) | instid1(VALU_DEP_2)
	v_add_co_u32 v11, s7, s8, v11
	s_wait_alu 0xf1ff
	v_add_co_ci_u32_e64 v12, null, s9, v12, s7
	global_load_u16 v11, v[11:12], off
	v_or_b32_e32 v12, 3, v39
	s_delay_alu instid0(VALU_DEP_1)
	v_cmpx_gt_i32_e64 s37, v12
	s_cbranch_execz .LBB481_33
; %bb.32:                               ;   in Loop: Header=BB481_5 Depth=1
	v_mad_co_u64_u32 v[13:14], null, s20, v12, 0
	s_delay_alu instid0(VALU_DEP_1) | instskip(NEXT) | instid1(VALU_DEP_1)
	v_mad_co_u64_u32 v[14:15], null, s21, v12, v[14:15]
	v_lshlrev_b64_e32 v[12:13], 1, v[13:14]
	s_delay_alu instid0(VALU_DEP_1) | instskip(SKIP_1) | instid1(VALU_DEP_2)
	v_add_co_u32 v12, s7, s8, v12
	s_wait_alu 0xf1ff
	v_add_co_ci_u32_e64 v13, null, s9, v13, s7
	global_load_u16 v12, v[12:13], off
	s_wait_loadcnt 0x0
	v_cvt_f32_f16_e32 v40, v12
.LBB481_33:                             ;   in Loop: Header=BB481_5 Depth=1
	s_wait_alu 0xfffe
	s_or_b32 exec_lo, exec_lo, s55
	s_wait_loadcnt 0x0
	v_cvt_f32_f16_e32 v41, v11
.LBB481_34:                             ;   in Loop: Header=BB481_5 Depth=1
	s_wait_alu 0xfffe
	s_or_b32 exec_lo, exec_lo, s54
	s_wait_loadcnt 0x0
	v_cvt_f32_f16_e32 v42, v10
.LBB481_35:                             ;   in Loop: Header=BB481_5 Depth=1
	s_or_b32 exec_lo, exec_lo, s53
	s_wait_loadcnt 0x0
	v_cvt_f32_f16_e32 v43, v9
.LBB481_36:                             ;   in Loop: Header=BB481_5 Depth=1
	s_wait_alu 0xfffe
	s_or_b32 exec_lo, exec_lo, s52
	s_and_saveexec_b32 s9, s1
	s_cbranch_execz .LBB481_44
; %bb.37:                               ;   in Loop: Header=BB481_5 Depth=1
	v_mad_co_u64_u32 v[9:10], null, s12, v39, 0
	v_mad_co_u64_u32 v[11:12], null, s12, v8, 0
	v_or_b32_e32 v48, 2, v39
	v_or_b32_e32 v49, 3, v39
	s_mul_u64 s[52:53], s[14:15], s[34:35]
	s_wait_alu 0xfffe
	s_lshl_b64 s[52:53], s[52:53], 1
	v_cmp_gt_i32_e64 s7, s37, v48
	s_delay_alu instid0(VALU_DEP_4) | instskip(SKIP_4) | instid1(VALU_DEP_2)
	v_mad_co_u64_u32 v[13:14], null, s13, v39, v[10:11]
	v_mad_co_u64_u32 v[14:15], null, s12, v48, 0
	;; [unrolled: 1-line block ×3, first 2 shown]
	s_wait_alu 0xfffe
	s_add_nc_u64 s[52:53], s[18:19], s[52:53]
	v_dual_cndmask_b32 v10, 0, v13 :: v_dual_mov_b32 v13, v15
	s_delay_alu instid0(VALU_DEP_2) | instskip(NEXT) | instid1(VALU_DEP_2)
	v_mov_b32_e32 v15, v45
	v_mad_co_u64_u32 v[46:47], null, s13, v8, v[12:13]
	v_cndmask_b32_e32 v9, 0, v9, vcc_lo
	v_cmp_gt_i32_e32 vcc_lo, s37, v8
	s_wait_alu 0xfffd
	s_delay_alu instid0(VALU_DEP_3) | instskip(NEXT) | instid1(VALU_DEP_3)
	v_dual_cndmask_b32 v11, 0, v11 :: v_dual_cndmask_b32 v12, 0, v46
	v_lshlrev_b64_e32 v[9:10], 1, v[9:10]
	s_wait_alu 0xfffe
	s_delay_alu instid0(VALU_DEP_1) | instskip(SKIP_1) | instid1(VALU_DEP_2)
	v_add_co_u32 v8, s8, s52, v9
	s_wait_alu 0xf1ff
	v_add_co_ci_u32_e64 v9, null, s53, v10, s8
	v_lshlrev_b64_e32 v[10:11], 1, v[11:12]
	s_delay_alu instid0(VALU_DEP_3) | instskip(SKIP_1) | instid1(VALU_DEP_3)
	v_add_co_u32 v8, vcc_lo, v8, v4
	s_wait_alu 0xfffd
	v_add_co_ci_u32_e64 v9, null, v9, v5, vcc_lo
	v_cmp_gt_i32_e32 vcc_lo, s37, v49
	v_cndmask_b32_e64 v12, 0, v14, s7
	s_wait_alu 0xfffd
	v_cndmask_b32_e32 v44, 0, v44, vcc_lo
	v_mad_co_u64_u32 v[47:48], null, s13, v48, v[13:14]
	v_mad_co_u64_u32 v[14:15], null, s13, v49, v[15:16]
	s_delay_alu instid0(VALU_DEP_2) | instskip(SKIP_1) | instid1(VALU_DEP_3)
	v_cndmask_b32_e64 v13, 0, v47, s7
	v_add_co_u32 v10, s7, s52, v10
	v_cndmask_b32_e32 v45, 0, v14, vcc_lo
	s_wait_alu 0xf1ff
	v_add_co_ci_u32_e64 v11, null, s53, v11, s7
	v_lshlrev_b64_e32 v[12:13], 1, v[12:13]
	v_add_co_u32 v10, vcc_lo, v10, v4
	v_lshlrev_b64_e32 v[14:15], 1, v[44:45]
	s_wait_alu 0xfffd
	v_add_co_ci_u32_e64 v11, null, v11, v5, vcc_lo
	s_delay_alu instid0(VALU_DEP_4)
	v_add_co_u32 v12, vcc_lo, s52, v12
	s_wait_alu 0xfffd
	v_add_co_ci_u32_e64 v13, null, s53, v13, vcc_lo
	v_add_co_u32 v14, vcc_lo, s52, v14
	s_wait_alu 0xfffd
	v_add_co_ci_u32_e64 v15, null, s53, v15, vcc_lo
	;; [unrolled: 3-line block ×4, first 2 shown]
	s_clause 0x3
	global_load_u16 v39, v[8:9], off
	global_load_u16 v44, v[10:11], off
	;; [unrolled: 1-line block ×4, first 2 shown]
	s_and_saveexec_b32 s7, s2
	s_cbranch_execz .LBB481_43
; %bb.38:                               ;   in Loop: Header=BB481_5 Depth=1
	s_clause 0x3
	global_load_u16 v47, v[8:9], off offset:128
	global_load_u16 v48, v[10:11], off offset:128
	global_load_u16 v49, v[12:13], off offset:128
	global_load_u16 v50, v[14:15], off offset:128
	s_and_saveexec_b32 s8, s3
	s_cbranch_execz .LBB481_42
; %bb.39:                               ;   in Loop: Header=BB481_5 Depth=1
	s_clause 0x3
	global_load_u16 v51, v[8:9], off offset:256
	global_load_u16 v52, v[10:11], off offset:256
	global_load_u16 v53, v[12:13], off offset:256
	global_load_u16 v54, v[14:15], off offset:256
	;; [unrolled: 8-line block ×3, first 2 shown]
	s_wait_loadcnt 0x3
	v_fma_mix_f32 v8, v43, v8, v38 op_sel_hi:[0,1,0]
	s_wait_loadcnt 0x2
	s_delay_alu instid0(VALU_DEP_1) | instskip(SKIP_1) | instid1(VALU_DEP_1)
	v_fma_mix_f32 v8, v42, v9, v8 op_sel_hi:[0,1,0]
	s_wait_loadcnt 0x1
	v_fma_mix_f32 v8, v41, v10, v8 op_sel_hi:[0,1,0]
	s_wait_loadcnt 0x0
	s_delay_alu instid0(VALU_DEP_1)
	v_fma_mix_f32 v38, v40, v11, v8 op_sel_hi:[0,1,0]
.LBB481_41:                             ;   in Loop: Header=BB481_5 Depth=1
	s_wait_alu 0xfffe
	s_or_b32 exec_lo, exec_lo, s52
	s_wait_loadcnt 0x3
	v_fma_mix_f32 v8, v43, v51, v37 op_sel_hi:[0,1,0]
	s_wait_loadcnt 0x2
	s_delay_alu instid0(VALU_DEP_1) | instskip(SKIP_1) | instid1(VALU_DEP_1)
	v_fma_mix_f32 v8, v42, v52, v8 op_sel_hi:[0,1,0]
	s_wait_loadcnt 0x1
	v_fma_mix_f32 v8, v41, v53, v8 op_sel_hi:[0,1,0]
	s_wait_loadcnt 0x0
	s_delay_alu instid0(VALU_DEP_1)
	v_fma_mix_f32 v37, v40, v54, v8 op_sel_hi:[0,1,0]
.LBB481_42:                             ;   in Loop: Header=BB481_5 Depth=1
	s_wait_alu 0xfffe
	s_or_b32 exec_lo, exec_lo, s8
	s_wait_loadcnt 0x3
	v_fma_mix_f32 v8, v43, v47, v36 op_sel_hi:[0,1,0]
	s_wait_loadcnt 0x2
	s_delay_alu instid0(VALU_DEP_1) | instskip(SKIP_1) | instid1(VALU_DEP_1)
	v_fma_mix_f32 v8, v42, v48, v8 op_sel_hi:[0,1,0]
	s_wait_loadcnt 0x1
	v_fma_mix_f32 v8, v41, v49, v8 op_sel_hi:[0,1,0]
	s_wait_loadcnt 0x0
	s_delay_alu instid0(VALU_DEP_1)
	v_fma_mix_f32 v36, v40, v50, v8 op_sel_hi:[0,1,0]
.LBB481_43:                             ;   in Loop: Header=BB481_5 Depth=1
	s_wait_alu 0xfffe
	s_or_b32 exec_lo, exec_lo, s7
	s_wait_loadcnt 0x3
	v_fma_mix_f32 v8, v43, v39, v35 op_sel_hi:[0,1,0]
	s_wait_loadcnt 0x2
	s_delay_alu instid0(VALU_DEP_1) | instskip(SKIP_1) | instid1(VALU_DEP_1)
	v_fma_mix_f32 v8, v42, v44, v8 op_sel_hi:[0,1,0]
	s_wait_loadcnt 0x1
	v_fma_mix_f32 v8, v41, v45, v8 op_sel_hi:[0,1,0]
	s_wait_loadcnt 0x0
	s_delay_alu instid0(VALU_DEP_1)
	v_fma_mix_f32 v35, v40, v46, v8 op_sel_hi:[0,1,0]
.LBB481_44:                             ;   in Loop: Header=BB481_5 Depth=1
	s_wait_alu 0xfffe
	s_or_b32 exec_lo, exec_lo, s9
.LBB481_45:                             ;   in Loop: Header=BB481_5 Depth=1
	ds_store_2addr_stride64_b32 v17, v35, v36 offset1:1
	ds_store_2addr_stride64_b32 v17, v37, v38 offset0:2 offset1:3
	s_wait_dscnt 0x0
	s_barrier_signal -1
	s_barrier_wait -1
	global_inv scope:SCOPE_SE
                                        ; implicit-def: $vgpr10
	s_and_saveexec_b32 s7, s0
	s_cbranch_execz .LBB481_51
; %bb.46:                               ;   in Loop: Header=BB481_5 Depth=1
	ds_load_2addr_stride64_b32 v[8:9], v18 offset1:4
	ds_load_2addr_stride64_b32 v[10:11], v18 offset0:8 offset1:12
	ds_load_2addr_stride64_b32 v[12:13], v18 offset0:16 offset1:20
	s_mov_b32 s9, s51
	s_wait_dscnt 0x2
	v_add_f32_e32 v14, v8, v9
	ds_load_2addr_stride64_b32 v[8:9], v18 offset0:24 offset1:28
	s_wait_dscnt 0x2
	v_add_f32_e32 v10, v10, v14
	s_delay_alu instid0(VALU_DEP_1) | instskip(SKIP_3) | instid1(VALU_DEP_1)
	v_add_f32_e32 v14, v11, v10
	ds_load_2addr_stride64_b32 v[10:11], v18 offset0:32 offset1:36
	s_wait_dscnt 0x2
	v_add_f32_e32 v12, v12, v14
	v_add_f32_e32 v14, v13, v12
	ds_load_2addr_stride64_b32 v[12:13], v18 offset0:40 offset1:44
	s_wait_dscnt 0x2
	v_add_f32_e32 v8, v8, v14
	s_delay_alu instid0(VALU_DEP_1) | instskip(SKIP_1) | instid1(VALU_DEP_1)
	v_add_f32_e32 v8, v9, v8
	s_wait_dscnt 0x1
	v_add_f32_e32 v10, v10, v8
	ds_load_2addr_stride64_b32 v[8:9], v18 offset0:48 offset1:52
	v_add_f32_e32 v10, v11, v10
	s_wait_dscnt 0x1
	s_delay_alu instid0(VALU_DEP_1) | instskip(SKIP_3) | instid1(VALU_DEP_1)
	v_add_f32_e32 v12, v12, v10
	ds_load_2addr_stride64_b32 v[10:11], v18 offset0:56 offset1:60
	v_add_f32_e32 v12, v13, v12
	s_wait_dscnt 0x1
	v_add_f32_e32 v8, v8, v12
	s_delay_alu instid0(VALU_DEP_1) | instskip(SKIP_1) | instid1(VALU_DEP_1)
	v_add_f32_e32 v8, v9, v8
	s_wait_dscnt 0x0
	v_add_f32_e32 v8, v10, v8
                                        ; implicit-def: $vgpr10
	s_delay_alu instid0(VALU_DEP_1)
	v_add_f32_e32 v8, v11, v8
	ds_store_b32 v18, v8
	s_and_saveexec_b32 s8, s6
	s_cbranch_execz .LBB481_50
; %bb.47:                               ;   in Loop: Header=BB481_5 Depth=1
	v_mul_f32_e32 v10, s38, v8
	s_and_not1_b32 vcc_lo, exec_lo, s48
	s_wait_alu 0xfffe
	s_cbranch_vccnz .LBB481_49
; %bb.48:                               ;   in Loop: Header=BB481_5 Depth=1
	v_lshlrev_b64_e32 v[8:9], 2, v[2:3]
	s_delay_alu instid0(VALU_DEP_1) | instskip(SKIP_1) | instid1(VALU_DEP_2)
	v_add_co_u32 v8, vcc_lo, s44, v8
	s_wait_alu 0xfffd
	v_add_co_ci_u32_e64 v9, null, s45, v9, vcc_lo
	global_load_b32 v8, v[8:9], off
	s_wait_loadcnt 0x0
	v_fmac_f32_e32 v10, s39, v8
.LBB481_49:                             ;   in Loop: Header=BB481_5 Depth=1
	s_or_b32 s9, s51, exec_lo
.LBB481_50:                             ;   in Loop: Header=BB481_5 Depth=1
	s_wait_alu 0xfffe
	s_or_b32 exec_lo, exec_lo, s8
	s_delay_alu instid0(SALU_CYCLE_1)
	s_and_not1_b32 s8, s51, exec_lo
	s_and_b32 s9, s9, exec_lo
	s_wait_alu 0xfffe
	s_or_b32 s51, s8, s9
.LBB481_51:                             ;   in Loop: Header=BB481_5 Depth=1
	s_wait_alu 0xfffe
	s_or_b32 exec_lo, exec_lo, s7
	v_dual_mov_b32 v9, v3 :: v_dual_mov_b32 v8, v2
	s_and_saveexec_b32 s7, s51
	s_cbranch_execz .LBB481_3
.LBB481_52:                             ;   in Loop: Header=BB481_5 Depth=1
	s_delay_alu instid0(VALU_DEP_1) | instskip(SKIP_1) | instid1(VALU_DEP_1)
	v_lshlrev_b64_e32 v[8:9], 2, v[8:9]
	s_wait_alu 0xfffe
	v_add_co_u32 v8, vcc_lo, s44, v8
	s_wait_alu 0xfffd
	s_delay_alu instid0(VALU_DEP_2)
	v_add_co_ci_u32_e64 v9, null, s45, v9, vcc_lo
	global_store_b32 v[8:9], v10, off
	s_branch .LBB481_3
.LBB481_53:
	s_endpgm
	.section	.rodata,"a",@progbits
	.p2align	6, 0x0
	.amdhsa_kernel _ZL20rocblas_gemvn_kernelILi64ELi16ElDF16_ffEviiT3_lPKT2_lT1_lS3_lS4_lS0_lPT4_lS4_li
		.amdhsa_group_segment_fixed_size 16384
		.amdhsa_private_segment_fixed_size 0
		.amdhsa_kernarg_size 400
		.amdhsa_user_sgpr_count 2
		.amdhsa_user_sgpr_dispatch_ptr 0
		.amdhsa_user_sgpr_queue_ptr 0
		.amdhsa_user_sgpr_kernarg_segment_ptr 1
		.amdhsa_user_sgpr_dispatch_id 0
		.amdhsa_user_sgpr_private_segment_size 0
		.amdhsa_wavefront_size32 1
		.amdhsa_uses_dynamic_stack 0
		.amdhsa_enable_private_segment 0
		.amdhsa_system_sgpr_workgroup_id_x 1
		.amdhsa_system_sgpr_workgroup_id_y 0
		.amdhsa_system_sgpr_workgroup_id_z 1
		.amdhsa_system_sgpr_workgroup_info 0
		.amdhsa_system_vgpr_workitem_id 1
		.amdhsa_next_free_vgpr 76
		.amdhsa_next_free_sgpr 56
		.amdhsa_reserve_vcc 1
		.amdhsa_float_round_mode_32 0
		.amdhsa_float_round_mode_16_64 0
		.amdhsa_float_denorm_mode_32 3
		.amdhsa_float_denorm_mode_16_64 3
		.amdhsa_fp16_overflow 0
		.amdhsa_workgroup_processor_mode 1
		.amdhsa_memory_ordered 1
		.amdhsa_forward_progress 1
		.amdhsa_inst_pref_size 32
		.amdhsa_round_robin_scheduling 0
		.amdhsa_exception_fp_ieee_invalid_op 0
		.amdhsa_exception_fp_denorm_src 0
		.amdhsa_exception_fp_ieee_div_zero 0
		.amdhsa_exception_fp_ieee_overflow 0
		.amdhsa_exception_fp_ieee_underflow 0
		.amdhsa_exception_fp_ieee_inexact 0
		.amdhsa_exception_int_div_zero 0
	.end_amdhsa_kernel
	.section	.text._ZL20rocblas_gemvn_kernelILi64ELi16ElDF16_ffEviiT3_lPKT2_lT1_lS3_lS4_lS0_lPT4_lS4_li,"axG",@progbits,_ZL20rocblas_gemvn_kernelILi64ELi16ElDF16_ffEviiT3_lPKT2_lT1_lS3_lS4_lS0_lPT4_lS4_li,comdat
.Lfunc_end481:
	.size	_ZL20rocblas_gemvn_kernelILi64ELi16ElDF16_ffEviiT3_lPKT2_lT1_lS3_lS4_lS0_lPT4_lS4_li, .Lfunc_end481-_ZL20rocblas_gemvn_kernelILi64ELi16ElDF16_ffEviiT3_lPKT2_lT1_lS3_lS4_lS0_lPT4_lS4_li
                                        ; -- End function
	.set _ZL20rocblas_gemvn_kernelILi64ELi16ElDF16_ffEviiT3_lPKT2_lT1_lS3_lS4_lS0_lPT4_lS4_li.num_vgpr, 76
	.set _ZL20rocblas_gemvn_kernelILi64ELi16ElDF16_ffEviiT3_lPKT2_lT1_lS3_lS4_lS0_lPT4_lS4_li.num_agpr, 0
	.set _ZL20rocblas_gemvn_kernelILi64ELi16ElDF16_ffEviiT3_lPKT2_lT1_lS3_lS4_lS0_lPT4_lS4_li.numbered_sgpr, 56
	.set _ZL20rocblas_gemvn_kernelILi64ELi16ElDF16_ffEviiT3_lPKT2_lT1_lS3_lS4_lS0_lPT4_lS4_li.num_named_barrier, 0
	.set _ZL20rocblas_gemvn_kernelILi64ELi16ElDF16_ffEviiT3_lPKT2_lT1_lS3_lS4_lS0_lPT4_lS4_li.private_seg_size, 0
	.set _ZL20rocblas_gemvn_kernelILi64ELi16ElDF16_ffEviiT3_lPKT2_lT1_lS3_lS4_lS0_lPT4_lS4_li.uses_vcc, 1
	.set _ZL20rocblas_gemvn_kernelILi64ELi16ElDF16_ffEviiT3_lPKT2_lT1_lS3_lS4_lS0_lPT4_lS4_li.uses_flat_scratch, 0
	.set _ZL20rocblas_gemvn_kernelILi64ELi16ElDF16_ffEviiT3_lPKT2_lT1_lS3_lS4_lS0_lPT4_lS4_li.has_dyn_sized_stack, 0
	.set _ZL20rocblas_gemvn_kernelILi64ELi16ElDF16_ffEviiT3_lPKT2_lT1_lS3_lS4_lS0_lPT4_lS4_li.has_recursion, 0
	.set _ZL20rocblas_gemvn_kernelILi64ELi16ElDF16_ffEviiT3_lPKT2_lT1_lS3_lS4_lS0_lPT4_lS4_li.has_indirect_call, 0
	.section	.AMDGPU.csdata,"",@progbits
; Kernel info:
; codeLenInByte = 4000
; TotalNumSgprs: 58
; NumVgprs: 76
; ScratchSize: 0
; MemoryBound: 0
; FloatMode: 240
; IeeeMode: 1
; LDSByteSize: 16384 bytes/workgroup (compile time only)
; SGPRBlocks: 0
; VGPRBlocks: 9
; NumSGPRsForWavesPerEU: 58
; NumVGPRsForWavesPerEU: 76
; Occupancy: 16
; WaveLimiterHint : 1
; COMPUTE_PGM_RSRC2:SCRATCH_EN: 0
; COMPUTE_PGM_RSRC2:USER_SGPR: 2
; COMPUTE_PGM_RSRC2:TRAP_HANDLER: 0
; COMPUTE_PGM_RSRC2:TGID_X_EN: 1
; COMPUTE_PGM_RSRC2:TGID_Y_EN: 0
; COMPUTE_PGM_RSRC2:TGID_Z_EN: 1
; COMPUTE_PGM_RSRC2:TIDIG_COMP_CNT: 1
	.section	.text._ZL22rocblas_gemvtsm_kernelILb0ELi256EDF16_PKffEviiT2_lPKT1_lilS5_lilS2_lPT3_lil,"axG",@progbits,_ZL22rocblas_gemvtsm_kernelILb0ELi256EDF16_PKffEviiT2_lPKT1_lilS5_lilS2_lPT3_lil,comdat
	.globl	_ZL22rocblas_gemvtsm_kernelILb0ELi256EDF16_PKffEviiT2_lPKT1_lilS5_lilS2_lPT3_lil ; -- Begin function _ZL22rocblas_gemvtsm_kernelILb0ELi256EDF16_PKffEviiT2_lPKT1_lilS5_lilS2_lPT3_lil
	.p2align	8
	.type	_ZL22rocblas_gemvtsm_kernelILb0ELi256EDF16_PKffEviiT2_lPKT1_lilS5_lilS2_lPT3_lil,@function
_ZL22rocblas_gemvtsm_kernelILb0ELi256EDF16_PKffEviiT2_lPKT1_lilS5_lilS2_lPT3_lil: ; @_ZL22rocblas_gemvtsm_kernelILb0ELi256EDF16_PKffEviiT2_lPKT1_lilS5_lilS2_lPT3_lil
; %bb.0:
	s_clause 0x1
	s_load_b256 s[4:11], s[0:1], 0x8
	s_load_b256 s[12:19], s[0:1], 0x50
	s_mov_b32 s24, ttmp9
	s_mov_b32 s25, 0
	s_wait_kmcnt 0x0
	s_mul_u64 s[2:3], s[6:7], s[24:25]
	s_delay_alu instid0(SALU_CYCLE_1) | instskip(NEXT) | instid1(SALU_CYCLE_1)
	s_lshl_b64 s[2:3], s[2:3], 2
	s_add_nc_u64 s[2:3], s[4:5], s[2:3]
	s_mul_u64 s[4:5], s[16:17], s[24:25]
	s_load_b32 s26, s[2:3], 0x0
	s_lshl_b64 s[2:3], s[4:5], 2
	s_delay_alu instid0(SALU_CYCLE_1)
	s_add_nc_u64 s[2:3], s[14:15], s[2:3]
	s_load_b32 s23, s[2:3], 0x0
	s_wait_kmcnt 0x0
	s_cmp_eq_f32 s26, 0
	s_cselect_b32 s2, -1, 0
	s_cmp_eq_f32 s23, 1.0
	s_cselect_b32 s3, -1, 0
	s_delay_alu instid0(SALU_CYCLE_1) | instskip(NEXT) | instid1(SALU_CYCLE_1)
	s_and_b32 s2, s2, s3
	s_and_b32 vcc_lo, exec_lo, s2
	s_cbranch_vccnz .LBB482_34
; %bb.1:
	s_clause 0x2
	s_load_b64 s[4:5], s[0:1], 0x80
	s_load_b96 s[20:22], s[0:1], 0x70
	s_load_b64 s[2:3], s[0:1], 0x0
	s_cmp_neq_f32 s26, 0
	s_wait_kmcnt 0x0
	s_mul_u64 s[14:15], s[4:5], s[24:25]
	s_cbranch_scc1 .LBB482_9
; %bb.2:
	s_cmp_gt_i32 s3, 0
	s_cselect_b32 s6, -1, 0
	s_cmp_neq_f32 s23, 0
	v_cndmask_b32_e64 v1, 0, 1, s6
	s_delay_alu instid0(VALU_DEP_1)
	v_cmp_ne_u32_e32 vcc_lo, 1, v1
	s_cbranch_scc1 .LBB482_10
; %bb.3:
	s_and_b32 vcc_lo, exec_lo, vcc_lo
	s_cbranch_vccnz .LBB482_8
; %bb.4:
	v_mad_co_i64_i32 v[1:2], null, s22, v0, 0
	s_lshl_b64 s[16:17], s[20:21], 2
	s_lshl_b64 s[28:29], s[14:15], 2
	s_add_nc_u64 s[16:17], s[18:19], s[16:17]
	v_mov_b32_e32 v3, 0
	s_add_nc_u64 s[16:17], s[16:17], s[28:29]
	s_ashr_i32 s5, s22, 31
	v_lshlrev_b64_e32 v[1:2], 2, v[1:2]
	s_mov_b32 s4, s22
	s_mov_b32 s7, 0
	s_lshl_b64 s[4:5], s[4:5], 10
	s_delay_alu instid0(VALU_DEP_1) | instskip(NEXT) | instid1(VALU_DEP_1)
	v_add_co_u32 v1, vcc_lo, s16, v1
	v_add_co_ci_u32_e64 v2, null, s17, v2, vcc_lo
	s_branch .LBB482_6
.LBB482_5:                              ;   in Loop: Header=BB482_6 Depth=1
	s_wait_alu 0xfffe
	s_or_b32 exec_lo, exec_lo, s16
	v_add_co_u32 v1, vcc_lo, v1, s4
	s_wait_alu 0xfffd
	v_add_co_ci_u32_e64 v2, null, s5, v2, vcc_lo
	s_addk_co_i32 s7, 0x100
	s_wait_alu 0xfffe
	s_cmp_ge_i32 s7, s3
	s_cbranch_scc1 .LBB482_8
.LBB482_6:                              ; =>This Inner Loop Header: Depth=1
	s_wait_alu 0xfffe
	v_add_nc_u32_e32 v4, s7, v0
	s_mov_b32 s16, exec_lo
	s_delay_alu instid0(VALU_DEP_1)
	v_cmpx_gt_i32_e64 s3, v4
	s_cbranch_execz .LBB482_5
; %bb.7:                                ;   in Loop: Header=BB482_6 Depth=1
	global_store_b32 v[1:2], v3, off
	s_branch .LBB482_5
.LBB482_8:
	s_cbranch_execz .LBB482_11
	s_branch .LBB482_16
.LBB482_9:
	s_branch .LBB482_17
.LBB482_10:
.LBB482_11:
	s_and_not1_b32 vcc_lo, exec_lo, s6
	s_wait_alu 0xfffe
	s_cbranch_vccnz .LBB482_16
; %bb.12:
	v_mad_co_i64_i32 v[1:2], null, s22, v0, 0
	s_lshl_b64 s[6:7], s[20:21], 2
	s_lshl_b64 s[16:17], s[14:15], 2
	s_wait_alu 0xfffe
	s_add_nc_u64 s[6:7], s[18:19], s[6:7]
	s_ashr_i32 s5, s22, 31
	s_wait_alu 0xfffe
	s_add_nc_u64 s[6:7], s[6:7], s[16:17]
	s_mov_b32 s4, s22
	v_lshlrev_b64_e32 v[1:2], 2, v[1:2]
	s_wait_alu 0xfffe
	s_lshl_b64 s[4:5], s[4:5], 10
	s_delay_alu instid0(VALU_DEP_1) | instskip(SKIP_1) | instid1(VALU_DEP_2)
	v_add_co_u32 v1, vcc_lo, s6, v1
	s_wait_alu 0xfffd
	v_add_co_ci_u32_e64 v2, null, s7, v2, vcc_lo
	s_mov_b32 s6, 0
	s_branch .LBB482_14
.LBB482_13:                             ;   in Loop: Header=BB482_14 Depth=1
	s_wait_alu 0xfffe
	s_or_b32 exec_lo, exec_lo, s7
	v_add_co_u32 v1, vcc_lo, v1, s4
	s_wait_alu 0xfffd
	v_add_co_ci_u32_e64 v2, null, s5, v2, vcc_lo
	s_addk_co_i32 s6, 0x100
	s_wait_alu 0xfffe
	s_cmp_ge_i32 s6, s3
	s_cbranch_scc1 .LBB482_16
.LBB482_14:                             ; =>This Inner Loop Header: Depth=1
	s_wait_alu 0xfffe
	v_add_nc_u32_e32 v3, s6, v0
	s_mov_b32 s7, exec_lo
	s_delay_alu instid0(VALU_DEP_1)
	v_cmpx_gt_i32_e64 s3, v3
	s_cbranch_execz .LBB482_13
; %bb.15:                               ;   in Loop: Header=BB482_14 Depth=1
	global_load_b32 v3, v[1:2], off
	s_wait_loadcnt 0x0
	v_mul_f32_e32 v3, s23, v3
	global_store_b32 v[1:2], v3, off
	s_branch .LBB482_13
.LBB482_16:
	s_cbranch_execnz .LBB482_34
.LBB482_17:
	s_clause 0x1
	s_load_b128 s[4:7], s[0:1], 0x30
	s_load_b64 s[16:17], s[0:1], 0x40
	s_mov_b32 s27, exec_lo
	v_cmpx_gt_i32_e64 s2, v0
	s_cbranch_execz .LBB482_19
; %bb.18:
	s_load_b32 s28, s[0:1], 0x48
	s_mul_u64 s[12:13], s[12:13], s[24:25]
	s_wait_kmcnt 0x0
	s_lshl_b64 s[16:17], s[16:17], 1
	s_lshl_b64 s[12:13], s[12:13], 1
	s_delay_alu instid0(SALU_CYCLE_1) | instskip(SKIP_3) | instid1(VALU_DEP_1)
	s_add_nc_u64 s[6:7], s[6:7], s[12:13]
	s_wait_alu 0xfffe
	s_add_nc_u64 s[6:7], s[6:7], s[16:17]
	v_mad_co_i64_i32 v[1:2], null, s28, v0, 0
	v_lshlrev_b64_e32 v[1:2], 1, v[1:2]
	s_wait_alu 0xfffe
	s_delay_alu instid0(VALU_DEP_1) | instskip(SKIP_1) | instid1(VALU_DEP_2)
	v_add_co_u32 v1, vcc_lo, s6, v1
	s_wait_alu 0xfffd
	v_add_co_ci_u32_e64 v2, null, s7, v2, vcc_lo
	global_load_u16 v1, v[1:2], off
	v_lshlrev_b32_e32 v2, 2, v0
	s_wait_loadcnt 0x0
	v_cvt_f32_f16_e32 v1, v1
	s_delay_alu instid0(VALU_DEP_1)
	v_mul_f32_e32 v1, s26, v1
	ds_store_b32 v2, v1
.LBB482_19:
	s_or_b32 exec_lo, exec_lo, s27
	s_cmp_lt_i32 s3, 1
	s_wait_storecnt_dscnt 0x0
	s_barrier_signal -1
	s_barrier_wait -1
	global_inv scope:SCOPE_SE
	s_cbranch_scc1 .LBB482_34
; %bb.20:
	s_wait_kmcnt 0x0
	s_load_b32 s16, s[0:1], 0x28
	s_lshl_b64 s[0:1], s[14:15], 2
	s_lshl_b64 s[12:13], s[20:21], 2
	s_ashr_i32 s6, s22, 31
	s_add_nc_u64 s[0:1], s[18:19], s[0:1]
	s_mul_u64 s[4:5], s[4:5], s[24:25]
	s_add_nc_u64 s[0:1], s[0:1], s[12:13]
	s_wait_kmcnt 0x0
	s_ashr_i32 s17, s16, 31
	s_cmp_neq_f32 s23, 0
	v_mad_co_i64_i32 v[1:2], null, s16, v0, 0
	s_cselect_b32 s7, -1, 0
	s_cmp_gt_i32 s2, 0
	s_cselect_b32 s12, -1, 0
	s_and_b32 s13, s2, 7
	s_cmp_gt_u32 s2, 7
	v_lshlrev_b64_e32 v[1:2], 1, v[1:2]
	s_cselect_b32 s14, -1, 0
	s_and_b32 s2, s2, 0x7ffffff8
	s_cmp_lg_u32 s13, 0
	s_cselect_b32 s15, -1, 0
	s_lshl_b64 s[10:11], s[10:11], 1
	s_wait_alu 0xfffe
	s_lshl_b64 s[4:5], s[4:5], 1
	s_add_nc_u64 s[8:9], s[8:9], s[10:11]
	s_wait_alu 0xfffe
	s_add_nc_u64 s[4:5], s[8:9], s[4:5]
	s_mov_b32 s8, s22
	s_wait_alu 0xfffe
	v_add_co_u32 v7, vcc_lo, s4, v1
	s_wait_alu 0xfffd
	v_add_co_ci_u32_e64 v8, null, s5, v2, vcc_lo
	s_mov_b32 s9, 0
	v_add_co_u32 v1, vcc_lo, v7, 14
	s_wait_alu 0xfffd
	v_add_co_ci_u32_e64 v2, null, 0, v8, vcc_lo
	s_lshl_b64 s[4:5], s[16:17], 9
	s_branch .LBB482_23
.LBB482_21:                             ;   in Loop: Header=BB482_23 Depth=1
	v_add_co_u32 v3, vcc_lo, s0, v3
	s_wait_alu 0xfffd
	v_add_co_ci_u32_e64 v4, null, s1, v4, vcc_lo
	global_store_b32 v[3:4], v9, off
.LBB482_22:                             ;   in Loop: Header=BB482_23 Depth=1
	s_wait_alu 0xfffe
	s_or_b32 exec_lo, exec_lo, s10
	v_add_co_u32 v1, vcc_lo, v1, s4
	s_wait_alu 0xfffd
	v_add_co_ci_u32_e64 v2, null, s5, v2, vcc_lo
	v_add_co_u32 v7, vcc_lo, v7, s4
	s_wait_alu 0xfffd
	v_add_co_ci_u32_e64 v8, null, s5, v8, vcc_lo
	s_addk_co_i32 s9, 0x100
	s_wait_alu 0xfffe
	s_cmp_ge_i32 s9, s3
	s_cbranch_scc1 .LBB482_34
.LBB482_23:                             ; =>This Loop Header: Depth=1
                                        ;     Child Loop BB482_29 Depth 2
                                        ;     Child Loop BB482_33 Depth 2
	v_add_nc_u32_e32 v3, s9, v0
	s_mov_b32 s10, exec_lo
	s_delay_alu instid0(VALU_DEP_1)
	v_cmpx_gt_i32_e64 s3, v3
	s_cbranch_execz .LBB482_22
; %bb.24:                               ;   in Loop: Header=BB482_23 Depth=1
	v_mad_co_u64_u32 v[4:5], null, v3, s8, 0
	s_and_not1_b32 vcc_lo, exec_lo, s7
	v_mad_co_u64_u32 v[5:6], null, v3, s6, v[5:6]
	s_delay_alu instid0(VALU_DEP_1)
	v_lshlrev_b64_e32 v[3:4], 2, v[4:5]
	s_wait_alu 0xfffe
	s_cbranch_vccnz .LBB482_26
; %bb.25:                               ;   in Loop: Header=BB482_23 Depth=1
	s_delay_alu instid0(VALU_DEP_1) | instskip(SKIP_1) | instid1(VALU_DEP_2)
	v_add_co_u32 v5, vcc_lo, s0, v3
	s_wait_alu 0xfffd
	v_add_co_ci_u32_e64 v6, null, s1, v4, vcc_lo
	global_load_b32 v5, v[5:6], off
	s_wait_loadcnt 0x0
	v_mul_f32_e32 v9, s23, v5
	s_and_not1_b32 vcc_lo, exec_lo, s12
	s_wait_alu 0xfffe
	s_cbranch_vccz .LBB482_27
	s_branch .LBB482_21
.LBB482_26:                             ;   in Loop: Header=BB482_23 Depth=1
	v_mov_b32_e32 v9, 0
	s_and_not1_b32 vcc_lo, exec_lo, s12
	s_wait_alu 0xfffe
	s_cbranch_vccnz .LBB482_21
.LBB482_27:                             ;   in Loop: Header=BB482_23 Depth=1
	s_and_not1_b32 vcc_lo, exec_lo, s14
	s_mov_b32 s11, 0
	s_wait_alu 0xfffe
	s_cbranch_vccnz .LBB482_31
; %bb.28:                               ;   in Loop: Header=BB482_23 Depth=1
	v_dual_mov_b32 v6, v2 :: v_dual_mov_b32 v5, v1
	s_mov_b32 s16, 0
.LBB482_29:                             ;   Parent Loop BB482_23 Depth=1
                                        ; =>  This Inner Loop Header: Depth=2
	global_load_b128 v[10:13], v[5:6], off offset:-14
	v_mov_b32_e32 v18, s11
	v_add_co_u32 v5, vcc_lo, v5, 16
	s_wait_alu 0xfffd
	v_add_co_ci_u32_e64 v6, null, 0, v6, vcc_lo
	ds_load_b128 v[14:17], v18
	ds_load_b128 v[18:21], v18 offset:16
	s_wait_alu 0xfffe
	s_add_co_i32 s16, s16, 8
	s_add_co_i32 s11, s11, 32
	s_wait_alu 0xfffe
	s_cmp_eq_u32 s2, s16
	s_wait_loadcnt_dscnt 0x1
	v_fma_mix_f32 v9, v14, v10, v9 op_sel_hi:[0,1,0]
	s_delay_alu instid0(VALU_DEP_1) | instskip(NEXT) | instid1(VALU_DEP_1)
	v_fma_mix_f32 v9, v15, v10, v9 op_sel:[0,1,0] op_sel_hi:[0,1,0]
	v_fma_mix_f32 v9, v16, v11, v9 op_sel_hi:[0,1,0]
	s_delay_alu instid0(VALU_DEP_1) | instskip(SKIP_1) | instid1(VALU_DEP_1)
	v_fma_mix_f32 v9, v17, v11, v9 op_sel:[0,1,0] op_sel_hi:[0,1,0]
	s_wait_dscnt 0x0
	v_fma_mix_f32 v9, v18, v12, v9 op_sel_hi:[0,1,0]
	s_delay_alu instid0(VALU_DEP_1) | instskip(NEXT) | instid1(VALU_DEP_1)
	v_fma_mix_f32 v9, v19, v12, v9 op_sel:[0,1,0] op_sel_hi:[0,1,0]
	v_fma_mix_f32 v9, v20, v13, v9 op_sel_hi:[0,1,0]
	s_delay_alu instid0(VALU_DEP_1)
	v_fma_mix_f32 v9, v21, v13, v9 op_sel:[0,1,0] op_sel_hi:[0,1,0]
	s_cbranch_scc0 .LBB482_29
; %bb.30:                               ;   in Loop: Header=BB482_23 Depth=1
	s_mov_b32 s11, s2
.LBB482_31:                             ;   in Loop: Header=BB482_23 Depth=1
	s_and_not1_b32 vcc_lo, exec_lo, s15
	s_wait_alu 0xfffe
	s_cbranch_vccnz .LBB482_21
; %bb.32:                               ;   in Loop: Header=BB482_23 Depth=1
	s_lshl_b32 s16, s11, 1
	s_lshl_b32 s11, s11, 2
	s_wait_alu 0xfffe
	v_add_co_u32 v5, vcc_lo, v7, s16
	s_wait_alu 0xfffd
	v_add_co_ci_u32_e64 v6, null, 0, v8, vcc_lo
	s_mov_b32 s16, s13
.LBB482_33:                             ;   Parent Loop BB482_23 Depth=1
                                        ; =>  This Inner Loop Header: Depth=2
	global_load_u16 v10, v[5:6], off
	v_mov_b32_e32 v11, s11
	v_add_co_u32 v5, vcc_lo, v5, 2
	s_wait_alu 0xfffd
	v_add_co_ci_u32_e64 v6, null, 0, v6, vcc_lo
	ds_load_b32 v11, v11
	s_wait_alu 0xfffe
	s_add_co_i32 s16, s16, -1
	s_add_co_i32 s11, s11, 4
	s_wait_alu 0xfffe
	s_cmp_lg_u32 s16, 0
	s_wait_loadcnt_dscnt 0x0
	v_fma_mix_f32 v9, v11, v10, v9 op_sel_hi:[0,1,0]
	s_cbranch_scc1 .LBB482_33
	s_branch .LBB482_21
.LBB482_34:
	s_endpgm
	.section	.rodata,"a",@progbits
	.p2align	6, 0x0
	.amdhsa_kernel _ZL22rocblas_gemvtsm_kernelILb0ELi256EDF16_PKffEviiT2_lPKT1_lilS5_lilS2_lPT3_lil
		.amdhsa_group_segment_fixed_size 256
		.amdhsa_private_segment_fixed_size 0
		.amdhsa_kernarg_size 136
		.amdhsa_user_sgpr_count 2
		.amdhsa_user_sgpr_dispatch_ptr 0
		.amdhsa_user_sgpr_queue_ptr 0
		.amdhsa_user_sgpr_kernarg_segment_ptr 1
		.amdhsa_user_sgpr_dispatch_id 0
		.amdhsa_user_sgpr_private_segment_size 0
		.amdhsa_wavefront_size32 1
		.amdhsa_uses_dynamic_stack 0
		.amdhsa_enable_private_segment 0
		.amdhsa_system_sgpr_workgroup_id_x 1
		.amdhsa_system_sgpr_workgroup_id_y 0
		.amdhsa_system_sgpr_workgroup_id_z 0
		.amdhsa_system_sgpr_workgroup_info 0
		.amdhsa_system_vgpr_workitem_id 0
		.amdhsa_next_free_vgpr 22
		.amdhsa_next_free_sgpr 30
		.amdhsa_reserve_vcc 1
		.amdhsa_float_round_mode_32 0
		.amdhsa_float_round_mode_16_64 0
		.amdhsa_float_denorm_mode_32 3
		.amdhsa_float_denorm_mode_16_64 3
		.amdhsa_fp16_overflow 0
		.amdhsa_workgroup_processor_mode 1
		.amdhsa_memory_ordered 1
		.amdhsa_forward_progress 1
		.amdhsa_inst_pref_size 12
		.amdhsa_round_robin_scheduling 0
		.amdhsa_exception_fp_ieee_invalid_op 0
		.amdhsa_exception_fp_denorm_src 0
		.amdhsa_exception_fp_ieee_div_zero 0
		.amdhsa_exception_fp_ieee_overflow 0
		.amdhsa_exception_fp_ieee_underflow 0
		.amdhsa_exception_fp_ieee_inexact 0
		.amdhsa_exception_int_div_zero 0
	.end_amdhsa_kernel
	.section	.text._ZL22rocblas_gemvtsm_kernelILb0ELi256EDF16_PKffEviiT2_lPKT1_lilS5_lilS2_lPT3_lil,"axG",@progbits,_ZL22rocblas_gemvtsm_kernelILb0ELi256EDF16_PKffEviiT2_lPKT1_lilS5_lilS2_lPT3_lil,comdat
.Lfunc_end482:
	.size	_ZL22rocblas_gemvtsm_kernelILb0ELi256EDF16_PKffEviiT2_lPKT1_lilS5_lilS2_lPT3_lil, .Lfunc_end482-_ZL22rocblas_gemvtsm_kernelILb0ELi256EDF16_PKffEviiT2_lPKT1_lilS5_lilS2_lPT3_lil
                                        ; -- End function
	.set _ZL22rocblas_gemvtsm_kernelILb0ELi256EDF16_PKffEviiT2_lPKT1_lilS5_lilS2_lPT3_lil.num_vgpr, 22
	.set _ZL22rocblas_gemvtsm_kernelILb0ELi256EDF16_PKffEviiT2_lPKT1_lilS5_lilS2_lPT3_lil.num_agpr, 0
	.set _ZL22rocblas_gemvtsm_kernelILb0ELi256EDF16_PKffEviiT2_lPKT1_lilS5_lilS2_lPT3_lil.numbered_sgpr, 30
	.set _ZL22rocblas_gemvtsm_kernelILb0ELi256EDF16_PKffEviiT2_lPKT1_lilS5_lilS2_lPT3_lil.num_named_barrier, 0
	.set _ZL22rocblas_gemvtsm_kernelILb0ELi256EDF16_PKffEviiT2_lPKT1_lilS5_lilS2_lPT3_lil.private_seg_size, 0
	.set _ZL22rocblas_gemvtsm_kernelILb0ELi256EDF16_PKffEviiT2_lPKT1_lilS5_lilS2_lPT3_lil.uses_vcc, 1
	.set _ZL22rocblas_gemvtsm_kernelILb0ELi256EDF16_PKffEviiT2_lPKT1_lilS5_lilS2_lPT3_lil.uses_flat_scratch, 0
	.set _ZL22rocblas_gemvtsm_kernelILb0ELi256EDF16_PKffEviiT2_lPKT1_lilS5_lilS2_lPT3_lil.has_dyn_sized_stack, 0
	.set _ZL22rocblas_gemvtsm_kernelILb0ELi256EDF16_PKffEviiT2_lPKT1_lilS5_lilS2_lPT3_lil.has_recursion, 0
	.set _ZL22rocblas_gemvtsm_kernelILb0ELi256EDF16_PKffEviiT2_lPKT1_lilS5_lilS2_lPT3_lil.has_indirect_call, 0
	.section	.AMDGPU.csdata,"",@progbits
; Kernel info:
; codeLenInByte = 1520
; TotalNumSgprs: 32
; NumVgprs: 22
; ScratchSize: 0
; MemoryBound: 0
; FloatMode: 240
; IeeeMode: 1
; LDSByteSize: 256 bytes/workgroup (compile time only)
; SGPRBlocks: 0
; VGPRBlocks: 2
; NumSGPRsForWavesPerEU: 32
; NumVGPRsForWavesPerEU: 22
; Occupancy: 16
; WaveLimiterHint : 1
; COMPUTE_PGM_RSRC2:SCRATCH_EN: 0
; COMPUTE_PGM_RSRC2:USER_SGPR: 2
; COMPUTE_PGM_RSRC2:TRAP_HANDLER: 0
; COMPUTE_PGM_RSRC2:TGID_X_EN: 1
; COMPUTE_PGM_RSRC2:TGID_Y_EN: 0
; COMPUTE_PGM_RSRC2:TGID_Z_EN: 0
; COMPUTE_PGM_RSRC2:TIDIG_COMP_CNT: 0
	.section	.text._ZL22rocblas_gemvtsm_kernelILb0ELi256EDF16_ffEviiT2_lPKT1_lilS3_lilS0_lPT3_lil,"axG",@progbits,_ZL22rocblas_gemvtsm_kernelILb0ELi256EDF16_ffEviiT2_lPKT1_lilS3_lilS0_lPT3_lil,comdat
	.globl	_ZL22rocblas_gemvtsm_kernelILb0ELi256EDF16_ffEviiT2_lPKT1_lilS3_lilS0_lPT3_lil ; -- Begin function _ZL22rocblas_gemvtsm_kernelILb0ELi256EDF16_ffEviiT2_lPKT1_lilS3_lilS0_lPT3_lil
	.p2align	8
	.type	_ZL22rocblas_gemvtsm_kernelILb0ELi256EDF16_ffEviiT2_lPKT1_lilS3_lilS0_lPT3_lil,@function
_ZL22rocblas_gemvtsm_kernelILb0ELi256EDF16_ffEviiT2_lPKT1_lilS3_lilS0_lPT3_lil: ; @_ZL22rocblas_gemvtsm_kernelILb0ELi256EDF16_ffEviiT2_lPKT1_lilS3_lilS0_lPT3_lil
; %bb.0:
	s_clause 0x1
	s_load_b96 s[12:14], s[0:1], 0x0
	s_load_b32 s15, s[0:1], 0x58
	s_mov_b32 s19, 0
	s_wait_kmcnt 0x0
	s_cmp_eq_f32 s14, 0
	s_cselect_b32 s2, -1, 0
	s_cmp_eq_f32 s15, 1.0
	s_cselect_b32 s3, -1, 0
	s_delay_alu instid0(SALU_CYCLE_1) | instskip(NEXT) | instid1(SALU_CYCLE_1)
	s_and_b32 s2, s2, s3
	s_and_b32 vcc_lo, exec_lo, s2
	s_cbranch_vccnz .LBB483_34
; %bb.1:
	s_clause 0x2
	s_load_b64 s[2:3], s[0:1], 0x80
	s_load_b128 s[4:7], s[0:1], 0x68
	s_load_b32 s16, s[0:1], 0x78
	s_mov_b32 s18, ttmp9
	s_cmp_neq_f32 s14, 0
	s_wait_kmcnt 0x0
	s_mul_u64 s[20:21], s[2:3], s[18:19]
	s_cbranch_scc1 .LBB483_9
; %bb.2:
	s_cmp_gt_i32 s13, 0
	s_cselect_b32 s8, -1, 0
	s_cmp_neq_f32 s15, 0
	v_cndmask_b32_e64 v1, 0, 1, s8
	s_delay_alu instid0(VALU_DEP_1)
	v_cmp_ne_u32_e32 vcc_lo, 1, v1
	s_cbranch_scc1 .LBB483_10
; %bb.3:
	s_and_b32 vcc_lo, exec_lo, vcc_lo
	s_cbranch_vccnz .LBB483_8
; %bb.4:
	v_mad_co_i64_i32 v[1:2], null, s16, v0, 0
	s_lshl_b64 s[2:3], s[6:7], 2
	s_lshl_b64 s[10:11], s[20:21], 2
	s_add_nc_u64 s[2:3], s[4:5], s[2:3]
	v_mov_b32_e32 v3, 0
	s_add_nc_u64 s[2:3], s[2:3], s[10:11]
	s_ashr_i32 s17, s16, 31
	v_lshlrev_b64_e32 v[1:2], 2, v[1:2]
	s_mov_b32 s9, 0
	s_delay_alu instid0(VALU_DEP_1) | instskip(NEXT) | instid1(VALU_DEP_1)
	v_add_co_u32 v1, vcc_lo, s2, v1
	v_add_co_ci_u32_e64 v2, null, s3, v2, vcc_lo
	s_wait_alu 0xfffe
	s_lshl_b64 s[2:3], s[16:17], 10
	s_branch .LBB483_6
.LBB483_5:                              ;   in Loop: Header=BB483_6 Depth=1
	s_or_b32 exec_lo, exec_lo, s10
	s_wait_alu 0xfffe
	v_add_co_u32 v1, vcc_lo, v1, s2
	s_wait_alu 0xfffd
	v_add_co_ci_u32_e64 v2, null, s3, v2, vcc_lo
	s_addk_co_i32 s9, 0x100
	s_wait_alu 0xfffe
	s_cmp_ge_i32 s9, s13
	s_cbranch_scc1 .LBB483_8
.LBB483_6:                              ; =>This Inner Loop Header: Depth=1
	v_add_nc_u32_e32 v4, s9, v0
	s_mov_b32 s10, exec_lo
	s_delay_alu instid0(VALU_DEP_1)
	v_cmpx_gt_i32_e64 s13, v4
	s_cbranch_execz .LBB483_5
; %bb.7:                                ;   in Loop: Header=BB483_6 Depth=1
	global_store_b32 v[1:2], v3, off
	s_branch .LBB483_5
.LBB483_8:
	s_cbranch_execz .LBB483_11
	s_branch .LBB483_16
.LBB483_9:
	s_branch .LBB483_17
.LBB483_10:
.LBB483_11:
	s_and_not1_b32 vcc_lo, exec_lo, s8
	s_wait_alu 0xfffe
	s_cbranch_vccnz .LBB483_16
; %bb.12:
	v_mad_co_i64_i32 v[1:2], null, s16, v0, 0
	s_lshl_b64 s[2:3], s[6:7], 2
	s_lshl_b64 s[8:9], s[20:21], 2
	s_wait_alu 0xfffe
	s_add_nc_u64 s[2:3], s[4:5], s[2:3]
	s_ashr_i32 s17, s16, 31
	s_wait_alu 0xfffe
	s_add_nc_u64 s[2:3], s[2:3], s[8:9]
	s_mov_b32 s8, 0
	v_lshlrev_b64_e32 v[1:2], 2, v[1:2]
	s_wait_alu 0xfffe
	s_delay_alu instid0(VALU_DEP_1) | instskip(SKIP_1) | instid1(VALU_DEP_2)
	v_add_co_u32 v1, vcc_lo, s2, v1
	s_wait_alu 0xfffd
	v_add_co_ci_u32_e64 v2, null, s3, v2, vcc_lo
	s_lshl_b64 s[2:3], s[16:17], 10
	s_branch .LBB483_14
.LBB483_13:                             ;   in Loop: Header=BB483_14 Depth=1
	s_wait_alu 0xfffe
	s_or_b32 exec_lo, exec_lo, s9
	v_add_co_u32 v1, vcc_lo, v1, s2
	s_wait_alu 0xfffd
	v_add_co_ci_u32_e64 v2, null, s3, v2, vcc_lo
	s_addk_co_i32 s8, 0x100
	s_wait_alu 0xfffe
	s_cmp_ge_i32 s8, s13
	s_cbranch_scc1 .LBB483_16
.LBB483_14:                             ; =>This Inner Loop Header: Depth=1
	v_add_nc_u32_e32 v3, s8, v0
	s_mov_b32 s9, exec_lo
	s_delay_alu instid0(VALU_DEP_1)
	v_cmpx_gt_i32_e64 s13, v3
	s_cbranch_execz .LBB483_13
; %bb.15:                               ;   in Loop: Header=BB483_14 Depth=1
	global_load_b32 v3, v[1:2], off
	s_wait_loadcnt 0x0
	v_mul_f32_e32 v3, s15, v3
	global_store_b32 v[1:2], v3, off
	s_branch .LBB483_13
.LBB483_16:
	s_cbranch_execnz .LBB483_34
.LBB483_17:
	s_clause 0x1
	s_load_b128 s[8:11], s[0:1], 0x30
	s_load_b64 s[2:3], s[0:1], 0x40
	s_mov_b32 s17, exec_lo
	v_cmpx_gt_i32_e64 s12, v0
	s_cbranch_execz .LBB483_19
; %bb.18:
	s_clause 0x1
	s_load_b32 s24, s[0:1], 0x48
	s_load_b64 s[22:23], s[0:1], 0x50
	s_wait_kmcnt 0x0
	s_lshl_b64 s[2:3], s[2:3], 1
	v_mad_co_i64_i32 v[1:2], null, s24, v0, 0
	s_mul_u64 s[22:23], s[22:23], s[18:19]
	s_delay_alu instid0(SALU_CYCLE_1) | instskip(NEXT) | instid1(SALU_CYCLE_1)
	s_lshl_b64 s[22:23], s[22:23], 1
	s_add_nc_u64 s[10:11], s[10:11], s[22:23]
	s_wait_alu 0xfffe
	s_add_nc_u64 s[2:3], s[10:11], s[2:3]
	v_lshlrev_b64_e32 v[1:2], 1, v[1:2]
	s_wait_alu 0xfffe
	s_delay_alu instid0(VALU_DEP_1) | instskip(SKIP_1) | instid1(VALU_DEP_2)
	v_add_co_u32 v1, vcc_lo, s2, v1
	s_wait_alu 0xfffd
	v_add_co_ci_u32_e64 v2, null, s3, v2, vcc_lo
	global_load_u16 v1, v[1:2], off
	v_lshlrev_b32_e32 v2, 2, v0
	s_wait_loadcnt 0x0
	v_cvt_f32_f16_e32 v1, v1
	s_delay_alu instid0(VALU_DEP_1)
	v_mul_f32_e32 v1, s14, v1
	ds_store_b32 v2, v1
.LBB483_19:
	s_wait_alu 0xfffe
	s_or_b32 exec_lo, exec_lo, s17
	s_cmp_lt_i32 s13, 1
	s_wait_storecnt_dscnt 0x0
	s_barrier_signal -1
	s_barrier_wait -1
	global_inv scope:SCOPE_SE
	s_cbranch_scc1 .LBB483_34
; %bb.20:
	s_load_b32 s22, s[0:1], 0x28
	s_wait_kmcnt 0x0
	s_load_b128 s[0:3], s[0:1], 0x18
	s_lshl_b64 s[10:11], s[20:21], 2
	s_lshl_b64 s[20:21], s[6:7], 2
	s_ashr_i32 s6, s16, 31
	s_add_nc_u64 s[24:25], s[4:5], s[10:11]
	s_mul_u64 s[18:19], s[8:9], s[18:19]
	s_mov_b32 s11, 0
	s_ashr_i32 s23, s22, 31
	s_cmp_neq_f32 s15, 0
	v_mad_co_i64_i32 v[1:2], null, s22, v0, 0
	s_cselect_b32 s4, -1, 0
	s_cmp_gt_i32 s12, 0
	s_cselect_b32 s5, -1, 0
	s_and_b32 s7, s12, 7
	s_cmp_gt_u32 s12, 7
	v_lshlrev_b64_e32 v[1:2], 1, v[1:2]
	s_cselect_b32 s8, -1, 0
	s_and_b32 s9, s12, 0x7ffffff8
	s_cmp_lg_u32 s7, 0
	s_cselect_b32 s10, -1, 0
	s_wait_kmcnt 0x0
	s_lshl_b64 s[2:3], s[2:3], 1
	s_lshl_b64 s[18:19], s[18:19], 1
	s_wait_alu 0xfffe
	s_add_nc_u64 s[0:1], s[0:1], s[2:3]
	s_lshl_b64 s[2:3], s[22:23], 9
	s_add_nc_u64 s[0:1], s[0:1], s[18:19]
	s_delay_alu instid0(SALU_CYCLE_1)
	v_add_co_u32 v7, vcc_lo, s0, v1
	s_wait_alu 0xfffd
	v_add_co_ci_u32_e64 v8, null, s1, v2, vcc_lo
	s_add_nc_u64 s[0:1], s[24:25], s[20:21]
	v_add_co_u32 v1, vcc_lo, v7, 14
	s_wait_alu 0xfffd
	v_add_co_ci_u32_e64 v2, null, 0, v8, vcc_lo
	s_branch .LBB483_23
.LBB483_21:                             ;   in Loop: Header=BB483_23 Depth=1
	v_add_co_u32 v3, vcc_lo, s0, v3
	s_wait_alu 0xfffd
	v_add_co_ci_u32_e64 v4, null, s1, v4, vcc_lo
	global_store_b32 v[3:4], v9, off
.LBB483_22:                             ;   in Loop: Header=BB483_23 Depth=1
	s_wait_alu 0xfffe
	s_or_b32 exec_lo, exec_lo, s12
	v_add_co_u32 v1, vcc_lo, v1, s2
	s_wait_alu 0xfffd
	v_add_co_ci_u32_e64 v2, null, s3, v2, vcc_lo
	v_add_co_u32 v7, vcc_lo, v7, s2
	s_wait_alu 0xfffd
	v_add_co_ci_u32_e64 v8, null, s3, v8, vcc_lo
	s_addk_co_i32 s11, 0x100
	s_wait_alu 0xfffe
	s_cmp_ge_i32 s11, s13
	s_cbranch_scc1 .LBB483_34
.LBB483_23:                             ; =>This Loop Header: Depth=1
                                        ;     Child Loop BB483_29 Depth 2
                                        ;     Child Loop BB483_33 Depth 2
	v_add_nc_u32_e32 v3, s11, v0
	s_mov_b32 s12, exec_lo
	s_delay_alu instid0(VALU_DEP_1)
	v_cmpx_gt_i32_e64 s13, v3
	s_cbranch_execz .LBB483_22
; %bb.24:                               ;   in Loop: Header=BB483_23 Depth=1
	v_mad_co_u64_u32 v[4:5], null, v3, s16, 0
	s_and_not1_b32 vcc_lo, exec_lo, s4
	v_mad_co_u64_u32 v[5:6], null, v3, s6, v[5:6]
	s_delay_alu instid0(VALU_DEP_1)
	v_lshlrev_b64_e32 v[3:4], 2, v[4:5]
	s_wait_alu 0xfffe
	s_cbranch_vccnz .LBB483_26
; %bb.25:                               ;   in Loop: Header=BB483_23 Depth=1
	s_delay_alu instid0(VALU_DEP_1) | instskip(SKIP_1) | instid1(VALU_DEP_2)
	v_add_co_u32 v5, vcc_lo, s0, v3
	s_wait_alu 0xfffd
	v_add_co_ci_u32_e64 v6, null, s1, v4, vcc_lo
	global_load_b32 v5, v[5:6], off
	s_wait_loadcnt 0x0
	v_mul_f32_e32 v9, s15, v5
	s_and_not1_b32 vcc_lo, exec_lo, s5
	s_wait_alu 0xfffe
	s_cbranch_vccz .LBB483_27
	s_branch .LBB483_21
.LBB483_26:                             ;   in Loop: Header=BB483_23 Depth=1
	v_mov_b32_e32 v9, 0
	s_and_not1_b32 vcc_lo, exec_lo, s5
	s_wait_alu 0xfffe
	s_cbranch_vccnz .LBB483_21
.LBB483_27:                             ;   in Loop: Header=BB483_23 Depth=1
	s_and_not1_b32 vcc_lo, exec_lo, s8
	s_mov_b32 s14, 0
	s_wait_alu 0xfffe
	s_cbranch_vccnz .LBB483_31
; %bb.28:                               ;   in Loop: Header=BB483_23 Depth=1
	v_dual_mov_b32 v6, v2 :: v_dual_mov_b32 v5, v1
	s_mov_b32 s17, 0
.LBB483_29:                             ;   Parent Loop BB483_23 Depth=1
                                        ; =>  This Inner Loop Header: Depth=2
	global_load_b128 v[10:13], v[5:6], off offset:-14
	v_mov_b32_e32 v18, s14
	v_add_co_u32 v5, vcc_lo, v5, 16
	s_wait_alu 0xfffd
	v_add_co_ci_u32_e64 v6, null, 0, v6, vcc_lo
	ds_load_b128 v[14:17], v18
	ds_load_b128 v[18:21], v18 offset:16
	s_wait_alu 0xfffe
	s_add_co_i32 s17, s17, 8
	s_add_co_i32 s14, s14, 32
	s_wait_alu 0xfffe
	s_cmp_eq_u32 s9, s17
	s_wait_loadcnt_dscnt 0x1
	v_fma_mix_f32 v9, v14, v10, v9 op_sel_hi:[0,1,0]
	s_delay_alu instid0(VALU_DEP_1) | instskip(NEXT) | instid1(VALU_DEP_1)
	v_fma_mix_f32 v9, v15, v10, v9 op_sel:[0,1,0] op_sel_hi:[0,1,0]
	v_fma_mix_f32 v9, v16, v11, v9 op_sel_hi:[0,1,0]
	s_delay_alu instid0(VALU_DEP_1) | instskip(SKIP_1) | instid1(VALU_DEP_1)
	v_fma_mix_f32 v9, v17, v11, v9 op_sel:[0,1,0] op_sel_hi:[0,1,0]
	s_wait_dscnt 0x0
	v_fma_mix_f32 v9, v18, v12, v9 op_sel_hi:[0,1,0]
	s_delay_alu instid0(VALU_DEP_1) | instskip(NEXT) | instid1(VALU_DEP_1)
	v_fma_mix_f32 v9, v19, v12, v9 op_sel:[0,1,0] op_sel_hi:[0,1,0]
	v_fma_mix_f32 v9, v20, v13, v9 op_sel_hi:[0,1,0]
	s_delay_alu instid0(VALU_DEP_1)
	v_fma_mix_f32 v9, v21, v13, v9 op_sel:[0,1,0] op_sel_hi:[0,1,0]
	s_cbranch_scc0 .LBB483_29
; %bb.30:                               ;   in Loop: Header=BB483_23 Depth=1
	s_mov_b32 s14, s9
.LBB483_31:                             ;   in Loop: Header=BB483_23 Depth=1
	s_and_not1_b32 vcc_lo, exec_lo, s10
	s_wait_alu 0xfffe
	s_cbranch_vccnz .LBB483_21
; %bb.32:                               ;   in Loop: Header=BB483_23 Depth=1
	s_lshl_b32 s17, s14, 1
	s_lshl_b32 s14, s14, 2
	s_wait_alu 0xfffe
	v_add_co_u32 v5, vcc_lo, v7, s17
	s_wait_alu 0xfffd
	v_add_co_ci_u32_e64 v6, null, 0, v8, vcc_lo
	s_mov_b32 s17, s7
.LBB483_33:                             ;   Parent Loop BB483_23 Depth=1
                                        ; =>  This Inner Loop Header: Depth=2
	global_load_u16 v10, v[5:6], off
	v_mov_b32_e32 v11, s14
	v_add_co_u32 v5, vcc_lo, v5, 2
	s_wait_alu 0xfffd
	v_add_co_ci_u32_e64 v6, null, 0, v6, vcc_lo
	ds_load_b32 v11, v11
	s_wait_alu 0xfffe
	s_add_co_i32 s17, s17, -1
	s_add_co_i32 s14, s14, 4
	s_wait_alu 0xfffe
	s_cmp_lg_u32 s17, 0
	s_wait_loadcnt_dscnt 0x0
	v_fma_mix_f32 v9, v11, v10, v9 op_sel_hi:[0,1,0]
	s_cbranch_scc1 .LBB483_33
	s_branch .LBB483_21
.LBB483_34:
	s_endpgm
	.section	.rodata,"a",@progbits
	.p2align	6, 0x0
	.amdhsa_kernel _ZL22rocblas_gemvtsm_kernelILb0ELi256EDF16_ffEviiT2_lPKT1_lilS3_lilS0_lPT3_lil
		.amdhsa_group_segment_fixed_size 256
		.amdhsa_private_segment_fixed_size 0
		.amdhsa_kernarg_size 136
		.amdhsa_user_sgpr_count 2
		.amdhsa_user_sgpr_dispatch_ptr 0
		.amdhsa_user_sgpr_queue_ptr 0
		.amdhsa_user_sgpr_kernarg_segment_ptr 1
		.amdhsa_user_sgpr_dispatch_id 0
		.amdhsa_user_sgpr_private_segment_size 0
		.amdhsa_wavefront_size32 1
		.amdhsa_uses_dynamic_stack 0
		.amdhsa_enable_private_segment 0
		.amdhsa_system_sgpr_workgroup_id_x 1
		.amdhsa_system_sgpr_workgroup_id_y 0
		.amdhsa_system_sgpr_workgroup_id_z 0
		.amdhsa_system_sgpr_workgroup_info 0
		.amdhsa_system_vgpr_workitem_id 0
		.amdhsa_next_free_vgpr 22
		.amdhsa_next_free_sgpr 26
		.amdhsa_reserve_vcc 1
		.amdhsa_float_round_mode_32 0
		.amdhsa_float_round_mode_16_64 0
		.amdhsa_float_denorm_mode_32 3
		.amdhsa_float_denorm_mode_16_64 3
		.amdhsa_fp16_overflow 0
		.amdhsa_workgroup_processor_mode 1
		.amdhsa_memory_ordered 1
		.amdhsa_forward_progress 1
		.amdhsa_inst_pref_size 12
		.amdhsa_round_robin_scheduling 0
		.amdhsa_exception_fp_ieee_invalid_op 0
		.amdhsa_exception_fp_denorm_src 0
		.amdhsa_exception_fp_ieee_div_zero 0
		.amdhsa_exception_fp_ieee_overflow 0
		.amdhsa_exception_fp_ieee_underflow 0
		.amdhsa_exception_fp_ieee_inexact 0
		.amdhsa_exception_int_div_zero 0
	.end_amdhsa_kernel
	.section	.text._ZL22rocblas_gemvtsm_kernelILb0ELi256EDF16_ffEviiT2_lPKT1_lilS3_lilS0_lPT3_lil,"axG",@progbits,_ZL22rocblas_gemvtsm_kernelILb0ELi256EDF16_ffEviiT2_lPKT1_lilS3_lilS0_lPT3_lil,comdat
.Lfunc_end483:
	.size	_ZL22rocblas_gemvtsm_kernelILb0ELi256EDF16_ffEviiT2_lPKT1_lilS3_lilS0_lPT3_lil, .Lfunc_end483-_ZL22rocblas_gemvtsm_kernelILb0ELi256EDF16_ffEviiT2_lPKT1_lilS3_lilS0_lPT3_lil
                                        ; -- End function
	.set _ZL22rocblas_gemvtsm_kernelILb0ELi256EDF16_ffEviiT2_lPKT1_lilS3_lilS0_lPT3_lil.num_vgpr, 22
	.set _ZL22rocblas_gemvtsm_kernelILb0ELi256EDF16_ffEviiT2_lPKT1_lilS3_lilS0_lPT3_lil.num_agpr, 0
	.set _ZL22rocblas_gemvtsm_kernelILb0ELi256EDF16_ffEviiT2_lPKT1_lilS3_lilS0_lPT3_lil.numbered_sgpr, 26
	.set _ZL22rocblas_gemvtsm_kernelILb0ELi256EDF16_ffEviiT2_lPKT1_lilS3_lilS0_lPT3_lil.num_named_barrier, 0
	.set _ZL22rocblas_gemvtsm_kernelILb0ELi256EDF16_ffEviiT2_lPKT1_lilS3_lilS0_lPT3_lil.private_seg_size, 0
	.set _ZL22rocblas_gemvtsm_kernelILb0ELi256EDF16_ffEviiT2_lPKT1_lilS3_lilS0_lPT3_lil.uses_vcc, 1
	.set _ZL22rocblas_gemvtsm_kernelILb0ELi256EDF16_ffEviiT2_lPKT1_lilS3_lilS0_lPT3_lil.uses_flat_scratch, 0
	.set _ZL22rocblas_gemvtsm_kernelILb0ELi256EDF16_ffEviiT2_lPKT1_lilS3_lilS0_lPT3_lil.has_dyn_sized_stack, 0
	.set _ZL22rocblas_gemvtsm_kernelILb0ELi256EDF16_ffEviiT2_lPKT1_lilS3_lilS0_lPT3_lil.has_recursion, 0
	.set _ZL22rocblas_gemvtsm_kernelILb0ELi256EDF16_ffEviiT2_lPKT1_lilS3_lilS0_lPT3_lil.has_indirect_call, 0
	.section	.AMDGPU.csdata,"",@progbits
; Kernel info:
; codeLenInByte = 1472
; TotalNumSgprs: 28
; NumVgprs: 22
; ScratchSize: 0
; MemoryBound: 0
; FloatMode: 240
; IeeeMode: 1
; LDSByteSize: 256 bytes/workgroup (compile time only)
; SGPRBlocks: 0
; VGPRBlocks: 2
; NumSGPRsForWavesPerEU: 28
; NumVGPRsForWavesPerEU: 22
; Occupancy: 16
; WaveLimiterHint : 1
; COMPUTE_PGM_RSRC2:SCRATCH_EN: 0
; COMPUTE_PGM_RSRC2:USER_SGPR: 2
; COMPUTE_PGM_RSRC2:TRAP_HANDLER: 0
; COMPUTE_PGM_RSRC2:TGID_X_EN: 1
; COMPUTE_PGM_RSRC2:TGID_Y_EN: 0
; COMPUTE_PGM_RSRC2:TGID_Z_EN: 0
; COMPUTE_PGM_RSRC2:TIDIG_COMP_CNT: 0
	.section	.text._ZL23rocblas_gemvt_sn_reduceILi256ELi8EfPKffEviT2_lPT3_lilPT1_i,"axG",@progbits,_ZL23rocblas_gemvt_sn_reduceILi256ELi8EfPKffEviT2_lPT3_lilPT1_i,comdat
	.globl	_ZL23rocblas_gemvt_sn_reduceILi256ELi8EfPKffEviT2_lPT3_lilPT1_i ; -- Begin function _ZL23rocblas_gemvt_sn_reduceILi256ELi8EfPKffEviT2_lPT3_lilPT1_i
	.p2align	8
	.type	_ZL23rocblas_gemvt_sn_reduceILi256ELi8EfPKffEviT2_lPT3_lilPT1_i,@function
_ZL23rocblas_gemvt_sn_reduceILi256ELi8EfPKffEviT2_lPT3_lilPT1_i: ; @_ZL23rocblas_gemvt_sn_reduceILi256ELi8EfPKffEviT2_lPT3_lilPT1_i
; %bb.0:
	s_load_b32 s28, s[0:1], 0x40
	s_lshr_b32 s20, ttmp7, 16
	s_wait_kmcnt 0x0
	s_cmp_ge_u32 s20, s28
	s_cbranch_scc1 .LBB484_21
; %bb.1:
	s_clause 0x5
	s_load_b32 s22, s[0:1], 0x0
	s_load_b32 s29, s[0:1], 0x4c
	;; [unrolled: 1-line block ×4, first 2 shown]
	s_load_b256 s[8:15], s[0:1], 0x8
	s_load_b128 s[16:19], s[0:1], 0x30
	v_mbcnt_lo_u32_b32 v4, -1, 0
	v_and_b32_e32 v3, 31, v0
	v_dual_mov_b32 v2, 0 :: v_dual_lshlrev_b32 v7, 3, v0
	v_cmp_gt_u32_e64 s0, 32, v0
	s_delay_alu instid0(VALU_DEP_4) | instskip(NEXT) | instid1(VALU_DEP_4)
	v_cmp_gt_u32_e32 vcc_lo, 24, v4
	v_lshlrev_b32_e32 v8, 2, v3
	v_cmp_eq_u32_e64 s5, 0, v0
	v_lshl_or_b32 v9, v4, 2, 64
	s_mov_b32 s21, 0
	v_cndmask_b32_e64 v5, 0, 8, vcc_lo
	v_cmp_gt_u32_e32 vcc_lo, 28, v4
	s_and_b32 s24, ttmp7, 0xffff
	s_mov_b32 s25, s21
	s_wait_kmcnt 0x0
	s_ashr_i32 s23, s22, 31
	v_xad_u32 v1, v0, -1, s22
	s_lshr_b32 s1, s23, 29
	s_wait_alu 0xfffd
	v_cndmask_b32_e64 v6, 0, 4, vcc_lo
	v_cmp_gt_u32_e32 vcc_lo, 30, v4
	s_lshl_b64 s[2:3], s[14:15], 2
	s_add_co_i32 s1, s22, s1
	s_add_nc_u64 s[12:13], s[12:13], s[2:3]
	v_cmp_eq_u32_e64 s3, 0, v3
	v_lshlrev_b32_e32 v3, 5, v0
	s_and_b32 s30, s1, -8
	s_wait_alu 0xfffd
	v_cndmask_b32_e64 v12, 0, 2, vcc_lo
	v_cmp_ne_u32_e32 vcc_lo, 31, v4
	s_sub_co_i32 s2, s22, s30
	s_and_b32 s26, s4, 0xffff
	v_cmp_gt_u32_e64 s2, s2, v0
	v_add_lshl_u32 v10, v5, v4, 2
	v_lshrrev_b32_e32 v5, 3, v0
	v_cmp_gt_u32_e64 s4, 8, v0
	v_add_co_u32 v0, s14, s18, v3
	s_wait_alu 0xfffd
	v_add_co_ci_u32_e64 v13, null, 0, v4, vcc_lo
	v_add_lshl_u32 v11, v6, v4, 2
	v_add_lshl_u32 v12, v12, v4, 2
	v_add_co_ci_u32_e64 v4, null, s19, 0, s14
	v_add_co_u32 v3, vcc_lo, v0, 28
	s_ashr_i32 s7, s6, 31
	v_lshlrev_b64_e32 v[0:1], 2, v[1:2]
	v_cmp_gt_i32_e64 s1, s30, v7
	v_lshlrev_b32_e32 v13, 2, v13
	v_and_b32_e32 v14, 28, v5
	s_wait_alu 0xfffd
	v_add_co_ci_u32_e64 v4, null, 0, v4, vcc_lo
	s_mul_u64 s[6:7], s[6:7], s[24:25]
	s_mul_i32 s25, s20, s29
	s_lshl_b32 s31, s26, 3
	s_lshl_b64 s[14:15], s[22:23], 2
	s_add_co_i32 s25, s24, s25
	s_lshl_b32 s33, s29, 16
	s_lshl_b32 s34, s26, 5
	s_lshl_b64 s[26:27], s[6:7], 2
	s_branch .LBB484_4
.LBB484_2:                              ;   in Loop: Header=BB484_4 Depth=1
	s_wait_dscnt 0x0
	global_store_b32 v2, v5, s[6:7]
.LBB484_3:                              ;   in Loop: Header=BB484_4 Depth=1
	s_wait_alu 0xfffe
	s_or_b32 exec_lo, exec_lo, s35
	s_add_co_i32 s20, s20, 0x10000
	s_add_co_i32 s25, s25, s33
	s_cmp_lt_u32 s20, s28
	s_cbranch_scc0 .LBB484_21
.LBB484_4:                              ; =>This Loop Header: Depth=1
                                        ;     Child Loop BB484_14 Depth 2
	s_mul_u64 s[6:7], s[10:11], s[20:21]
	v_mov_b32_e32 v16, 0
	s_lshl_b64 s[6:7], s[6:7], 2
	s_delay_alu instid0(SALU_CYCLE_1)
	s_add_nc_u64 s[6:7], s[8:9], s[6:7]
	global_load_b32 v15, v2, s[6:7]
	s_and_saveexec_b32 s7, s1
	s_cbranch_execnz .LBB484_13
; %bb.5:                                ;   in Loop: Header=BB484_4 Depth=1
	s_or_b32 exec_lo, exec_lo, s7
	s_and_saveexec_b32 s6, s2
	s_cbranch_execnz .LBB484_16
.LBB484_6:                              ;   in Loop: Header=BB484_4 Depth=1
	s_or_b32 exec_lo, exec_lo, s6
	s_and_saveexec_b32 s6, s0
.LBB484_7:                              ;   in Loop: Header=BB484_4 Depth=1
	ds_store_b32 v8, v2
.LBB484_8:                              ;   in Loop: Header=BB484_4 Depth=1
	s_or_b32 exec_lo, exec_lo, s6
	s_wait_dscnt 0x0
	ds_bpermute_b32 v5, v9, v16
	s_wait_loadcnt_dscnt 0x0
	s_barrier_signal -1
	s_barrier_wait -1
	global_inv scope:SCOPE_SE
	v_add_f32_e32 v5, v16, v5
	ds_bpermute_b32 v6, v10, v5
	s_wait_dscnt 0x0
	v_add_f32_e32 v5, v5, v6
	ds_bpermute_b32 v6, v11, v5
	s_wait_dscnt 0x0
	;; [unrolled: 3-line block ×3, first 2 shown]
	v_add_f32_e32 v5, v5, v6
	ds_bpermute_b32 v6, v13, v5
	s_and_saveexec_b32 s6, s3
	s_cbranch_execz .LBB484_10
; %bb.9:                                ;   in Loop: Header=BB484_4 Depth=1
	s_wait_dscnt 0x0
	v_add_f32_e32 v5, v5, v6
	ds_store_b32 v14, v5
.LBB484_10:                             ;   in Loop: Header=BB484_4 Depth=1
	s_or_b32 exec_lo, exec_lo, s6
	v_mov_b32_e32 v5, 0
	s_wait_loadcnt_dscnt 0x0
	s_barrier_signal -1
	s_barrier_wait -1
	global_inv scope:SCOPE_SE
	s_and_saveexec_b32 s6, s4
	s_cbranch_execnz .LBB484_17
; %bb.11:                               ;   in Loop: Header=BB484_4 Depth=1
	s_or_b32 exec_lo, exec_lo, s6
	s_and_saveexec_b32 s6, s0
	s_cbranch_execnz .LBB484_18
.LBB484_12:                             ;   in Loop: Header=BB484_4 Depth=1
	s_or_b32 exec_lo, exec_lo, s6
	s_and_saveexec_b32 s35, s5
	s_cbranch_execz .LBB484_3
	s_branch .LBB484_19
.LBB484_13:                             ;   in Loop: Header=BB484_4 Depth=1
	s_wait_dscnt 0x0
	s_wait_alu 0xfffe
	v_mad_co_u64_u32 v[5:6], null, s14, s25, v[3:4]
	v_mov_b32_e32 v16, 0
	s_mov_b32 s35, 0
	s_delay_alu instid0(VALU_DEP_2) | instskip(NEXT) | instid1(VALU_DEP_1)
	v_mad_co_u64_u32 v[17:18], null, s15, s25, v[6:7]
	v_dual_mov_b32 v6, v17 :: v_dual_mov_b32 v17, v7
.LBB484_14:                             ;   Parent Loop BB484_4 Depth=1
                                        ; =>  This Inner Loop Header: Depth=2
	s_clause 0x1
	global_load_b128 v[18:21], v[5:6], off offset:-28
	global_load_b128 v[22:25], v[5:6], off offset:-12
	v_add_co_u32 v5, vcc_lo, v5, s34
	s_wait_alu 0xfffd
	v_add_co_ci_u32_e64 v6, null, 0, v6, vcc_lo
	v_add_nc_u32_e32 v17, s31, v17
	s_delay_alu instid0(VALU_DEP_1) | instskip(SKIP_4) | instid1(VALU_DEP_1)
	v_cmp_le_i32_e64 s6, s30, v17
	s_wait_alu 0xfffe
	s_or_b32 s35, s6, s35
	s_wait_loadcnt 0x1
	v_add_f32_e32 v16, v16, v18
	v_add_f32_e32 v16, v16, v19
	s_delay_alu instid0(VALU_DEP_1) | instskip(NEXT) | instid1(VALU_DEP_1)
	v_add_f32_e32 v16, v16, v20
	v_add_f32_e32 v16, v16, v21
	s_wait_loadcnt 0x0
	s_delay_alu instid0(VALU_DEP_1) | instskip(NEXT) | instid1(VALU_DEP_1)
	v_add_f32_e32 v16, v16, v22
	v_add_f32_e32 v16, v16, v23
	s_delay_alu instid0(VALU_DEP_1) | instskip(NEXT) | instid1(VALU_DEP_1)
	v_add_f32_e32 v16, v16, v24
	v_add_f32_e32 v16, v16, v25
	s_wait_alu 0xfffe
	s_and_not1_b32 exec_lo, exec_lo, s35
	s_cbranch_execnz .LBB484_14
; %bb.15:                               ;   in Loop: Header=BB484_4 Depth=1
	s_or_b32 exec_lo, exec_lo, s35
	s_delay_alu instid0(SALU_CYCLE_1)
	s_or_b32 exec_lo, exec_lo, s7
	s_and_saveexec_b32 s6, s2
	s_cbranch_execz .LBB484_6
.LBB484_16:                             ;   in Loop: Header=BB484_4 Depth=1
	s_mul_i32 s7, s29, s20
	s_mov_b32 s37, s21
	s_add_co_i32 s36, s7, s24
	s_wait_alu 0xfffe
	s_mul_u64 s[36:37], s[36:37], s[22:23]
	s_wait_alu 0xfffe
	s_lshl_b64 s[36:37], s[36:37], 2
	s_wait_alu 0xfffe
	s_add_nc_u64 s[36:37], s[18:19], s[36:37]
	s_wait_dscnt 0x0
	s_wait_alu 0xfffe
	v_add_co_u32 v5, vcc_lo, s36, v0
	s_wait_alu 0xfffd
	v_add_co_ci_u32_e64 v6, null, s37, v1, vcc_lo
	global_load_b32 v5, v[5:6], off
	s_wait_loadcnt 0x0
	v_add_f32_e32 v16, v16, v5
	s_or_b32 exec_lo, exec_lo, s6
	s_and_saveexec_b32 s6, s0
	s_cbranch_execnz .LBB484_7
	s_branch .LBB484_8
.LBB484_17:                             ;   in Loop: Header=BB484_4 Depth=1
	ds_load_b32 v5, v8
	s_or_b32 exec_lo, exec_lo, s6
	s_and_saveexec_b32 s6, s0
	s_cbranch_execz .LBB484_12
.LBB484_18:                             ;   in Loop: Header=BB484_4 Depth=1
	s_wait_dscnt 0x0
	ds_bpermute_b32 v6, v11, v5
	s_wait_dscnt 0x0
	v_add_f32_e32 v5, v5, v6
	ds_bpermute_b32 v6, v12, v5
	s_wait_dscnt 0x0
	v_add_f32_e32 v5, v5, v6
	;; [unrolled: 3-line block ×3, first 2 shown]
	s_or_b32 exec_lo, exec_lo, s6
	s_and_saveexec_b32 s35, s5
	s_cbranch_execz .LBB484_3
.LBB484_19:                             ;   in Loop: Header=BB484_4 Depth=1
	s_mul_u64 s[6:7], s[16:17], s[20:21]
	v_cmp_eq_f32_e32 vcc_lo, 0, v15
	s_lshl_b64 s[6:7], s[6:7], 2
	s_delay_alu instid0(SALU_CYCLE_1) | instskip(NEXT) | instid1(SALU_CYCLE_1)
	s_add_nc_u64 s[6:7], s[12:13], s[6:7]
	s_add_nc_u64 s[6:7], s[6:7], s[26:27]
	s_cbranch_vccnz .LBB484_2
; %bb.20:                               ;   in Loop: Header=BB484_4 Depth=1
	global_load_b32 v6, v2, s[6:7]
	s_wait_loadcnt_dscnt 0x0
	v_fmac_f32_e32 v5, v15, v6
	s_branch .LBB484_2
.LBB484_21:
	s_endpgm
	.section	.rodata,"a",@progbits
	.p2align	6, 0x0
	.amdhsa_kernel _ZL23rocblas_gemvt_sn_reduceILi256ELi8EfPKffEviT2_lPT3_lilPT1_i
		.amdhsa_group_segment_fixed_size 128
		.amdhsa_private_segment_fixed_size 0
		.amdhsa_kernarg_size 328
		.amdhsa_user_sgpr_count 2
		.amdhsa_user_sgpr_dispatch_ptr 0
		.amdhsa_user_sgpr_queue_ptr 0
		.amdhsa_user_sgpr_kernarg_segment_ptr 1
		.amdhsa_user_sgpr_dispatch_id 0
		.amdhsa_user_sgpr_private_segment_size 0
		.amdhsa_wavefront_size32 1
		.amdhsa_uses_dynamic_stack 0
		.amdhsa_enable_private_segment 0
		.amdhsa_system_sgpr_workgroup_id_x 1
		.amdhsa_system_sgpr_workgroup_id_y 1
		.amdhsa_system_sgpr_workgroup_id_z 1
		.amdhsa_system_sgpr_workgroup_info 0
		.amdhsa_system_vgpr_workitem_id 0
		.amdhsa_next_free_vgpr 26
		.amdhsa_next_free_sgpr 38
		.amdhsa_reserve_vcc 1
		.amdhsa_float_round_mode_32 0
		.amdhsa_float_round_mode_16_64 0
		.amdhsa_float_denorm_mode_32 3
		.amdhsa_float_denorm_mode_16_64 3
		.amdhsa_fp16_overflow 0
		.amdhsa_workgroup_processor_mode 1
		.amdhsa_memory_ordered 1
		.amdhsa_forward_progress 1
		.amdhsa_inst_pref_size 9
		.amdhsa_round_robin_scheduling 0
		.amdhsa_exception_fp_ieee_invalid_op 0
		.amdhsa_exception_fp_denorm_src 0
		.amdhsa_exception_fp_ieee_div_zero 0
		.amdhsa_exception_fp_ieee_overflow 0
		.amdhsa_exception_fp_ieee_underflow 0
		.amdhsa_exception_fp_ieee_inexact 0
		.amdhsa_exception_int_div_zero 0
	.end_amdhsa_kernel
	.section	.text._ZL23rocblas_gemvt_sn_reduceILi256ELi8EfPKffEviT2_lPT3_lilPT1_i,"axG",@progbits,_ZL23rocblas_gemvt_sn_reduceILi256ELi8EfPKffEviT2_lPT3_lilPT1_i,comdat
.Lfunc_end484:
	.size	_ZL23rocblas_gemvt_sn_reduceILi256ELi8EfPKffEviT2_lPT3_lilPT1_i, .Lfunc_end484-_ZL23rocblas_gemvt_sn_reduceILi256ELi8EfPKffEviT2_lPT3_lilPT1_i
                                        ; -- End function
	.set _ZL23rocblas_gemvt_sn_reduceILi256ELi8EfPKffEviT2_lPT3_lilPT1_i.num_vgpr, 26
	.set _ZL23rocblas_gemvt_sn_reduceILi256ELi8EfPKffEviT2_lPT3_lilPT1_i.num_agpr, 0
	.set _ZL23rocblas_gemvt_sn_reduceILi256ELi8EfPKffEviT2_lPT3_lilPT1_i.numbered_sgpr, 38
	.set _ZL23rocblas_gemvt_sn_reduceILi256ELi8EfPKffEviT2_lPT3_lilPT1_i.num_named_barrier, 0
	.set _ZL23rocblas_gemvt_sn_reduceILi256ELi8EfPKffEviT2_lPT3_lilPT1_i.private_seg_size, 0
	.set _ZL23rocblas_gemvt_sn_reduceILi256ELi8EfPKffEviT2_lPT3_lilPT1_i.uses_vcc, 1
	.set _ZL23rocblas_gemvt_sn_reduceILi256ELi8EfPKffEviT2_lPT3_lilPT1_i.uses_flat_scratch, 0
	.set _ZL23rocblas_gemvt_sn_reduceILi256ELi8EfPKffEviT2_lPT3_lilPT1_i.has_dyn_sized_stack, 0
	.set _ZL23rocblas_gemvt_sn_reduceILi256ELi8EfPKffEviT2_lPT3_lilPT1_i.has_recursion, 0
	.set _ZL23rocblas_gemvt_sn_reduceILi256ELi8EfPKffEviT2_lPT3_lilPT1_i.has_indirect_call, 0
	.section	.AMDGPU.csdata,"",@progbits
; Kernel info:
; codeLenInByte = 1148
; TotalNumSgprs: 40
; NumVgprs: 26
; ScratchSize: 0
; MemoryBound: 0
; FloatMode: 240
; IeeeMode: 1
; LDSByteSize: 128 bytes/workgroup (compile time only)
; SGPRBlocks: 0
; VGPRBlocks: 3
; NumSGPRsForWavesPerEU: 40
; NumVGPRsForWavesPerEU: 26
; Occupancy: 16
; WaveLimiterHint : 0
; COMPUTE_PGM_RSRC2:SCRATCH_EN: 0
; COMPUTE_PGM_RSRC2:USER_SGPR: 2
; COMPUTE_PGM_RSRC2:TRAP_HANDLER: 0
; COMPUTE_PGM_RSRC2:TGID_X_EN: 1
; COMPUTE_PGM_RSRC2:TGID_Y_EN: 1
; COMPUTE_PGM_RSRC2:TGID_Z_EN: 1
; COMPUTE_PGM_RSRC2:TIDIG_COMP_CNT: 0
	.section	.text._ZL23rocblas_gemvt_sn_reduceILi256ELi8EfffEviT2_lPT3_lilPT1_i,"axG",@progbits,_ZL23rocblas_gemvt_sn_reduceILi256ELi8EfffEviT2_lPT3_lilPT1_i,comdat
	.globl	_ZL23rocblas_gemvt_sn_reduceILi256ELi8EfffEviT2_lPT3_lilPT1_i ; -- Begin function _ZL23rocblas_gemvt_sn_reduceILi256ELi8EfffEviT2_lPT3_lilPT1_i
	.p2align	8
	.type	_ZL23rocblas_gemvt_sn_reduceILi256ELi8EfffEviT2_lPT3_lilPT1_i,@function
_ZL23rocblas_gemvt_sn_reduceILi256ELi8EfffEviT2_lPT3_lilPT1_i: ; @_ZL23rocblas_gemvt_sn_reduceILi256ELi8EfffEviT2_lPT3_lilPT1_i
; %bb.0:
	s_load_b32 s26, s[0:1], 0x38
	s_lshr_b32 s12, ttmp7, 16
	s_wait_kmcnt 0x0
	s_cmp_ge_u32 s12, s26
	s_cbranch_scc1 .LBB485_21
; %bb.1:
	s_clause 0x5
	s_load_b32 s27, s[0:1], 0x44
	s_load_b32 s4, s[0:1], 0x4c
	;; [unrolled: 1-line block ×3, first 2 shown]
	s_load_b128 s[20:23], s[0:1], 0x10
	s_load_b64 s[6:7], s[0:1], 0x0
	s_load_b128 s[8:11], s[0:1], 0x28
	v_mbcnt_lo_u32_b32 v4, -1, 0
	v_and_b32_e32 v3, 31, v0
	v_dual_mov_b32 v2, 0 :: v_dual_lshlrev_b32 v7, 3, v0
	v_cmp_gt_u32_e64 s0, 32, v0
	s_delay_alu instid0(VALU_DEP_4) | instskip(NEXT) | instid1(VALU_DEP_4)
	v_cmp_gt_u32_e32 vcc_lo, 24, v4
	v_lshlrev_b32_e32 v8, 2, v3
	v_cmp_eq_u32_e64 s5, 0, v0
	v_lshl_or_b32 v9, v4, 2, 64
	s_mov_b32 s13, 0
	v_cndmask_b32_e64 v5, 0, 8, vcc_lo
	v_cmp_gt_u32_e32 vcc_lo, 28, v4
	s_and_b32 s14, ttmp7, 0xffff
	s_mov_b32 s15, s13
	s_delay_alu instid0(VALU_DEP_2)
	v_add_lshl_u32 v10, v5, v4, 2
	s_wait_alu 0xfffd
	v_cndmask_b32_e64 v6, 0, 4, vcc_lo
	v_cmp_gt_u32_e32 vcc_lo, 30, v4
	s_wait_kmcnt 0x0
	s_ashr_i32 s17, s6, 31
	s_lshl_b64 s[2:3], s[22:23], 2
	s_lshr_b32 s1, s17, 29
	s_add_nc_u64 s[18:19], s[20:21], s[2:3]
	s_add_co_i32 s1, s6, s1
	v_cmp_eq_u32_e64 s3, 0, v3
	v_lshlrev_b32_e32 v3, 5, v0
	s_and_b32 s28, s1, -8
	s_wait_alu 0xfffd
	v_cndmask_b32_e64 v12, 0, 2, vcc_lo
	v_cmp_ne_u32_e32 vcc_lo, 31, v4
	s_sub_co_i32 s2, s6, s28
	s_mov_b32 s16, s6
	s_and_b32 s33, s4, 0xffff
	v_xad_u32 v1, v0, -1, s6
	v_cmp_gt_u32_e64 s2, s2, v0
	v_lshrrev_b32_e32 v5, 3, v0
	v_cmp_gt_u32_e64 s4, 8, v0
	v_add_co_u32 v0, s6, s10, v3
	s_wait_alu 0xfffd
	v_add_co_ci_u32_e64 v13, null, 0, v4, vcc_lo
	v_add_lshl_u32 v11, v6, v4, 2
	v_add_lshl_u32 v12, v12, v4, 2
	s_wait_alu 0xf1ff
	v_add_co_ci_u32_e64 v4, null, s11, 0, s6
	s_ashr_i32 s25, s24, 31
	s_lshl_b32 s29, s33, 3
	v_add_co_u32 v3, vcc_lo, v0, 28
	s_cmp_neq_f32 s7, 0
	v_lshlrev_b64_e32 v[0:1], 2, v[1:2]
	v_cmp_gt_i32_e64 s1, s28, v7
	v_lshlrev_b32_e32 v13, 2, v13
	v_and_b32_e32 v14, 28, v5
	s_wait_alu 0xfffd
	v_add_co_ci_u32_e64 v4, null, 0, v4, vcc_lo
	s_mul_u64 s[22:23], s[24:25], s[14:15]
	s_mul_i32 s6, s12, s27
	s_cselect_b32 s30, -1, 0
	s_lshl_b64 s[20:21], s[16:17], 2
	s_wait_alu 0xfffe
	s_add_co_i32 s15, s14, s6
	s_lshl_b32 s31, s27, 16
	s_lshl_b32 s33, s33, 5
	s_lshl_b64 s[22:23], s[22:23], 2
	s_branch .LBB485_4
.LBB485_2:                              ;   in Loop: Header=BB485_4 Depth=1
	s_wait_dscnt 0x0
	global_store_b32 v2, v5, s[24:25]
.LBB485_3:                              ;   in Loop: Header=BB485_4 Depth=1
	s_wait_alu 0xfffe
	s_or_b32 exec_lo, exec_lo, s6
	s_add_co_i32 s12, s12, 0x10000
	s_add_co_i32 s15, s15, s31
	s_cmp_lt_u32 s12, s26
	s_cbranch_scc0 .LBB485_21
.LBB485_4:                              ; =>This Loop Header: Depth=1
                                        ;     Child Loop BB485_14 Depth 2
	v_mov_b32_e32 v15, 0
	s_and_saveexec_b32 s24, s1
	s_cbranch_execnz .LBB485_13
; %bb.5:                                ;   in Loop: Header=BB485_4 Depth=1
	s_wait_alu 0xfffe
	s_or_b32 exec_lo, exec_lo, s24
	s_and_saveexec_b32 s6, s2
	s_cbranch_execnz .LBB485_16
.LBB485_6:                              ;   in Loop: Header=BB485_4 Depth=1
	s_wait_alu 0xfffe
	s_or_b32 exec_lo, exec_lo, s6
	s_and_saveexec_b32 s6, s0
.LBB485_7:                              ;   in Loop: Header=BB485_4 Depth=1
	ds_store_b32 v8, v2
.LBB485_8:                              ;   in Loop: Header=BB485_4 Depth=1
	s_wait_alu 0xfffe
	s_or_b32 exec_lo, exec_lo, s6
	s_wait_dscnt 0x0
	ds_bpermute_b32 v5, v9, v15
	s_wait_dscnt 0x0
	s_barrier_signal -1
	s_barrier_wait -1
	global_inv scope:SCOPE_SE
	v_add_f32_e32 v5, v15, v5
	ds_bpermute_b32 v6, v10, v5
	s_wait_dscnt 0x0
	v_add_f32_e32 v5, v5, v6
	ds_bpermute_b32 v6, v11, v5
	s_wait_dscnt 0x0
	;; [unrolled: 3-line block ×3, first 2 shown]
	v_add_f32_e32 v5, v5, v6
	ds_bpermute_b32 v6, v13, v5
	s_and_saveexec_b32 s6, s3
	s_cbranch_execz .LBB485_10
; %bb.9:                                ;   in Loop: Header=BB485_4 Depth=1
	s_wait_dscnt 0x0
	v_add_f32_e32 v5, v5, v6
	ds_store_b32 v14, v5
.LBB485_10:                             ;   in Loop: Header=BB485_4 Depth=1
	s_wait_alu 0xfffe
	s_or_b32 exec_lo, exec_lo, s6
	v_mov_b32_e32 v5, 0
	s_wait_loadcnt_dscnt 0x0
	s_barrier_signal -1
	s_barrier_wait -1
	global_inv scope:SCOPE_SE
	s_and_saveexec_b32 s6, s4
	s_cbranch_execnz .LBB485_17
; %bb.11:                               ;   in Loop: Header=BB485_4 Depth=1
	s_wait_alu 0xfffe
	s_or_b32 exec_lo, exec_lo, s6
	s_and_saveexec_b32 s6, s0
	s_cbranch_execnz .LBB485_18
.LBB485_12:                             ;   in Loop: Header=BB485_4 Depth=1
	s_wait_alu 0xfffe
	s_or_b32 exec_lo, exec_lo, s6
	s_and_saveexec_b32 s6, s5
	s_cbranch_execz .LBB485_3
	s_branch .LBB485_19
.LBB485_13:                             ;   in Loop: Header=BB485_4 Depth=1
	s_wait_dscnt 0x0
	s_wait_alu 0xfffe
	v_mad_co_u64_u32 v[5:6], null, s20, s15, v[3:4]
	s_mov_b32 s25, 0
	v_mad_co_u64_u32 v[16:17], null, s21, s15, v[6:7]
	s_delay_alu instid0(VALU_DEP_1)
	v_dual_mov_b32 v15, 0 :: v_dual_mov_b32 v6, v16
	v_mov_b32_e32 v16, v7
.LBB485_14:                             ;   Parent Loop BB485_4 Depth=1
                                        ; =>  This Inner Loop Header: Depth=2
	s_clause 0x1
	global_load_b128 v[17:20], v[5:6], off offset:-28
	global_load_b128 v[21:24], v[5:6], off offset:-12
	v_add_co_u32 v5, vcc_lo, v5, s33
	s_wait_alu 0xfffd
	v_add_co_ci_u32_e64 v6, null, 0, v6, vcc_lo
	v_add_nc_u32_e32 v16, s29, v16
	s_delay_alu instid0(VALU_DEP_1) | instskip(SKIP_4) | instid1(VALU_DEP_1)
	v_cmp_le_i32_e64 s6, s28, v16
	s_wait_alu 0xfffe
	s_or_b32 s25, s6, s25
	s_wait_loadcnt 0x1
	v_add_f32_e32 v15, v15, v17
	v_add_f32_e32 v15, v15, v18
	s_delay_alu instid0(VALU_DEP_1) | instskip(NEXT) | instid1(VALU_DEP_1)
	v_add_f32_e32 v15, v15, v19
	v_add_f32_e32 v15, v15, v20
	s_wait_loadcnt 0x0
	s_delay_alu instid0(VALU_DEP_1) | instskip(NEXT) | instid1(VALU_DEP_1)
	v_add_f32_e32 v15, v15, v21
	v_add_f32_e32 v15, v15, v22
	s_delay_alu instid0(VALU_DEP_1) | instskip(NEXT) | instid1(VALU_DEP_1)
	v_add_f32_e32 v15, v15, v23
	v_add_f32_e32 v15, v15, v24
	s_wait_alu 0xfffe
	s_and_not1_b32 exec_lo, exec_lo, s25
	s_cbranch_execnz .LBB485_14
; %bb.15:                               ;   in Loop: Header=BB485_4 Depth=1
	s_or_b32 exec_lo, exec_lo, s25
	s_delay_alu instid0(SALU_CYCLE_1)
	s_or_b32 exec_lo, exec_lo, s24
	s_and_saveexec_b32 s6, s2
	s_cbranch_execz .LBB485_6
.LBB485_16:                             ;   in Loop: Header=BB485_4 Depth=1
	s_mul_i32 s24, s27, s12
	s_mov_b32 s25, s13
	s_wait_alu 0xfffe
	s_add_co_i32 s24, s24, s14
	s_wait_alu 0xfffe
	s_mul_u64 s[24:25], s[24:25], s[16:17]
	s_wait_alu 0xfffe
	s_lshl_b64 s[24:25], s[24:25], 2
	s_wait_alu 0xfffe
	s_add_nc_u64 s[24:25], s[10:11], s[24:25]
	s_wait_dscnt 0x0
	s_wait_alu 0xfffe
	v_add_co_u32 v5, vcc_lo, s24, v0
	s_wait_alu 0xfffd
	v_add_co_ci_u32_e64 v6, null, s25, v1, vcc_lo
	global_load_b32 v5, v[5:6], off
	s_wait_loadcnt 0x0
	v_add_f32_e32 v15, v15, v5
	s_or_b32 exec_lo, exec_lo, s6
	s_and_saveexec_b32 s6, s0
	s_cbranch_execnz .LBB485_7
	s_branch .LBB485_8
.LBB485_17:                             ;   in Loop: Header=BB485_4 Depth=1
	ds_load_b32 v5, v8
	s_wait_alu 0xfffe
	s_or_b32 exec_lo, exec_lo, s6
	s_and_saveexec_b32 s6, s0
	s_cbranch_execz .LBB485_12
.LBB485_18:                             ;   in Loop: Header=BB485_4 Depth=1
	s_wait_dscnt 0x0
	ds_bpermute_b32 v6, v11, v5
	s_wait_dscnt 0x0
	v_add_f32_e32 v5, v5, v6
	ds_bpermute_b32 v6, v12, v5
	s_wait_dscnt 0x0
	v_add_f32_e32 v5, v5, v6
	;; [unrolled: 3-line block ×3, first 2 shown]
	s_wait_alu 0xfffe
	s_or_b32 exec_lo, exec_lo, s6
	s_and_saveexec_b32 s6, s5
	s_cbranch_execz .LBB485_3
.LBB485_19:                             ;   in Loop: Header=BB485_4 Depth=1
	s_mul_u64 s[24:25], s[8:9], s[12:13]
	s_and_not1_b32 vcc_lo, exec_lo, s30
	s_wait_alu 0xfffe
	s_lshl_b64 s[24:25], s[24:25], 2
	s_wait_alu 0xfffe
	s_add_nc_u64 s[24:25], s[18:19], s[24:25]
	s_wait_alu 0xfffe
	s_add_nc_u64 s[24:25], s[24:25], s[22:23]
	s_cbranch_vccnz .LBB485_2
; %bb.20:                               ;   in Loop: Header=BB485_4 Depth=1
	global_load_b32 v6, v2, s[24:25]
	s_wait_loadcnt_dscnt 0x0
	v_fmac_f32_e32 v5, s7, v6
	s_branch .LBB485_2
.LBB485_21:
	s_endpgm
	.section	.rodata,"a",@progbits
	.p2align	6, 0x0
	.amdhsa_kernel _ZL23rocblas_gemvt_sn_reduceILi256ELi8EfffEviT2_lPT3_lilPT1_i
		.amdhsa_group_segment_fixed_size 128
		.amdhsa_private_segment_fixed_size 0
		.amdhsa_kernarg_size 320
		.amdhsa_user_sgpr_count 2
		.amdhsa_user_sgpr_dispatch_ptr 0
		.amdhsa_user_sgpr_queue_ptr 0
		.amdhsa_user_sgpr_kernarg_segment_ptr 1
		.amdhsa_user_sgpr_dispatch_id 0
		.amdhsa_user_sgpr_private_segment_size 0
		.amdhsa_wavefront_size32 1
		.amdhsa_uses_dynamic_stack 0
		.amdhsa_enable_private_segment 0
		.amdhsa_system_sgpr_workgroup_id_x 1
		.amdhsa_system_sgpr_workgroup_id_y 1
		.amdhsa_system_sgpr_workgroup_id_z 1
		.amdhsa_system_sgpr_workgroup_info 0
		.amdhsa_system_vgpr_workitem_id 0
		.amdhsa_next_free_vgpr 25
		.amdhsa_next_free_sgpr 34
		.amdhsa_reserve_vcc 1
		.amdhsa_float_round_mode_32 0
		.amdhsa_float_round_mode_16_64 0
		.amdhsa_float_denorm_mode_32 3
		.amdhsa_float_denorm_mode_16_64 3
		.amdhsa_fp16_overflow 0
		.amdhsa_workgroup_processor_mode 1
		.amdhsa_memory_ordered 1
		.amdhsa_forward_progress 1
		.amdhsa_inst_pref_size 10
		.amdhsa_round_robin_scheduling 0
		.amdhsa_exception_fp_ieee_invalid_op 0
		.amdhsa_exception_fp_denorm_src 0
		.amdhsa_exception_fp_ieee_div_zero 0
		.amdhsa_exception_fp_ieee_overflow 0
		.amdhsa_exception_fp_ieee_underflow 0
		.amdhsa_exception_fp_ieee_inexact 0
		.amdhsa_exception_int_div_zero 0
	.end_amdhsa_kernel
	.section	.text._ZL23rocblas_gemvt_sn_reduceILi256ELi8EfffEviT2_lPT3_lilPT1_i,"axG",@progbits,_ZL23rocblas_gemvt_sn_reduceILi256ELi8EfffEviT2_lPT3_lilPT1_i,comdat
.Lfunc_end485:
	.size	_ZL23rocblas_gemvt_sn_reduceILi256ELi8EfffEviT2_lPT3_lilPT1_i, .Lfunc_end485-_ZL23rocblas_gemvt_sn_reduceILi256ELi8EfffEviT2_lPT3_lilPT1_i
                                        ; -- End function
	.set _ZL23rocblas_gemvt_sn_reduceILi256ELi8EfffEviT2_lPT3_lilPT1_i.num_vgpr, 25
	.set _ZL23rocblas_gemvt_sn_reduceILi256ELi8EfffEviT2_lPT3_lilPT1_i.num_agpr, 0
	.set _ZL23rocblas_gemvt_sn_reduceILi256ELi8EfffEviT2_lPT3_lilPT1_i.numbered_sgpr, 34
	.set _ZL23rocblas_gemvt_sn_reduceILi256ELi8EfffEviT2_lPT3_lilPT1_i.num_named_barrier, 0
	.set _ZL23rocblas_gemvt_sn_reduceILi256ELi8EfffEviT2_lPT3_lilPT1_i.private_seg_size, 0
	.set _ZL23rocblas_gemvt_sn_reduceILi256ELi8EfffEviT2_lPT3_lilPT1_i.uses_vcc, 1
	.set _ZL23rocblas_gemvt_sn_reduceILi256ELi8EfffEviT2_lPT3_lilPT1_i.uses_flat_scratch, 0
	.set _ZL23rocblas_gemvt_sn_reduceILi256ELi8EfffEviT2_lPT3_lilPT1_i.has_dyn_sized_stack, 0
	.set _ZL23rocblas_gemvt_sn_reduceILi256ELi8EfffEviT2_lPT3_lilPT1_i.has_recursion, 0
	.set _ZL23rocblas_gemvt_sn_reduceILi256ELi8EfffEviT2_lPT3_lilPT1_i.has_indirect_call, 0
	.section	.AMDGPU.csdata,"",@progbits
; Kernel info:
; codeLenInByte = 1188
; TotalNumSgprs: 36
; NumVgprs: 25
; ScratchSize: 0
; MemoryBound: 0
; FloatMode: 240
; IeeeMode: 1
; LDSByteSize: 128 bytes/workgroup (compile time only)
; SGPRBlocks: 0
; VGPRBlocks: 3
; NumSGPRsForWavesPerEU: 36
; NumVGPRsForWavesPerEU: 25
; Occupancy: 16
; WaveLimiterHint : 0
; COMPUTE_PGM_RSRC2:SCRATCH_EN: 0
; COMPUTE_PGM_RSRC2:USER_SGPR: 2
; COMPUTE_PGM_RSRC2:TRAP_HANDLER: 0
; COMPUTE_PGM_RSRC2:TGID_X_EN: 1
; COMPUTE_PGM_RSRC2:TGID_Y_EN: 1
; COMPUTE_PGM_RSRC2:TGID_Z_EN: 1
; COMPUTE_PGM_RSRC2:TIDIG_COMP_CNT: 0
	.section	.text._ZL32rocblas_gemvt_warp_reduce_kernelILb0ELi256EiDF16_PKffEviiT3_lPKT2_lT1_lS5_lS6_lS2_lPT4_lS6_li,"axG",@progbits,_ZL32rocblas_gemvt_warp_reduce_kernelILb0ELi256EiDF16_PKffEviiT3_lPKT2_lT1_lS5_lS6_lS2_lPT4_lS6_li,comdat
	.globl	_ZL32rocblas_gemvt_warp_reduce_kernelILb0ELi256EiDF16_PKffEviiT3_lPKT2_lT1_lS5_lS6_lS2_lPT4_lS6_li ; -- Begin function _ZL32rocblas_gemvt_warp_reduce_kernelILb0ELi256EiDF16_PKffEviiT3_lPKT2_lT1_lS5_lS6_lS2_lPT4_lS6_li
	.p2align	8
	.type	_ZL32rocblas_gemvt_warp_reduce_kernelILb0ELi256EiDF16_PKffEviiT3_lPKT2_lT1_lS5_lS6_lS2_lPT4_lS6_li,@function
_ZL32rocblas_gemvt_warp_reduce_kernelILb0ELi256EiDF16_PKffEviiT3_lPKT2_lT1_lS5_lS6_lS2_lPT4_lS6_li: ; @_ZL32rocblas_gemvt_warp_reduce_kernelILb0ELi256EiDF16_PKffEviiT3_lPKT2_lT1_lS5_lS6_lS2_lPT4_lS6_li
; %bb.0:
	s_load_b32 s7, s[0:1], 0x88
	s_lshr_b32 s28, ttmp7, 16
	s_wait_kmcnt 0x0
	s_cmp_ge_u32 s28, s7
	s_cbranch_scc1 .LBB486_34
; %bb.1:
	s_clause 0x7
	s_load_b96 s[4:6], s[0:1], 0x40
	s_load_b96 s[36:38], s[0:1], 0x70
	s_load_b256 s[8:15], s[0:1], 0x8
	s_load_b32 s33, s[0:1], 0x0
	s_load_b32 s39, s[0:1], 0x28
	s_load_b128 s[24:27], s[0:1], 0x30
	s_load_b256 s[16:23], s[0:1], 0x50
	s_load_b64 s[30:31], s[0:1], 0x80
	v_mov_b32_e32 v9, 0
	v_mbcnt_lo_u32_b32 v14, -1, 0
	v_cmp_eq_u32_e64 s0, 0, v0
	s_mov_b32 s29, 0
	v_lshl_or_b32 v16, v14, 2, 64
	s_wait_kmcnt 0x0
	s_lshl_b64 s[2:3], s[4:5], 1
	s_lshl_b64 s[4:5], s[36:37], 2
	;; [unrolled: 1-line block ×3, first 2 shown]
	v_cmp_gt_i32_e32 vcc_lo, s33, v0
	s_ashr_i32 s1, s33, 31
	s_add_nc_u64 s[14:15], s[26:27], s[2:3]
	s_lshr_b32 s1, s1, 24
	s_add_nc_u64 s[2:3], s[12:13], s[34:35]
	s_add_co_i32 s1, s33, s1
	v_cndmask_b32_e32 v1, 0, v0, vcc_lo
	s_and_b32 s26, s1, 0xffffff00
	s_mul_i32 s36, s38, ttmp9
	v_or_b32_e32 v2, s26, v0
	s_mul_i32 s38, s39, ttmp9
	v_lshlrev_b32_e32 v1, 1, v1
	s_ashr_i32 s39, s38, 31
	v_mul_lo_u32 v15, v0, s6
	v_mul_lo_u32 v3, s6, v2
	s_lshl_b64 s[38:39], s[38:39], 1
	v_add_co_u32 v4, s1, s2, v1
	s_delay_alu instid0(VALU_DEP_1)
	v_add_co_ci_u32_e64 v5, null, s3, 0, s1
	s_add_nc_u64 s[34:35], s[34:35], s[38:39]
	v_add_co_u32 v10, vcc_lo, v4, s38
	v_ashrrev_i32_e32 v4, 31, v3
	s_wait_alu 0xfffd
	v_add_co_ci_u32_e64 v11, null, s39, v5, vcc_lo
	v_cmp_gt_i32_e64 s2, s33, v2
	v_and_b32_e32 v2, 31, v0
	v_lshrrev_b32_e32 v5, 3, v0
	s_add_nc_u64 s[12:13], s[12:13], s[34:35]
	v_lshlrev_b64_e32 v[3:4], 1, v[3:4]
	v_add_co_u32 v1, s12, s12, v1
	s_add_nc_u64 s[22:23], s[22:23], s[4:5]
	v_cmp_gt_i32_e64 s1, s26, v0
	v_cmp_gt_u32_e64 s3, 32, v0
	v_lshlrev_b32_e32 v12, 2, v2
	v_cmp_eq_u32_e64 s4, 0, v2
	v_and_b32_e32 v13, 28, v5
	v_cmp_gt_u32_e64 s5, 8, v0
	s_wait_alu 0xf1ff
	v_add_co_ci_u32_e64 v2, null, s13, 0, s12
	s_ashr_i32 s37, s36, 31
	s_ashr_i32 s27, s26, 31
	s_lshl_b64 s[12:13], s[24:25], 1
	s_lshl_b32 s33, s6, 8
	s_lshl_b64 s[34:35], s[36:37], 2
	s_wait_alu 0xfffe
	s_lshl_b64 s[36:37], s[26:27], 1
	s_branch .LBB486_4
.LBB486_2:                              ;   in Loop: Header=BB486_4 Depth=1
	s_wait_alu 0xfffe
	s_or_b32 exec_lo, exec_lo, s6
.LBB486_3:                              ;   in Loop: Header=BB486_4 Depth=1
	s_add_co_i32 s28, s28, 0x10000
	s_wait_alu 0xfffe
	s_cmp_lt_u32 s28, s7
	s_cbranch_scc0 .LBB486_34
.LBB486_4:                              ; =>This Loop Header: Depth=1
                                        ;     Child Loop BB486_23 Depth 2
	s_mul_u64 s[38:39], s[10:11], s[28:29]
	s_mul_u64 s[40:41], s[20:21], s[28:29]
	s_wait_alu 0xfffe
	s_lshl_b64 s[38:39], s[38:39], 2
	s_lshl_b64 s[40:41], s[40:41], 2
	s_wait_alu 0xfffe
	s_add_nc_u64 s[38:39], s[8:9], s[38:39]
	s_add_nc_u64 s[40:41], s[18:19], s[40:41]
	s_clause 0x1
	global_load_b32 v17, v9, s[38:39]
	global_load_b32 v5, v9, s[40:41]
	s_wait_loadcnt 0x1
	v_cmp_eq_f32_e32 vcc_lo, 0, v17
	s_wait_loadcnt 0x0
	v_cmp_eq_f32_e64 s6, 1.0, v5
	v_readfirstlane_b32 s27, v5
	s_and_b32 s6, vcc_lo, s6
	s_wait_alu 0xfffe
	s_and_b32 vcc_lo, exec_lo, s6
	s_wait_alu 0xfffe
	s_cbranch_vccnz .LBB486_3
; %bb.5:                                ;   in Loop: Header=BB486_4 Depth=1
	v_cmp_neq_f32_e32 vcc_lo, 0, v17
	s_mul_u64 s[38:39], s[30:31], s[28:29]
	s_wait_alu 0xfffe
	s_lshl_b64 s[38:39], s[38:39], 2
	s_wait_alu 0xfffe
	s_add_nc_u64 s[38:39], s[22:23], s[38:39]
	s_cbranch_vccnz .LBB486_9
; %bb.6:                                ;   in Loop: Header=BB486_4 Depth=1
	s_mov_b32 s6, 0
	s_mov_b32 s42, 0
                                        ; implicit-def: $vgpr5
	s_and_saveexec_b32 s40, s0
	s_cbranch_execz .LBB486_10
; %bb.7:                                ;   in Loop: Header=BB486_4 Depth=1
	s_cmp_eq_f32 s27, 0
	s_cbranch_scc1 .LBB486_11
; %bb.8:                                ;   in Loop: Header=BB486_4 Depth=1
	s_wait_alu 0xfffe
	s_add_nc_u64 s[42:43], s[38:39], s[34:35]
	global_load_b32 v5, v9, s[42:43]
	s_wait_loadcnt 0x0
	v_mul_f32_e32 v5, s27, v5
	s_branch .LBB486_12
.LBB486_9:                              ;   in Loop: Header=BB486_4 Depth=1
	s_mov_b32 s42, 0
                                        ; implicit-def: $vgpr5
	s_cbranch_execnz .LBB486_13
	s_branch .LBB486_32
.LBB486_10:                             ;   in Loop: Header=BB486_4 Depth=1
	s_wait_alu 0xfffe
	s_or_b32 exec_lo, exec_lo, s40
	s_delay_alu instid0(SALU_CYCLE_1)
	s_and_b32 vcc_lo, exec_lo, s6
	s_wait_alu 0xfffe
	s_cbranch_vccnz .LBB486_13
	s_branch .LBB486_32
.LBB486_11:                             ;   in Loop: Header=BB486_4 Depth=1
	v_mov_b32_e32 v5, 0
.LBB486_12:                             ;   in Loop: Header=BB486_4 Depth=1
	s_mov_b32 s42, exec_lo
	s_wait_alu 0xfffe
	s_or_b32 exec_lo, exec_lo, s40
	s_delay_alu instid0(SALU_CYCLE_1)
	s_and_b32 vcc_lo, exec_lo, s6
	s_wait_alu 0xfffe
	s_cbranch_vccz .LBB486_32
.LBB486_13:                             ;   in Loop: Header=BB486_4 Depth=1
	s_mul_u64 s[40:41], s[16:17], s[28:29]
	v_mov_b32_e32 v18, 0
	s_wait_alu 0xfffe
	s_lshl_b64 s[40:41], s[40:41], 1
	s_wait_alu 0xfffe
	s_add_nc_u64 s[40:41], s[14:15], s[40:41]
	s_and_saveexec_b32 s43, s1
	s_cbranch_execnz .LBB486_22
; %bb.14:                               ;   in Loop: Header=BB486_4 Depth=1
	s_or_b32 exec_lo, exec_lo, s43
	s_and_saveexec_b32 s6, s2
	s_cbranch_execnz .LBB486_25
.LBB486_15:                             ;   in Loop: Header=BB486_4 Depth=1
	s_wait_alu 0xfffe
	s_or_b32 exec_lo, exec_lo, s6
	s_and_saveexec_b32 s6, s3
.LBB486_16:                             ;   in Loop: Header=BB486_4 Depth=1
	ds_store_b32 v12, v9
.LBB486_17:                             ;   in Loop: Header=BB486_4 Depth=1
	s_wait_alu 0xfffe
	s_or_b32 exec_lo, exec_lo, s6
	ds_bpermute_b32 v5, v16, v18
	v_cmp_gt_u32_e32 vcc_lo, 24, v14
	s_wait_dscnt 0x0
	s_barrier_signal -1
	s_barrier_wait -1
	global_inv scope:SCOPE_SE
	s_wait_alu 0xfffd
	v_cndmask_b32_e64 v6, 0, 8, vcc_lo
	v_cmp_gt_u32_e32 vcc_lo, 28, v14
	s_delay_alu instid0(VALU_DEP_2)
	v_add_lshl_u32 v6, v6, v14, 2
	v_add_f32_e32 v7, v18, v5
	s_wait_alu 0xfffd
	v_cndmask_b32_e64 v5, 0, 4, vcc_lo
	v_cmp_gt_u32_e32 vcc_lo, 30, v14
	ds_bpermute_b32 v6, v6, v7
	v_add_lshl_u32 v5, v5, v14, 2
	s_wait_dscnt 0x0
	v_add_f32_e32 v7, v7, v6
	s_wait_alu 0xfffd
	v_cndmask_b32_e64 v6, 0, 2, vcc_lo
	v_cmp_ne_u32_e32 vcc_lo, 31, v14
	ds_bpermute_b32 v8, v5, v7
	v_add_lshl_u32 v6, v6, v14, 2
	s_wait_alu 0xfffd
	v_add_co_ci_u32_e64 v18, null, 0, v14, vcc_lo
	s_wait_dscnt 0x0
	v_add_f32_e32 v7, v7, v8
	ds_bpermute_b32 v8, v6, v7
	s_wait_dscnt 0x0
	v_dual_add_f32 v8, v7, v8 :: v_dual_lshlrev_b32 v7, 2, v18
	ds_bpermute_b32 v18, v7, v8
	s_and_saveexec_b32 s6, s4
	s_cbranch_execz .LBB486_19
; %bb.18:                               ;   in Loop: Header=BB486_4 Depth=1
	s_wait_dscnt 0x0
	v_add_f32_e32 v8, v8, v18
	ds_store_b32 v13, v8
.LBB486_19:                             ;   in Loop: Header=BB486_4 Depth=1
	s_wait_alu 0xfffe
	s_or_b32 exec_lo, exec_lo, s6
	v_mov_b32_e32 v8, 0
	s_wait_loadcnt_dscnt 0x0
	s_barrier_signal -1
	s_barrier_wait -1
	global_inv scope:SCOPE_SE
	s_and_saveexec_b32 s6, s5
	s_cbranch_execnz .LBB486_26
; %bb.20:                               ;   in Loop: Header=BB486_4 Depth=1
	s_wait_alu 0xfffe
	s_or_b32 exec_lo, exec_lo, s6
	s_and_saveexec_b32 s6, s3
	s_cbranch_execnz .LBB486_27
.LBB486_21:                             ;   in Loop: Header=BB486_4 Depth=1
	s_wait_alu 0xfffe
	s_or_b32 exec_lo, exec_lo, s6
                                        ; implicit-def: $vgpr5
	s_and_saveexec_b32 s6, s0
	s_cbranch_execnz .LBB486_28
	s_branch .LBB486_31
.LBB486_22:                             ;   in Loop: Header=BB486_4 Depth=1
	v_mad_co_u64_u32 v[5:6], null, s12, s28, v[1:2]
	v_dual_mov_b32 v18, 0 :: v_dual_mov_b32 v19, v0
	s_mov_b32 s44, 0
	s_delay_alu instid0(VALU_DEP_2)
	v_mad_co_u64_u32 v[6:7], null, s13, s28, v[6:7]
	v_mov_b32_e32 v7, v15
.LBB486_23:                             ;   Parent Loop BB486_4 Depth=1
                                        ; =>  This Inner Loop Header: Depth=2
	s_wait_dscnt 0x0
	s_delay_alu instid0(VALU_DEP_1) | instskip(NEXT) | instid1(VALU_DEP_1)
	v_ashrrev_i32_e32 v8, 31, v7
	v_lshlrev_b64_e32 v[20:21], 1, v[7:8]
	v_add_nc_u32_e32 v7, s33, v7
	s_wait_alu 0xfffe
	s_delay_alu instid0(VALU_DEP_2) | instskip(SKIP_1) | instid1(VALU_DEP_3)
	v_add_co_u32 v20, vcc_lo, s40, v20
	s_wait_alu 0xfffd
	v_add_co_ci_u32_e64 v21, null, s41, v21, vcc_lo
	global_load_u16 v8, v[5:6], off
	global_load_u16 v20, v[20:21], off
	v_add_co_u32 v5, vcc_lo, 0x200, v5
	s_wait_alu 0xfffd
	v_add_co_ci_u32_e64 v6, null, 0, v6, vcc_lo
	s_wait_loadcnt 0x0
	v_mul_f16_e32 v8, v8, v20
	s_delay_alu instid0(VALU_DEP_1) | instskip(NEXT) | instid1(VALU_DEP_1)
	v_cvt_f32_f16_e32 v8, v8
	v_dual_add_f32 v18, v18, v8 :: v_dual_add_nc_u32 v19, 0x100, v19
	s_delay_alu instid0(VALU_DEP_1)
	v_cmp_le_i32_e64 s6, s26, v19
	s_or_b32 s44, s6, s44
	s_wait_alu 0xfffe
	s_and_not1_b32 exec_lo, exec_lo, s44
	s_cbranch_execnz .LBB486_23
; %bb.24:                               ;   in Loop: Header=BB486_4 Depth=1
	s_or_b32 exec_lo, exec_lo, s44
	s_delay_alu instid0(SALU_CYCLE_1)
	s_or_b32 exec_lo, exec_lo, s43
	s_and_saveexec_b32 s6, s2
	s_cbranch_execz .LBB486_15
.LBB486_25:                             ;   in Loop: Header=BB486_4 Depth=1
	s_mul_u64 s[44:45], s[24:25], s[28:29]
	s_wait_alu 0xfffe
	s_lshl_b64 s[44:45], s[44:45], 1
	s_wait_alu 0xfffe
	v_add_co_u32 v5, vcc_lo, v10, s44
	s_wait_alu 0xfffd
	v_add_co_ci_u32_e64 v6, null, s45, v11, vcc_lo
	s_delay_alu instid0(VALU_DEP_2) | instskip(SKIP_1) | instid1(VALU_DEP_2)
	v_add_co_u32 v5, vcc_lo, v5, s36
	s_wait_alu 0xfffd
	v_add_co_ci_u32_e64 v6, null, s37, v6, vcc_lo
	v_add_co_u32 v7, vcc_lo, s40, v3
	s_wait_dscnt 0x0
	s_wait_alu 0xfffd
	v_add_co_ci_u32_e64 v8, null, s41, v4, vcc_lo
	global_load_u16 v5, v[5:6], off
	global_load_u16 v6, v[7:8], off
	s_wait_loadcnt 0x0
	v_mul_f16_e32 v5, v5, v6
	s_delay_alu instid0(VALU_DEP_1) | instskip(NEXT) | instid1(VALU_DEP_1)
	v_cvt_f32_f16_e32 v5, v5
	v_add_f32_e32 v18, v18, v5
	s_or_b32 exec_lo, exec_lo, s6
	s_and_saveexec_b32 s6, s3
	s_cbranch_execnz .LBB486_16
	s_branch .LBB486_17
.LBB486_26:                             ;   in Loop: Header=BB486_4 Depth=1
	ds_load_b32 v8, v12
	s_wait_alu 0xfffe
	s_or_b32 exec_lo, exec_lo, s6
	s_and_saveexec_b32 s6, s3
	s_cbranch_execz .LBB486_21
.LBB486_27:                             ;   in Loop: Header=BB486_4 Depth=1
	s_wait_dscnt 0x0
	ds_bpermute_b32 v5, v5, v8
	s_wait_dscnt 0x0
	v_add_f32_e32 v5, v8, v5
	ds_bpermute_b32 v6, v6, v5
	s_wait_dscnt 0x0
	v_add_f32_e32 v5, v5, v6
	;; [unrolled: 3-line block ×3, first 2 shown]
	s_wait_alu 0xfffe
	s_or_b32 exec_lo, exec_lo, s6
                                        ; implicit-def: $vgpr5
	s_and_saveexec_b32 s6, s0
	s_cbranch_execz .LBB486_31
.LBB486_28:                             ;   in Loop: Header=BB486_4 Depth=1
	s_wait_dscnt 0x0
	v_mul_f32_e32 v5, v17, v8
	s_cmp_eq_f32 s27, 0
	s_cbranch_scc1 .LBB486_30
; %bb.29:                               ;   in Loop: Header=BB486_4 Depth=1
	s_add_nc_u64 s[40:41], s[38:39], s[34:35]
	global_load_b32 v6, v9, s[40:41]
	s_wait_loadcnt 0x0
	v_fmac_f32_e32 v5, s27, v6
.LBB486_30:                             ;   in Loop: Header=BB486_4 Depth=1
	s_or_b32 s42, s42, exec_lo
.LBB486_31:                             ;   in Loop: Header=BB486_4 Depth=1
	s_wait_alu 0xfffe
	s_or_b32 exec_lo, exec_lo, s6
.LBB486_32:                             ;   in Loop: Header=BB486_4 Depth=1
	s_and_saveexec_b32 s6, s42
	s_cbranch_execz .LBB486_2
; %bb.33:                               ;   in Loop: Header=BB486_4 Depth=1
	s_wait_alu 0xfffe
	s_add_nc_u64 s[38:39], s[38:39], s[34:35]
	global_store_b32 v9, v5, s[38:39]
	s_branch .LBB486_2
.LBB486_34:
	s_endpgm
	.section	.rodata,"a",@progbits
	.p2align	6, 0x0
	.amdhsa_kernel _ZL32rocblas_gemvt_warp_reduce_kernelILb0ELi256EiDF16_PKffEviiT3_lPKT2_lT1_lS5_lS6_lS2_lPT4_lS6_li
		.amdhsa_group_segment_fixed_size 128
		.amdhsa_private_segment_fixed_size 0
		.amdhsa_kernarg_size 140
		.amdhsa_user_sgpr_count 2
		.amdhsa_user_sgpr_dispatch_ptr 0
		.amdhsa_user_sgpr_queue_ptr 0
		.amdhsa_user_sgpr_kernarg_segment_ptr 1
		.amdhsa_user_sgpr_dispatch_id 0
		.amdhsa_user_sgpr_private_segment_size 0
		.amdhsa_wavefront_size32 1
		.amdhsa_uses_dynamic_stack 0
		.amdhsa_enable_private_segment 0
		.amdhsa_system_sgpr_workgroup_id_x 1
		.amdhsa_system_sgpr_workgroup_id_y 0
		.amdhsa_system_sgpr_workgroup_id_z 1
		.amdhsa_system_sgpr_workgroup_info 0
		.amdhsa_system_vgpr_workitem_id 0
		.amdhsa_next_free_vgpr 22
		.amdhsa_next_free_sgpr 46
		.amdhsa_reserve_vcc 1
		.amdhsa_float_round_mode_32 0
		.amdhsa_float_round_mode_16_64 0
		.amdhsa_float_denorm_mode_32 3
		.amdhsa_float_denorm_mode_16_64 3
		.amdhsa_fp16_overflow 0
		.amdhsa_workgroup_processor_mode 1
		.amdhsa_memory_ordered 1
		.amdhsa_forward_progress 1
		.amdhsa_inst_pref_size 13
		.amdhsa_round_robin_scheduling 0
		.amdhsa_exception_fp_ieee_invalid_op 0
		.amdhsa_exception_fp_denorm_src 0
		.amdhsa_exception_fp_ieee_div_zero 0
		.amdhsa_exception_fp_ieee_overflow 0
		.amdhsa_exception_fp_ieee_underflow 0
		.amdhsa_exception_fp_ieee_inexact 0
		.amdhsa_exception_int_div_zero 0
	.end_amdhsa_kernel
	.section	.text._ZL32rocblas_gemvt_warp_reduce_kernelILb0ELi256EiDF16_PKffEviiT3_lPKT2_lT1_lS5_lS6_lS2_lPT4_lS6_li,"axG",@progbits,_ZL32rocblas_gemvt_warp_reduce_kernelILb0ELi256EiDF16_PKffEviiT3_lPKT2_lT1_lS5_lS6_lS2_lPT4_lS6_li,comdat
.Lfunc_end486:
	.size	_ZL32rocblas_gemvt_warp_reduce_kernelILb0ELi256EiDF16_PKffEviiT3_lPKT2_lT1_lS5_lS6_lS2_lPT4_lS6_li, .Lfunc_end486-_ZL32rocblas_gemvt_warp_reduce_kernelILb0ELi256EiDF16_PKffEviiT3_lPKT2_lT1_lS5_lS6_lS2_lPT4_lS6_li
                                        ; -- End function
	.set _ZL32rocblas_gemvt_warp_reduce_kernelILb0ELi256EiDF16_PKffEviiT3_lPKT2_lT1_lS5_lS6_lS2_lPT4_lS6_li.num_vgpr, 22
	.set _ZL32rocblas_gemvt_warp_reduce_kernelILb0ELi256EiDF16_PKffEviiT3_lPKT2_lT1_lS5_lS6_lS2_lPT4_lS6_li.num_agpr, 0
	.set _ZL32rocblas_gemvt_warp_reduce_kernelILb0ELi256EiDF16_PKffEviiT3_lPKT2_lT1_lS5_lS6_lS2_lPT4_lS6_li.numbered_sgpr, 46
	.set _ZL32rocblas_gemvt_warp_reduce_kernelILb0ELi256EiDF16_PKffEviiT3_lPKT2_lT1_lS5_lS6_lS2_lPT4_lS6_li.num_named_barrier, 0
	.set _ZL32rocblas_gemvt_warp_reduce_kernelILb0ELi256EiDF16_PKffEviiT3_lPKT2_lT1_lS5_lS6_lS2_lPT4_lS6_li.private_seg_size, 0
	.set _ZL32rocblas_gemvt_warp_reduce_kernelILb0ELi256EiDF16_PKffEviiT3_lPKT2_lT1_lS5_lS6_lS2_lPT4_lS6_li.uses_vcc, 1
	.set _ZL32rocblas_gemvt_warp_reduce_kernelILb0ELi256EiDF16_PKffEviiT3_lPKT2_lT1_lS5_lS6_lS2_lPT4_lS6_li.uses_flat_scratch, 0
	.set _ZL32rocblas_gemvt_warp_reduce_kernelILb0ELi256EiDF16_PKffEviiT3_lPKT2_lT1_lS5_lS6_lS2_lPT4_lS6_li.has_dyn_sized_stack, 0
	.set _ZL32rocblas_gemvt_warp_reduce_kernelILb0ELi256EiDF16_PKffEviiT3_lPKT2_lT1_lS5_lS6_lS2_lPT4_lS6_li.has_recursion, 0
	.set _ZL32rocblas_gemvt_warp_reduce_kernelILb0ELi256EiDF16_PKffEviiT3_lPKT2_lT1_lS5_lS6_lS2_lPT4_lS6_li.has_indirect_call, 0
	.section	.AMDGPU.csdata,"",@progbits
; Kernel info:
; codeLenInByte = 1568
; TotalNumSgprs: 48
; NumVgprs: 22
; ScratchSize: 0
; MemoryBound: 0
; FloatMode: 240
; IeeeMode: 1
; LDSByteSize: 128 bytes/workgroup (compile time only)
; SGPRBlocks: 0
; VGPRBlocks: 2
; NumSGPRsForWavesPerEU: 48
; NumVGPRsForWavesPerEU: 22
; Occupancy: 16
; WaveLimiterHint : 0
; COMPUTE_PGM_RSRC2:SCRATCH_EN: 0
; COMPUTE_PGM_RSRC2:USER_SGPR: 2
; COMPUTE_PGM_RSRC2:TRAP_HANDLER: 0
; COMPUTE_PGM_RSRC2:TGID_X_EN: 1
; COMPUTE_PGM_RSRC2:TGID_Y_EN: 0
; COMPUTE_PGM_RSRC2:TGID_Z_EN: 1
; COMPUTE_PGM_RSRC2:TIDIG_COMP_CNT: 0
	.section	.text._ZL32rocblas_gemvt_warp_reduce_kernelILb0ELi256ElDF16_PKffEviiT3_lPKT2_lT1_lS5_lS6_lS2_lPT4_lS6_li,"axG",@progbits,_ZL32rocblas_gemvt_warp_reduce_kernelILb0ELi256ElDF16_PKffEviiT3_lPKT2_lT1_lS5_lS6_lS2_lPT4_lS6_li,comdat
	.globl	_ZL32rocblas_gemvt_warp_reduce_kernelILb0ELi256ElDF16_PKffEviiT3_lPKT2_lT1_lS5_lS6_lS2_lPT4_lS6_li ; -- Begin function _ZL32rocblas_gemvt_warp_reduce_kernelILb0ELi256ElDF16_PKffEviiT3_lPKT2_lT1_lS5_lS6_lS2_lPT4_lS6_li
	.p2align	8
	.type	_ZL32rocblas_gemvt_warp_reduce_kernelILb0ELi256ElDF16_PKffEviiT3_lPKT2_lT1_lS5_lS6_lS2_lPT4_lS6_li,@function
_ZL32rocblas_gemvt_warp_reduce_kernelILb0ELi256ElDF16_PKffEviiT3_lPKT2_lT1_lS5_lS6_lS2_lPT4_lS6_li: ; @_ZL32rocblas_gemvt_warp_reduce_kernelILb0ELi256ElDF16_PKffEviiT3_lPKT2_lT1_lS5_lS6_lS2_lPT4_lS6_li
; %bb.0:
	s_load_b32 s7, s[0:1], 0x88
	s_lshr_b32 s24, ttmp7, 16
	s_wait_kmcnt 0x0
	s_cmp_ge_u32 s24, s7
	s_cbranch_scc1 .LBB487_34
; %bb.1:
	s_clause 0x2
	s_load_b512 s[8:23], s[0:1], 0x8
	s_load_b512 s[36:51], s[0:1], 0x48
	s_load_b32 s6, s[0:1], 0x0
	s_mov_b32 s2, ttmp9
	s_ashr_i32 s3, ttmp9, 31
	v_mbcnt_lo_u32_b32 v16, -1, 0
	v_cmp_eq_u32_e64 s0, 0, v0
	s_mov_b32 s25, 0
	v_lshl_or_b32 v17, v16, 2, 64
	s_wait_kmcnt 0x0
	s_lshl_b64 s[4:5], s[22:23], 1
	s_lshl_b64 s[26:27], s[14:15], 1
	v_cmp_gt_i32_e32 vcc_lo, s6, v0
	s_ashr_i32 s1, s6, 31
	v_mad_co_u64_u32 v[1:2], null, s36, v0, 0
	s_lshr_b32 s1, s1, 24
	v_cndmask_b32_e32 v3, 0, v0, vcc_lo
	s_add_nc_u64 s[14:15], s[20:21], s[4:5]
	s_add_nc_u64 s[4:5], s[12:13], s[26:27]
	s_add_co_i32 s1, s6, s1
	s_lshl_b64 s[22:23], s[46:47], 2
	v_lshlrev_b32_e32 v7, 1, v3
	s_and_b32 s20, s1, 0xffffff00
	s_mul_u64 s[28:29], s[48:49], s[2:3]
	s_mul_u64 s[2:3], s[16:17], s[2:3]
	v_or_b32_e32 v4, s20, v0
	v_add_co_u32 v3, s1, s4, v7
	s_delay_alu instid0(VALU_DEP_1)
	v_add_co_ci_u32_e64 v5, null, s5, 0, s1
	s_add_nc_u64 s[16:17], s[44:45], s[22:23]
	s_lshl_b64 s[22:23], s[2:3], 1
	v_mul_lo_u32 v8, s37, v4
	v_add_co_u32 v12, vcc_lo, v3, s22
	v_mad_co_u64_u32 v[2:3], null, s37, v0, v[2:3]
	s_wait_alu 0xfffd
	v_add_co_ci_u32_e64 v13, null, s23, v5, vcc_lo
	v_mad_co_u64_u32 v[5:6], null, s36, v4, 0
	v_and_b32_e32 v3, 31, v0
	v_cmp_gt_i32_e64 s2, s6, v4
	v_lshrrev_b32_e32 v4, 3, v0
	s_ashr_i32 s21, s20, 31
	v_dual_mov_b32 v11, 0 :: v_dual_lshlrev_b32 v14, 2, v3
	s_wait_alu 0xfffe
	s_mul_i32 s3, s36, s21
	v_cmp_eq_u32_e64 s4, 0, v3
	v_and_b32_e32 v15, 28, v4
	v_lshlrev_b64_e32 v[3:4], 1, v[1:2]
	v_add3_u32 v6, v6, s3, v8
	s_add_nc_u64 s[22:23], s[22:23], s[26:27]
	v_cmp_gt_i32_e64 s1, s20, v0
	s_wait_alu 0xfffe
	s_add_nc_u64 s[12:13], s[12:13], s[22:23]
	v_cmp_gt_u32_e64 s3, 32, v0
	v_add_co_u32 v1, s6, s12, v7
	v_add_co_u32 v3, vcc_lo, s14, v3
	v_lshlrev_b64_e32 v[5:6], 1, v[5:6]
	v_cmp_gt_u32_e64 s5, 8, v0
	s_wait_alu 0xf1ff
	v_add_co_ci_u32_e64 v2, null, s13, 0, s6
	s_wait_alu 0xfffd
	v_add_co_ci_u32_e64 v4, null, s15, v4, vcc_lo
	s_lshl_b64 s[12:13], s[18:19], 1
	s_lshl_b64 s[22:23], s[38:39], 1
	;; [unrolled: 1-line block ×5, first 2 shown]
	s_branch .LBB487_4
.LBB487_2:                              ;   in Loop: Header=BB487_4 Depth=1
	s_wait_alu 0xfffe
	s_or_b32 exec_lo, exec_lo, s6
.LBB487_3:                              ;   in Loop: Header=BB487_4 Depth=1
	s_add_co_i32 s24, s24, 0x10000
	s_wait_alu 0xfffe
	s_cmp_lt_u32 s24, s7
	s_cbranch_scc0 .LBB487_34
.LBB487_4:                              ; =>This Loop Header: Depth=1
                                        ;     Child Loop BB487_23 Depth 2
	s_mul_u64 s[34:35], s[10:11], s[24:25]
	s_mul_u64 s[36:37], s[42:43], s[24:25]
	s_lshl_b64 s[34:35], s[34:35], 2
	s_wait_alu 0xfffe
	s_lshl_b64 s[36:37], s[36:37], 2
	s_add_nc_u64 s[34:35], s[8:9], s[34:35]
	s_wait_alu 0xfffe
	s_add_nc_u64 s[36:37], s[40:41], s[36:37]
	s_clause 0x1
	global_load_b32 v18, v11, s[34:35]
	global_load_b32 v7, v11, s[36:37]
	s_wait_loadcnt 0x1
	v_cmp_eq_f32_e32 vcc_lo, 0, v18
	s_wait_loadcnt 0x0
	v_cmp_eq_f32_e64 s6, 1.0, v7
	v_readfirstlane_b32 s21, v7
	s_and_b32 s6, vcc_lo, s6
	s_wait_alu 0xfffe
	s_and_b32 vcc_lo, exec_lo, s6
	s_wait_alu 0xfffe
	s_cbranch_vccnz .LBB487_3
; %bb.5:                                ;   in Loop: Header=BB487_4 Depth=1
	v_cmp_neq_f32_e32 vcc_lo, 0, v18
	s_mul_u64 s[34:35], s[50:51], s[24:25]
	s_delay_alu instid0(SALU_CYCLE_1) | instskip(NEXT) | instid1(SALU_CYCLE_1)
	s_lshl_b64 s[34:35], s[34:35], 2
	s_add_nc_u64 s[34:35], s[16:17], s[34:35]
	s_cbranch_vccnz .LBB487_9
; %bb.6:                                ;   in Loop: Header=BB487_4 Depth=1
	s_mov_b32 s6, 0
	s_mov_b32 s33, 0
                                        ; implicit-def: $vgpr7
	s_and_saveexec_b32 s36, s0
	s_cbranch_execz .LBB487_10
; %bb.7:                                ;   in Loop: Header=BB487_4 Depth=1
	s_cmp_eq_f32 s21, 0
	s_cbranch_scc1 .LBB487_11
; %bb.8:                                ;   in Loop: Header=BB487_4 Depth=1
	s_add_nc_u64 s[44:45], s[34:35], s[28:29]
	global_load_b32 v7, v11, s[44:45]
	s_wait_loadcnt 0x0
	v_mul_f32_e32 v7, s21, v7
	s_branch .LBB487_12
.LBB487_9:                              ;   in Loop: Header=BB487_4 Depth=1
	s_mov_b32 s33, 0
                                        ; implicit-def: $vgpr7
	s_cbranch_execnz .LBB487_13
	s_branch .LBB487_32
.LBB487_10:                             ;   in Loop: Header=BB487_4 Depth=1
	s_wait_alu 0xfffe
	s_or_b32 exec_lo, exec_lo, s36
	s_delay_alu instid0(SALU_CYCLE_1)
	s_and_b32 vcc_lo, exec_lo, s6
	s_wait_alu 0xfffe
	s_cbranch_vccnz .LBB487_13
	s_branch .LBB487_32
.LBB487_11:                             ;   in Loop: Header=BB487_4 Depth=1
	v_mov_b32_e32 v7, 0
.LBB487_12:                             ;   in Loop: Header=BB487_4 Depth=1
	s_mov_b32 s33, exec_lo
	s_wait_alu 0xfffe
	s_or_b32 exec_lo, exec_lo, s36
	s_delay_alu instid0(SALU_CYCLE_1)
	s_and_b32 vcc_lo, exec_lo, s6
	s_wait_alu 0xfffe
	s_cbranch_vccz .LBB487_32
.LBB487_13:                             ;   in Loop: Header=BB487_4 Depth=1
	v_mov_b32_e32 v19, 0
	s_and_saveexec_b32 s36, s1
	s_cbranch_execnz .LBB487_22
; %bb.14:                               ;   in Loop: Header=BB487_4 Depth=1
	s_wait_alu 0xfffe
	s_or_b32 exec_lo, exec_lo, s36
	s_and_saveexec_b32 s6, s2
	s_cbranch_execnz .LBB487_25
.LBB487_15:                             ;   in Loop: Header=BB487_4 Depth=1
	s_wait_alu 0xfffe
	s_or_b32 exec_lo, exec_lo, s6
	s_and_saveexec_b32 s6, s3
.LBB487_16:                             ;   in Loop: Header=BB487_4 Depth=1
	ds_store_b32 v14, v11
.LBB487_17:                             ;   in Loop: Header=BB487_4 Depth=1
	s_wait_alu 0xfffe
	s_or_b32 exec_lo, exec_lo, s6
	ds_bpermute_b32 v7, v17, v19
	v_cmp_gt_u32_e32 vcc_lo, 24, v16
	s_wait_dscnt 0x0
	s_barrier_signal -1
	s_barrier_wait -1
	global_inv scope:SCOPE_SE
	s_wait_alu 0xfffd
	v_cndmask_b32_e64 v8, 0, 8, vcc_lo
	v_cmp_gt_u32_e32 vcc_lo, 28, v16
	s_delay_alu instid0(VALU_DEP_2)
	v_add_lshl_u32 v8, v8, v16, 2
	v_add_f32_e32 v9, v19, v7
	s_wait_alu 0xfffd
	v_cndmask_b32_e64 v7, 0, 4, vcc_lo
	v_cmp_gt_u32_e32 vcc_lo, 30, v16
	ds_bpermute_b32 v8, v8, v9
	v_add_lshl_u32 v7, v7, v16, 2
	s_wait_dscnt 0x0
	v_add_f32_e32 v9, v9, v8
	s_wait_alu 0xfffd
	v_cndmask_b32_e64 v8, 0, 2, vcc_lo
	v_cmp_ne_u32_e32 vcc_lo, 31, v16
	ds_bpermute_b32 v10, v7, v9
	v_add_lshl_u32 v8, v8, v16, 2
	s_wait_alu 0xfffd
	v_add_co_ci_u32_e64 v19, null, 0, v16, vcc_lo
	s_wait_dscnt 0x0
	v_add_f32_e32 v9, v9, v10
	ds_bpermute_b32 v10, v8, v9
	s_wait_dscnt 0x0
	v_dual_add_f32 v10, v9, v10 :: v_dual_lshlrev_b32 v9, 2, v19
	ds_bpermute_b32 v19, v9, v10
	s_and_saveexec_b32 s6, s4
	s_cbranch_execz .LBB487_19
; %bb.18:                               ;   in Loop: Header=BB487_4 Depth=1
	s_wait_dscnt 0x0
	v_add_f32_e32 v10, v10, v19
	ds_store_b32 v15, v10
.LBB487_19:                             ;   in Loop: Header=BB487_4 Depth=1
	s_wait_alu 0xfffe
	s_or_b32 exec_lo, exec_lo, s6
	v_mov_b32_e32 v10, 0
	s_wait_loadcnt_dscnt 0x0
	s_barrier_signal -1
	s_barrier_wait -1
	global_inv scope:SCOPE_SE
	s_and_saveexec_b32 s6, s5
	s_cbranch_execnz .LBB487_26
; %bb.20:                               ;   in Loop: Header=BB487_4 Depth=1
	s_wait_alu 0xfffe
	s_or_b32 exec_lo, exec_lo, s6
	s_and_saveexec_b32 s6, s3
	s_cbranch_execnz .LBB487_27
.LBB487_21:                             ;   in Loop: Header=BB487_4 Depth=1
	s_wait_alu 0xfffe
	s_or_b32 exec_lo, exec_lo, s6
                                        ; implicit-def: $vgpr7
	s_and_saveexec_b32 s6, s0
	s_cbranch_execnz .LBB487_28
	s_branch .LBB487_31
.LBB487_22:                             ;   in Loop: Header=BB487_4 Depth=1
	v_mad_co_u64_u32 v[7:8], null, s12, s24, v[1:2]
	s_wait_dscnt 0x0
	v_mad_co_u64_u32 v[9:10], null, s22, s24, v[3:4]
	s_mov_b32 s37, 0
	v_mad_co_u64_u32 v[20:21], null, s13, s24, v[8:9]
	v_mad_co_u64_u32 v[21:22], null, s23, s24, v[10:11]
	s_delay_alu instid0(VALU_DEP_2) | instskip(SKIP_1) | instid1(VALU_DEP_3)
	v_dual_mov_b32 v19, 0 :: v_dual_mov_b32 v8, v20
	v_mov_b32_e32 v20, v0
	v_mov_b32_e32 v10, v21
.LBB487_23:                             ;   Parent Loop BB487_4 Depth=1
                                        ; =>  This Inner Loop Header: Depth=2
	global_load_u16 v21, v[7:8], off
	global_load_u16 v22, v[9:10], off
	v_add_co_u32 v7, vcc_lo, 0x200, v7
	s_wait_alu 0xfffd
	v_add_co_ci_u32_e64 v8, null, 0, v8, vcc_lo
	v_add_co_u32 v9, vcc_lo, v9, s26
	s_wait_alu 0xfffd
	v_add_co_ci_u32_e64 v10, null, s27, v10, vcc_lo
	s_wait_loadcnt 0x0
	v_mul_f16_e32 v21, v21, v22
	s_delay_alu instid0(VALU_DEP_1) | instskip(NEXT) | instid1(VALU_DEP_1)
	v_cvt_f32_f16_e32 v21, v21
	v_dual_add_f32 v19, v19, v21 :: v_dual_add_nc_u32 v20, 0x100, v20
	s_delay_alu instid0(VALU_DEP_1)
	v_cmp_le_i32_e64 s6, s20, v20
	s_wait_alu 0xfffe
	s_or_b32 s37, s6, s37
	s_wait_alu 0xfffe
	s_and_not1_b32 exec_lo, exec_lo, s37
	s_cbranch_execnz .LBB487_23
; %bb.24:                               ;   in Loop: Header=BB487_4 Depth=1
	s_or_b32 exec_lo, exec_lo, s37
	s_delay_alu instid0(SALU_CYCLE_1)
	s_or_b32 exec_lo, exec_lo, s36
	s_and_saveexec_b32 s6, s2
	s_cbranch_execz .LBB487_15
.LBB487_25:                             ;   in Loop: Header=BB487_4 Depth=1
	s_mul_u64 s[36:37], s[18:19], s[24:25]
	s_mul_u64 s[44:45], s[38:39], s[24:25]
	s_wait_alu 0xfffe
	s_lshl_b64 s[36:37], s[36:37], 1
	s_lshl_b64 s[44:45], s[44:45], 1
	s_wait_alu 0xfffe
	v_add_co_u32 v7, vcc_lo, v12, s36
	s_wait_alu 0xfffd
	v_add_co_ci_u32_e64 v8, null, s37, v13, vcc_lo
	s_add_nc_u64 s[36:37], s[14:15], s[44:45]
	v_add_co_u32 v7, vcc_lo, v7, s30
	s_wait_alu 0xfffd
	v_add_co_ci_u32_e64 v8, null, s31, v8, vcc_lo
	s_wait_alu 0xfffe
	v_add_co_u32 v9, vcc_lo, s36, v5
	s_wait_dscnt 0x0
	s_wait_alu 0xfffd
	v_add_co_ci_u32_e64 v10, null, s37, v6, vcc_lo
	global_load_u16 v7, v[7:8], off
	global_load_u16 v8, v[9:10], off
	s_wait_loadcnt 0x0
	v_mul_f16_e32 v7, v7, v8
	s_delay_alu instid0(VALU_DEP_1) | instskip(NEXT) | instid1(VALU_DEP_1)
	v_cvt_f32_f16_e32 v7, v7
	v_add_f32_e32 v19, v19, v7
	s_or_b32 exec_lo, exec_lo, s6
	s_and_saveexec_b32 s6, s3
	s_cbranch_execnz .LBB487_16
	s_branch .LBB487_17
.LBB487_26:                             ;   in Loop: Header=BB487_4 Depth=1
	ds_load_b32 v10, v14
	s_wait_alu 0xfffe
	s_or_b32 exec_lo, exec_lo, s6
	s_and_saveexec_b32 s6, s3
	s_cbranch_execz .LBB487_21
.LBB487_27:                             ;   in Loop: Header=BB487_4 Depth=1
	s_wait_dscnt 0x0
	ds_bpermute_b32 v7, v7, v10
	s_wait_dscnt 0x0
	v_add_f32_e32 v7, v10, v7
	ds_bpermute_b32 v8, v8, v7
	s_wait_dscnt 0x0
	v_add_f32_e32 v7, v7, v8
	;; [unrolled: 3-line block ×3, first 2 shown]
	s_wait_alu 0xfffe
	s_or_b32 exec_lo, exec_lo, s6
                                        ; implicit-def: $vgpr7
	s_and_saveexec_b32 s6, s0
	s_cbranch_execz .LBB487_31
.LBB487_28:                             ;   in Loop: Header=BB487_4 Depth=1
	s_wait_dscnt 0x0
	v_mul_f32_e32 v7, v18, v10
	s_cmp_eq_f32 s21, 0
	s_cbranch_scc1 .LBB487_30
; %bb.29:                               ;   in Loop: Header=BB487_4 Depth=1
	s_add_nc_u64 s[36:37], s[34:35], s[28:29]
	global_load_b32 v8, v11, s[36:37]
	s_wait_loadcnt 0x0
	v_fmac_f32_e32 v7, s21, v8
.LBB487_30:                             ;   in Loop: Header=BB487_4 Depth=1
	s_or_b32 s33, s33, exec_lo
.LBB487_31:                             ;   in Loop: Header=BB487_4 Depth=1
	s_wait_alu 0xfffe
	s_or_b32 exec_lo, exec_lo, s6
.LBB487_32:                             ;   in Loop: Header=BB487_4 Depth=1
	s_and_saveexec_b32 s6, s33
	s_cbranch_execz .LBB487_2
; %bb.33:                               ;   in Loop: Header=BB487_4 Depth=1
	s_add_nc_u64 s[34:35], s[34:35], s[28:29]
	global_store_b32 v11, v7, s[34:35]
	s_branch .LBB487_2
.LBB487_34:
	s_endpgm
	.section	.rodata,"a",@progbits
	.p2align	6, 0x0
	.amdhsa_kernel _ZL32rocblas_gemvt_warp_reduce_kernelILb0ELi256ElDF16_PKffEviiT3_lPKT2_lT1_lS5_lS6_lS2_lPT4_lS6_li
		.amdhsa_group_segment_fixed_size 128
		.amdhsa_private_segment_fixed_size 0
		.amdhsa_kernarg_size 140
		.amdhsa_user_sgpr_count 2
		.amdhsa_user_sgpr_dispatch_ptr 0
		.amdhsa_user_sgpr_queue_ptr 0
		.amdhsa_user_sgpr_kernarg_segment_ptr 1
		.amdhsa_user_sgpr_dispatch_id 0
		.amdhsa_user_sgpr_private_segment_size 0
		.amdhsa_wavefront_size32 1
		.amdhsa_uses_dynamic_stack 0
		.amdhsa_enable_private_segment 0
		.amdhsa_system_sgpr_workgroup_id_x 1
		.amdhsa_system_sgpr_workgroup_id_y 0
		.amdhsa_system_sgpr_workgroup_id_z 1
		.amdhsa_system_sgpr_workgroup_info 0
		.amdhsa_system_vgpr_workitem_id 0
		.amdhsa_next_free_vgpr 23
		.amdhsa_next_free_sgpr 52
		.amdhsa_reserve_vcc 1
		.amdhsa_float_round_mode_32 0
		.amdhsa_float_round_mode_16_64 0
		.amdhsa_float_denorm_mode_32 3
		.amdhsa_float_denorm_mode_16_64 3
		.amdhsa_fp16_overflow 0
		.amdhsa_workgroup_processor_mode 1
		.amdhsa_memory_ordered 1
		.amdhsa_forward_progress 1
		.amdhsa_inst_pref_size 13
		.amdhsa_round_robin_scheduling 0
		.amdhsa_exception_fp_ieee_invalid_op 0
		.amdhsa_exception_fp_denorm_src 0
		.amdhsa_exception_fp_ieee_div_zero 0
		.amdhsa_exception_fp_ieee_overflow 0
		.amdhsa_exception_fp_ieee_underflow 0
		.amdhsa_exception_fp_ieee_inexact 0
		.amdhsa_exception_int_div_zero 0
	.end_amdhsa_kernel
	.section	.text._ZL32rocblas_gemvt_warp_reduce_kernelILb0ELi256ElDF16_PKffEviiT3_lPKT2_lT1_lS5_lS6_lS2_lPT4_lS6_li,"axG",@progbits,_ZL32rocblas_gemvt_warp_reduce_kernelILb0ELi256ElDF16_PKffEviiT3_lPKT2_lT1_lS5_lS6_lS2_lPT4_lS6_li,comdat
.Lfunc_end487:
	.size	_ZL32rocblas_gemvt_warp_reduce_kernelILb0ELi256ElDF16_PKffEviiT3_lPKT2_lT1_lS5_lS6_lS2_lPT4_lS6_li, .Lfunc_end487-_ZL32rocblas_gemvt_warp_reduce_kernelILb0ELi256ElDF16_PKffEviiT3_lPKT2_lT1_lS5_lS6_lS2_lPT4_lS6_li
                                        ; -- End function
	.set _ZL32rocblas_gemvt_warp_reduce_kernelILb0ELi256ElDF16_PKffEviiT3_lPKT2_lT1_lS5_lS6_lS2_lPT4_lS6_li.num_vgpr, 23
	.set _ZL32rocblas_gemvt_warp_reduce_kernelILb0ELi256ElDF16_PKffEviiT3_lPKT2_lT1_lS5_lS6_lS2_lPT4_lS6_li.num_agpr, 0
	.set _ZL32rocblas_gemvt_warp_reduce_kernelILb0ELi256ElDF16_PKffEviiT3_lPKT2_lT1_lS5_lS6_lS2_lPT4_lS6_li.numbered_sgpr, 52
	.set _ZL32rocblas_gemvt_warp_reduce_kernelILb0ELi256ElDF16_PKffEviiT3_lPKT2_lT1_lS5_lS6_lS2_lPT4_lS6_li.num_named_barrier, 0
	.set _ZL32rocblas_gemvt_warp_reduce_kernelILb0ELi256ElDF16_PKffEviiT3_lPKT2_lT1_lS5_lS6_lS2_lPT4_lS6_li.private_seg_size, 0
	.set _ZL32rocblas_gemvt_warp_reduce_kernelILb0ELi256ElDF16_PKffEviiT3_lPKT2_lT1_lS5_lS6_lS2_lPT4_lS6_li.uses_vcc, 1
	.set _ZL32rocblas_gemvt_warp_reduce_kernelILb0ELi256ElDF16_PKffEviiT3_lPKT2_lT1_lS5_lS6_lS2_lPT4_lS6_li.uses_flat_scratch, 0
	.set _ZL32rocblas_gemvt_warp_reduce_kernelILb0ELi256ElDF16_PKffEviiT3_lPKT2_lT1_lS5_lS6_lS2_lPT4_lS6_li.has_dyn_sized_stack, 0
	.set _ZL32rocblas_gemvt_warp_reduce_kernelILb0ELi256ElDF16_PKffEviiT3_lPKT2_lT1_lS5_lS6_lS2_lPT4_lS6_li.has_recursion, 0
	.set _ZL32rocblas_gemvt_warp_reduce_kernelILb0ELi256ElDF16_PKffEviiT3_lPKT2_lT1_lS5_lS6_lS2_lPT4_lS6_li.has_indirect_call, 0
	.section	.AMDGPU.csdata,"",@progbits
; Kernel info:
; codeLenInByte = 1568
; TotalNumSgprs: 54
; NumVgprs: 23
; ScratchSize: 0
; MemoryBound: 0
; FloatMode: 240
; IeeeMode: 1
; LDSByteSize: 128 bytes/workgroup (compile time only)
; SGPRBlocks: 0
; VGPRBlocks: 2
; NumSGPRsForWavesPerEU: 54
; NumVGPRsForWavesPerEU: 23
; Occupancy: 16
; WaveLimiterHint : 0
; COMPUTE_PGM_RSRC2:SCRATCH_EN: 0
; COMPUTE_PGM_RSRC2:USER_SGPR: 2
; COMPUTE_PGM_RSRC2:TRAP_HANDLER: 0
; COMPUTE_PGM_RSRC2:TGID_X_EN: 1
; COMPUTE_PGM_RSRC2:TGID_Y_EN: 0
; COMPUTE_PGM_RSRC2:TGID_Z_EN: 1
; COMPUTE_PGM_RSRC2:TIDIG_COMP_CNT: 0
	.section	.text._ZL32rocblas_gemvt_warp_reduce_kernelILb0ELi256EiDF16_ffEviiT3_lPKT2_lT1_lS3_lS4_lS0_lPT4_lS4_li,"axG",@progbits,_ZL32rocblas_gemvt_warp_reduce_kernelILb0ELi256EiDF16_ffEviiT3_lPKT2_lT1_lS3_lS4_lS0_lPT4_lS4_li,comdat
	.globl	_ZL32rocblas_gemvt_warp_reduce_kernelILb0ELi256EiDF16_ffEviiT3_lPKT2_lT1_lS3_lS4_lS0_lPT4_lS4_li ; -- Begin function _ZL32rocblas_gemvt_warp_reduce_kernelILb0ELi256EiDF16_ffEviiT3_lPKT2_lT1_lS3_lS4_lS0_lPT4_lS4_li
	.p2align	8
	.type	_ZL32rocblas_gemvt_warp_reduce_kernelILb0ELi256EiDF16_ffEviiT3_lPKT2_lT1_lS3_lS4_lS0_lPT4_lS4_li,@function
_ZL32rocblas_gemvt_warp_reduce_kernelILb0ELi256EiDF16_ffEviiT3_lPKT2_lT1_lS3_lS4_lS0_lPT4_lS4_li: ; @_ZL32rocblas_gemvt_warp_reduce_kernelILb0ELi256EiDF16_ffEviiT3_lPKT2_lT1_lS3_lS4_lS0_lPT4_lS4_li
; %bb.0:
	s_load_b32 s19, s[0:1], 0x88
	s_lshr_b32 s24, ttmp7, 16
	s_wait_kmcnt 0x0
	s_cmp_ge_u32 s24, s19
	s_cbranch_scc1 .LBB488_34
; %bb.1:
	s_clause 0x9
	s_load_b96 s[20:22], s[0:1], 0x40
	s_load_b128 s[4:7], s[0:1], 0x68
	s_load_b128 s[12:15], s[0:1], 0x18
	s_load_b32 s33, s[0:1], 0x8
	s_load_b96 s[16:18], s[0:1], 0x50
	s_load_b128 s[8:11], s[0:1], 0x30
	s_load_b32 s23, s[0:1], 0x0
	s_load_b32 s35, s[0:1], 0x28
	;; [unrolled: 1-line block ×3, first 2 shown]
	s_load_b64 s[26:27], s[0:1], 0x80
	v_and_b32_e32 v1, 31, v0
	v_lshrrev_b32_e32 v2, 3, v0
	v_mov_b32_e32 v9, 0
	v_mbcnt_lo_u32_b32 v15, -1, 0
	v_cmp_eq_u32_e64 s0, 0, v0
	v_lshlrev_b32_e32 v10, 2, v1
	v_cmp_eq_u32_e64 s3, 0, v1
	v_and_b32_e32 v11, 28, v2
	v_cmp_gt_u32_e64 s1, 32, v0
	v_cmp_gt_u32_e64 s2, 8, v0
	s_wait_kmcnt 0x0
	s_lshl_b64 s[20:21], s[20:21], 1
	s_lshl_b64 s[28:29], s[6:7], 2
	;; [unrolled: 1-line block ×3, first 2 shown]
	s_cmp_eq_f32 s33, 0
	v_mul_lo_u32 v14, v0, s22
	s_add_nc_u64 s[10:11], s[10:11], s[20:21]
	v_cmp_gt_i32_e32 vcc_lo, s23, v0
	s_cselect_b32 s7, -1, 0
	s_cmp_neq_f32 s33, 0
	s_mul_i32 s38, s35, ttmp9
	s_mul_i32 s34, s34, ttmp9
	v_cndmask_b32_e32 v1, 0, v0, vcc_lo
	s_cselect_b32 s6, -1, 0
	s_cmp_neq_f32 s18, 1.0
	v_lshl_or_b32 v16, v15, 2, 64
	s_mov_b32 s25, 0
	v_lshlrev_b32_e32 v1, 1, v1
	s_cselect_b32 s14, -1, 0
	s_delay_alu instid0(SALU_CYCLE_1)
	s_or_b32 s36, s6, s14
	s_cmp_neq_f32 s18, 0
	s_add_nc_u64 s[14:15], s[4:5], s[28:29]
	s_cselect_b32 s37, -1, 0
	s_ashr_i32 s6, s23, 31
	s_ashr_i32 s39, s38, 31
	s_lshr_b32 s6, s6, 24
	s_ashr_i32 s35, s34, 31
	s_add_co_i32 s4, s23, s6
	s_delay_alu instid0(SALU_CYCLE_1)
	s_and_b32 s20, s4, 0xffffff00
	s_add_nc_u64 s[4:5], s[12:13], s[30:31]
	v_or_b32_e32 v2, s20, v0
	v_add_co_u32 v4, s4, s4, v1
	s_wait_alu 0xf1ff
	v_add_co_ci_u32_e64 v5, null, s5, 0, s4
	s_delay_alu instid0(VALU_DEP_3)
	v_mul_lo_u32 v3, s22, v2
	s_lshl_b64 s[4:5], s[38:39], 1
	s_ashr_i32 s21, s20, 31
	s_wait_alu 0xfffe
	v_add_co_u32 v12, vcc_lo, v4, s4
	s_add_nc_u64 s[28:29], s[30:31], s[4:5]
	s_wait_alu 0xfffd
	v_add_co_ci_u32_e64 v13, null, s5, v5, vcc_lo
	v_ashrrev_i32_e32 v4, 31, v3
	s_add_nc_u64 s[12:13], s[12:13], s[28:29]
	v_cmp_gt_i32_e64 s4, s20, v0
	v_add_co_u32 v1, s6, s12, v1
	s_delay_alu instid0(VALU_DEP_3)
	v_lshlrev_b64_e32 v[3:4], 1, v[3:4]
	v_cmp_gt_i32_e64 s5, s23, v2
	v_add_co_ci_u32_e64 v2, null, s13, 0, s6
	s_lshl_b64 s[12:13], s[8:9], 1
	s_lshl_b32 s38, s22, 8
	s_lshl_b64 s[22:23], s[34:35], 2
	s_lshl_b64 s[28:29], s[20:21], 1
	s_branch .LBB488_4
.LBB488_2:                              ;   in Loop: Header=BB488_4 Depth=1
	s_wait_alu 0xfffe
	s_or_b32 exec_lo, exec_lo, s6
.LBB488_3:                              ;   in Loop: Header=BB488_4 Depth=1
	s_add_co_i32 s24, s24, 0x10000
	s_wait_alu 0xfffe
	s_cmp_lt_u32 s24, s19
	s_cbranch_scc0 .LBB488_34
.LBB488_4:                              ; =>This Loop Header: Depth=1
                                        ;     Child Loop BB488_23 Depth 2
	s_and_not1_b32 vcc_lo, exec_lo, s36
	s_wait_alu 0xfffe
	s_cbranch_vccnz .LBB488_3
; %bb.5:                                ;   in Loop: Header=BB488_4 Depth=1
	s_mul_u64 s[30:31], s[26:27], s[24:25]
	s_and_not1_b32 vcc_lo, exec_lo, s7
	s_lshl_b64 s[30:31], s[30:31], 2
	s_delay_alu instid0(SALU_CYCLE_1)
	s_add_nc_u64 s[30:31], s[14:15], s[30:31]
	s_wait_alu 0xfffe
	s_cbranch_vccnz .LBB488_9
; %bb.6:                                ;   in Loop: Header=BB488_4 Depth=1
	s_mov_b32 s6, 0
	s_mov_b32 s21, 0
                                        ; implicit-def: $vgpr5
	s_and_saveexec_b32 s34, s0
	s_cbranch_execz .LBB488_10
; %bb.7:                                ;   in Loop: Header=BB488_4 Depth=1
	s_and_not1_b32 vcc_lo, exec_lo, s37
	s_wait_alu 0xfffe
	s_cbranch_vccnz .LBB488_11
; %bb.8:                                ;   in Loop: Header=BB488_4 Depth=1
	s_add_nc_u64 s[40:41], s[30:31], s[22:23]
	global_load_b32 v5, v9, s[40:41]
	s_wait_loadcnt 0x0
	v_mul_f32_e32 v5, s18, v5
	s_branch .LBB488_12
.LBB488_9:                              ;   in Loop: Header=BB488_4 Depth=1
	s_mov_b32 s21, 0
                                        ; implicit-def: $vgpr5
	s_cbranch_execnz .LBB488_13
	s_branch .LBB488_32
.LBB488_10:                             ;   in Loop: Header=BB488_4 Depth=1
	s_wait_alu 0xfffe
	s_or_b32 exec_lo, exec_lo, s34
	s_delay_alu instid0(SALU_CYCLE_1)
	s_and_b32 vcc_lo, exec_lo, s6
	s_wait_alu 0xfffe
	s_cbranch_vccnz .LBB488_13
	s_branch .LBB488_32
.LBB488_11:                             ;   in Loop: Header=BB488_4 Depth=1
	v_mov_b32_e32 v5, 0
.LBB488_12:                             ;   in Loop: Header=BB488_4 Depth=1
	s_mov_b32 s21, exec_lo
	s_or_b32 exec_lo, exec_lo, s34
	s_delay_alu instid0(SALU_CYCLE_1)
	s_and_b32 vcc_lo, exec_lo, s6
	s_wait_alu 0xfffe
	s_cbranch_vccz .LBB488_32
.LBB488_13:                             ;   in Loop: Header=BB488_4 Depth=1
	s_mul_u64 s[34:35], s[16:17], s[24:25]
	v_mov_b32_e32 v17, 0
	s_wait_alu 0xfffe
	s_lshl_b64 s[34:35], s[34:35], 1
	s_wait_alu 0xfffe
	s_add_nc_u64 s[34:35], s[10:11], s[34:35]
	s_and_saveexec_b32 s39, s4
	s_cbranch_execnz .LBB488_22
; %bb.14:                               ;   in Loop: Header=BB488_4 Depth=1
	s_wait_alu 0xfffe
	s_or_b32 exec_lo, exec_lo, s39
	s_and_saveexec_b32 s6, s5
	s_cbranch_execnz .LBB488_25
.LBB488_15:                             ;   in Loop: Header=BB488_4 Depth=1
	s_wait_alu 0xfffe
	s_or_b32 exec_lo, exec_lo, s6
	s_and_saveexec_b32 s6, s1
.LBB488_16:                             ;   in Loop: Header=BB488_4 Depth=1
	ds_store_b32 v10, v9
.LBB488_17:                             ;   in Loop: Header=BB488_4 Depth=1
	s_wait_alu 0xfffe
	s_or_b32 exec_lo, exec_lo, s6
	ds_bpermute_b32 v5, v16, v17
	v_cmp_gt_u32_e32 vcc_lo, 24, v15
	s_wait_dscnt 0x0
	s_barrier_signal -1
	s_barrier_wait -1
	global_inv scope:SCOPE_SE
	s_wait_alu 0xfffd
	v_cndmask_b32_e64 v6, 0, 8, vcc_lo
	v_cmp_gt_u32_e32 vcc_lo, 28, v15
	s_delay_alu instid0(VALU_DEP_2)
	v_add_lshl_u32 v6, v6, v15, 2
	v_add_f32_e32 v7, v17, v5
	s_wait_alu 0xfffd
	v_cndmask_b32_e64 v5, 0, 4, vcc_lo
	v_cmp_gt_u32_e32 vcc_lo, 30, v15
	ds_bpermute_b32 v6, v6, v7
	v_add_lshl_u32 v5, v5, v15, 2
	s_wait_dscnt 0x0
	v_add_f32_e32 v7, v7, v6
	s_wait_alu 0xfffd
	v_cndmask_b32_e64 v6, 0, 2, vcc_lo
	v_cmp_ne_u32_e32 vcc_lo, 31, v15
	ds_bpermute_b32 v8, v5, v7
	v_add_lshl_u32 v6, v6, v15, 2
	s_wait_alu 0xfffd
	v_add_co_ci_u32_e64 v17, null, 0, v15, vcc_lo
	s_wait_dscnt 0x0
	v_add_f32_e32 v7, v7, v8
	ds_bpermute_b32 v8, v6, v7
	s_wait_dscnt 0x0
	v_dual_add_f32 v8, v7, v8 :: v_dual_lshlrev_b32 v7, 2, v17
	ds_bpermute_b32 v17, v7, v8
	s_and_saveexec_b32 s6, s3
	s_cbranch_execz .LBB488_19
; %bb.18:                               ;   in Loop: Header=BB488_4 Depth=1
	s_wait_dscnt 0x0
	v_add_f32_e32 v8, v8, v17
	ds_store_b32 v11, v8
.LBB488_19:                             ;   in Loop: Header=BB488_4 Depth=1
	s_wait_alu 0xfffe
	s_or_b32 exec_lo, exec_lo, s6
	v_mov_b32_e32 v8, 0
	s_wait_loadcnt_dscnt 0x0
	s_barrier_signal -1
	s_barrier_wait -1
	global_inv scope:SCOPE_SE
	s_and_saveexec_b32 s6, s2
	s_cbranch_execnz .LBB488_26
; %bb.20:                               ;   in Loop: Header=BB488_4 Depth=1
	s_wait_alu 0xfffe
	s_or_b32 exec_lo, exec_lo, s6
	s_and_saveexec_b32 s6, s1
	s_cbranch_execnz .LBB488_27
.LBB488_21:                             ;   in Loop: Header=BB488_4 Depth=1
	s_wait_alu 0xfffe
	s_or_b32 exec_lo, exec_lo, s6
                                        ; implicit-def: $vgpr5
	s_and_saveexec_b32 s6, s0
	s_cbranch_execnz .LBB488_28
	s_branch .LBB488_31
.LBB488_22:                             ;   in Loop: Header=BB488_4 Depth=1
	v_mad_co_u64_u32 v[5:6], null, s12, s24, v[1:2]
	v_dual_mov_b32 v17, 0 :: v_dual_mov_b32 v18, v0
	s_mov_b32 s40, 0
	s_delay_alu instid0(VALU_DEP_2)
	v_mad_co_u64_u32 v[6:7], null, s13, s24, v[6:7]
	v_mov_b32_e32 v7, v14
.LBB488_23:                             ;   Parent Loop BB488_4 Depth=1
                                        ; =>  This Inner Loop Header: Depth=2
	s_wait_dscnt 0x0
	s_delay_alu instid0(VALU_DEP_1) | instskip(NEXT) | instid1(VALU_DEP_1)
	v_ashrrev_i32_e32 v8, 31, v7
	v_lshlrev_b64_e32 v[19:20], 1, v[7:8]
	v_add_nc_u32_e32 v7, s38, v7
	s_wait_alu 0xfffe
	s_delay_alu instid0(VALU_DEP_2) | instskip(SKIP_1) | instid1(VALU_DEP_3)
	v_add_co_u32 v19, vcc_lo, s34, v19
	s_wait_alu 0xfffd
	v_add_co_ci_u32_e64 v20, null, s35, v20, vcc_lo
	global_load_u16 v8, v[5:6], off
	global_load_u16 v19, v[19:20], off
	v_add_co_u32 v5, vcc_lo, 0x200, v5
	s_wait_alu 0xfffd
	v_add_co_ci_u32_e64 v6, null, 0, v6, vcc_lo
	s_wait_loadcnt 0x0
	v_mul_f16_e32 v8, v8, v19
	s_delay_alu instid0(VALU_DEP_1) | instskip(NEXT) | instid1(VALU_DEP_1)
	v_cvt_f32_f16_e32 v8, v8
	v_dual_add_f32 v17, v17, v8 :: v_dual_add_nc_u32 v18, 0x100, v18
	s_delay_alu instid0(VALU_DEP_1)
	v_cmp_le_i32_e64 s6, s20, v18
	s_or_b32 s40, s6, s40
	s_wait_alu 0xfffe
	s_and_not1_b32 exec_lo, exec_lo, s40
	s_cbranch_execnz .LBB488_23
; %bb.24:                               ;   in Loop: Header=BB488_4 Depth=1
	s_or_b32 exec_lo, exec_lo, s40
	s_delay_alu instid0(SALU_CYCLE_1)
	s_or_b32 exec_lo, exec_lo, s39
	s_and_saveexec_b32 s6, s5
	s_cbranch_execz .LBB488_15
.LBB488_25:                             ;   in Loop: Header=BB488_4 Depth=1
	s_mul_u64 s[40:41], s[8:9], s[24:25]
	s_wait_alu 0xfffe
	s_lshl_b64 s[40:41], s[40:41], 1
	s_wait_alu 0xfffe
	v_add_co_u32 v5, vcc_lo, v12, s40
	s_wait_alu 0xfffd
	v_add_co_ci_u32_e64 v6, null, s41, v13, vcc_lo
	s_delay_alu instid0(VALU_DEP_2) | instskip(SKIP_1) | instid1(VALU_DEP_2)
	v_add_co_u32 v5, vcc_lo, v5, s28
	s_wait_alu 0xfffd
	v_add_co_ci_u32_e64 v6, null, s29, v6, vcc_lo
	v_add_co_u32 v7, vcc_lo, s34, v3
	s_wait_dscnt 0x0
	s_wait_alu 0xfffd
	v_add_co_ci_u32_e64 v8, null, s35, v4, vcc_lo
	global_load_u16 v5, v[5:6], off
	global_load_u16 v6, v[7:8], off
	s_wait_loadcnt 0x0
	v_mul_f16_e32 v5, v5, v6
	s_delay_alu instid0(VALU_DEP_1) | instskip(NEXT) | instid1(VALU_DEP_1)
	v_cvt_f32_f16_e32 v5, v5
	v_add_f32_e32 v17, v17, v5
	s_or_b32 exec_lo, exec_lo, s6
	s_and_saveexec_b32 s6, s1
	s_cbranch_execnz .LBB488_16
	s_branch .LBB488_17
.LBB488_26:                             ;   in Loop: Header=BB488_4 Depth=1
	ds_load_b32 v8, v10
	s_wait_alu 0xfffe
	s_or_b32 exec_lo, exec_lo, s6
	s_and_saveexec_b32 s6, s1
	s_cbranch_execz .LBB488_21
.LBB488_27:                             ;   in Loop: Header=BB488_4 Depth=1
	s_wait_dscnt 0x0
	ds_bpermute_b32 v5, v5, v8
	s_wait_dscnt 0x0
	v_add_f32_e32 v5, v8, v5
	ds_bpermute_b32 v6, v6, v5
	s_wait_dscnt 0x0
	v_add_f32_e32 v5, v5, v6
	;; [unrolled: 3-line block ×3, first 2 shown]
	s_wait_alu 0xfffe
	s_or_b32 exec_lo, exec_lo, s6
                                        ; implicit-def: $vgpr5
	s_and_saveexec_b32 s6, s0
	s_cbranch_execz .LBB488_31
.LBB488_28:                             ;   in Loop: Header=BB488_4 Depth=1
	s_wait_dscnt 0x0
	v_mul_f32_e32 v5, s33, v8
	s_and_not1_b32 vcc_lo, exec_lo, s37
	s_wait_alu 0xfffe
	s_cbranch_vccnz .LBB488_30
; %bb.29:                               ;   in Loop: Header=BB488_4 Depth=1
	s_add_nc_u64 s[34:35], s[30:31], s[22:23]
	global_load_b32 v6, v9, s[34:35]
	s_wait_loadcnt 0x0
	v_fmac_f32_e32 v5, s18, v6
.LBB488_30:                             ;   in Loop: Header=BB488_4 Depth=1
	s_or_b32 s21, s21, exec_lo
.LBB488_31:                             ;   in Loop: Header=BB488_4 Depth=1
	s_wait_alu 0xfffe
	s_or_b32 exec_lo, exec_lo, s6
.LBB488_32:                             ;   in Loop: Header=BB488_4 Depth=1
	s_wait_alu 0xfffe
	s_and_saveexec_b32 s6, s21
	s_cbranch_execz .LBB488_2
; %bb.33:                               ;   in Loop: Header=BB488_4 Depth=1
	s_add_nc_u64 s[30:31], s[30:31], s[22:23]
	global_store_b32 v9, v5, s[30:31]
	s_branch .LBB488_2
.LBB488_34:
	s_endpgm
	.section	.rodata,"a",@progbits
	.p2align	6, 0x0
	.amdhsa_kernel _ZL32rocblas_gemvt_warp_reduce_kernelILb0ELi256EiDF16_ffEviiT3_lPKT2_lT1_lS3_lS4_lS0_lPT4_lS4_li
		.amdhsa_group_segment_fixed_size 128
		.amdhsa_private_segment_fixed_size 0
		.amdhsa_kernarg_size 140
		.amdhsa_user_sgpr_count 2
		.amdhsa_user_sgpr_dispatch_ptr 0
		.amdhsa_user_sgpr_queue_ptr 0
		.amdhsa_user_sgpr_kernarg_segment_ptr 1
		.amdhsa_user_sgpr_dispatch_id 0
		.amdhsa_user_sgpr_private_segment_size 0
		.amdhsa_wavefront_size32 1
		.amdhsa_uses_dynamic_stack 0
		.amdhsa_enable_private_segment 0
		.amdhsa_system_sgpr_workgroup_id_x 1
		.amdhsa_system_sgpr_workgroup_id_y 0
		.amdhsa_system_sgpr_workgroup_id_z 1
		.amdhsa_system_sgpr_workgroup_info 0
		.amdhsa_system_vgpr_workitem_id 0
		.amdhsa_next_free_vgpr 21
		.amdhsa_next_free_sgpr 42
		.amdhsa_reserve_vcc 1
		.amdhsa_float_round_mode_32 0
		.amdhsa_float_round_mode_16_64 0
		.amdhsa_float_denorm_mode_32 3
		.amdhsa_float_denorm_mode_16_64 3
		.amdhsa_fp16_overflow 0
		.amdhsa_workgroup_processor_mode 1
		.amdhsa_memory_ordered 1
		.amdhsa_forward_progress 1
		.amdhsa_inst_pref_size 13
		.amdhsa_round_robin_scheduling 0
		.amdhsa_exception_fp_ieee_invalid_op 0
		.amdhsa_exception_fp_denorm_src 0
		.amdhsa_exception_fp_ieee_div_zero 0
		.amdhsa_exception_fp_ieee_overflow 0
		.amdhsa_exception_fp_ieee_underflow 0
		.amdhsa_exception_fp_ieee_inexact 0
		.amdhsa_exception_int_div_zero 0
	.end_amdhsa_kernel
	.section	.text._ZL32rocblas_gemvt_warp_reduce_kernelILb0ELi256EiDF16_ffEviiT3_lPKT2_lT1_lS3_lS4_lS0_lPT4_lS4_li,"axG",@progbits,_ZL32rocblas_gemvt_warp_reduce_kernelILb0ELi256EiDF16_ffEviiT3_lPKT2_lT1_lS3_lS4_lS0_lPT4_lS4_li,comdat
.Lfunc_end488:
	.size	_ZL32rocblas_gemvt_warp_reduce_kernelILb0ELi256EiDF16_ffEviiT3_lPKT2_lT1_lS3_lS4_lS0_lPT4_lS4_li, .Lfunc_end488-_ZL32rocblas_gemvt_warp_reduce_kernelILb0ELi256EiDF16_ffEviiT3_lPKT2_lT1_lS3_lS4_lS0_lPT4_lS4_li
                                        ; -- End function
	.set _ZL32rocblas_gemvt_warp_reduce_kernelILb0ELi256EiDF16_ffEviiT3_lPKT2_lT1_lS3_lS4_lS0_lPT4_lS4_li.num_vgpr, 21
	.set _ZL32rocblas_gemvt_warp_reduce_kernelILb0ELi256EiDF16_ffEviiT3_lPKT2_lT1_lS3_lS4_lS0_lPT4_lS4_li.num_agpr, 0
	.set _ZL32rocblas_gemvt_warp_reduce_kernelILb0ELi256EiDF16_ffEviiT3_lPKT2_lT1_lS3_lS4_lS0_lPT4_lS4_li.numbered_sgpr, 42
	.set _ZL32rocblas_gemvt_warp_reduce_kernelILb0ELi256EiDF16_ffEviiT3_lPKT2_lT1_lS3_lS4_lS0_lPT4_lS4_li.num_named_barrier, 0
	.set _ZL32rocblas_gemvt_warp_reduce_kernelILb0ELi256EiDF16_ffEviiT3_lPKT2_lT1_lS3_lS4_lS0_lPT4_lS4_li.private_seg_size, 0
	.set _ZL32rocblas_gemvt_warp_reduce_kernelILb0ELi256EiDF16_ffEviiT3_lPKT2_lT1_lS3_lS4_lS0_lPT4_lS4_li.uses_vcc, 1
	.set _ZL32rocblas_gemvt_warp_reduce_kernelILb0ELi256EiDF16_ffEviiT3_lPKT2_lT1_lS3_lS4_lS0_lPT4_lS4_li.uses_flat_scratch, 0
	.set _ZL32rocblas_gemvt_warp_reduce_kernelILb0ELi256EiDF16_ffEviiT3_lPKT2_lT1_lS3_lS4_lS0_lPT4_lS4_li.has_dyn_sized_stack, 0
	.set _ZL32rocblas_gemvt_warp_reduce_kernelILb0ELi256EiDF16_ffEviiT3_lPKT2_lT1_lS3_lS4_lS0_lPT4_lS4_li.has_recursion, 0
	.set _ZL32rocblas_gemvt_warp_reduce_kernelILb0ELi256EiDF16_ffEviiT3_lPKT2_lT1_lS3_lS4_lS0_lPT4_lS4_li.has_indirect_call, 0
	.section	.AMDGPU.csdata,"",@progbits
; Kernel info:
; codeLenInByte = 1544
; TotalNumSgprs: 44
; NumVgprs: 21
; ScratchSize: 0
; MemoryBound: 0
; FloatMode: 240
; IeeeMode: 1
; LDSByteSize: 128 bytes/workgroup (compile time only)
; SGPRBlocks: 0
; VGPRBlocks: 2
; NumSGPRsForWavesPerEU: 44
; NumVGPRsForWavesPerEU: 21
; Occupancy: 16
; WaveLimiterHint : 0
; COMPUTE_PGM_RSRC2:SCRATCH_EN: 0
; COMPUTE_PGM_RSRC2:USER_SGPR: 2
; COMPUTE_PGM_RSRC2:TRAP_HANDLER: 0
; COMPUTE_PGM_RSRC2:TGID_X_EN: 1
; COMPUTE_PGM_RSRC2:TGID_Y_EN: 0
; COMPUTE_PGM_RSRC2:TGID_Z_EN: 1
; COMPUTE_PGM_RSRC2:TIDIG_COMP_CNT: 0
	.section	.text._ZL32rocblas_gemvt_warp_reduce_kernelILb0ELi256ElDF16_ffEviiT3_lPKT2_lT1_lS3_lS4_lS0_lPT4_lS4_li,"axG",@progbits,_ZL32rocblas_gemvt_warp_reduce_kernelILb0ELi256ElDF16_ffEviiT3_lPKT2_lT1_lS3_lS4_lS0_lPT4_lS4_li,comdat
	.globl	_ZL32rocblas_gemvt_warp_reduce_kernelILb0ELi256ElDF16_ffEviiT3_lPKT2_lT1_lS3_lS4_lS0_lPT4_lS4_li ; -- Begin function _ZL32rocblas_gemvt_warp_reduce_kernelILb0ELi256ElDF16_ffEviiT3_lPKT2_lT1_lS3_lS4_lS0_lPT4_lS4_li
	.p2align	8
	.type	_ZL32rocblas_gemvt_warp_reduce_kernelILb0ELi256ElDF16_ffEviiT3_lPKT2_lT1_lS3_lS4_lS0_lPT4_lS4_li,@function
_ZL32rocblas_gemvt_warp_reduce_kernelILb0ELi256ElDF16_ffEviiT3_lPKT2_lT1_lS3_lS4_lS0_lPT4_lS4_li: ; @_ZL32rocblas_gemvt_warp_reduce_kernelILb0ELi256ElDF16_ffEviiT3_lPKT2_lT1_lS3_lS4_lS0_lPT4_lS4_li
; %bb.0:
	s_load_b32 s7, s[0:1], 0x88
	s_lshr_b32 s34, ttmp7, 16
	s_wait_kmcnt 0x0
	s_cmp_ge_u32 s34, s7
	s_cbranch_scc1 .LBB489_34
; %bb.1:
	s_clause 0x4
	s_load_b512 s[8:23], s[0:1], 0x18
	s_load_b256 s[24:31], s[0:1], 0x68
	s_load_b32 s33, s[0:1], 0x8
	s_load_b32 s36, s[0:1], 0x58
	s_load_b32 s6, s[0:1], 0x0
	v_and_b32_e32 v1, 31, v0
	v_mov_b32_e32 v11, 0
	s_mov_b32 s4, ttmp9
	v_lshrrev_b32_e32 v4, 3, v0
	v_mbcnt_lo_u32_b32 v16, -1, 0
	v_lshlrev_b32_e32 v12, 2, v1
	v_cmp_eq_u32_e64 s2, 0, v1
	v_cmp_eq_u32_e64 s0, 0, v0
	v_and_b32_e32 v15, 28, v4
	v_cmp_gt_u32_e64 s1, 32, v0
	v_lshl_or_b32 v17, v16, 2, 64
	s_mov_b32 s35, 0
	s_wait_kmcnt 0x0
	s_lshl_b64 s[18:19], s[18:19], 1
	s_lshl_b64 s[26:27], s[26:27], 2
	s_lshl_b64 s[40:41], s[10:11], 1
	s_cmp_eq_f32 s33, 0
	v_cmp_gt_i32_e32 vcc_lo, s6, v0
	v_mad_co_u64_u32 v[1:2], null, s20, v0, 0
	s_cselect_b32 s37, -1, 0
	s_cmp_neq_f32 s33, 0
	v_cndmask_b32_e32 v3, 0, v0, vcc_lo
	s_add_nc_u64 s[10:11], s[16:17], s[18:19]
	s_add_nc_u64 s[18:19], s[8:9], s[40:41]
	s_cselect_b32 s3, -1, 0
	s_cmp_neq_f32 s36, 1.0
	v_lshlrev_b32_e32 v7, 1, v3
	v_mad_co_u64_u32 v[2:3], null, s21, v0, v[2:3]
	s_cselect_b32 s5, -1, 0
	s_add_nc_u64 s[16:17], s[24:25], s[26:27]
	s_or_b32 s38, s3, s5
	s_cmp_neq_f32 s36, 0
	v_add_co_u32 v8, s5, s18, v7
	s_delay_alu instid0(VALU_DEP_1)
	v_add_co_ci_u32_e64 v9, null, s19, 0, s5
	s_cselect_b32 s39, -1, 0
	s_ashr_i32 s3, s6, 31
	s_ashr_i32 s5, ttmp9, 31
	s_lshr_b32 s3, s3, 24
	s_wait_alu 0xfffe
	s_mul_u64 s[12:13], s[12:13], s[4:5]
	s_add_co_i32 s3, s6, s3
	s_mul_u64 s[24:25], s[28:29], s[4:5]
	s_and_b32 s18, s3, 0xffffff00
	s_lshl_b64 s[12:13], s[12:13], 1
	s_wait_alu 0xfffe
	v_or_b32_e32 v10, s18, v0
	s_ashr_i32 s19, s18, 31
	v_add_co_u32 v13, vcc_lo, v8, s12
	s_wait_alu 0xfffe
	s_mul_i32 s5, s20, s19
	v_mul_lo_u32 v3, s21, v10
	v_mad_co_u64_u32 v[5:6], null, s20, v10, 0
	s_wait_alu 0xfffd
	v_add_co_ci_u32_e64 v14, null, s13, v9, vcc_lo
	s_add_nc_u64 s[12:13], s[12:13], s[40:41]
	v_cmp_gt_i32_e64 s4, s6, v10
	s_wait_alu 0xfffe
	s_add_nc_u64 s[8:9], s[8:9], s[12:13]
	v_cmp_gt_i32_e64 s3, s18, v0
	v_add3_u32 v6, v6, s5, v3
	v_lshlrev_b64_e32 v[3:4], 1, v[1:2]
	v_add_co_u32 v1, s6, s8, v7
	v_cmp_gt_u32_e64 s5, 8, v0
	s_delay_alu instid0(VALU_DEP_4)
	v_lshlrev_b64_e32 v[5:6], 1, v[5:6]
	s_wait_alu 0xf1ff
	v_add_co_ci_u32_e64 v2, null, s9, 0, s6
	v_add_co_u32 v3, vcc_lo, s10, v3
	s_wait_alu 0xfffd
	v_add_co_ci_u32_e64 v4, null, s11, v4, vcc_lo
	s_lshl_b64 s[8:9], s[14:15], 1
	s_lshl_b64 s[12:13], s[22:23], 1
	;; [unrolled: 1-line block ×5, first 2 shown]
	s_branch .LBB489_4
.LBB489_2:                              ;   in Loop: Header=BB489_4 Depth=1
	s_wait_alu 0xfffe
	s_or_b32 exec_lo, exec_lo, s6
.LBB489_3:                              ;   in Loop: Header=BB489_4 Depth=1
	s_add_co_i32 s34, s34, 0x10000
	s_wait_alu 0xfffe
	s_cmp_lt_u32 s34, s7
	s_cbranch_scc0 .LBB489_34
.LBB489_4:                              ; =>This Loop Header: Depth=1
                                        ;     Child Loop BB489_23 Depth 2
	s_and_not1_b32 vcc_lo, exec_lo, s38
	s_wait_alu 0xfffe
	s_cbranch_vccnz .LBB489_3
; %bb.5:                                ;   in Loop: Header=BB489_4 Depth=1
	s_mul_u64 s[28:29], s[30:31], s[34:35]
	s_and_not1_b32 vcc_lo, exec_lo, s37
	s_lshl_b64 s[28:29], s[28:29], 2
	s_delay_alu instid0(SALU_CYCLE_1)
	s_add_nc_u64 s[28:29], s[16:17], s[28:29]
	s_wait_alu 0xfffe
	s_cbranch_vccnz .LBB489_9
; %bb.6:                                ;   in Loop: Header=BB489_4 Depth=1
	s_mov_b32 s6, 0
	s_mov_b32 s19, 0
                                        ; implicit-def: $vgpr7
	s_and_saveexec_b32 s40, s0
	s_cbranch_execz .LBB489_10
; %bb.7:                                ;   in Loop: Header=BB489_4 Depth=1
	s_and_not1_b32 vcc_lo, exec_lo, s39
	s_wait_alu 0xfffe
	s_cbranch_vccnz .LBB489_11
; %bb.8:                                ;   in Loop: Header=BB489_4 Depth=1
	s_add_nc_u64 s[42:43], s[28:29], s[24:25]
	global_load_b32 v7, v11, s[42:43]
	s_wait_loadcnt 0x0
	v_mul_f32_e32 v7, s36, v7
	s_branch .LBB489_12
.LBB489_9:                              ;   in Loop: Header=BB489_4 Depth=1
	s_mov_b32 s19, 0
                                        ; implicit-def: $vgpr7
	s_cbranch_execnz .LBB489_13
	s_branch .LBB489_32
.LBB489_10:                             ;   in Loop: Header=BB489_4 Depth=1
	s_wait_alu 0xfffe
	s_or_b32 exec_lo, exec_lo, s40
	s_delay_alu instid0(SALU_CYCLE_1)
	s_and_b32 vcc_lo, exec_lo, s6
	s_wait_alu 0xfffe
	s_cbranch_vccnz .LBB489_13
	s_branch .LBB489_32
.LBB489_11:                             ;   in Loop: Header=BB489_4 Depth=1
	v_mov_b32_e32 v7, 0
.LBB489_12:                             ;   in Loop: Header=BB489_4 Depth=1
	s_mov_b32 s19, exec_lo
	s_or_b32 exec_lo, exec_lo, s40
	s_delay_alu instid0(SALU_CYCLE_1)
	s_and_b32 vcc_lo, exec_lo, s6
	s_wait_alu 0xfffe
	s_cbranch_vccz .LBB489_32
.LBB489_13:                             ;   in Loop: Header=BB489_4 Depth=1
	v_mov_b32_e32 v18, 0
	s_and_saveexec_b32 s40, s3
	s_cbranch_execnz .LBB489_22
; %bb.14:                               ;   in Loop: Header=BB489_4 Depth=1
	s_wait_alu 0xfffe
	s_or_b32 exec_lo, exec_lo, s40
	s_and_saveexec_b32 s6, s4
	s_cbranch_execnz .LBB489_25
.LBB489_15:                             ;   in Loop: Header=BB489_4 Depth=1
	s_wait_alu 0xfffe
	s_or_b32 exec_lo, exec_lo, s6
	s_and_saveexec_b32 s6, s1
.LBB489_16:                             ;   in Loop: Header=BB489_4 Depth=1
	ds_store_b32 v12, v11
.LBB489_17:                             ;   in Loop: Header=BB489_4 Depth=1
	s_wait_alu 0xfffe
	s_or_b32 exec_lo, exec_lo, s6
	ds_bpermute_b32 v7, v17, v18
	v_cmp_gt_u32_e32 vcc_lo, 24, v16
	s_wait_dscnt 0x0
	s_barrier_signal -1
	s_barrier_wait -1
	global_inv scope:SCOPE_SE
	s_wait_alu 0xfffd
	v_cndmask_b32_e64 v8, 0, 8, vcc_lo
	v_cmp_gt_u32_e32 vcc_lo, 28, v16
	s_delay_alu instid0(VALU_DEP_2)
	v_add_lshl_u32 v8, v8, v16, 2
	v_add_f32_e32 v9, v18, v7
	s_wait_alu 0xfffd
	v_cndmask_b32_e64 v7, 0, 4, vcc_lo
	v_cmp_gt_u32_e32 vcc_lo, 30, v16
	ds_bpermute_b32 v8, v8, v9
	v_add_lshl_u32 v7, v7, v16, 2
	s_wait_dscnt 0x0
	v_add_f32_e32 v9, v9, v8
	s_wait_alu 0xfffd
	v_cndmask_b32_e64 v8, 0, 2, vcc_lo
	v_cmp_ne_u32_e32 vcc_lo, 31, v16
	ds_bpermute_b32 v10, v7, v9
	v_add_lshl_u32 v8, v8, v16, 2
	s_wait_alu 0xfffd
	v_add_co_ci_u32_e64 v18, null, 0, v16, vcc_lo
	s_wait_dscnt 0x0
	v_add_f32_e32 v9, v9, v10
	ds_bpermute_b32 v10, v8, v9
	s_wait_dscnt 0x0
	v_add_f32_e32 v10, v9, v10
	v_lshlrev_b32_e32 v9, 2, v18
	ds_bpermute_b32 v18, v9, v10
	s_and_saveexec_b32 s6, s2
	s_cbranch_execz .LBB489_19
; %bb.18:                               ;   in Loop: Header=BB489_4 Depth=1
	s_wait_dscnt 0x0
	v_add_f32_e32 v10, v10, v18
	ds_store_b32 v15, v10
.LBB489_19:                             ;   in Loop: Header=BB489_4 Depth=1
	s_wait_alu 0xfffe
	s_or_b32 exec_lo, exec_lo, s6
	v_mov_b32_e32 v10, 0
	s_wait_loadcnt_dscnt 0x0
	s_barrier_signal -1
	s_barrier_wait -1
	global_inv scope:SCOPE_SE
	s_and_saveexec_b32 s6, s5
	s_cbranch_execnz .LBB489_26
; %bb.20:                               ;   in Loop: Header=BB489_4 Depth=1
	s_wait_alu 0xfffe
	s_or_b32 exec_lo, exec_lo, s6
	s_and_saveexec_b32 s6, s1
	s_cbranch_execnz .LBB489_27
.LBB489_21:                             ;   in Loop: Header=BB489_4 Depth=1
	s_wait_alu 0xfffe
	s_or_b32 exec_lo, exec_lo, s6
                                        ; implicit-def: $vgpr7
	s_and_saveexec_b32 s6, s0
	s_cbranch_execnz .LBB489_28
	s_branch .LBB489_31
.LBB489_22:                             ;   in Loop: Header=BB489_4 Depth=1
	v_mad_co_u64_u32 v[7:8], null, s8, s34, v[1:2]
	s_wait_dscnt 0x0
	v_mad_co_u64_u32 v[9:10], null, s12, s34, v[3:4]
	v_mov_b32_e32 v18, 0
	s_mov_b32 s41, 0
	s_delay_alu instid0(VALU_DEP_2) | instskip(NEXT) | instid1(VALU_DEP_3)
	v_mad_co_u64_u32 v[19:20], null, s9, s34, v[8:9]
	v_mad_co_u64_u32 v[20:21], null, s13, s34, v[10:11]
	s_delay_alu instid0(VALU_DEP_2) | instskip(NEXT) | instid1(VALU_DEP_2)
	v_dual_mov_b32 v8, v19 :: v_dual_mov_b32 v19, v0
	v_mov_b32_e32 v10, v20
.LBB489_23:                             ;   Parent Loop BB489_4 Depth=1
                                        ; =>  This Inner Loop Header: Depth=2
	global_load_u16 v20, v[7:8], off
	global_load_u16 v21, v[9:10], off
	v_add_co_u32 v7, vcc_lo, 0x200, v7
	s_wait_alu 0xfffd
	v_add_co_ci_u32_e64 v8, null, 0, v8, vcc_lo
	v_add_co_u32 v9, vcc_lo, v9, s20
	s_wait_alu 0xfffd
	v_add_co_ci_u32_e64 v10, null, s21, v10, vcc_lo
	s_wait_loadcnt 0x0
	v_mul_f16_e32 v20, v20, v21
	s_delay_alu instid0(VALU_DEP_1) | instskip(NEXT) | instid1(VALU_DEP_1)
	v_cvt_f32_f16_e32 v20, v20
	v_dual_add_f32 v18, v18, v20 :: v_dual_add_nc_u32 v19, 0x100, v19
	s_delay_alu instid0(VALU_DEP_1)
	v_cmp_le_i32_e64 s6, s18, v19
	s_wait_alu 0xfffe
	s_or_b32 s41, s6, s41
	s_wait_alu 0xfffe
	s_and_not1_b32 exec_lo, exec_lo, s41
	s_cbranch_execnz .LBB489_23
; %bb.24:                               ;   in Loop: Header=BB489_4 Depth=1
	s_or_b32 exec_lo, exec_lo, s41
	s_delay_alu instid0(SALU_CYCLE_1)
	s_or_b32 exec_lo, exec_lo, s40
	s_and_saveexec_b32 s6, s4
	s_cbranch_execz .LBB489_15
.LBB489_25:                             ;   in Loop: Header=BB489_4 Depth=1
	s_mul_u64 s[40:41], s[14:15], s[34:35]
	s_mul_u64 s[42:43], s[22:23], s[34:35]
	s_wait_alu 0xfffe
	s_lshl_b64 s[40:41], s[40:41], 1
	s_lshl_b64 s[42:43], s[42:43], 1
	s_wait_alu 0xfffe
	v_add_co_u32 v7, vcc_lo, v13, s40
	s_wait_alu 0xfffd
	v_add_co_ci_u32_e64 v8, null, s41, v14, vcc_lo
	s_add_nc_u64 s[40:41], s[10:11], s[42:43]
	v_add_co_u32 v7, vcc_lo, v7, s26
	s_wait_alu 0xfffd
	v_add_co_ci_u32_e64 v8, null, s27, v8, vcc_lo
	s_wait_alu 0xfffe
	v_add_co_u32 v9, vcc_lo, s40, v5
	s_wait_dscnt 0x0
	s_wait_alu 0xfffd
	v_add_co_ci_u32_e64 v10, null, s41, v6, vcc_lo
	global_load_u16 v7, v[7:8], off
	global_load_u16 v8, v[9:10], off
	s_wait_loadcnt 0x0
	v_mul_f16_e32 v7, v7, v8
	s_delay_alu instid0(VALU_DEP_1) | instskip(NEXT) | instid1(VALU_DEP_1)
	v_cvt_f32_f16_e32 v7, v7
	v_add_f32_e32 v18, v18, v7
	s_or_b32 exec_lo, exec_lo, s6
	s_and_saveexec_b32 s6, s1
	s_cbranch_execnz .LBB489_16
	s_branch .LBB489_17
.LBB489_26:                             ;   in Loop: Header=BB489_4 Depth=1
	ds_load_b32 v10, v12
	s_wait_alu 0xfffe
	s_or_b32 exec_lo, exec_lo, s6
	s_and_saveexec_b32 s6, s1
	s_cbranch_execz .LBB489_21
.LBB489_27:                             ;   in Loop: Header=BB489_4 Depth=1
	s_wait_dscnt 0x0
	ds_bpermute_b32 v7, v7, v10
	s_wait_dscnt 0x0
	v_add_f32_e32 v7, v10, v7
	ds_bpermute_b32 v8, v8, v7
	s_wait_dscnt 0x0
	v_add_f32_e32 v7, v7, v8
	;; [unrolled: 3-line block ×3, first 2 shown]
	s_wait_alu 0xfffe
	s_or_b32 exec_lo, exec_lo, s6
                                        ; implicit-def: $vgpr7
	s_and_saveexec_b32 s6, s0
	s_cbranch_execz .LBB489_31
.LBB489_28:                             ;   in Loop: Header=BB489_4 Depth=1
	s_wait_dscnt 0x0
	v_mul_f32_e32 v7, s33, v10
	s_and_not1_b32 vcc_lo, exec_lo, s39
	s_wait_alu 0xfffe
	s_cbranch_vccnz .LBB489_30
; %bb.29:                               ;   in Loop: Header=BB489_4 Depth=1
	s_add_nc_u64 s[40:41], s[28:29], s[24:25]
	global_load_b32 v8, v11, s[40:41]
	s_wait_loadcnt 0x0
	v_fmac_f32_e32 v7, s36, v8
.LBB489_30:                             ;   in Loop: Header=BB489_4 Depth=1
	s_or_b32 s19, s19, exec_lo
.LBB489_31:                             ;   in Loop: Header=BB489_4 Depth=1
	s_wait_alu 0xfffe
	s_or_b32 exec_lo, exec_lo, s6
.LBB489_32:                             ;   in Loop: Header=BB489_4 Depth=1
	s_wait_alu 0xfffe
	s_and_saveexec_b32 s6, s19
	s_cbranch_execz .LBB489_2
; %bb.33:                               ;   in Loop: Header=BB489_4 Depth=1
	s_add_nc_u64 s[28:29], s[28:29], s[24:25]
	global_store_b32 v11, v7, s[28:29]
	s_branch .LBB489_2
.LBB489_34:
	s_endpgm
	.section	.rodata,"a",@progbits
	.p2align	6, 0x0
	.amdhsa_kernel _ZL32rocblas_gemvt_warp_reduce_kernelILb0ELi256ElDF16_ffEviiT3_lPKT2_lT1_lS3_lS4_lS0_lPT4_lS4_li
		.amdhsa_group_segment_fixed_size 128
		.amdhsa_private_segment_fixed_size 0
		.amdhsa_kernarg_size 140
		.amdhsa_user_sgpr_count 2
		.amdhsa_user_sgpr_dispatch_ptr 0
		.amdhsa_user_sgpr_queue_ptr 0
		.amdhsa_user_sgpr_kernarg_segment_ptr 1
		.amdhsa_user_sgpr_dispatch_id 0
		.amdhsa_user_sgpr_private_segment_size 0
		.amdhsa_wavefront_size32 1
		.amdhsa_uses_dynamic_stack 0
		.amdhsa_enable_private_segment 0
		.amdhsa_system_sgpr_workgroup_id_x 1
		.amdhsa_system_sgpr_workgroup_id_y 0
		.amdhsa_system_sgpr_workgroup_id_z 1
		.amdhsa_system_sgpr_workgroup_info 0
		.amdhsa_system_vgpr_workitem_id 0
		.amdhsa_next_free_vgpr 22
		.amdhsa_next_free_sgpr 44
		.amdhsa_reserve_vcc 1
		.amdhsa_float_round_mode_32 0
		.amdhsa_float_round_mode_16_64 0
		.amdhsa_float_denorm_mode_32 3
		.amdhsa_float_denorm_mode_16_64 3
		.amdhsa_fp16_overflow 0
		.amdhsa_workgroup_processor_mode 1
		.amdhsa_memory_ordered 1
		.amdhsa_forward_progress 1
		.amdhsa_inst_pref_size 13
		.amdhsa_round_robin_scheduling 0
		.amdhsa_exception_fp_ieee_invalid_op 0
		.amdhsa_exception_fp_denorm_src 0
		.amdhsa_exception_fp_ieee_div_zero 0
		.amdhsa_exception_fp_ieee_overflow 0
		.amdhsa_exception_fp_ieee_underflow 0
		.amdhsa_exception_fp_ieee_inexact 0
		.amdhsa_exception_int_div_zero 0
	.end_amdhsa_kernel
	.section	.text._ZL32rocblas_gemvt_warp_reduce_kernelILb0ELi256ElDF16_ffEviiT3_lPKT2_lT1_lS3_lS4_lS0_lPT4_lS4_li,"axG",@progbits,_ZL32rocblas_gemvt_warp_reduce_kernelILb0ELi256ElDF16_ffEviiT3_lPKT2_lT1_lS3_lS4_lS0_lPT4_lS4_li,comdat
.Lfunc_end489:
	.size	_ZL32rocblas_gemvt_warp_reduce_kernelILb0ELi256ElDF16_ffEviiT3_lPKT2_lT1_lS3_lS4_lS0_lPT4_lS4_li, .Lfunc_end489-_ZL32rocblas_gemvt_warp_reduce_kernelILb0ELi256ElDF16_ffEviiT3_lPKT2_lT1_lS3_lS4_lS0_lPT4_lS4_li
                                        ; -- End function
	.set _ZL32rocblas_gemvt_warp_reduce_kernelILb0ELi256ElDF16_ffEviiT3_lPKT2_lT1_lS3_lS4_lS0_lPT4_lS4_li.num_vgpr, 22
	.set _ZL32rocblas_gemvt_warp_reduce_kernelILb0ELi256ElDF16_ffEviiT3_lPKT2_lT1_lS3_lS4_lS0_lPT4_lS4_li.num_agpr, 0
	.set _ZL32rocblas_gemvt_warp_reduce_kernelILb0ELi256ElDF16_ffEviiT3_lPKT2_lT1_lS3_lS4_lS0_lPT4_lS4_li.numbered_sgpr, 44
	.set _ZL32rocblas_gemvt_warp_reduce_kernelILb0ELi256ElDF16_ffEviiT3_lPKT2_lT1_lS3_lS4_lS0_lPT4_lS4_li.num_named_barrier, 0
	.set _ZL32rocblas_gemvt_warp_reduce_kernelILb0ELi256ElDF16_ffEviiT3_lPKT2_lT1_lS3_lS4_lS0_lPT4_lS4_li.private_seg_size, 0
	.set _ZL32rocblas_gemvt_warp_reduce_kernelILb0ELi256ElDF16_ffEviiT3_lPKT2_lT1_lS3_lS4_lS0_lPT4_lS4_li.uses_vcc, 1
	.set _ZL32rocblas_gemvt_warp_reduce_kernelILb0ELi256ElDF16_ffEviiT3_lPKT2_lT1_lS3_lS4_lS0_lPT4_lS4_li.uses_flat_scratch, 0
	.set _ZL32rocblas_gemvt_warp_reduce_kernelILb0ELi256ElDF16_ffEviiT3_lPKT2_lT1_lS3_lS4_lS0_lPT4_lS4_li.has_dyn_sized_stack, 0
	.set _ZL32rocblas_gemvt_warp_reduce_kernelILb0ELi256ElDF16_ffEviiT3_lPKT2_lT1_lS3_lS4_lS0_lPT4_lS4_li.has_recursion, 0
	.set _ZL32rocblas_gemvt_warp_reduce_kernelILb0ELi256ElDF16_ffEviiT3_lPKT2_lT1_lS3_lS4_lS0_lPT4_lS4_li.has_indirect_call, 0
	.section	.AMDGPU.csdata,"",@progbits
; Kernel info:
; codeLenInByte = 1556
; TotalNumSgprs: 46
; NumVgprs: 22
; ScratchSize: 0
; MemoryBound: 0
; FloatMode: 240
; IeeeMode: 1
; LDSByteSize: 128 bytes/workgroup (compile time only)
; SGPRBlocks: 0
; VGPRBlocks: 2
; NumSGPRsForWavesPerEU: 46
; NumVGPRsForWavesPerEU: 22
; Occupancy: 16
; WaveLimiterHint : 0
; COMPUTE_PGM_RSRC2:SCRATCH_EN: 0
; COMPUTE_PGM_RSRC2:USER_SGPR: 2
; COMPUTE_PGM_RSRC2:TRAP_HANDLER: 0
; COMPUTE_PGM_RSRC2:TGID_X_EN: 1
; COMPUTE_PGM_RSRC2:TGID_Y_EN: 0
; COMPUTE_PGM_RSRC2:TGID_Z_EN: 1
; COMPUTE_PGM_RSRC2:TIDIG_COMP_CNT: 0
	.section	.text._ZL20rocblas_gemvt_kernelILb0ELi256EDF16_PKffEviiT2_lPKT1_lilS5_lilS2_lPT3_lili,"axG",@progbits,_ZL20rocblas_gemvt_kernelILb0ELi256EDF16_PKffEviiT2_lPKT1_lilS5_lilS2_lPT3_lili,comdat
	.globl	_ZL20rocblas_gemvt_kernelILb0ELi256EDF16_PKffEviiT2_lPKT1_lilS5_lilS2_lPT3_lili ; -- Begin function _ZL20rocblas_gemvt_kernelILb0ELi256EDF16_PKffEviiT2_lPKT1_lilS5_lilS2_lPT3_lili
	.p2align	8
	.type	_ZL20rocblas_gemvt_kernelILb0ELi256EDF16_PKffEviiT2_lPKT1_lilS5_lilS2_lPT3_lili,@function
_ZL20rocblas_gemvt_kernelILb0ELi256EDF16_PKffEviiT2_lPKT1_lilS5_lilS2_lPT3_lili: ; @_ZL20rocblas_gemvt_kernelILb0ELi256EDF16_PKffEviiT2_lPKT1_lilS5_lilS2_lPT3_lili
; %bb.0:
	s_load_b32 s33, s[0:1], 0x88
	s_lshr_b32 s10, ttmp7, 16
	s_wait_kmcnt 0x0
	s_cmp_ge_u32 s10, s33
	s_cbranch_scc1 .LBB490_41
; %bb.1:
	s_clause 0x7
	s_load_b32 s8, s[0:1], 0x28
	s_load_b96 s[4:6], s[0:1], 0x40
	s_load_b96 s[36:38], s[0:1], 0x70
	s_load_b256 s[12:19], s[0:1], 0x8
	s_load_b32 s7, s[0:1], 0x0
	s_load_b128 s[28:31], s[0:1], 0x30
	s_load_b256 s[20:27], s[0:1], 0x50
	s_load_b64 s[34:35], s[0:1], 0x80
	s_mov_b32 s2, ttmp9
	s_ashr_i32 s3, ttmp9, 31
	v_lshlrev_b32_e32 v13, 2, v0
	s_mov_b32 s11, 0
	v_mov_b32_e32 v10, 0
	s_wait_kmcnt 0x0
	s_ashr_i32 s9, s8, 31
	s_lshl_b64 s[0:1], s[4:5], 1
	s_lshl_b64 s[4:5], s[36:37], 2
	;; [unrolled: 1-line block ×3, first 2 shown]
	v_cmp_gt_i32_e32 vcc_lo, s7, v0
	s_ashr_i32 s39, s38, 31
	s_add_nc_u64 s[26:27], s[26:27], s[4:5]
	s_add_nc_u64 s[4:5], s[16:17], s[42:43]
	s_mul_u64 s[44:45], s[38:39], s[2:3]
	v_cndmask_b32_e32 v1, 0, v0, vcc_lo
	s_mul_u64 s[2:3], s[8:9], s[2:3]
	s_add_nc_u64 s[18:19], s[30:31], s[0:1]
	s_ashr_i32 s1, s7, 31
	s_lshl_b64 s[38:39], s[2:3], 1
	v_lshlrev_b32_e32 v3, 1, v1
	s_lshr_b32 s1, s1, 24
	s_add_nc_u64 s[42:43], s[38:39], s[42:43]
	s_add_co_i32 s1, s7, s1
	s_ashr_i32 s41, s6, 31
	v_add_co_u32 v1, s4, s4, v3
	s_wait_alu 0xf1ff
	v_add_co_ci_u32_e64 v2, null, s5, 0, s4
	s_and_b32 s30, s1, 0xffffff00
	v_add_co_u32 v11, vcc_lo, v1, s38
	s_wait_alu 0xfffd
	v_add_co_ci_u32_e64 v12, null, s39, v2, vcc_lo
	v_mad_co_i64_i32 v[1:2], null, s6, v0, 0
	v_or_b32_e32 v4, s30, v0
	s_mov_b32 s40, s6
	v_cmp_eq_u32_e64 s0, 0, v0
	s_cmp_gt_i32 s7, 0xff
	v_cmp_gt_u32_e64 s2, 0x80, v0
	v_cmp_gt_i32_e64 s1, s7, v4
	v_lshlrev_b64_e32 v[1:2], 1, v[1:2]
	v_mad_co_i64_i32 v[4:5], null, s6, v4, 0
	v_cmp_gt_u32_e64 s3, 64, v0
	v_cmp_gt_u32_e64 s4, 32, v0
	;; [unrolled: 1-line block ×6, first 2 shown]
	v_add_co_u32 v0, vcc_lo, s18, v1
	s_add_nc_u64 s[16:17], s[16:17], s[42:43]
	s_wait_alu 0xfffd
	v_add_co_ci_u32_e64 v1, null, s19, v2, vcc_lo
	v_add_co_u32 v2, s9, s16, v3
	v_lshlrev_b64_e32 v[4:5], 1, v[4:5]
	v_add_co_ci_u32_e64 v3, null, s17, 0, s9
	s_cselect_b32 s46, -1, 0
	s_ashr_i32 s31, s30, 31
	s_lshl_b64 s[36:37], s[20:21], 1
	s_lshl_b64 s[38:39], s[40:41], 9
	;; [unrolled: 1-line block ×4, first 2 shown]
	s_wait_alu 0xfffe
	s_lshl_b64 s[42:43], s[30:31], 1
	s_branch .LBB490_4
.LBB490_2:                              ;   in Loop: Header=BB490_4 Depth=1
	s_wait_alu 0xfffe
	s_or_b32 exec_lo, exec_lo, s31
.LBB490_3:                              ;   in Loop: Header=BB490_4 Depth=1
	s_add_co_i32 s10, s10, 0x10000
	s_wait_alu 0xfffe
	s_cmp_lt_u32 s10, s33
	s_cbranch_scc0 .LBB490_41
.LBB490_4:                              ; =>This Loop Header: Depth=1
                                        ;     Child Loop BB490_15 Depth 2
	s_mul_u64 s[44:45], s[14:15], s[10:11]
	s_mul_u64 s[48:49], s[24:25], s[10:11]
	s_lshl_b64 s[44:45], s[44:45], 2
	s_wait_alu 0xfffe
	s_lshl_b64 s[48:49], s[48:49], 2
	s_add_nc_u64 s[44:45], s[12:13], s[44:45]
	s_wait_alu 0xfffe
	s_add_nc_u64 s[48:49], s[22:23], s[48:49]
	s_clause 0x1
	global_load_b32 v15, v10, s[44:45]
	global_load_b32 v14, v10, s[48:49]
	s_wait_loadcnt 0x1
	v_cmp_eq_f32_e32 vcc_lo, 0, v15
	s_wait_loadcnt 0x0
	v_cmp_eq_f32_e64 s9, 1.0, v14
	s_and_b32 s9, vcc_lo, s9
	s_wait_alu 0xfffe
	s_and_b32 vcc_lo, exec_lo, s9
	s_wait_alu 0xfffe
	s_cbranch_vccnz .LBB490_3
; %bb.5:                                ;   in Loop: Header=BB490_4 Depth=1
	v_cmp_neq_f32_e32 vcc_lo, 0, v15
	s_mul_u64 s[44:45], s[34:35], s[10:11]
	s_delay_alu instid0(SALU_CYCLE_1) | instskip(NEXT) | instid1(SALU_CYCLE_1)
	s_lshl_b64 s[44:45], s[44:45], 2
	s_add_nc_u64 s[44:45], s[26:27], s[44:45]
	s_cbranch_vccnz .LBB490_9
; %bb.6:                                ;   in Loop: Header=BB490_4 Depth=1
	s_mov_b32 s31, 0
	s_mov_b32 s9, 0
                                        ; implicit-def: $vgpr6
	s_and_saveexec_b32 s47, s0
	s_cbranch_execz .LBB490_10
; %bb.7:                                ;   in Loop: Header=BB490_4 Depth=1
	v_cmp_eq_f32_e32 vcc_lo, 0, v14
	s_cbranch_vccnz .LBB490_11
; %bb.8:                                ;   in Loop: Header=BB490_4 Depth=1
	s_add_nc_u64 s[48:49], s[44:45], s[40:41]
	global_load_b32 v6, v10, s[48:49]
	s_wait_loadcnt 0x0
	v_mul_f32_e32 v6, v14, v6
	s_branch .LBB490_12
.LBB490_9:                              ;   in Loop: Header=BB490_4 Depth=1
	s_mov_b32 s9, 0
                                        ; implicit-def: $vgpr6
	s_cbranch_execnz .LBB490_13
	s_branch .LBB490_39
.LBB490_10:                             ;   in Loop: Header=BB490_4 Depth=1
	s_or_b32 exec_lo, exec_lo, s47
	s_wait_alu 0xfffe
	s_and_b32 vcc_lo, exec_lo, s31
	s_wait_alu 0xfffe
	s_cbranch_vccnz .LBB490_13
	s_branch .LBB490_39
.LBB490_11:                             ;   in Loop: Header=BB490_4 Depth=1
	v_mov_b32_e32 v6, 0
.LBB490_12:                             ;   in Loop: Header=BB490_4 Depth=1
	s_mov_b32 s9, exec_lo
	s_or_b32 exec_lo, exec_lo, s47
	s_wait_alu 0xfffe
	s_and_b32 vcc_lo, exec_lo, s31
	s_wait_alu 0xfffe
	s_cbranch_vccz .LBB490_39
.LBB490_13:                             ;   in Loop: Header=BB490_4 Depth=1
	v_mov_b32_e32 v16, 0
	s_and_not1_b32 vcc_lo, exec_lo, s46
	s_wait_alu 0xfffe
	s_cbranch_vccnz .LBB490_16
; %bb.14:                               ;   in Loop: Header=BB490_4 Depth=1
	v_mad_co_u64_u32 v[6:7], null, s36, s10, v[0:1]
	v_mad_co_u64_u32 v[8:9], null, s16, s10, v[2:3]
	s_mov_b32 s31, 0
	v_mad_co_u64_u32 v[16:17], null, s37, s10, v[7:8]
	v_mad_co_u64_u32 v[17:18], null, s17, s10, v[9:10]
	s_delay_alu instid0(VALU_DEP_2) | instskip(NEXT) | instid1(VALU_DEP_2)
	v_dual_mov_b32 v7, v16 :: v_dual_mov_b32 v16, 0
	v_mov_b32_e32 v9, v17
.LBB490_15:                             ;   Parent Loop BB490_4 Depth=1
                                        ; =>  This Inner Loop Header: Depth=2
	global_load_u16 v17, v[8:9], off
	global_load_u16 v18, v[6:7], off
	v_add_co_u32 v6, vcc_lo, v6, s38
	s_wait_alu 0xfffd
	v_add_co_ci_u32_e64 v7, null, s39, v7, vcc_lo
	v_add_co_u32 v8, vcc_lo, 0x200, v8
	s_wait_alu 0xfffd
	v_add_co_ci_u32_e64 v9, null, 0, v9, vcc_lo
	s_wait_alu 0xfffe
	s_addk_co_i32 s31, 0x100
	s_wait_alu 0xfffe
	s_cmp_ge_i32 s31, s30
	s_wait_loadcnt 0x0
	v_mul_f16_e32 v17, v17, v18
	s_delay_alu instid0(VALU_DEP_1) | instskip(NEXT) | instid1(VALU_DEP_1)
	v_cvt_f32_f16_e32 v17, v17
	v_add_f32_e32 v16, v16, v17
	s_cbranch_scc0 .LBB490_15
.LBB490_16:                             ;   in Loop: Header=BB490_4 Depth=1
	s_and_saveexec_b32 s31, s1
	s_cbranch_execz .LBB490_18
; %bb.17:                               ;   in Loop: Header=BB490_4 Depth=1
	s_mul_u64 s[48:49], s[28:29], s[10:11]
	s_mul_u64 s[50:51], s[20:21], s[10:11]
	s_wait_alu 0xfffe
	s_lshl_b64 s[48:49], s[48:49], 1
	s_lshl_b64 s[50:51], s[50:51], 1
	s_wait_alu 0xfffe
	v_add_co_u32 v6, vcc_lo, v11, s48
	s_wait_alu 0xfffd
	v_add_co_ci_u32_e64 v7, null, s49, v12, vcc_lo
	s_add_nc_u64 s[48:49], s[18:19], s[50:51]
	v_add_co_u32 v6, vcc_lo, v6, s42
	s_wait_alu 0xfffd
	v_add_co_ci_u32_e64 v7, null, s43, v7, vcc_lo
	s_wait_alu 0xfffe
	v_add_co_u32 v8, vcc_lo, s48, v4
	s_wait_alu 0xfffd
	v_add_co_ci_u32_e64 v9, null, s49, v5, vcc_lo
	global_load_u16 v6, v[6:7], off
	global_load_u16 v7, v[8:9], off
	s_wait_loadcnt 0x0
	v_mul_f16_e32 v6, v6, v7
	s_delay_alu instid0(VALU_DEP_1) | instskip(NEXT) | instid1(VALU_DEP_1)
	v_cvt_f32_f16_e32 v6, v6
	v_add_f32_e32 v16, v16, v6
.LBB490_18:                             ;   in Loop: Header=BB490_4 Depth=1
	s_wait_alu 0xfffe
	s_or_b32 exec_lo, exec_lo, s31
	ds_store_b32 v13, v16
	s_wait_dscnt 0x0
	s_barrier_signal -1
	s_barrier_wait -1
	global_inv scope:SCOPE_SE
	s_and_saveexec_b32 s31, s2
	s_cbranch_execz .LBB490_20
; %bb.19:                               ;   in Loop: Header=BB490_4 Depth=1
	ds_load_2addr_stride64_b32 v[6:7], v13 offset1:2
	s_wait_dscnt 0x0
	v_add_f32_e32 v6, v7, v6
	ds_store_b32 v13, v6
.LBB490_20:                             ;   in Loop: Header=BB490_4 Depth=1
	s_wait_alu 0xfffe
	s_or_b32 exec_lo, exec_lo, s31
	s_wait_loadcnt_dscnt 0x0
	s_barrier_signal -1
	s_barrier_wait -1
	global_inv scope:SCOPE_SE
	s_and_saveexec_b32 s31, s3
	s_cbranch_execz .LBB490_22
; %bb.21:                               ;   in Loop: Header=BB490_4 Depth=1
	ds_load_2addr_stride64_b32 v[6:7], v13 offset1:1
	s_wait_dscnt 0x0
	v_add_f32_e32 v6, v7, v6
	ds_store_b32 v13, v6
.LBB490_22:                             ;   in Loop: Header=BB490_4 Depth=1
	s_wait_alu 0xfffe
	s_or_b32 exec_lo, exec_lo, s31
	s_wait_loadcnt_dscnt 0x0
	s_barrier_signal -1
	s_barrier_wait -1
	global_inv scope:SCOPE_SE
	s_and_saveexec_b32 s31, s4
	s_cbranch_execz .LBB490_24
; %bb.23:                               ;   in Loop: Header=BB490_4 Depth=1
	ds_load_2addr_b32 v[6:7], v13 offset1:32
	s_wait_dscnt 0x0
	v_add_f32_e32 v6, v7, v6
	ds_store_b32 v13, v6
.LBB490_24:                             ;   in Loop: Header=BB490_4 Depth=1
	s_wait_alu 0xfffe
	s_or_b32 exec_lo, exec_lo, s31
	s_wait_loadcnt_dscnt 0x0
	s_barrier_signal -1
	s_barrier_wait -1
	global_inv scope:SCOPE_SE
	s_and_saveexec_b32 s31, s5
	s_cbranch_execz .LBB490_26
; %bb.25:                               ;   in Loop: Header=BB490_4 Depth=1
	ds_load_2addr_b32 v[6:7], v13 offset1:16
	s_wait_dscnt 0x0
	v_add_f32_e32 v6, v7, v6
	ds_store_b32 v13, v6
.LBB490_26:                             ;   in Loop: Header=BB490_4 Depth=1
	;; [unrolled: 14-line block ×5, first 2 shown]
	s_wait_alu 0xfffe
	s_or_b32 exec_lo, exec_lo, s31
	s_wait_loadcnt_dscnt 0x0
	s_barrier_signal -1
	s_barrier_wait -1
	global_inv scope:SCOPE_SE
	s_and_saveexec_b32 s31, s0
	s_cbranch_execz .LBB490_34
; %bb.33:                               ;   in Loop: Header=BB490_4 Depth=1
	ds_load_b64 v[6:7], v10
	s_wait_dscnt 0x0
	v_add_f32_e32 v6, v7, v6
	ds_store_b32 v10, v6
.LBB490_34:                             ;   in Loop: Header=BB490_4 Depth=1
	s_wait_alu 0xfffe
	s_or_b32 exec_lo, exec_lo, s31
	s_wait_loadcnt_dscnt 0x0
	s_barrier_signal -1
	s_barrier_wait -1
	global_inv scope:SCOPE_SE
                                        ; implicit-def: $vgpr6
	s_and_saveexec_b32 s31, s0
	s_cbranch_execz .LBB490_38
; %bb.35:                               ;   in Loop: Header=BB490_4 Depth=1
	ds_load_b32 v6, v10
	v_cmp_eq_f32_e32 vcc_lo, 0, v14
	s_wait_dscnt 0x0
	v_mul_f32_e32 v6, v15, v6
	s_cbranch_vccnz .LBB490_37
; %bb.36:                               ;   in Loop: Header=BB490_4 Depth=1
	s_add_nc_u64 s[48:49], s[44:45], s[40:41]
	global_load_b32 v7, v10, s[48:49]
	s_wait_loadcnt 0x0
	v_fmac_f32_e32 v6, v14, v7
.LBB490_37:                             ;   in Loop: Header=BB490_4 Depth=1
	s_or_b32 s9, s9, exec_lo
.LBB490_38:                             ;   in Loop: Header=BB490_4 Depth=1
	s_wait_alu 0xfffe
	s_or_b32 exec_lo, exec_lo, s31
.LBB490_39:                             ;   in Loop: Header=BB490_4 Depth=1
	s_wait_alu 0xfffe
	s_and_saveexec_b32 s31, s9
	s_cbranch_execz .LBB490_2
; %bb.40:                               ;   in Loop: Header=BB490_4 Depth=1
	s_add_nc_u64 s[44:45], s[44:45], s[40:41]
	global_store_b32 v10, v6, s[44:45]
	s_branch .LBB490_2
.LBB490_41:
	s_endpgm
	.section	.rodata,"a",@progbits
	.p2align	6, 0x0
	.amdhsa_kernel _ZL20rocblas_gemvt_kernelILb0ELi256EDF16_PKffEviiT2_lPKT1_lilS5_lilS2_lPT3_lili
		.amdhsa_group_segment_fixed_size 1024
		.amdhsa_private_segment_fixed_size 0
		.amdhsa_kernarg_size 140
		.amdhsa_user_sgpr_count 2
		.amdhsa_user_sgpr_dispatch_ptr 0
		.amdhsa_user_sgpr_queue_ptr 0
		.amdhsa_user_sgpr_kernarg_segment_ptr 1
		.amdhsa_user_sgpr_dispatch_id 0
		.amdhsa_user_sgpr_private_segment_size 0
		.amdhsa_wavefront_size32 1
		.amdhsa_uses_dynamic_stack 0
		.amdhsa_enable_private_segment 0
		.amdhsa_system_sgpr_workgroup_id_x 1
		.amdhsa_system_sgpr_workgroup_id_y 0
		.amdhsa_system_sgpr_workgroup_id_z 1
		.amdhsa_system_sgpr_workgroup_info 0
		.amdhsa_system_vgpr_workitem_id 0
		.amdhsa_next_free_vgpr 19
		.amdhsa_next_free_sgpr 52
		.amdhsa_reserve_vcc 1
		.amdhsa_float_round_mode_32 0
		.amdhsa_float_round_mode_16_64 0
		.amdhsa_float_denorm_mode_32 3
		.amdhsa_float_denorm_mode_16_64 3
		.amdhsa_fp16_overflow 0
		.amdhsa_workgroup_processor_mode 1
		.amdhsa_memory_ordered 1
		.amdhsa_forward_progress 1
		.amdhsa_inst_pref_size 14
		.amdhsa_round_robin_scheduling 0
		.amdhsa_exception_fp_ieee_invalid_op 0
		.amdhsa_exception_fp_denorm_src 0
		.amdhsa_exception_fp_ieee_div_zero 0
		.amdhsa_exception_fp_ieee_overflow 0
		.amdhsa_exception_fp_ieee_underflow 0
		.amdhsa_exception_fp_ieee_inexact 0
		.amdhsa_exception_int_div_zero 0
	.end_amdhsa_kernel
	.section	.text._ZL20rocblas_gemvt_kernelILb0ELi256EDF16_PKffEviiT2_lPKT1_lilS5_lilS2_lPT3_lili,"axG",@progbits,_ZL20rocblas_gemvt_kernelILb0ELi256EDF16_PKffEviiT2_lPKT1_lilS5_lilS2_lPT3_lili,comdat
.Lfunc_end490:
	.size	_ZL20rocblas_gemvt_kernelILb0ELi256EDF16_PKffEviiT2_lPKT1_lilS5_lilS2_lPT3_lili, .Lfunc_end490-_ZL20rocblas_gemvt_kernelILb0ELi256EDF16_PKffEviiT2_lPKT1_lilS5_lilS2_lPT3_lili
                                        ; -- End function
	.set _ZL20rocblas_gemvt_kernelILb0ELi256EDF16_PKffEviiT2_lPKT1_lilS5_lilS2_lPT3_lili.num_vgpr, 19
	.set _ZL20rocblas_gemvt_kernelILb0ELi256EDF16_PKffEviiT2_lPKT1_lilS5_lilS2_lPT3_lili.num_agpr, 0
	.set _ZL20rocblas_gemvt_kernelILb0ELi256EDF16_PKffEviiT2_lPKT1_lilS5_lilS2_lPT3_lili.numbered_sgpr, 52
	.set _ZL20rocblas_gemvt_kernelILb0ELi256EDF16_PKffEviiT2_lPKT1_lilS5_lilS2_lPT3_lili.num_named_barrier, 0
	.set _ZL20rocblas_gemvt_kernelILb0ELi256EDF16_PKffEviiT2_lPKT1_lilS5_lilS2_lPT3_lili.private_seg_size, 0
	.set _ZL20rocblas_gemvt_kernelILb0ELi256EDF16_PKffEviiT2_lPKT1_lilS5_lilS2_lPT3_lili.uses_vcc, 1
	.set _ZL20rocblas_gemvt_kernelILb0ELi256EDF16_PKffEviiT2_lPKT1_lilS5_lilS2_lPT3_lili.uses_flat_scratch, 0
	.set _ZL20rocblas_gemvt_kernelILb0ELi256EDF16_PKffEviiT2_lPKT1_lilS5_lilS2_lPT3_lili.has_dyn_sized_stack, 0
	.set _ZL20rocblas_gemvt_kernelILb0ELi256EDF16_PKffEviiT2_lPKT1_lilS5_lilS2_lPT3_lili.has_recursion, 0
	.set _ZL20rocblas_gemvt_kernelILb0ELi256EDF16_PKffEviiT2_lPKT1_lilS5_lilS2_lPT3_lili.has_indirect_call, 0
	.section	.AMDGPU.csdata,"",@progbits
; Kernel info:
; codeLenInByte = 1676
; TotalNumSgprs: 54
; NumVgprs: 19
; ScratchSize: 0
; MemoryBound: 0
; FloatMode: 240
; IeeeMode: 1
; LDSByteSize: 1024 bytes/workgroup (compile time only)
; SGPRBlocks: 0
; VGPRBlocks: 2
; NumSGPRsForWavesPerEU: 54
; NumVGPRsForWavesPerEU: 19
; Occupancy: 16
; WaveLimiterHint : 0
; COMPUTE_PGM_RSRC2:SCRATCH_EN: 0
; COMPUTE_PGM_RSRC2:USER_SGPR: 2
; COMPUTE_PGM_RSRC2:TRAP_HANDLER: 0
; COMPUTE_PGM_RSRC2:TGID_X_EN: 1
; COMPUTE_PGM_RSRC2:TGID_Y_EN: 0
; COMPUTE_PGM_RSRC2:TGID_Z_EN: 1
; COMPUTE_PGM_RSRC2:TIDIG_COMP_CNT: 0
	.section	.text._ZL20rocblas_gemvt_kernelILb0ELi256EDF16_ffEviiT2_lPKT1_lilS3_lilS0_lPT3_lili,"axG",@progbits,_ZL20rocblas_gemvt_kernelILb0ELi256EDF16_ffEviiT2_lPKT1_lilS3_lilS0_lPT3_lili,comdat
	.globl	_ZL20rocblas_gemvt_kernelILb0ELi256EDF16_ffEviiT2_lPKT1_lilS3_lilS0_lPT3_lili ; -- Begin function _ZL20rocblas_gemvt_kernelILb0ELi256EDF16_ffEviiT2_lPKT1_lilS3_lilS0_lPT3_lili
	.p2align	8
	.type	_ZL20rocblas_gemvt_kernelILb0ELi256EDF16_ffEviiT2_lPKT1_lilS3_lilS0_lPT3_lili,@function
_ZL20rocblas_gemvt_kernelILb0ELi256EDF16_ffEviiT2_lPKT1_lilS3_lilS0_lPT3_lili: ; @_ZL20rocblas_gemvt_kernelILb0ELi256EDF16_ffEviiT2_lPKT1_lilS3_lilS0_lPT3_lili
; %bb.0:
	s_load_b32 s9, s[0:1], 0x88
	s_lshr_b32 s10, ttmp7, 16
	s_wait_kmcnt 0x0
	s_cmp_ge_u32 s10, s9
	s_cbranch_scc1 .LBB491_41
; %bb.1:
	s_clause 0x9
	s_load_b32 s26, s[0:1], 0x28
	s_load_b96 s[4:6], s[0:1], 0x40
	s_load_b32 s34, s[0:1], 0x78
	s_load_b128 s[28:31], s[0:1], 0x68
	s_load_b128 s[16:19], s[0:1], 0x18
	s_load_b32 s23, s[0:1], 0x8
	s_load_b96 s[20:22], s[0:1], 0x50
	s_load_b32 s7, s[0:1], 0x0
	s_load_b128 s[12:15], s[0:1], 0x30
	s_load_b64 s[24:25], s[0:1], 0x80
	s_mov_b32 s2, ttmp9
	v_cmp_eq_u32_e64 s0, 0, v0
	v_lshlrev_b32_e32 v13, 2, v0
	v_cmp_gt_u32_e64 s8, 2, v0
	s_mov_b32 s11, 0
	s_wait_kmcnt 0x0
	s_ashr_i32 s27, s26, 31
	s_ashr_i32 s37, s6, 31
	;; [unrolled: 1-line block ×3, first 2 shown]
	s_lshl_b64 s[4:5], s[4:5], 1
	s_lshl_b64 s[30:31], s[30:31], 2
	;; [unrolled: 1-line block ×3, first 2 shown]
	s_cmp_eq_f32 s23, 0
	v_cmp_gt_i32_e32 vcc_lo, s7, v0
	v_mov_b32_e32 v10, 0
	s_add_nc_u64 s[14:15], s[14:15], s[4:5]
	s_cselect_b32 s33, -1, 0
	s_cmp_neq_f32 s23, 0
	v_cndmask_b32_e32 v1, 0, v0, vcc_lo
	s_add_nc_u64 s[4:5], s[16:17], s[38:39]
	s_add_nc_u64 s[18:19], s[28:29], s[30:31]
	s_cselect_b32 s1, -1, 0
	s_cmp_neq_f32 s22, 1.0
	v_lshlrev_b32_e32 v3, 1, v1
	s_mov_b32 s36, s6
	s_cselect_b32 s3, -1, 0
	s_delay_alu instid0(SALU_CYCLE_1)
	s_or_b32 s40, s1, s3
	s_cmp_neq_f32 s22, 0
	v_add_co_u32 v1, s4, s4, v3
	s_wait_alu 0xf1ff
	v_add_co_ci_u32_e64 v2, null, s5, 0, s4
	s_cselect_b32 s41, -1, 0
	s_ashr_i32 s3, ttmp9, 31
	s_ashr_i32 s1, s7, 31
	s_mul_u64 s[28:29], s[26:27], s[2:3]
	s_lshr_b32 s1, s1, 24
	s_lshl_b64 s[30:31], s[28:29], 1
	s_add_co_i32 s1, s7, s1
	v_add_co_u32 v11, vcc_lo, v1, s30
	s_wait_alu 0xfffd
	v_add_co_ci_u32_e64 v12, null, s31, v2, vcc_lo
	v_mad_co_i64_i32 v[1:2], null, s6, v0, 0
	s_and_b32 s26, s1, 0xffffff00
	s_add_nc_u64 s[38:39], s[30:31], s[38:39]
	v_or_b32_e32 v4, s26, v0
	s_mul_u64 s[34:35], s[34:35], s[2:3]
	s_cmp_gt_i32 s7, 0xff
	v_cmp_gt_u32_e64 s2, 0x80, v0
	v_lshlrev_b64_e32 v[1:2], 1, v[1:2]
	v_cmp_gt_i32_e64 s1, s7, v4
	v_mad_co_i64_i32 v[4:5], null, s6, v4, 0
	v_cmp_gt_u32_e64 s3, 64, v0
	v_cmp_gt_u32_e64 s4, 32, v0
	;; [unrolled: 1-line block ×5, first 2 shown]
	v_add_co_u32 v0, vcc_lo, s14, v1
	s_add_nc_u64 s[16:17], s[16:17], s[38:39]
	s_wait_alu 0xfffd
	v_add_co_ci_u32_e64 v1, null, s15, v2, vcc_lo
	v_add_co_u32 v2, s16, s16, v3
	v_lshlrev_b64_e32 v[4:5], 1, v[4:5]
	s_wait_alu 0xf1ff
	v_add_co_ci_u32_e64 v3, null, s17, 0, s16
	s_cselect_b32 s42, -1, 0
	s_ashr_i32 s27, s26, 31
	s_lshl_b64 s[28:29], s[20:21], 1
	s_lshl_b64 s[30:31], s[36:37], 9
	;; [unrolled: 1-line block ×4, first 2 shown]
	s_wait_alu 0xfffe
	s_lshl_b64 s[36:37], s[26:27], 1
	s_branch .LBB491_4
.LBB491_2:                              ;   in Loop: Header=BB491_4 Depth=1
	s_or_b32 exec_lo, exec_lo, s43
.LBB491_3:                              ;   in Loop: Header=BB491_4 Depth=1
	s_add_co_i32 s10, s10, 0x10000
	s_wait_alu 0xfffe
	s_cmp_lt_u32 s10, s9
	s_cbranch_scc0 .LBB491_41
.LBB491_4:                              ; =>This Loop Header: Depth=1
                                        ;     Child Loop BB491_15 Depth 2
	s_and_not1_b32 vcc_lo, exec_lo, s40
	s_wait_alu 0xfffe
	s_cbranch_vccnz .LBB491_3
; %bb.5:                                ;   in Loop: Header=BB491_4 Depth=1
	s_mul_u64 s[38:39], s[24:25], s[10:11]
	s_and_not1_b32 vcc_lo, exec_lo, s33
	s_lshl_b64 s[38:39], s[38:39], 2
	s_delay_alu instid0(SALU_CYCLE_1)
	s_add_nc_u64 s[38:39], s[18:19], s[38:39]
	s_wait_alu 0xfffe
	s_cbranch_vccnz .LBB491_9
; %bb.6:                                ;   in Loop: Header=BB491_4 Depth=1
	s_mov_b32 s43, 0
	s_mov_b32 s27, 0
                                        ; implicit-def: $vgpr6
	s_and_saveexec_b32 s44, s0
	s_cbranch_execz .LBB491_10
; %bb.7:                                ;   in Loop: Header=BB491_4 Depth=1
	s_and_not1_b32 vcc_lo, exec_lo, s41
	s_wait_alu 0xfffe
	s_cbranch_vccnz .LBB491_11
; %bb.8:                                ;   in Loop: Header=BB491_4 Depth=1
	s_add_nc_u64 s[46:47], s[38:39], s[34:35]
	global_load_b32 v6, v10, s[46:47]
	s_wait_loadcnt 0x0
	v_mul_f32_e32 v6, s22, v6
	s_branch .LBB491_12
.LBB491_9:                              ;   in Loop: Header=BB491_4 Depth=1
	s_mov_b32 s27, 0
                                        ; implicit-def: $vgpr6
	s_cbranch_execnz .LBB491_13
	s_branch .LBB491_39
.LBB491_10:                             ;   in Loop: Header=BB491_4 Depth=1
	s_wait_alu 0xfffe
	s_or_b32 exec_lo, exec_lo, s44
	s_delay_alu instid0(SALU_CYCLE_1)
	s_and_b32 vcc_lo, exec_lo, s43
	s_wait_alu 0xfffe
	s_cbranch_vccnz .LBB491_13
	s_branch .LBB491_39
.LBB491_11:                             ;   in Loop: Header=BB491_4 Depth=1
	v_mov_b32_e32 v6, 0
.LBB491_12:                             ;   in Loop: Header=BB491_4 Depth=1
	s_mov_b32 s27, exec_lo
	s_or_b32 exec_lo, exec_lo, s44
	s_delay_alu instid0(SALU_CYCLE_1)
	s_and_b32 vcc_lo, exec_lo, s43
	s_wait_alu 0xfffe
	s_cbranch_vccz .LBB491_39
.LBB491_13:                             ;   in Loop: Header=BB491_4 Depth=1
	v_mov_b32_e32 v14, 0
	s_and_not1_b32 vcc_lo, exec_lo, s42
	s_wait_alu 0xfffe
	s_cbranch_vccnz .LBB491_16
; %bb.14:                               ;   in Loop: Header=BB491_4 Depth=1
	v_mad_co_u64_u32 v[6:7], null, s28, s10, v[0:1]
	v_mad_co_u64_u32 v[8:9], null, s16, s10, v[2:3]
	s_mov_b32 s43, 0
	v_mad_co_u64_u32 v[14:15], null, s29, s10, v[7:8]
	v_mad_co_u64_u32 v[15:16], null, s17, s10, v[9:10]
	s_delay_alu instid0(VALU_DEP_2) | instskip(NEXT) | instid1(VALU_DEP_2)
	v_dual_mov_b32 v7, v14 :: v_dual_mov_b32 v14, 0
	v_mov_b32_e32 v9, v15
.LBB491_15:                             ;   Parent Loop BB491_4 Depth=1
                                        ; =>  This Inner Loop Header: Depth=2
	global_load_u16 v15, v[8:9], off
	global_load_u16 v16, v[6:7], off
	v_add_co_u32 v6, vcc_lo, v6, s30
	s_wait_alu 0xfffd
	v_add_co_ci_u32_e64 v7, null, s31, v7, vcc_lo
	v_add_co_u32 v8, vcc_lo, 0x200, v8
	s_wait_alu 0xfffd
	v_add_co_ci_u32_e64 v9, null, 0, v9, vcc_lo
	s_addk_co_i32 s43, 0x100
	s_delay_alu instid0(SALU_CYCLE_1) | instskip(SKIP_2) | instid1(VALU_DEP_1)
	s_cmp_ge_i32 s43, s26
	s_wait_loadcnt 0x0
	v_mul_f16_e32 v15, v15, v16
	v_cvt_f32_f16_e32 v15, v15
	s_delay_alu instid0(VALU_DEP_1)
	v_add_f32_e32 v14, v14, v15
	s_cbranch_scc0 .LBB491_15
.LBB491_16:                             ;   in Loop: Header=BB491_4 Depth=1
	s_and_saveexec_b32 s43, s1
	s_cbranch_execz .LBB491_18
; %bb.17:                               ;   in Loop: Header=BB491_4 Depth=1
	s_mul_u64 s[44:45], s[12:13], s[10:11]
	s_mul_u64 s[46:47], s[20:21], s[10:11]
	s_wait_alu 0xfffe
	s_lshl_b64 s[44:45], s[44:45], 1
	s_lshl_b64 s[46:47], s[46:47], 1
	s_wait_alu 0xfffe
	v_add_co_u32 v6, vcc_lo, v11, s44
	s_wait_alu 0xfffd
	v_add_co_ci_u32_e64 v7, null, s45, v12, vcc_lo
	s_add_nc_u64 s[44:45], s[14:15], s[46:47]
	v_add_co_u32 v6, vcc_lo, v6, s36
	s_wait_alu 0xfffd
	v_add_co_ci_u32_e64 v7, null, s37, v7, vcc_lo
	s_wait_alu 0xfffe
	v_add_co_u32 v8, vcc_lo, s44, v4
	s_wait_alu 0xfffd
	v_add_co_ci_u32_e64 v9, null, s45, v5, vcc_lo
	global_load_u16 v6, v[6:7], off
	global_load_u16 v7, v[8:9], off
	s_wait_loadcnt 0x0
	v_mul_f16_e32 v6, v6, v7
	s_delay_alu instid0(VALU_DEP_1) | instskip(NEXT) | instid1(VALU_DEP_1)
	v_cvt_f32_f16_e32 v6, v6
	v_add_f32_e32 v14, v14, v6
.LBB491_18:                             ;   in Loop: Header=BB491_4 Depth=1
	s_or_b32 exec_lo, exec_lo, s43
	ds_store_b32 v13, v14
	s_wait_dscnt 0x0
	s_barrier_signal -1
	s_barrier_wait -1
	global_inv scope:SCOPE_SE
	s_and_saveexec_b32 s43, s2
	s_cbranch_execz .LBB491_20
; %bb.19:                               ;   in Loop: Header=BB491_4 Depth=1
	ds_load_2addr_stride64_b32 v[6:7], v13 offset1:2
	s_wait_dscnt 0x0
	v_add_f32_e32 v6, v7, v6
	ds_store_b32 v13, v6
.LBB491_20:                             ;   in Loop: Header=BB491_4 Depth=1
	s_or_b32 exec_lo, exec_lo, s43
	s_wait_loadcnt_dscnt 0x0
	s_barrier_signal -1
	s_barrier_wait -1
	global_inv scope:SCOPE_SE
	s_and_saveexec_b32 s43, s3
	s_cbranch_execz .LBB491_22
; %bb.21:                               ;   in Loop: Header=BB491_4 Depth=1
	ds_load_2addr_stride64_b32 v[6:7], v13 offset1:1
	s_wait_dscnt 0x0
	v_add_f32_e32 v6, v7, v6
	ds_store_b32 v13, v6
.LBB491_22:                             ;   in Loop: Header=BB491_4 Depth=1
	s_or_b32 exec_lo, exec_lo, s43
	s_wait_loadcnt_dscnt 0x0
	s_barrier_signal -1
	s_barrier_wait -1
	global_inv scope:SCOPE_SE
	s_and_saveexec_b32 s43, s4
	s_cbranch_execz .LBB491_24
; %bb.23:                               ;   in Loop: Header=BB491_4 Depth=1
	ds_load_2addr_b32 v[6:7], v13 offset1:32
	s_wait_dscnt 0x0
	v_add_f32_e32 v6, v7, v6
	ds_store_b32 v13, v6
.LBB491_24:                             ;   in Loop: Header=BB491_4 Depth=1
	s_or_b32 exec_lo, exec_lo, s43
	s_wait_loadcnt_dscnt 0x0
	s_barrier_signal -1
	s_barrier_wait -1
	global_inv scope:SCOPE_SE
	s_and_saveexec_b32 s43, s5
	s_cbranch_execz .LBB491_26
; %bb.25:                               ;   in Loop: Header=BB491_4 Depth=1
	ds_load_2addr_b32 v[6:7], v13 offset1:16
	s_wait_dscnt 0x0
	v_add_f32_e32 v6, v7, v6
	ds_store_b32 v13, v6
.LBB491_26:                             ;   in Loop: Header=BB491_4 Depth=1
	s_or_b32 exec_lo, exec_lo, s43
	s_wait_loadcnt_dscnt 0x0
	s_barrier_signal -1
	s_barrier_wait -1
	global_inv scope:SCOPE_SE
	s_and_saveexec_b32 s43, s6
	s_cbranch_execz .LBB491_28
; %bb.27:                               ;   in Loop: Header=BB491_4 Depth=1
	ds_load_2addr_b32 v[6:7], v13 offset1:8
	s_wait_dscnt 0x0
	v_add_f32_e32 v6, v7, v6
	ds_store_b32 v13, v6
.LBB491_28:                             ;   in Loop: Header=BB491_4 Depth=1
	s_or_b32 exec_lo, exec_lo, s43
	s_wait_loadcnt_dscnt 0x0
	s_barrier_signal -1
	s_barrier_wait -1
	global_inv scope:SCOPE_SE
	s_and_saveexec_b32 s43, s7
	s_cbranch_execz .LBB491_30
; %bb.29:                               ;   in Loop: Header=BB491_4 Depth=1
	ds_load_2addr_b32 v[6:7], v13 offset1:4
	s_wait_dscnt 0x0
	v_add_f32_e32 v6, v7, v6
	ds_store_b32 v13, v6
.LBB491_30:                             ;   in Loop: Header=BB491_4 Depth=1
	s_or_b32 exec_lo, exec_lo, s43
	s_wait_loadcnt_dscnt 0x0
	s_barrier_signal -1
	s_barrier_wait -1
	global_inv scope:SCOPE_SE
	s_and_saveexec_b32 s43, s8
	s_cbranch_execz .LBB491_32
; %bb.31:                               ;   in Loop: Header=BB491_4 Depth=1
	ds_load_2addr_b32 v[6:7], v13 offset1:2
	s_wait_dscnt 0x0
	v_add_f32_e32 v6, v7, v6
	ds_store_b32 v13, v6
.LBB491_32:                             ;   in Loop: Header=BB491_4 Depth=1
	s_or_b32 exec_lo, exec_lo, s43
	s_wait_loadcnt_dscnt 0x0
	s_barrier_signal -1
	s_barrier_wait -1
	global_inv scope:SCOPE_SE
	s_and_saveexec_b32 s43, s0
	s_cbranch_execz .LBB491_34
; %bb.33:                               ;   in Loop: Header=BB491_4 Depth=1
	ds_load_b64 v[6:7], v10
	s_wait_dscnt 0x0
	v_add_f32_e32 v6, v7, v6
	ds_store_b32 v10, v6
.LBB491_34:                             ;   in Loop: Header=BB491_4 Depth=1
	s_or_b32 exec_lo, exec_lo, s43
	s_wait_loadcnt_dscnt 0x0
	s_barrier_signal -1
	s_barrier_wait -1
	global_inv scope:SCOPE_SE
                                        ; implicit-def: $vgpr6
	s_and_saveexec_b32 s43, s0
	s_cbranch_execz .LBB491_38
; %bb.35:                               ;   in Loop: Header=BB491_4 Depth=1
	ds_load_b32 v6, v10
	s_and_not1_b32 vcc_lo, exec_lo, s41
	s_wait_dscnt 0x0
	v_mul_f32_e32 v6, s23, v6
	s_wait_alu 0xfffe
	s_cbranch_vccnz .LBB491_37
; %bb.36:                               ;   in Loop: Header=BB491_4 Depth=1
	s_add_nc_u64 s[44:45], s[38:39], s[34:35]
	global_load_b32 v7, v10, s[44:45]
	s_wait_loadcnt 0x0
	v_fmac_f32_e32 v6, s22, v7
.LBB491_37:                             ;   in Loop: Header=BB491_4 Depth=1
	s_or_b32 s27, s27, exec_lo
.LBB491_38:                             ;   in Loop: Header=BB491_4 Depth=1
	s_or_b32 exec_lo, exec_lo, s43
.LBB491_39:                             ;   in Loop: Header=BB491_4 Depth=1
	s_wait_alu 0xfffe
	s_and_saveexec_b32 s43, s27
	s_cbranch_execz .LBB491_2
; %bb.40:                               ;   in Loop: Header=BB491_4 Depth=1
	s_add_nc_u64 s[38:39], s[38:39], s[34:35]
	global_store_b32 v10, v6, s[38:39]
	s_branch .LBB491_2
.LBB491_41:
	s_endpgm
	.section	.rodata,"a",@progbits
	.p2align	6, 0x0
	.amdhsa_kernel _ZL20rocblas_gemvt_kernelILb0ELi256EDF16_ffEviiT2_lPKT1_lilS3_lilS0_lPT3_lili
		.amdhsa_group_segment_fixed_size 1024
		.amdhsa_private_segment_fixed_size 0
		.amdhsa_kernarg_size 140
		.amdhsa_user_sgpr_count 2
		.amdhsa_user_sgpr_dispatch_ptr 0
		.amdhsa_user_sgpr_queue_ptr 0
		.amdhsa_user_sgpr_kernarg_segment_ptr 1
		.amdhsa_user_sgpr_dispatch_id 0
		.amdhsa_user_sgpr_private_segment_size 0
		.amdhsa_wavefront_size32 1
		.amdhsa_uses_dynamic_stack 0
		.amdhsa_enable_private_segment 0
		.amdhsa_system_sgpr_workgroup_id_x 1
		.amdhsa_system_sgpr_workgroup_id_y 0
		.amdhsa_system_sgpr_workgroup_id_z 1
		.amdhsa_system_sgpr_workgroup_info 0
		.amdhsa_system_vgpr_workitem_id 0
		.amdhsa_next_free_vgpr 17
		.amdhsa_next_free_sgpr 48
		.amdhsa_reserve_vcc 1
		.amdhsa_float_round_mode_32 0
		.amdhsa_float_round_mode_16_64 0
		.amdhsa_float_denorm_mode_32 3
		.amdhsa_float_denorm_mode_16_64 3
		.amdhsa_fp16_overflow 0
		.amdhsa_workgroup_processor_mode 1
		.amdhsa_memory_ordered 1
		.amdhsa_forward_progress 1
		.amdhsa_inst_pref_size 13
		.amdhsa_round_robin_scheduling 0
		.amdhsa_exception_fp_ieee_invalid_op 0
		.amdhsa_exception_fp_denorm_src 0
		.amdhsa_exception_fp_ieee_div_zero 0
		.amdhsa_exception_fp_ieee_overflow 0
		.amdhsa_exception_fp_ieee_underflow 0
		.amdhsa_exception_fp_ieee_inexact 0
		.amdhsa_exception_int_div_zero 0
	.end_amdhsa_kernel
	.section	.text._ZL20rocblas_gemvt_kernelILb0ELi256EDF16_ffEviiT2_lPKT1_lilS3_lilS0_lPT3_lili,"axG",@progbits,_ZL20rocblas_gemvt_kernelILb0ELi256EDF16_ffEviiT2_lPKT1_lilS3_lilS0_lPT3_lili,comdat
.Lfunc_end491:
	.size	_ZL20rocblas_gemvt_kernelILb0ELi256EDF16_ffEviiT2_lPKT1_lilS3_lilS0_lPT3_lili, .Lfunc_end491-_ZL20rocblas_gemvt_kernelILb0ELi256EDF16_ffEviiT2_lPKT1_lilS3_lilS0_lPT3_lili
                                        ; -- End function
	.set _ZL20rocblas_gemvt_kernelILb0ELi256EDF16_ffEviiT2_lPKT1_lilS3_lilS0_lPT3_lili.num_vgpr, 17
	.set _ZL20rocblas_gemvt_kernelILb0ELi256EDF16_ffEviiT2_lPKT1_lilS3_lilS0_lPT3_lili.num_agpr, 0
	.set _ZL20rocblas_gemvt_kernelILb0ELi256EDF16_ffEviiT2_lPKT1_lilS3_lilS0_lPT3_lili.numbered_sgpr, 48
	.set _ZL20rocblas_gemvt_kernelILb0ELi256EDF16_ffEviiT2_lPKT1_lilS3_lilS0_lPT3_lili.num_named_barrier, 0
	.set _ZL20rocblas_gemvt_kernelILb0ELi256EDF16_ffEviiT2_lPKT1_lilS3_lilS0_lPT3_lili.private_seg_size, 0
	.set _ZL20rocblas_gemvt_kernelILb0ELi256EDF16_ffEviiT2_lPKT1_lilS3_lilS0_lPT3_lili.uses_vcc, 1
	.set _ZL20rocblas_gemvt_kernelILb0ELi256EDF16_ffEviiT2_lPKT1_lilS3_lilS0_lPT3_lili.uses_flat_scratch, 0
	.set _ZL20rocblas_gemvt_kernelILb0ELi256EDF16_ffEviiT2_lPKT1_lilS3_lilS0_lPT3_lili.has_dyn_sized_stack, 0
	.set _ZL20rocblas_gemvt_kernelILb0ELi256EDF16_ffEviiT2_lPKT1_lilS3_lilS0_lPT3_lili.has_recursion, 0
	.set _ZL20rocblas_gemvt_kernelILb0ELi256EDF16_ffEviiT2_lPKT1_lilS3_lilS0_lPT3_lili.has_indirect_call, 0
	.section	.AMDGPU.csdata,"",@progbits
; Kernel info:
; codeLenInByte = 1616
; TotalNumSgprs: 50
; NumVgprs: 17
; ScratchSize: 0
; MemoryBound: 0
; FloatMode: 240
; IeeeMode: 1
; LDSByteSize: 1024 bytes/workgroup (compile time only)
; SGPRBlocks: 0
; VGPRBlocks: 2
; NumSGPRsForWavesPerEU: 50
; NumVGPRsForWavesPerEU: 17
; Occupancy: 16
; WaveLimiterHint : 0
; COMPUTE_PGM_RSRC2:SCRATCH_EN: 0
; COMPUTE_PGM_RSRC2:USER_SGPR: 2
; COMPUTE_PGM_RSRC2:TRAP_HANDLER: 0
; COMPUTE_PGM_RSRC2:TGID_X_EN: 1
; COMPUTE_PGM_RSRC2:TGID_Y_EN: 0
; COMPUTE_PGM_RSRC2:TGID_Z_EN: 1
; COMPUTE_PGM_RSRC2:TIDIG_COMP_CNT: 0
	.section	.text._ZL32rocblas_gemvt_warp_reduce_kernelILb0ELi1024EiDF16_PKffEviiT3_lPKT2_lT1_lS5_lS6_lS2_lPT4_lS6_li,"axG",@progbits,_ZL32rocblas_gemvt_warp_reduce_kernelILb0ELi1024EiDF16_PKffEviiT3_lPKT2_lT1_lS5_lS6_lS2_lPT4_lS6_li,comdat
	.globl	_ZL32rocblas_gemvt_warp_reduce_kernelILb0ELi1024EiDF16_PKffEviiT3_lPKT2_lT1_lS5_lS6_lS2_lPT4_lS6_li ; -- Begin function _ZL32rocblas_gemvt_warp_reduce_kernelILb0ELi1024EiDF16_PKffEviiT3_lPKT2_lT1_lS5_lS6_lS2_lPT4_lS6_li
	.p2align	8
	.type	_ZL32rocblas_gemvt_warp_reduce_kernelILb0ELi1024EiDF16_PKffEviiT3_lPKT2_lT1_lS5_lS6_lS2_lPT4_lS6_li,@function
_ZL32rocblas_gemvt_warp_reduce_kernelILb0ELi1024EiDF16_PKffEviiT3_lPKT2_lT1_lS5_lS6_lS2_lPT4_lS6_li: ; @_ZL32rocblas_gemvt_warp_reduce_kernelILb0ELi1024EiDF16_PKffEviiT3_lPKT2_lT1_lS5_lS6_lS2_lPT4_lS6_li
; %bb.0:
	s_load_b32 s33, s[0:1], 0x88
	s_lshr_b32 s28, ttmp7, 16
	s_wait_kmcnt 0x0
	s_cmp_ge_u32 s28, s33
	s_cbranch_scc1 .LBB492_34
; %bb.1:
	s_clause 0x7
	s_load_b96 s[4:6], s[0:1], 0x40
	s_load_b96 s[36:38], s[0:1], 0x70
	s_load_b256 s[8:15], s[0:1], 0x8
	s_load_b32 s7, s[0:1], 0x0
	s_load_b32 s39, s[0:1], 0x28
	s_load_b128 s[24:27], s[0:1], 0x30
	s_load_b256 s[16:23], s[0:1], 0x50
	s_load_b64 s[30:31], s[0:1], 0x80
	v_mov_b32_e32 v9, 0
	v_mbcnt_lo_u32_b32 v15, -1, 0
	v_cmp_eq_u32_e64 s0, 0, v0
	s_mov_b32 s29, 0
	v_lshl_or_b32 v16, v15, 2, 64
	s_wait_kmcnt 0x0
	s_lshl_b64 s[2:3], s[4:5], 1
	s_lshl_b64 s[4:5], s[36:37], 2
	;; [unrolled: 1-line block ×3, first 2 shown]
	v_cmp_gt_i32_e32 vcc_lo, s7, v0
	s_ashr_i32 s1, s7, 31
	s_add_nc_u64 s[14:15], s[26:27], s[2:3]
	s_lshr_b32 s1, s1, 22
	s_add_nc_u64 s[2:3], s[12:13], s[34:35]
	s_add_co_i32 s1, s7, s1
	v_cndmask_b32_e32 v1, 0, v0, vcc_lo
	s_and_b32 s26, s1, 0xfffffc00
	s_mul_i32 s36, s38, ttmp9
	v_or_b32_e32 v2, s26, v0
	s_mul_i32 s38, s39, ttmp9
	v_lshlrev_b32_e32 v1, 1, v1
	s_ashr_i32 s39, s38, 31
	v_mul_lo_u32 v14, v0, s6
	v_mul_lo_u32 v3, s6, v2
	s_lshl_b64 s[38:39], s[38:39], 1
	v_add_co_u32 v4, s1, s2, v1
	s_delay_alu instid0(VALU_DEP_1)
	v_add_co_ci_u32_e64 v5, null, s3, 0, s1
	s_add_nc_u64 s[34:35], s[34:35], s[38:39]
	v_add_co_u32 v10, vcc_lo, v4, s38
	v_ashrrev_i32_e32 v4, 31, v3
	s_wait_alu 0xfffd
	v_add_co_ci_u32_e64 v11, null, s39, v5, vcc_lo
	v_cmp_gt_i32_e64 s2, s7, v2
	v_and_b32_e32 v2, 31, v0
	v_lshrrev_b32_e32 v5, 3, v0
	s_lshl_b32 s40, s6, 10
	s_add_nc_u64 s[6:7], s[12:13], s[34:35]
	s_add_nc_u64 s[22:23], s[22:23], s[4:5]
	s_wait_alu 0xfffe
	v_add_co_u32 v1, s5, s6, v1
	v_lshlrev_b64_e32 v[3:4], 1, v[3:4]
	v_cmp_gt_i32_e64 s1, s26, v0
	v_cmp_gt_u32_e64 s3, 32, v0
	v_lshlrev_b32_e32 v12, 2, v2
	v_cmp_eq_u32_e64 s4, 0, v2
	v_and_b32_e32 v13, 0x7c, v5
	v_add_co_ci_u32_e64 v2, null, s7, 0, s5
	s_ashr_i32 s37, s36, 31
	s_ashr_i32 s27, s26, 31
	s_lshl_b64 s[6:7], s[24:25], 1
	s_lshl_b64 s[12:13], s[36:37], 2
	s_wait_alu 0xfffe
	s_lshl_b64 s[34:35], s[26:27], 1
	s_branch .LBB492_4
.LBB492_2:                              ;   in Loop: Header=BB492_4 Depth=1
	s_wait_alu 0xfffe
	s_or_b32 exec_lo, exec_lo, s5
.LBB492_3:                              ;   in Loop: Header=BB492_4 Depth=1
	s_add_co_i32 s28, s28, 0x10000
	s_wait_alu 0xfffe
	s_cmp_lt_u32 s28, s33
	s_cbranch_scc0 .LBB492_34
.LBB492_4:                              ; =>This Loop Header: Depth=1
                                        ;     Child Loop BB492_23 Depth 2
	s_mul_u64 s[36:37], s[10:11], s[28:29]
	s_mul_u64 s[38:39], s[20:21], s[28:29]
	s_lshl_b64 s[36:37], s[36:37], 2
	s_wait_alu 0xfffe
	s_lshl_b64 s[38:39], s[38:39], 2
	s_add_nc_u64 s[36:37], s[8:9], s[36:37]
	s_wait_alu 0xfffe
	s_add_nc_u64 s[38:39], s[18:19], s[38:39]
	s_clause 0x1
	global_load_b32 v17, v9, s[36:37]
	global_load_b32 v5, v9, s[38:39]
	s_wait_loadcnt 0x1
	v_cmp_eq_f32_e32 vcc_lo, 0, v17
	s_wait_loadcnt 0x0
	v_cmp_eq_f32_e64 s5, 1.0, v5
	v_readfirstlane_b32 s27, v5
	s_and_b32 s5, vcc_lo, s5
	s_wait_alu 0xfffe
	s_and_b32 vcc_lo, exec_lo, s5
	s_wait_alu 0xfffe
	s_cbranch_vccnz .LBB492_3
; %bb.5:                                ;   in Loop: Header=BB492_4 Depth=1
	v_cmp_neq_f32_e32 vcc_lo, 0, v17
	s_mul_u64 s[36:37], s[30:31], s[28:29]
	s_delay_alu instid0(SALU_CYCLE_1) | instskip(NEXT) | instid1(SALU_CYCLE_1)
	s_lshl_b64 s[36:37], s[36:37], 2
	s_add_nc_u64 s[36:37], s[22:23], s[36:37]
	s_cbranch_vccnz .LBB492_9
; %bb.6:                                ;   in Loop: Header=BB492_4 Depth=1
	s_mov_b32 s5, 0
	s_mov_b32 s41, 0
                                        ; implicit-def: $vgpr5
	s_and_saveexec_b32 s38, s0
	s_cbranch_execz .LBB492_10
; %bb.7:                                ;   in Loop: Header=BB492_4 Depth=1
	s_cmp_eq_f32 s27, 0
	s_cbranch_scc1 .LBB492_11
; %bb.8:                                ;   in Loop: Header=BB492_4 Depth=1
	s_add_nc_u64 s[42:43], s[36:37], s[12:13]
	global_load_b32 v5, v9, s[42:43]
	s_wait_loadcnt 0x0
	v_mul_f32_e32 v5, s27, v5
	s_branch .LBB492_12
.LBB492_9:                              ;   in Loop: Header=BB492_4 Depth=1
	s_mov_b32 s41, 0
                                        ; implicit-def: $vgpr5
	s_cbranch_execnz .LBB492_13
	s_branch .LBB492_32
.LBB492_10:                             ;   in Loop: Header=BB492_4 Depth=1
	s_wait_alu 0xfffe
	s_or_b32 exec_lo, exec_lo, s38
	s_delay_alu instid0(SALU_CYCLE_1)
	s_and_b32 vcc_lo, exec_lo, s5
	s_wait_alu 0xfffe
	s_cbranch_vccnz .LBB492_13
	s_branch .LBB492_32
.LBB492_11:                             ;   in Loop: Header=BB492_4 Depth=1
	v_mov_b32_e32 v5, 0
.LBB492_12:                             ;   in Loop: Header=BB492_4 Depth=1
	s_mov_b32 s41, exec_lo
	s_wait_alu 0xfffe
	s_or_b32 exec_lo, exec_lo, s38
	s_delay_alu instid0(SALU_CYCLE_1)
	s_and_b32 vcc_lo, exec_lo, s5
	s_wait_alu 0xfffe
	s_cbranch_vccz .LBB492_32
.LBB492_13:                             ;   in Loop: Header=BB492_4 Depth=1
	s_mul_u64 s[38:39], s[16:17], s[28:29]
	s_wait_dscnt 0x0
	v_mov_b32_e32 v18, 0
	s_wait_alu 0xfffe
	s_lshl_b64 s[38:39], s[38:39], 1
	s_wait_alu 0xfffe
	s_add_nc_u64 s[38:39], s[14:15], s[38:39]
	s_and_saveexec_b32 s42, s1
	s_cbranch_execnz .LBB492_22
; %bb.14:                               ;   in Loop: Header=BB492_4 Depth=1
	s_wait_alu 0xfffe
	s_or_b32 exec_lo, exec_lo, s42
	s_and_saveexec_b32 s5, s2
	s_cbranch_execnz .LBB492_25
.LBB492_15:                             ;   in Loop: Header=BB492_4 Depth=1
	s_wait_alu 0xfffe
	s_or_b32 exec_lo, exec_lo, s5
	s_and_saveexec_b32 s5, s3
.LBB492_16:                             ;   in Loop: Header=BB492_4 Depth=1
	ds_store_b32 v12, v9
.LBB492_17:                             ;   in Loop: Header=BB492_4 Depth=1
	s_wait_alu 0xfffe
	s_or_b32 exec_lo, exec_lo, s5
	ds_bpermute_b32 v6, v16, v18
	v_cmp_gt_u32_e32 vcc_lo, 24, v15
	s_wait_dscnt 0x0
	s_barrier_signal -1
	s_barrier_wait -1
	global_inv scope:SCOPE_SE
	s_wait_alu 0xfffd
	v_cndmask_b32_e64 v5, 0, 8, vcc_lo
	v_cmp_gt_u32_e32 vcc_lo, 28, v15
	s_delay_alu instid0(VALU_DEP_2)
	v_add_lshl_u32 v5, v5, v15, 2
	v_add_f32_e32 v7, v18, v6
	s_wait_alu 0xfffd
	v_cndmask_b32_e64 v6, 0, 4, vcc_lo
	v_cmp_gt_u32_e32 vcc_lo, 30, v15
	ds_bpermute_b32 v8, v5, v7
	v_add_lshl_u32 v6, v6, v15, 2
	s_wait_dscnt 0x0
	v_add_f32_e32 v8, v7, v8
	s_wait_alu 0xfffd
	v_cndmask_b32_e64 v7, 0, 2, vcc_lo
	v_cmp_ne_u32_e32 vcc_lo, 31, v15
	ds_bpermute_b32 v18, v6, v8
	v_add_lshl_u32 v7, v7, v15, 2
	s_wait_alu 0xfffd
	v_add_co_ci_u32_e64 v19, null, 0, v15, vcc_lo
	s_wait_dscnt 0x0
	v_add_f32_e32 v8, v8, v18
	ds_bpermute_b32 v18, v7, v8
	s_wait_dscnt 0x0
	v_add_f32_e32 v18, v8, v18
	v_lshlrev_b32_e32 v8, 2, v19
	ds_bpermute_b32 v19, v8, v18
	s_and_saveexec_b32 s5, s4
	s_cbranch_execz .LBB492_19
; %bb.18:                               ;   in Loop: Header=BB492_4 Depth=1
	s_wait_dscnt 0x0
	v_add_f32_e32 v18, v18, v19
	ds_store_b32 v13, v18
.LBB492_19:                             ;   in Loop: Header=BB492_4 Depth=1
	s_wait_alu 0xfffe
	s_or_b32 exec_lo, exec_lo, s5
	v_mov_b32_e32 v18, 0
	s_wait_loadcnt_dscnt 0x0
	s_barrier_signal -1
	s_barrier_wait -1
	global_inv scope:SCOPE_SE
	s_and_saveexec_b32 s5, s3
	s_cbranch_execnz .LBB492_26
; %bb.20:                               ;   in Loop: Header=BB492_4 Depth=1
	s_wait_alu 0xfffe
	s_or_b32 exec_lo, exec_lo, s5
	s_and_saveexec_b32 s5, s3
	s_cbranch_execnz .LBB492_27
.LBB492_21:                             ;   in Loop: Header=BB492_4 Depth=1
	s_wait_alu 0xfffe
	s_or_b32 exec_lo, exec_lo, s5
                                        ; implicit-def: $vgpr5
	s_and_saveexec_b32 s5, s0
	s_cbranch_execnz .LBB492_28
	s_branch .LBB492_31
.LBB492_22:                             ;   in Loop: Header=BB492_4 Depth=1
	v_mad_co_u64_u32 v[5:6], null, s6, s28, v[1:2]
	v_dual_mov_b32 v18, 0 :: v_dual_mov_b32 v19, v0
	s_mov_b32 s43, 0
	s_delay_alu instid0(VALU_DEP_2)
	v_mad_co_u64_u32 v[6:7], null, s7, s28, v[6:7]
	v_mov_b32_e32 v7, v14
.LBB492_23:                             ;   Parent Loop BB492_4 Depth=1
                                        ; =>  This Inner Loop Header: Depth=2
	s_delay_alu instid0(VALU_DEP_1) | instskip(NEXT) | instid1(VALU_DEP_1)
	v_ashrrev_i32_e32 v8, 31, v7
	v_lshlrev_b64_e32 v[20:21], 1, v[7:8]
	v_add_nc_u32_e32 v7, s40, v7
	s_wait_alu 0xfffe
	s_delay_alu instid0(VALU_DEP_2) | instskip(SKIP_1) | instid1(VALU_DEP_3)
	v_add_co_u32 v20, vcc_lo, s38, v20
	s_wait_alu 0xfffd
	v_add_co_ci_u32_e64 v21, null, s39, v21, vcc_lo
	global_load_u16 v8, v[5:6], off
	global_load_u16 v20, v[20:21], off
	v_add_co_u32 v5, vcc_lo, 0x800, v5
	s_wait_alu 0xfffd
	v_add_co_ci_u32_e64 v6, null, 0, v6, vcc_lo
	s_wait_loadcnt 0x0
	v_mul_f16_e32 v8, v8, v20
	s_delay_alu instid0(VALU_DEP_1) | instskip(NEXT) | instid1(VALU_DEP_1)
	v_cvt_f32_f16_e32 v8, v8
	v_dual_add_f32 v18, v18, v8 :: v_dual_add_nc_u32 v19, 0x400, v19
	s_delay_alu instid0(VALU_DEP_1)
	v_cmp_le_i32_e64 s5, s26, v19
	s_or_b32 s43, s5, s43
	s_wait_alu 0xfffe
	s_and_not1_b32 exec_lo, exec_lo, s43
	s_cbranch_execnz .LBB492_23
; %bb.24:                               ;   in Loop: Header=BB492_4 Depth=1
	s_or_b32 exec_lo, exec_lo, s43
	s_delay_alu instid0(SALU_CYCLE_1)
	s_or_b32 exec_lo, exec_lo, s42
	s_and_saveexec_b32 s5, s2
	s_cbranch_execz .LBB492_15
.LBB492_25:                             ;   in Loop: Header=BB492_4 Depth=1
	s_mul_u64 s[42:43], s[24:25], s[28:29]
	s_wait_alu 0xfffe
	s_lshl_b64 s[42:43], s[42:43], 1
	s_wait_alu 0xfffe
	v_add_co_u32 v5, vcc_lo, v10, s42
	s_wait_alu 0xfffd
	v_add_co_ci_u32_e64 v6, null, s43, v11, vcc_lo
	s_delay_alu instid0(VALU_DEP_2) | instskip(SKIP_1) | instid1(VALU_DEP_2)
	v_add_co_u32 v5, vcc_lo, v5, s34
	s_wait_alu 0xfffd
	v_add_co_ci_u32_e64 v6, null, s35, v6, vcc_lo
	v_add_co_u32 v7, vcc_lo, s38, v3
	s_wait_alu 0xfffd
	v_add_co_ci_u32_e64 v8, null, s39, v4, vcc_lo
	global_load_u16 v5, v[5:6], off
	global_load_u16 v6, v[7:8], off
	s_wait_loadcnt 0x0
	v_mul_f16_e32 v5, v5, v6
	s_delay_alu instid0(VALU_DEP_1) | instskip(NEXT) | instid1(VALU_DEP_1)
	v_cvt_f32_f16_e32 v5, v5
	v_add_f32_e32 v18, v18, v5
	s_or_b32 exec_lo, exec_lo, s5
	s_and_saveexec_b32 s5, s3
	s_cbranch_execnz .LBB492_16
	s_branch .LBB492_17
.LBB492_26:                             ;   in Loop: Header=BB492_4 Depth=1
	ds_load_b32 v18, v12
	s_wait_alu 0xfffe
	s_or_b32 exec_lo, exec_lo, s5
	s_and_saveexec_b32 s5, s3
	s_cbranch_execz .LBB492_21
.LBB492_27:                             ;   in Loop: Header=BB492_4 Depth=1
	s_wait_dscnt 0x0
	ds_bpermute_b32 v19, v16, v18
	s_wait_dscnt 0x0
	v_add_f32_e32 v18, v18, v19
	ds_bpermute_b32 v5, v5, v18
	s_wait_dscnt 0x0
	v_add_f32_e32 v5, v18, v5
	;; [unrolled: 3-line block ×5, first 2 shown]
	s_wait_alu 0xfffe
	s_or_b32 exec_lo, exec_lo, s5
                                        ; implicit-def: $vgpr5
	s_and_saveexec_b32 s5, s0
	s_cbranch_execz .LBB492_31
.LBB492_28:                             ;   in Loop: Header=BB492_4 Depth=1
	s_wait_dscnt 0x0
	v_mul_f32_e32 v5, v17, v18
	s_cmp_eq_f32 s27, 0
	s_cbranch_scc1 .LBB492_30
; %bb.29:                               ;   in Loop: Header=BB492_4 Depth=1
	s_add_nc_u64 s[38:39], s[36:37], s[12:13]
	global_load_b32 v6, v9, s[38:39]
	s_wait_loadcnt 0x0
	v_fmac_f32_e32 v5, s27, v6
.LBB492_30:                             ;   in Loop: Header=BB492_4 Depth=1
	s_or_b32 s41, s41, exec_lo
.LBB492_31:                             ;   in Loop: Header=BB492_4 Depth=1
	s_wait_alu 0xfffe
	s_or_b32 exec_lo, exec_lo, s5
.LBB492_32:                             ;   in Loop: Header=BB492_4 Depth=1
	s_wait_alu 0xfffe
	s_and_saveexec_b32 s5, s41
	s_cbranch_execz .LBB492_2
; %bb.33:                               ;   in Loop: Header=BB492_4 Depth=1
	s_add_nc_u64 s[36:37], s[36:37], s[12:13]
	global_store_b32 v9, v5, s[36:37]
	s_branch .LBB492_2
.LBB492_34:
	s_endpgm
	.section	.rodata,"a",@progbits
	.p2align	6, 0x0
	.amdhsa_kernel _ZL32rocblas_gemvt_warp_reduce_kernelILb0ELi1024EiDF16_PKffEviiT3_lPKT2_lT1_lS5_lS6_lS2_lPT4_lS6_li
		.amdhsa_group_segment_fixed_size 128
		.amdhsa_private_segment_fixed_size 0
		.amdhsa_kernarg_size 140
		.amdhsa_user_sgpr_count 2
		.amdhsa_user_sgpr_dispatch_ptr 0
		.amdhsa_user_sgpr_queue_ptr 0
		.amdhsa_user_sgpr_kernarg_segment_ptr 1
		.amdhsa_user_sgpr_dispatch_id 0
		.amdhsa_user_sgpr_private_segment_size 0
		.amdhsa_wavefront_size32 1
		.amdhsa_uses_dynamic_stack 0
		.amdhsa_enable_private_segment 0
		.amdhsa_system_sgpr_workgroup_id_x 1
		.amdhsa_system_sgpr_workgroup_id_y 0
		.amdhsa_system_sgpr_workgroup_id_z 1
		.amdhsa_system_sgpr_workgroup_info 0
		.amdhsa_system_vgpr_workitem_id 0
		.amdhsa_next_free_vgpr 22
		.amdhsa_next_free_sgpr 44
		.amdhsa_reserve_vcc 1
		.amdhsa_float_round_mode_32 0
		.amdhsa_float_round_mode_16_64 0
		.amdhsa_float_denorm_mode_32 3
		.amdhsa_float_denorm_mode_16_64 3
		.amdhsa_fp16_overflow 0
		.amdhsa_workgroup_processor_mode 1
		.amdhsa_memory_ordered 1
		.amdhsa_forward_progress 1
		.amdhsa_inst_pref_size 13
		.amdhsa_round_robin_scheduling 0
		.amdhsa_exception_fp_ieee_invalid_op 0
		.amdhsa_exception_fp_denorm_src 0
		.amdhsa_exception_fp_ieee_div_zero 0
		.amdhsa_exception_fp_ieee_overflow 0
		.amdhsa_exception_fp_ieee_underflow 0
		.amdhsa_exception_fp_ieee_inexact 0
		.amdhsa_exception_int_div_zero 0
	.end_amdhsa_kernel
	.section	.text._ZL32rocblas_gemvt_warp_reduce_kernelILb0ELi1024EiDF16_PKffEviiT3_lPKT2_lT1_lS5_lS6_lS2_lPT4_lS6_li,"axG",@progbits,_ZL32rocblas_gemvt_warp_reduce_kernelILb0ELi1024EiDF16_PKffEviiT3_lPKT2_lT1_lS5_lS6_lS2_lPT4_lS6_li,comdat
.Lfunc_end492:
	.size	_ZL32rocblas_gemvt_warp_reduce_kernelILb0ELi1024EiDF16_PKffEviiT3_lPKT2_lT1_lS5_lS6_lS2_lPT4_lS6_li, .Lfunc_end492-_ZL32rocblas_gemvt_warp_reduce_kernelILb0ELi1024EiDF16_PKffEviiT3_lPKT2_lT1_lS5_lS6_lS2_lPT4_lS6_li
                                        ; -- End function
	.set _ZL32rocblas_gemvt_warp_reduce_kernelILb0ELi1024EiDF16_PKffEviiT3_lPKT2_lT1_lS5_lS6_lS2_lPT4_lS6_li.num_vgpr, 22
	.set _ZL32rocblas_gemvt_warp_reduce_kernelILb0ELi1024EiDF16_PKffEviiT3_lPKT2_lT1_lS5_lS6_lS2_lPT4_lS6_li.num_agpr, 0
	.set _ZL32rocblas_gemvt_warp_reduce_kernelILb0ELi1024EiDF16_PKffEviiT3_lPKT2_lT1_lS5_lS6_lS2_lPT4_lS6_li.numbered_sgpr, 44
	.set _ZL32rocblas_gemvt_warp_reduce_kernelILb0ELi1024EiDF16_PKffEviiT3_lPKT2_lT1_lS5_lS6_lS2_lPT4_lS6_li.num_named_barrier, 0
	.set _ZL32rocblas_gemvt_warp_reduce_kernelILb0ELi1024EiDF16_PKffEviiT3_lPKT2_lT1_lS5_lS6_lS2_lPT4_lS6_li.private_seg_size, 0
	.set _ZL32rocblas_gemvt_warp_reduce_kernelILb0ELi1024EiDF16_PKffEviiT3_lPKT2_lT1_lS5_lS6_lS2_lPT4_lS6_li.uses_vcc, 1
	.set _ZL32rocblas_gemvt_warp_reduce_kernelILb0ELi1024EiDF16_PKffEviiT3_lPKT2_lT1_lS5_lS6_lS2_lPT4_lS6_li.uses_flat_scratch, 0
	.set _ZL32rocblas_gemvt_warp_reduce_kernelILb0ELi1024EiDF16_PKffEviiT3_lPKT2_lT1_lS5_lS6_lS2_lPT4_lS6_li.has_dyn_sized_stack, 0
	.set _ZL32rocblas_gemvt_warp_reduce_kernelILb0ELi1024EiDF16_PKffEviiT3_lPKT2_lT1_lS5_lS6_lS2_lPT4_lS6_li.has_recursion, 0
	.set _ZL32rocblas_gemvt_warp_reduce_kernelILb0ELi1024EiDF16_PKffEviiT3_lPKT2_lT1_lS5_lS6_lS2_lPT4_lS6_li.has_indirect_call, 0
	.section	.AMDGPU.csdata,"",@progbits
; Kernel info:
; codeLenInByte = 1588
; TotalNumSgprs: 46
; NumVgprs: 22
; ScratchSize: 0
; MemoryBound: 0
; FloatMode: 240
; IeeeMode: 1
; LDSByteSize: 128 bytes/workgroup (compile time only)
; SGPRBlocks: 0
; VGPRBlocks: 2
; NumSGPRsForWavesPerEU: 46
; NumVGPRsForWavesPerEU: 22
; Occupancy: 16
; WaveLimiterHint : 0
; COMPUTE_PGM_RSRC2:SCRATCH_EN: 0
; COMPUTE_PGM_RSRC2:USER_SGPR: 2
; COMPUTE_PGM_RSRC2:TRAP_HANDLER: 0
; COMPUTE_PGM_RSRC2:TGID_X_EN: 1
; COMPUTE_PGM_RSRC2:TGID_Y_EN: 0
; COMPUTE_PGM_RSRC2:TGID_Z_EN: 1
; COMPUTE_PGM_RSRC2:TIDIG_COMP_CNT: 0
	.section	.text._ZL32rocblas_gemvt_warp_reduce_kernelILb0ELi1024ElDF16_PKffEviiT3_lPKT2_lT1_lS5_lS6_lS2_lPT4_lS6_li,"axG",@progbits,_ZL32rocblas_gemvt_warp_reduce_kernelILb0ELi1024ElDF16_PKffEviiT3_lPKT2_lT1_lS5_lS6_lS2_lPT4_lS6_li,comdat
	.globl	_ZL32rocblas_gemvt_warp_reduce_kernelILb0ELi1024ElDF16_PKffEviiT3_lPKT2_lT1_lS5_lS6_lS2_lPT4_lS6_li ; -- Begin function _ZL32rocblas_gemvt_warp_reduce_kernelILb0ELi1024ElDF16_PKffEviiT3_lPKT2_lT1_lS5_lS6_lS2_lPT4_lS6_li
	.p2align	8
	.type	_ZL32rocblas_gemvt_warp_reduce_kernelILb0ELi1024ElDF16_PKffEviiT3_lPKT2_lT1_lS5_lS6_lS2_lPT4_lS6_li,@function
_ZL32rocblas_gemvt_warp_reduce_kernelILb0ELi1024ElDF16_PKffEviiT3_lPKT2_lT1_lS5_lS6_lS2_lPT4_lS6_li: ; @_ZL32rocblas_gemvt_warp_reduce_kernelILb0ELi1024ElDF16_PKffEviiT3_lPKT2_lT1_lS5_lS6_lS2_lPT4_lS6_li
; %bb.0:
	s_load_b32 s33, s[0:1], 0x88
	s_lshr_b32 s6, ttmp7, 16
	s_wait_kmcnt 0x0
	s_cmp_ge_u32 s6, s33
	s_cbranch_scc1 .LBB493_34
; %bb.1:
	s_clause 0x2
	s_load_b512 s[8:23], s[0:1], 0x8
	s_load_b512 s[36:51], s[0:1], 0x48
	s_load_b32 s28, s[0:1], 0x0
	s_mov_b32 s2, ttmp9
	s_ashr_i32 s3, ttmp9, 31
	v_mbcnt_lo_u32_b32 v16, -1, 0
	v_cmp_eq_u32_e64 s0, 0, v0
	s_mov_b32 s7, 0
	v_lshl_or_b32 v17, v16, 2, 64
	s_wait_kmcnt 0x0
	s_lshl_b64 s[4:5], s[22:23], 1
	s_lshl_b64 s[24:25], s[14:15], 1
	v_cmp_gt_i32_e32 vcc_lo, s28, v0
	s_ashr_i32 s1, s28, 31
	v_mad_co_u64_u32 v[1:2], null, s36, v0, 0
	s_lshr_b32 s1, s1, 22
	v_cndmask_b32_e32 v3, 0, v0, vcc_lo
	s_add_nc_u64 s[14:15], s[20:21], s[4:5]
	s_add_nc_u64 s[4:5], s[12:13], s[24:25]
	s_add_co_i32 s1, s28, s1
	s_lshl_b64 s[22:23], s[46:47], 2
	v_lshlrev_b32_e32 v7, 1, v3
	s_and_b32 s20, s1, 0xfffffc00
	s_mul_u64 s[26:27], s[48:49], s[2:3]
	s_mul_u64 s[2:3], s[16:17], s[2:3]
	v_or_b32_e32 v4, s20, v0
	v_add_co_u32 v3, s1, s4, v7
	s_delay_alu instid0(VALU_DEP_1)
	v_add_co_ci_u32_e64 v5, null, s5, 0, s1
	s_add_nc_u64 s[16:17], s[44:45], s[22:23]
	s_lshl_b64 s[22:23], s[2:3], 1
	v_mul_lo_u32 v8, s37, v4
	v_add_co_u32 v12, vcc_lo, v3, s22
	v_mad_co_u64_u32 v[2:3], null, s37, v0, v[2:3]
	s_wait_alu 0xfffd
	v_add_co_ci_u32_e64 v13, null, s23, v5, vcc_lo
	v_mad_co_u64_u32 v[5:6], null, s36, v4, 0
	v_and_b32_e32 v3, 31, v0
	v_cmp_gt_i32_e64 s2, s28, v4
	v_lshrrev_b32_e32 v4, 3, v0
	s_ashr_i32 s21, s20, 31
	v_dual_mov_b32 v11, 0 :: v_dual_lshlrev_b32 v14, 2, v3
	s_wait_alu 0xfffe
	s_mul_i32 s3, s36, s21
	v_cmp_eq_u32_e64 s4, 0, v3
	v_and_b32_e32 v15, 0x7c, v4
	v_lshlrev_b64_e32 v[3:4], 1, v[1:2]
	v_add3_u32 v6, v6, s3, v8
	s_add_nc_u64 s[22:23], s[22:23], s[24:25]
	v_cmp_gt_i32_e64 s1, s20, v0
	s_wait_alu 0xfffe
	s_add_nc_u64 s[12:13], s[12:13], s[22:23]
	v_cmp_gt_u32_e64 s3, 32, v0
	v_add_co_u32 v1, s5, s12, v7
	v_add_co_u32 v3, vcc_lo, s14, v3
	v_lshlrev_b64_e32 v[5:6], 1, v[5:6]
	s_wait_alu 0xf1ff
	v_add_co_ci_u32_e64 v2, null, s13, 0, s5
	s_wait_alu 0xfffd
	v_add_co_ci_u32_e64 v4, null, s15, v4, vcc_lo
	s_lshl_b64 s[12:13], s[18:19], 1
	s_lshl_b64 s[22:23], s[38:39], 1
	s_lshl_b64 s[24:25], s[36:37], 11
	s_lshl_b64 s[26:27], s[26:27], 2
	s_lshl_b64 s[28:29], s[20:21], 1
	s_branch .LBB493_4
.LBB493_2:                              ;   in Loop: Header=BB493_4 Depth=1
	s_wait_alu 0xfffe
	s_or_b32 exec_lo, exec_lo, s5
.LBB493_3:                              ;   in Loop: Header=BB493_4 Depth=1
	s_add_co_i32 s6, s6, 0x10000
	s_wait_alu 0xfffe
	s_cmp_lt_u32 s6, s33
	s_cbranch_scc0 .LBB493_34
.LBB493_4:                              ; =>This Loop Header: Depth=1
                                        ;     Child Loop BB493_23 Depth 2
	s_mul_u64 s[30:31], s[10:11], s[6:7]
	s_mul_u64 s[34:35], s[42:43], s[6:7]
	s_lshl_b64 s[30:31], s[30:31], 2
	s_lshl_b64 s[34:35], s[34:35], 2
	s_add_nc_u64 s[30:31], s[8:9], s[30:31]
	s_add_nc_u64 s[34:35], s[40:41], s[34:35]
	s_clause 0x1
	global_load_b32 v18, v11, s[30:31]
	global_load_b32 v7, v11, s[34:35]
	s_wait_loadcnt 0x1
	v_cmp_eq_f32_e32 vcc_lo, 0, v18
	s_wait_loadcnt 0x0
	v_cmp_eq_f32_e64 s5, 1.0, v7
	v_readfirstlane_b32 s21, v7
	s_and_b32 s5, vcc_lo, s5
	s_wait_alu 0xfffe
	s_and_b32 vcc_lo, exec_lo, s5
	s_wait_alu 0xfffe
	s_cbranch_vccnz .LBB493_3
; %bb.5:                                ;   in Loop: Header=BB493_4 Depth=1
	v_cmp_neq_f32_e32 vcc_lo, 0, v18
	s_mul_u64 s[30:31], s[50:51], s[6:7]
	s_delay_alu instid0(SALU_CYCLE_1) | instskip(NEXT) | instid1(SALU_CYCLE_1)
	s_lshl_b64 s[30:31], s[30:31], 2
	s_add_nc_u64 s[30:31], s[16:17], s[30:31]
	s_cbranch_vccnz .LBB493_9
; %bb.6:                                ;   in Loop: Header=BB493_4 Depth=1
	s_mov_b32 s5, 0
	s_mov_b32 s34, 0
                                        ; implicit-def: $vgpr7
	s_and_saveexec_b32 s35, s0
	s_cbranch_execz .LBB493_10
; %bb.7:                                ;   in Loop: Header=BB493_4 Depth=1
	s_cmp_eq_f32 s21, 0
	s_cbranch_scc1 .LBB493_11
; %bb.8:                                ;   in Loop: Header=BB493_4 Depth=1
	s_add_nc_u64 s[36:37], s[30:31], s[26:27]
	global_load_b32 v7, v11, s[36:37]
	s_wait_loadcnt 0x0
	v_mul_f32_e32 v7, s21, v7
	s_branch .LBB493_12
.LBB493_9:                              ;   in Loop: Header=BB493_4 Depth=1
	s_mov_b32 s34, 0
                                        ; implicit-def: $vgpr7
	s_cbranch_execnz .LBB493_13
	s_branch .LBB493_32
.LBB493_10:                             ;   in Loop: Header=BB493_4 Depth=1
	s_or_b32 exec_lo, exec_lo, s35
	s_wait_alu 0xfffe
	s_and_b32 vcc_lo, exec_lo, s5
	s_wait_alu 0xfffe
	s_cbranch_vccnz .LBB493_13
	s_branch .LBB493_32
.LBB493_11:                             ;   in Loop: Header=BB493_4 Depth=1
	v_mov_b32_e32 v7, 0
.LBB493_12:                             ;   in Loop: Header=BB493_4 Depth=1
	s_mov_b32 s34, exec_lo
	s_or_b32 exec_lo, exec_lo, s35
	s_wait_alu 0xfffe
	s_and_b32 vcc_lo, exec_lo, s5
	s_wait_alu 0xfffe
	s_cbranch_vccz .LBB493_32
.LBB493_13:                             ;   in Loop: Header=BB493_4 Depth=1
	s_wait_dscnt 0x0
	v_mov_b32_e32 v19, 0
	s_and_saveexec_b32 s35, s1
	s_cbranch_execnz .LBB493_22
; %bb.14:                               ;   in Loop: Header=BB493_4 Depth=1
	s_or_b32 exec_lo, exec_lo, s35
	s_and_saveexec_b32 s5, s2
	s_cbranch_execnz .LBB493_25
.LBB493_15:                             ;   in Loop: Header=BB493_4 Depth=1
	s_wait_alu 0xfffe
	s_or_b32 exec_lo, exec_lo, s5
	s_and_saveexec_b32 s5, s3
.LBB493_16:                             ;   in Loop: Header=BB493_4 Depth=1
	ds_store_b32 v14, v11
.LBB493_17:                             ;   in Loop: Header=BB493_4 Depth=1
	s_wait_alu 0xfffe
	s_or_b32 exec_lo, exec_lo, s5
	ds_bpermute_b32 v8, v17, v19
	v_cmp_gt_u32_e32 vcc_lo, 24, v16
	s_wait_dscnt 0x0
	s_barrier_signal -1
	s_barrier_wait -1
	global_inv scope:SCOPE_SE
	s_wait_alu 0xfffd
	v_cndmask_b32_e64 v7, 0, 8, vcc_lo
	v_cmp_gt_u32_e32 vcc_lo, 28, v16
	s_delay_alu instid0(VALU_DEP_2)
	v_add_lshl_u32 v7, v7, v16, 2
	v_add_f32_e32 v9, v19, v8
	s_wait_alu 0xfffd
	v_cndmask_b32_e64 v8, 0, 4, vcc_lo
	v_cmp_gt_u32_e32 vcc_lo, 30, v16
	ds_bpermute_b32 v10, v7, v9
	v_add_lshl_u32 v8, v8, v16, 2
	s_wait_dscnt 0x0
	v_add_f32_e32 v10, v9, v10
	s_wait_alu 0xfffd
	v_cndmask_b32_e64 v9, 0, 2, vcc_lo
	v_cmp_ne_u32_e32 vcc_lo, 31, v16
	ds_bpermute_b32 v19, v8, v10
	v_add_lshl_u32 v9, v9, v16, 2
	s_wait_alu 0xfffd
	v_add_co_ci_u32_e64 v20, null, 0, v16, vcc_lo
	s_wait_dscnt 0x0
	v_add_f32_e32 v10, v10, v19
	ds_bpermute_b32 v19, v9, v10
	s_wait_dscnt 0x0
	v_dual_add_f32 v19, v10, v19 :: v_dual_lshlrev_b32 v10, 2, v20
	ds_bpermute_b32 v20, v10, v19
	s_and_saveexec_b32 s5, s4
	s_cbranch_execz .LBB493_19
; %bb.18:                               ;   in Loop: Header=BB493_4 Depth=1
	s_wait_dscnt 0x0
	v_add_f32_e32 v19, v19, v20
	ds_store_b32 v15, v19
.LBB493_19:                             ;   in Loop: Header=BB493_4 Depth=1
	s_wait_alu 0xfffe
	s_or_b32 exec_lo, exec_lo, s5
	v_mov_b32_e32 v19, 0
	s_wait_loadcnt_dscnt 0x0
	s_barrier_signal -1
	s_barrier_wait -1
	global_inv scope:SCOPE_SE
	s_and_saveexec_b32 s5, s3
	s_cbranch_execnz .LBB493_26
; %bb.20:                               ;   in Loop: Header=BB493_4 Depth=1
	s_wait_alu 0xfffe
	s_or_b32 exec_lo, exec_lo, s5
	s_and_saveexec_b32 s5, s3
	s_cbranch_execnz .LBB493_27
.LBB493_21:                             ;   in Loop: Header=BB493_4 Depth=1
	s_wait_alu 0xfffe
	s_or_b32 exec_lo, exec_lo, s5
                                        ; implicit-def: $vgpr7
	s_and_saveexec_b32 s5, s0
	s_cbranch_execnz .LBB493_28
	s_branch .LBB493_31
.LBB493_22:                             ;   in Loop: Header=BB493_4 Depth=1
	v_mad_co_u64_u32 v[7:8], null, s12, s6, v[1:2]
	v_mad_co_u64_u32 v[9:10], null, s22, s6, v[3:4]
	s_mov_b32 s36, 0
	v_mad_co_u64_u32 v[20:21], null, s13, s6, v[8:9]
	v_mad_co_u64_u32 v[21:22], null, s23, s6, v[10:11]
	s_delay_alu instid0(VALU_DEP_2) | instskip(SKIP_1) | instid1(VALU_DEP_3)
	v_dual_mov_b32 v19, 0 :: v_dual_mov_b32 v8, v20
	v_mov_b32_e32 v20, v0
	v_mov_b32_e32 v10, v21
.LBB493_23:                             ;   Parent Loop BB493_4 Depth=1
                                        ; =>  This Inner Loop Header: Depth=2
	global_load_u16 v21, v[7:8], off
	global_load_u16 v22, v[9:10], off
	v_add_co_u32 v7, vcc_lo, 0x800, v7
	s_wait_alu 0xfffd
	v_add_co_ci_u32_e64 v8, null, 0, v8, vcc_lo
	v_add_co_u32 v9, vcc_lo, v9, s24
	s_wait_alu 0xfffd
	v_add_co_ci_u32_e64 v10, null, s25, v10, vcc_lo
	s_wait_loadcnt 0x0
	v_mul_f16_e32 v21, v21, v22
	s_delay_alu instid0(VALU_DEP_1) | instskip(NEXT) | instid1(VALU_DEP_1)
	v_cvt_f32_f16_e32 v21, v21
	v_dual_add_f32 v19, v19, v21 :: v_dual_add_nc_u32 v20, 0x400, v20
	s_delay_alu instid0(VALU_DEP_1)
	v_cmp_le_i32_e64 s5, s20, v20
	s_wait_alu 0xfffe
	s_or_b32 s36, s5, s36
	s_wait_alu 0xfffe
	s_and_not1_b32 exec_lo, exec_lo, s36
	s_cbranch_execnz .LBB493_23
; %bb.24:                               ;   in Loop: Header=BB493_4 Depth=1
	s_or_b32 exec_lo, exec_lo, s36
	s_delay_alu instid0(SALU_CYCLE_1)
	s_or_b32 exec_lo, exec_lo, s35
	s_and_saveexec_b32 s5, s2
	s_cbranch_execz .LBB493_15
.LBB493_25:                             ;   in Loop: Header=BB493_4 Depth=1
	s_mul_u64 s[36:37], s[18:19], s[6:7]
	s_mul_u64 s[44:45], s[38:39], s[6:7]
	s_wait_alu 0xfffe
	s_lshl_b64 s[36:37], s[36:37], 1
	s_lshl_b64 s[44:45], s[44:45], 1
	s_wait_alu 0xfffe
	v_add_co_u32 v7, vcc_lo, v12, s36
	s_wait_alu 0xfffd
	v_add_co_ci_u32_e64 v8, null, s37, v13, vcc_lo
	s_add_nc_u64 s[36:37], s[14:15], s[44:45]
	v_add_co_u32 v7, vcc_lo, v7, s28
	s_wait_alu 0xfffd
	v_add_co_ci_u32_e64 v8, null, s29, v8, vcc_lo
	s_wait_alu 0xfffe
	v_add_co_u32 v9, vcc_lo, s36, v5
	s_wait_alu 0xfffd
	v_add_co_ci_u32_e64 v10, null, s37, v6, vcc_lo
	global_load_u16 v7, v[7:8], off
	global_load_u16 v8, v[9:10], off
	s_wait_loadcnt 0x0
	v_mul_f16_e32 v7, v7, v8
	s_delay_alu instid0(VALU_DEP_1) | instskip(NEXT) | instid1(VALU_DEP_1)
	v_cvt_f32_f16_e32 v7, v7
	v_add_f32_e32 v19, v19, v7
	s_or_b32 exec_lo, exec_lo, s5
	s_and_saveexec_b32 s5, s3
	s_cbranch_execnz .LBB493_16
	s_branch .LBB493_17
.LBB493_26:                             ;   in Loop: Header=BB493_4 Depth=1
	ds_load_b32 v19, v14
	s_wait_alu 0xfffe
	s_or_b32 exec_lo, exec_lo, s5
	s_and_saveexec_b32 s5, s3
	s_cbranch_execz .LBB493_21
.LBB493_27:                             ;   in Loop: Header=BB493_4 Depth=1
	s_wait_dscnt 0x0
	ds_bpermute_b32 v20, v17, v19
	s_wait_dscnt 0x0
	v_add_f32_e32 v19, v19, v20
	ds_bpermute_b32 v7, v7, v19
	s_wait_dscnt 0x0
	v_add_f32_e32 v7, v19, v7
	;; [unrolled: 3-line block ×5, first 2 shown]
	s_wait_alu 0xfffe
	s_or_b32 exec_lo, exec_lo, s5
                                        ; implicit-def: $vgpr7
	s_and_saveexec_b32 s5, s0
	s_cbranch_execz .LBB493_31
.LBB493_28:                             ;   in Loop: Header=BB493_4 Depth=1
	s_wait_dscnt 0x0
	v_mul_f32_e32 v7, v18, v19
	s_cmp_eq_f32 s21, 0
	s_cbranch_scc1 .LBB493_30
; %bb.29:                               ;   in Loop: Header=BB493_4 Depth=1
	s_add_nc_u64 s[36:37], s[30:31], s[26:27]
	global_load_b32 v8, v11, s[36:37]
	s_wait_loadcnt 0x0
	v_fmac_f32_e32 v7, s21, v8
.LBB493_30:                             ;   in Loop: Header=BB493_4 Depth=1
	s_or_b32 s34, s34, exec_lo
.LBB493_31:                             ;   in Loop: Header=BB493_4 Depth=1
	s_wait_alu 0xfffe
	s_or_b32 exec_lo, exec_lo, s5
.LBB493_32:                             ;   in Loop: Header=BB493_4 Depth=1
	s_and_saveexec_b32 s5, s34
	s_cbranch_execz .LBB493_2
; %bb.33:                               ;   in Loop: Header=BB493_4 Depth=1
	s_add_nc_u64 s[30:31], s[30:31], s[26:27]
	global_store_b32 v11, v7, s[30:31]
	s_branch .LBB493_2
.LBB493_34:
	s_endpgm
	.section	.rodata,"a",@progbits
	.p2align	6, 0x0
	.amdhsa_kernel _ZL32rocblas_gemvt_warp_reduce_kernelILb0ELi1024ElDF16_PKffEviiT3_lPKT2_lT1_lS5_lS6_lS2_lPT4_lS6_li
		.amdhsa_group_segment_fixed_size 128
		.amdhsa_private_segment_fixed_size 0
		.amdhsa_kernarg_size 140
		.amdhsa_user_sgpr_count 2
		.amdhsa_user_sgpr_dispatch_ptr 0
		.amdhsa_user_sgpr_queue_ptr 0
		.amdhsa_user_sgpr_kernarg_segment_ptr 1
		.amdhsa_user_sgpr_dispatch_id 0
		.amdhsa_user_sgpr_private_segment_size 0
		.amdhsa_wavefront_size32 1
		.amdhsa_uses_dynamic_stack 0
		.amdhsa_enable_private_segment 0
		.amdhsa_system_sgpr_workgroup_id_x 1
		.amdhsa_system_sgpr_workgroup_id_y 0
		.amdhsa_system_sgpr_workgroup_id_z 1
		.amdhsa_system_sgpr_workgroup_info 0
		.amdhsa_system_vgpr_workitem_id 0
		.amdhsa_next_free_vgpr 23
		.amdhsa_next_free_sgpr 52
		.amdhsa_reserve_vcc 1
		.amdhsa_float_round_mode_32 0
		.amdhsa_float_round_mode_16_64 0
		.amdhsa_float_denorm_mode_32 3
		.amdhsa_float_denorm_mode_16_64 3
		.amdhsa_fp16_overflow 0
		.amdhsa_workgroup_processor_mode 1
		.amdhsa_memory_ordered 1
		.amdhsa_forward_progress 1
		.amdhsa_inst_pref_size 13
		.amdhsa_round_robin_scheduling 0
		.amdhsa_exception_fp_ieee_invalid_op 0
		.amdhsa_exception_fp_denorm_src 0
		.amdhsa_exception_fp_ieee_div_zero 0
		.amdhsa_exception_fp_ieee_overflow 0
		.amdhsa_exception_fp_ieee_underflow 0
		.amdhsa_exception_fp_ieee_inexact 0
		.amdhsa_exception_int_div_zero 0
	.end_amdhsa_kernel
	.section	.text._ZL32rocblas_gemvt_warp_reduce_kernelILb0ELi1024ElDF16_PKffEviiT3_lPKT2_lT1_lS5_lS6_lS2_lPT4_lS6_li,"axG",@progbits,_ZL32rocblas_gemvt_warp_reduce_kernelILb0ELi1024ElDF16_PKffEviiT3_lPKT2_lT1_lS5_lS6_lS2_lPT4_lS6_li,comdat
.Lfunc_end493:
	.size	_ZL32rocblas_gemvt_warp_reduce_kernelILb0ELi1024ElDF16_PKffEviiT3_lPKT2_lT1_lS5_lS6_lS2_lPT4_lS6_li, .Lfunc_end493-_ZL32rocblas_gemvt_warp_reduce_kernelILb0ELi1024ElDF16_PKffEviiT3_lPKT2_lT1_lS5_lS6_lS2_lPT4_lS6_li
                                        ; -- End function
	.set _ZL32rocblas_gemvt_warp_reduce_kernelILb0ELi1024ElDF16_PKffEviiT3_lPKT2_lT1_lS5_lS6_lS2_lPT4_lS6_li.num_vgpr, 23
	.set _ZL32rocblas_gemvt_warp_reduce_kernelILb0ELi1024ElDF16_PKffEviiT3_lPKT2_lT1_lS5_lS6_lS2_lPT4_lS6_li.num_agpr, 0
	.set _ZL32rocblas_gemvt_warp_reduce_kernelILb0ELi1024ElDF16_PKffEviiT3_lPKT2_lT1_lS5_lS6_lS2_lPT4_lS6_li.numbered_sgpr, 52
	.set _ZL32rocblas_gemvt_warp_reduce_kernelILb0ELi1024ElDF16_PKffEviiT3_lPKT2_lT1_lS5_lS6_lS2_lPT4_lS6_li.num_named_barrier, 0
	.set _ZL32rocblas_gemvt_warp_reduce_kernelILb0ELi1024ElDF16_PKffEviiT3_lPKT2_lT1_lS5_lS6_lS2_lPT4_lS6_li.private_seg_size, 0
	.set _ZL32rocblas_gemvt_warp_reduce_kernelILb0ELi1024ElDF16_PKffEviiT3_lPKT2_lT1_lS5_lS6_lS2_lPT4_lS6_li.uses_vcc, 1
	.set _ZL32rocblas_gemvt_warp_reduce_kernelILb0ELi1024ElDF16_PKffEviiT3_lPKT2_lT1_lS5_lS6_lS2_lPT4_lS6_li.uses_flat_scratch, 0
	.set _ZL32rocblas_gemvt_warp_reduce_kernelILb0ELi1024ElDF16_PKffEviiT3_lPKT2_lT1_lS5_lS6_lS2_lPT4_lS6_li.has_dyn_sized_stack, 0
	.set _ZL32rocblas_gemvt_warp_reduce_kernelILb0ELi1024ElDF16_PKffEviiT3_lPKT2_lT1_lS5_lS6_lS2_lPT4_lS6_li.has_recursion, 0
	.set _ZL32rocblas_gemvt_warp_reduce_kernelILb0ELi1024ElDF16_PKffEviiT3_lPKT2_lT1_lS5_lS6_lS2_lPT4_lS6_li.has_indirect_call, 0
	.section	.AMDGPU.csdata,"",@progbits
; Kernel info:
; codeLenInByte = 1572
; TotalNumSgprs: 54
; NumVgprs: 23
; ScratchSize: 0
; MemoryBound: 0
; FloatMode: 240
; IeeeMode: 1
; LDSByteSize: 128 bytes/workgroup (compile time only)
; SGPRBlocks: 0
; VGPRBlocks: 2
; NumSGPRsForWavesPerEU: 54
; NumVGPRsForWavesPerEU: 23
; Occupancy: 16
; WaveLimiterHint : 0
; COMPUTE_PGM_RSRC2:SCRATCH_EN: 0
; COMPUTE_PGM_RSRC2:USER_SGPR: 2
; COMPUTE_PGM_RSRC2:TRAP_HANDLER: 0
; COMPUTE_PGM_RSRC2:TGID_X_EN: 1
; COMPUTE_PGM_RSRC2:TGID_Y_EN: 0
; COMPUTE_PGM_RSRC2:TGID_Z_EN: 1
; COMPUTE_PGM_RSRC2:TIDIG_COMP_CNT: 0
	.section	.text._ZL32rocblas_gemvt_warp_reduce_kernelILb0ELi1024EiDF16_ffEviiT3_lPKT2_lT1_lS3_lS4_lS0_lPT4_lS4_li,"axG",@progbits,_ZL32rocblas_gemvt_warp_reduce_kernelILb0ELi1024EiDF16_ffEviiT3_lPKT2_lT1_lS3_lS4_lS0_lPT4_lS4_li,comdat
	.globl	_ZL32rocblas_gemvt_warp_reduce_kernelILb0ELi1024EiDF16_ffEviiT3_lPKT2_lT1_lS3_lS4_lS0_lPT4_lS4_li ; -- Begin function _ZL32rocblas_gemvt_warp_reduce_kernelILb0ELi1024EiDF16_ffEviiT3_lPKT2_lT1_lS3_lS4_lS0_lPT4_lS4_li
	.p2align	8
	.type	_ZL32rocblas_gemvt_warp_reduce_kernelILb0ELi1024EiDF16_ffEviiT3_lPKT2_lT1_lS3_lS4_lS0_lPT4_lS4_li,@function
_ZL32rocblas_gemvt_warp_reduce_kernelILb0ELi1024EiDF16_ffEviiT3_lPKT2_lT1_lS3_lS4_lS0_lPT4_lS4_li: ; @_ZL32rocblas_gemvt_warp_reduce_kernelILb0ELi1024EiDF16_ffEviiT3_lPKT2_lT1_lS3_lS4_lS0_lPT4_lS4_li
; %bb.0:
	s_load_b32 s19, s[0:1], 0x88
	s_lshr_b32 s24, ttmp7, 16
	s_wait_kmcnt 0x0
	s_cmp_ge_u32 s24, s19
	s_cbranch_scc1 .LBB494_34
; %bb.1:
	s_clause 0x9
	s_load_b96 s[20:22], s[0:1], 0x40
	s_load_b128 s[4:7], s[0:1], 0x68
	s_load_b128 s[12:15], s[0:1], 0x18
	s_load_b32 s33, s[0:1], 0x8
	s_load_b96 s[16:18], s[0:1], 0x50
	s_load_b128 s[8:11], s[0:1], 0x30
	s_load_b32 s23, s[0:1], 0x0
	s_load_b32 s3, s[0:1], 0x28
	;; [unrolled: 1-line block ×3, first 2 shown]
	s_load_b64 s[26:27], s[0:1], 0x80
	v_and_b32_e32 v1, 31, v0
	v_lshrrev_b32_e32 v2, 3, v0
	v_mov_b32_e32 v9, 0
	v_mbcnt_lo_u32_b32 v15, -1, 0
	v_cmp_eq_u32_e64 s0, 0, v0
	v_lshlrev_b32_e32 v10, 2, v1
	v_cmp_eq_u32_e64 s2, 0, v1
	v_and_b32_e32 v11, 0x7c, v2
	v_cmp_gt_u32_e64 s1, 32, v0
	v_lshl_or_b32 v16, v15, 2, 64
	s_wait_kmcnt 0x0
	s_lshl_b64 s[20:21], s[20:21], 1
	s_lshl_b64 s[28:29], s[6:7], 2
	;; [unrolled: 1-line block ×3, first 2 shown]
	s_cmp_eq_f32 s33, 0
	v_mul_lo_u32 v12, v0, s22
	s_mov_b32 s25, 0
	v_cmp_gt_i32_e32 vcc_lo, s23, v0
	s_cselect_b32 s34, -1, 0
	s_cmp_neq_f32 s33, 0
	s_mul_i32 s38, s35, ttmp9
	s_mul_i32 s40, s3, ttmp9
	v_cndmask_b32_e32 v1, 0, v0, vcc_lo
	s_cselect_b32 s6, -1, 0
	s_cmp_neq_f32 s18, 1.0
	s_delay_alu instid0(VALU_DEP_1) | instskip(SKIP_1) | instid1(SALU_CYCLE_1)
	v_lshlrev_b32_e32 v1, 1, v1
	s_cselect_b32 s7, -1, 0
	s_or_b32 s35, s6, s7
	s_cmp_neq_f32 s18, 0
	s_add_nc_u64 s[6:7], s[10:11], s[20:21]
	s_add_nc_u64 s[10:11], s[4:5], s[28:29]
	;; [unrolled: 1-line block ×3, first 2 shown]
	s_cselect_b32 s36, -1, 0
	s_ashr_i32 s3, s23, 31
	s_ashr_i32 s41, s40, 31
	s_lshr_b32 s3, s3, 22
	s_ashr_i32 s39, s38, 31
	s_add_co_i32 s3, s23, s3
	s_lshl_b32 s37, s22, 10
	s_and_b32 s14, s3, 0xfffffc00
	v_add_co_u32 v4, s3, s4, v1
	v_or_b32_e32 v2, s14, v0
	v_add_co_ci_u32_e64 v5, null, s5, 0, s3
	s_lshl_b64 s[4:5], s[40:41], 1
	v_cmp_gt_i32_e64 s3, s14, v0
	v_mul_lo_u32 v3, s22, v2
	s_wait_alu 0xfffe
	v_add_co_u32 v13, vcc_lo, v4, s4
	s_add_nc_u64 s[20:21], s[30:31], s[4:5]
	s_wait_alu 0xfffd
	v_add_co_ci_u32_e64 v14, null, s5, v5, vcc_lo
	s_add_nc_u64 s[12:13], s[12:13], s[20:21]
	v_cmp_gt_i32_e64 s4, s23, v2
	v_ashrrev_i32_e32 v4, 31, v3
	v_add_co_u32 v1, s5, s12, v1
	s_wait_alu 0xf1ff
	v_add_co_ci_u32_e64 v2, null, s13, 0, s5
	s_delay_alu instid0(VALU_DEP_3)
	v_lshlrev_b64_e32 v[3:4], 1, v[3:4]
	s_ashr_i32 s15, s14, 31
	s_lshl_b64 s[12:13], s[8:9], 1
	s_lshl_b64 s[20:21], s[38:39], 2
	s_wait_alu 0xfffe
	s_lshl_b64 s[22:23], s[14:15], 1
	s_branch .LBB494_4
.LBB494_2:                              ;   in Loop: Header=BB494_4 Depth=1
	s_wait_alu 0xfffe
	s_or_b32 exec_lo, exec_lo, s5
.LBB494_3:                              ;   in Loop: Header=BB494_4 Depth=1
	s_add_co_i32 s24, s24, 0x10000
	s_wait_alu 0xfffe
	s_cmp_lt_u32 s24, s19
	s_cbranch_scc0 .LBB494_34
.LBB494_4:                              ; =>This Loop Header: Depth=1
                                        ;     Child Loop BB494_23 Depth 2
	s_and_not1_b32 vcc_lo, exec_lo, s35
	s_wait_alu 0xfffe
	s_cbranch_vccnz .LBB494_3
; %bb.5:                                ;   in Loop: Header=BB494_4 Depth=1
	s_mul_u64 s[28:29], s[26:27], s[24:25]
	s_and_not1_b32 vcc_lo, exec_lo, s34
	s_lshl_b64 s[28:29], s[28:29], 2
	s_delay_alu instid0(SALU_CYCLE_1)
	s_add_nc_u64 s[28:29], s[10:11], s[28:29]
	s_wait_alu 0xfffe
	s_cbranch_vccnz .LBB494_9
; %bb.6:                                ;   in Loop: Header=BB494_4 Depth=1
	s_mov_b32 s5, 0
	s_mov_b32 s15, 0
                                        ; implicit-def: $vgpr5
	s_and_saveexec_b32 s30, s0
	s_cbranch_execz .LBB494_10
; %bb.7:                                ;   in Loop: Header=BB494_4 Depth=1
	s_and_not1_b32 vcc_lo, exec_lo, s36
	s_wait_alu 0xfffe
	s_cbranch_vccnz .LBB494_11
; %bb.8:                                ;   in Loop: Header=BB494_4 Depth=1
	s_add_nc_u64 s[38:39], s[28:29], s[20:21]
	global_load_b32 v5, v9, s[38:39]
	s_wait_loadcnt 0x0
	v_mul_f32_e32 v5, s18, v5
	s_branch .LBB494_12
.LBB494_9:                              ;   in Loop: Header=BB494_4 Depth=1
	s_mov_b32 s15, 0
                                        ; implicit-def: $vgpr5
	s_cbranch_execnz .LBB494_13
	s_branch .LBB494_32
.LBB494_10:                             ;   in Loop: Header=BB494_4 Depth=1
	s_wait_alu 0xfffe
	s_or_b32 exec_lo, exec_lo, s30
	s_delay_alu instid0(SALU_CYCLE_1)
	s_and_b32 vcc_lo, exec_lo, s5
	s_wait_alu 0xfffe
	s_cbranch_vccnz .LBB494_13
	s_branch .LBB494_32
.LBB494_11:                             ;   in Loop: Header=BB494_4 Depth=1
	v_mov_b32_e32 v5, 0
.LBB494_12:                             ;   in Loop: Header=BB494_4 Depth=1
	s_mov_b32 s15, exec_lo
	s_or_b32 exec_lo, exec_lo, s30
	s_delay_alu instid0(SALU_CYCLE_1)
	s_and_b32 vcc_lo, exec_lo, s5
	s_wait_alu 0xfffe
	s_cbranch_vccz .LBB494_32
.LBB494_13:                             ;   in Loop: Header=BB494_4 Depth=1
	s_mul_u64 s[30:31], s[16:17], s[24:25]
	s_wait_dscnt 0x0
	v_mov_b32_e32 v17, 0
	s_wait_alu 0xfffe
	s_lshl_b64 s[30:31], s[30:31], 1
	s_wait_alu 0xfffe
	s_add_nc_u64 s[30:31], s[6:7], s[30:31]
	s_and_saveexec_b32 s38, s3
	s_cbranch_execnz .LBB494_22
; %bb.14:                               ;   in Loop: Header=BB494_4 Depth=1
	s_wait_alu 0xfffe
	s_or_b32 exec_lo, exec_lo, s38
	s_and_saveexec_b32 s5, s4
	s_cbranch_execnz .LBB494_25
.LBB494_15:                             ;   in Loop: Header=BB494_4 Depth=1
	s_wait_alu 0xfffe
	s_or_b32 exec_lo, exec_lo, s5
	s_and_saveexec_b32 s5, s1
.LBB494_16:                             ;   in Loop: Header=BB494_4 Depth=1
	ds_store_b32 v10, v9
.LBB494_17:                             ;   in Loop: Header=BB494_4 Depth=1
	s_wait_alu 0xfffe
	s_or_b32 exec_lo, exec_lo, s5
	ds_bpermute_b32 v6, v16, v17
	v_cmp_gt_u32_e32 vcc_lo, 24, v15
	s_wait_dscnt 0x0
	s_barrier_signal -1
	s_barrier_wait -1
	global_inv scope:SCOPE_SE
	s_wait_alu 0xfffd
	v_cndmask_b32_e64 v5, 0, 8, vcc_lo
	v_cmp_gt_u32_e32 vcc_lo, 28, v15
	s_delay_alu instid0(VALU_DEP_2)
	v_add_lshl_u32 v5, v5, v15, 2
	v_add_f32_e32 v7, v17, v6
	s_wait_alu 0xfffd
	v_cndmask_b32_e64 v6, 0, 4, vcc_lo
	v_cmp_gt_u32_e32 vcc_lo, 30, v15
	ds_bpermute_b32 v8, v5, v7
	v_add_lshl_u32 v6, v6, v15, 2
	s_wait_dscnt 0x0
	v_add_f32_e32 v8, v7, v8
	s_wait_alu 0xfffd
	v_cndmask_b32_e64 v7, 0, 2, vcc_lo
	v_cmp_ne_u32_e32 vcc_lo, 31, v15
	ds_bpermute_b32 v17, v6, v8
	v_add_lshl_u32 v7, v7, v15, 2
	s_wait_alu 0xfffd
	v_add_co_ci_u32_e64 v18, null, 0, v15, vcc_lo
	s_wait_dscnt 0x0
	v_add_f32_e32 v8, v8, v17
	ds_bpermute_b32 v17, v7, v8
	s_wait_dscnt 0x0
	v_dual_add_f32 v17, v8, v17 :: v_dual_lshlrev_b32 v8, 2, v18
	ds_bpermute_b32 v18, v8, v17
	s_and_saveexec_b32 s5, s2
	s_cbranch_execz .LBB494_19
; %bb.18:                               ;   in Loop: Header=BB494_4 Depth=1
	s_wait_dscnt 0x0
	v_add_f32_e32 v17, v17, v18
	ds_store_b32 v11, v17
.LBB494_19:                             ;   in Loop: Header=BB494_4 Depth=1
	s_wait_alu 0xfffe
	s_or_b32 exec_lo, exec_lo, s5
	v_mov_b32_e32 v17, 0
	s_wait_loadcnt_dscnt 0x0
	s_barrier_signal -1
	s_barrier_wait -1
	global_inv scope:SCOPE_SE
	s_and_saveexec_b32 s5, s1
	s_cbranch_execnz .LBB494_26
; %bb.20:                               ;   in Loop: Header=BB494_4 Depth=1
	s_wait_alu 0xfffe
	s_or_b32 exec_lo, exec_lo, s5
	s_and_saveexec_b32 s5, s1
	s_cbranch_execnz .LBB494_27
.LBB494_21:                             ;   in Loop: Header=BB494_4 Depth=1
	s_wait_alu 0xfffe
	s_or_b32 exec_lo, exec_lo, s5
                                        ; implicit-def: $vgpr5
	s_and_saveexec_b32 s5, s0
	s_cbranch_execnz .LBB494_28
	s_branch .LBB494_31
.LBB494_22:                             ;   in Loop: Header=BB494_4 Depth=1
	v_mad_co_u64_u32 v[5:6], null, s12, s24, v[1:2]
	v_dual_mov_b32 v17, 0 :: v_dual_mov_b32 v18, v0
	s_mov_b32 s39, 0
	s_delay_alu instid0(VALU_DEP_2)
	v_mad_co_u64_u32 v[6:7], null, s13, s24, v[6:7]
	v_mov_b32_e32 v7, v12
.LBB494_23:                             ;   Parent Loop BB494_4 Depth=1
                                        ; =>  This Inner Loop Header: Depth=2
	s_delay_alu instid0(VALU_DEP_1) | instskip(NEXT) | instid1(VALU_DEP_1)
	v_ashrrev_i32_e32 v8, 31, v7
	v_lshlrev_b64_e32 v[19:20], 1, v[7:8]
	v_add_nc_u32_e32 v7, s37, v7
	s_wait_alu 0xfffe
	s_delay_alu instid0(VALU_DEP_2) | instskip(SKIP_1) | instid1(VALU_DEP_3)
	v_add_co_u32 v19, vcc_lo, s30, v19
	s_wait_alu 0xfffd
	v_add_co_ci_u32_e64 v20, null, s31, v20, vcc_lo
	global_load_u16 v8, v[5:6], off
	global_load_u16 v19, v[19:20], off
	v_add_co_u32 v5, vcc_lo, 0x800, v5
	s_wait_alu 0xfffd
	v_add_co_ci_u32_e64 v6, null, 0, v6, vcc_lo
	s_wait_loadcnt 0x0
	v_mul_f16_e32 v8, v8, v19
	s_delay_alu instid0(VALU_DEP_1) | instskip(NEXT) | instid1(VALU_DEP_1)
	v_cvt_f32_f16_e32 v8, v8
	v_dual_add_f32 v17, v17, v8 :: v_dual_add_nc_u32 v18, 0x400, v18
	s_delay_alu instid0(VALU_DEP_1)
	v_cmp_le_i32_e64 s5, s14, v18
	s_or_b32 s39, s5, s39
	s_wait_alu 0xfffe
	s_and_not1_b32 exec_lo, exec_lo, s39
	s_cbranch_execnz .LBB494_23
; %bb.24:                               ;   in Loop: Header=BB494_4 Depth=1
	s_or_b32 exec_lo, exec_lo, s39
	s_delay_alu instid0(SALU_CYCLE_1)
	s_or_b32 exec_lo, exec_lo, s38
	s_and_saveexec_b32 s5, s4
	s_cbranch_execz .LBB494_15
.LBB494_25:                             ;   in Loop: Header=BB494_4 Depth=1
	s_mul_u64 s[38:39], s[8:9], s[24:25]
	s_wait_alu 0xfffe
	s_lshl_b64 s[38:39], s[38:39], 1
	s_wait_alu 0xfffe
	v_add_co_u32 v5, vcc_lo, v13, s38
	s_wait_alu 0xfffd
	v_add_co_ci_u32_e64 v6, null, s39, v14, vcc_lo
	s_delay_alu instid0(VALU_DEP_2) | instskip(SKIP_1) | instid1(VALU_DEP_2)
	v_add_co_u32 v5, vcc_lo, v5, s22
	s_wait_alu 0xfffd
	v_add_co_ci_u32_e64 v6, null, s23, v6, vcc_lo
	v_add_co_u32 v7, vcc_lo, s30, v3
	s_wait_alu 0xfffd
	v_add_co_ci_u32_e64 v8, null, s31, v4, vcc_lo
	global_load_u16 v5, v[5:6], off
	global_load_u16 v6, v[7:8], off
	s_wait_loadcnt 0x0
	v_mul_f16_e32 v5, v5, v6
	s_delay_alu instid0(VALU_DEP_1) | instskip(NEXT) | instid1(VALU_DEP_1)
	v_cvt_f32_f16_e32 v5, v5
	v_add_f32_e32 v17, v17, v5
	s_or_b32 exec_lo, exec_lo, s5
	s_and_saveexec_b32 s5, s1
	s_cbranch_execnz .LBB494_16
	s_branch .LBB494_17
.LBB494_26:                             ;   in Loop: Header=BB494_4 Depth=1
	ds_load_b32 v17, v10
	s_wait_alu 0xfffe
	s_or_b32 exec_lo, exec_lo, s5
	s_and_saveexec_b32 s5, s1
	s_cbranch_execz .LBB494_21
.LBB494_27:                             ;   in Loop: Header=BB494_4 Depth=1
	s_wait_dscnt 0x0
	ds_bpermute_b32 v18, v16, v17
	s_wait_dscnt 0x0
	v_add_f32_e32 v17, v17, v18
	ds_bpermute_b32 v5, v5, v17
	s_wait_dscnt 0x0
	v_add_f32_e32 v5, v17, v5
	;; [unrolled: 3-line block ×5, first 2 shown]
	s_wait_alu 0xfffe
	s_or_b32 exec_lo, exec_lo, s5
                                        ; implicit-def: $vgpr5
	s_and_saveexec_b32 s5, s0
	s_cbranch_execz .LBB494_31
.LBB494_28:                             ;   in Loop: Header=BB494_4 Depth=1
	s_wait_dscnt 0x0
	v_mul_f32_e32 v5, s33, v17
	s_and_not1_b32 vcc_lo, exec_lo, s36
	s_wait_alu 0xfffe
	s_cbranch_vccnz .LBB494_30
; %bb.29:                               ;   in Loop: Header=BB494_4 Depth=1
	s_add_nc_u64 s[30:31], s[28:29], s[20:21]
	global_load_b32 v6, v9, s[30:31]
	s_wait_loadcnt 0x0
	v_fmac_f32_e32 v5, s18, v6
.LBB494_30:                             ;   in Loop: Header=BB494_4 Depth=1
	s_or_b32 s15, s15, exec_lo
.LBB494_31:                             ;   in Loop: Header=BB494_4 Depth=1
	s_wait_alu 0xfffe
	s_or_b32 exec_lo, exec_lo, s5
.LBB494_32:                             ;   in Loop: Header=BB494_4 Depth=1
	s_wait_alu 0xfffe
	s_and_saveexec_b32 s5, s15
	s_cbranch_execz .LBB494_2
; %bb.33:                               ;   in Loop: Header=BB494_4 Depth=1
	s_add_nc_u64 s[28:29], s[28:29], s[20:21]
	global_store_b32 v9, v5, s[28:29]
	s_branch .LBB494_2
.LBB494_34:
	s_endpgm
	.section	.rodata,"a",@progbits
	.p2align	6, 0x0
	.amdhsa_kernel _ZL32rocblas_gemvt_warp_reduce_kernelILb0ELi1024EiDF16_ffEviiT3_lPKT2_lT1_lS3_lS4_lS0_lPT4_lS4_li
		.amdhsa_group_segment_fixed_size 128
		.amdhsa_private_segment_fixed_size 0
		.amdhsa_kernarg_size 140
		.amdhsa_user_sgpr_count 2
		.amdhsa_user_sgpr_dispatch_ptr 0
		.amdhsa_user_sgpr_queue_ptr 0
		.amdhsa_user_sgpr_kernarg_segment_ptr 1
		.amdhsa_user_sgpr_dispatch_id 0
		.amdhsa_user_sgpr_private_segment_size 0
		.amdhsa_wavefront_size32 1
		.amdhsa_uses_dynamic_stack 0
		.amdhsa_enable_private_segment 0
		.amdhsa_system_sgpr_workgroup_id_x 1
		.amdhsa_system_sgpr_workgroup_id_y 0
		.amdhsa_system_sgpr_workgroup_id_z 1
		.amdhsa_system_sgpr_workgroup_info 0
		.amdhsa_system_vgpr_workitem_id 0
		.amdhsa_next_free_vgpr 21
		.amdhsa_next_free_sgpr 42
		.amdhsa_reserve_vcc 1
		.amdhsa_float_round_mode_32 0
		.amdhsa_float_round_mode_16_64 0
		.amdhsa_float_denorm_mode_32 3
		.amdhsa_float_denorm_mode_16_64 3
		.amdhsa_fp16_overflow 0
		.amdhsa_workgroup_processor_mode 1
		.amdhsa_memory_ordered 1
		.amdhsa_forward_progress 1
		.amdhsa_inst_pref_size 13
		.amdhsa_round_robin_scheduling 0
		.amdhsa_exception_fp_ieee_invalid_op 0
		.amdhsa_exception_fp_denorm_src 0
		.amdhsa_exception_fp_ieee_div_zero 0
		.amdhsa_exception_fp_ieee_overflow 0
		.amdhsa_exception_fp_ieee_underflow 0
		.amdhsa_exception_fp_ieee_inexact 0
		.amdhsa_exception_int_div_zero 0
	.end_amdhsa_kernel
	.section	.text._ZL32rocblas_gemvt_warp_reduce_kernelILb0ELi1024EiDF16_ffEviiT3_lPKT2_lT1_lS3_lS4_lS0_lPT4_lS4_li,"axG",@progbits,_ZL32rocblas_gemvt_warp_reduce_kernelILb0ELi1024EiDF16_ffEviiT3_lPKT2_lT1_lS3_lS4_lS0_lPT4_lS4_li,comdat
.Lfunc_end494:
	.size	_ZL32rocblas_gemvt_warp_reduce_kernelILb0ELi1024EiDF16_ffEviiT3_lPKT2_lT1_lS3_lS4_lS0_lPT4_lS4_li, .Lfunc_end494-_ZL32rocblas_gemvt_warp_reduce_kernelILb0ELi1024EiDF16_ffEviiT3_lPKT2_lT1_lS3_lS4_lS0_lPT4_lS4_li
                                        ; -- End function
	.set _ZL32rocblas_gemvt_warp_reduce_kernelILb0ELi1024EiDF16_ffEviiT3_lPKT2_lT1_lS3_lS4_lS0_lPT4_lS4_li.num_vgpr, 21
	.set _ZL32rocblas_gemvt_warp_reduce_kernelILb0ELi1024EiDF16_ffEviiT3_lPKT2_lT1_lS3_lS4_lS0_lPT4_lS4_li.num_agpr, 0
	.set _ZL32rocblas_gemvt_warp_reduce_kernelILb0ELi1024EiDF16_ffEviiT3_lPKT2_lT1_lS3_lS4_lS0_lPT4_lS4_li.numbered_sgpr, 42
	.set _ZL32rocblas_gemvt_warp_reduce_kernelILb0ELi1024EiDF16_ffEviiT3_lPKT2_lT1_lS3_lS4_lS0_lPT4_lS4_li.num_named_barrier, 0
	.set _ZL32rocblas_gemvt_warp_reduce_kernelILb0ELi1024EiDF16_ffEviiT3_lPKT2_lT1_lS3_lS4_lS0_lPT4_lS4_li.private_seg_size, 0
	.set _ZL32rocblas_gemvt_warp_reduce_kernelILb0ELi1024EiDF16_ffEviiT3_lPKT2_lT1_lS3_lS4_lS0_lPT4_lS4_li.uses_vcc, 1
	.set _ZL32rocblas_gemvt_warp_reduce_kernelILb0ELi1024EiDF16_ffEviiT3_lPKT2_lT1_lS3_lS4_lS0_lPT4_lS4_li.uses_flat_scratch, 0
	.set _ZL32rocblas_gemvt_warp_reduce_kernelILb0ELi1024EiDF16_ffEviiT3_lPKT2_lT1_lS3_lS4_lS0_lPT4_lS4_li.has_dyn_sized_stack, 0
	.set _ZL32rocblas_gemvt_warp_reduce_kernelILb0ELi1024EiDF16_ffEviiT3_lPKT2_lT1_lS3_lS4_lS0_lPT4_lS4_li.has_recursion, 0
	.set _ZL32rocblas_gemvt_warp_reduce_kernelILb0ELi1024EiDF16_ffEviiT3_lPKT2_lT1_lS3_lS4_lS0_lPT4_lS4_li.has_indirect_call, 0
	.section	.AMDGPU.csdata,"",@progbits
; Kernel info:
; codeLenInByte = 1564
; TotalNumSgprs: 44
; NumVgprs: 21
; ScratchSize: 0
; MemoryBound: 0
; FloatMode: 240
; IeeeMode: 1
; LDSByteSize: 128 bytes/workgroup (compile time only)
; SGPRBlocks: 0
; VGPRBlocks: 2
; NumSGPRsForWavesPerEU: 44
; NumVGPRsForWavesPerEU: 21
; Occupancy: 16
; WaveLimiterHint : 0
; COMPUTE_PGM_RSRC2:SCRATCH_EN: 0
; COMPUTE_PGM_RSRC2:USER_SGPR: 2
; COMPUTE_PGM_RSRC2:TRAP_HANDLER: 0
; COMPUTE_PGM_RSRC2:TGID_X_EN: 1
; COMPUTE_PGM_RSRC2:TGID_Y_EN: 0
; COMPUTE_PGM_RSRC2:TGID_Z_EN: 1
; COMPUTE_PGM_RSRC2:TIDIG_COMP_CNT: 0
	.section	.text._ZL32rocblas_gemvt_warp_reduce_kernelILb0ELi1024ElDF16_ffEviiT3_lPKT2_lT1_lS3_lS4_lS0_lPT4_lS4_li,"axG",@progbits,_ZL32rocblas_gemvt_warp_reduce_kernelILb0ELi1024ElDF16_ffEviiT3_lPKT2_lT1_lS3_lS4_lS0_lPT4_lS4_li,comdat
	.globl	_ZL32rocblas_gemvt_warp_reduce_kernelILb0ELi1024ElDF16_ffEviiT3_lPKT2_lT1_lS3_lS4_lS0_lPT4_lS4_li ; -- Begin function _ZL32rocblas_gemvt_warp_reduce_kernelILb0ELi1024ElDF16_ffEviiT3_lPKT2_lT1_lS3_lS4_lS0_lPT4_lS4_li
	.p2align	8
	.type	_ZL32rocblas_gemvt_warp_reduce_kernelILb0ELi1024ElDF16_ffEviiT3_lPKT2_lT1_lS3_lS4_lS0_lPT4_lS4_li,@function
_ZL32rocblas_gemvt_warp_reduce_kernelILb0ELi1024ElDF16_ffEviiT3_lPKT2_lT1_lS3_lS4_lS0_lPT4_lS4_li: ; @_ZL32rocblas_gemvt_warp_reduce_kernelILb0ELi1024ElDF16_ffEviiT3_lPKT2_lT1_lS3_lS4_lS0_lPT4_lS4_li
; %bb.0:
	s_load_b32 s33, s[0:1], 0x88
	s_lshr_b32 s6, ttmp7, 16
	s_wait_kmcnt 0x0
	s_cmp_ge_u32 s6, s33
	s_cbranch_scc1 .LBB495_34
; %bb.1:
	s_clause 0x4
	s_load_b512 s[8:23], s[0:1], 0x18
	s_load_b256 s[24:31], s[0:1], 0x68
	s_load_b32 s34, s[0:1], 0x8
	s_load_b32 s35, s[0:1], 0x58
	;; [unrolled: 1-line block ×3, first 2 shown]
	s_mov_b32 s2, ttmp9
	v_dual_mov_b32 v11, 0 :: v_dual_and_b32 v4, 31, v0
	v_lshrrev_b32_e32 v7, 3, v0
	v_mbcnt_lo_u32_b32 v16, -1, 0
	v_cmp_eq_u32_e64 s0, 0, v0
	v_cmp_gt_u32_e64 s1, 32, v0
	v_lshlrev_b32_e32 v12, 2, v4
	s_mov_b32 s7, 0
	v_lshl_or_b32 v17, v16, 2, 64
	s_wait_kmcnt 0x0
	s_lshl_b64 s[4:5], s[18:19], 1
	s_lshl_b64 s[18:19], s[26:27], 2
	;; [unrolled: 1-line block ×3, first 2 shown]
	s_cmp_eq_f32 s34, 0
	v_cmp_gt_i32_e32 vcc_lo, s39, v0
	v_mad_co_u64_u32 v[1:2], null, s20, v0, 0
	s_cselect_b32 s36, -1, 0
	s_cmp_neq_f32 s34, 0
	v_cndmask_b32_e32 v3, 0, v0, vcc_lo
	s_add_nc_u64 s[10:11], s[16:17], s[4:5]
	s_add_nc_u64 s[16:17], s[24:25], s[18:19]
	s_cselect_b32 s3, -1, 0
	s_cmp_neq_f32 s35, 1.0
	v_lshlrev_b32_e32 v8, 1, v3
	s_add_nc_u64 s[4:5], s[8:9], s[26:27]
	v_mad_co_u64_u32 v[2:3], null, s21, v0, v[2:3]
	s_cselect_b32 s37, -1, 0
	v_add_co_u32 v3, s4, s4, v8
	s_or_b32 s37, s3, s37
	s_cmp_neq_f32 s35, 0
	s_wait_alu 0xf1ff
	v_add_co_ci_u32_e64 v9, null, s5, 0, s4
	s_cselect_b32 s38, -1, 0
	s_ashr_i32 s3, s39, 31
	s_delay_alu instid0(SALU_CYCLE_1) | instskip(NEXT) | instid1(SALU_CYCLE_1)
	s_lshr_b32 s3, s3, 22
	s_add_co_i32 s3, s39, s3
	s_delay_alu instid0(SALU_CYCLE_1)
	s_and_b32 s18, s3, 0xfffffc00
	s_ashr_i32 s3, ttmp9, 31
	v_or_b32_e32 v10, s18, v0
	s_mul_u64 s[4:5], s[12:13], s[2:3]
	s_ashr_i32 s19, s18, 31
	s_wait_alu 0xfffe
	s_lshl_b64 s[12:13], s[4:5], 1
	s_mul_i32 s4, s20, s19
	v_mul_lo_u32 v15, s21, v10
	v_mad_co_u64_u32 v[5:6], null, s20, v10, 0
	v_add_co_u32 v13, vcc_lo, v3, s12
	s_wait_alu 0xfffd
	v_add_co_ci_u32_e64 v14, null, s13, v9, vcc_lo
	s_add_nc_u64 s[12:13], s[12:13], s[26:27]
	s_mul_u64 s[24:25], s[28:29], s[2:3]
	s_wait_alu 0xfffe
	v_add3_u32 v6, v6, s4, v15
	v_cmp_eq_u32_e64 s4, 0, v4
	v_lshlrev_b64_e32 v[3:4], 1, v[1:2]
	s_add_nc_u64 s[8:9], s[8:9], s[12:13]
	v_cmp_gt_i32_e64 s2, s18, v0
	v_add_co_u32 v1, s5, s8, v8
	v_lshlrev_b64_e32 v[5:6], 1, v[5:6]
	s_delay_alu instid0(VALU_DEP_4)
	v_add_co_u32 v3, vcc_lo, s10, v3
	v_cmp_gt_i32_e64 s3, s39, v10
	v_and_b32_e32 v15, 0x7c, v7
	s_wait_alu 0xf1ff
	v_add_co_ci_u32_e64 v2, null, s9, 0, s5
	s_wait_alu 0xfffd
	v_add_co_ci_u32_e64 v4, null, s11, v4, vcc_lo
	s_lshl_b64 s[8:9], s[14:15], 1
	s_lshl_b64 s[12:13], s[22:23], 1
	;; [unrolled: 1-line block ×5, first 2 shown]
	s_branch .LBB495_4
.LBB495_2:                              ;   in Loop: Header=BB495_4 Depth=1
	s_wait_alu 0xfffe
	s_or_b32 exec_lo, exec_lo, s5
.LBB495_3:                              ;   in Loop: Header=BB495_4 Depth=1
	s_add_co_i32 s6, s6, 0x10000
	s_wait_alu 0xfffe
	s_cmp_lt_u32 s6, s33
	s_cbranch_scc0 .LBB495_34
.LBB495_4:                              ; =>This Loop Header: Depth=1
                                        ;     Child Loop BB495_23 Depth 2
	s_and_not1_b32 vcc_lo, exec_lo, s37
	s_wait_alu 0xfffe
	s_cbranch_vccnz .LBB495_3
; %bb.5:                                ;   in Loop: Header=BB495_4 Depth=1
	s_mul_u64 s[28:29], s[30:31], s[6:7]
	s_and_not1_b32 vcc_lo, exec_lo, s36
	s_lshl_b64 s[28:29], s[28:29], 2
	s_delay_alu instid0(SALU_CYCLE_1)
	s_add_nc_u64 s[28:29], s[16:17], s[28:29]
	s_wait_alu 0xfffe
	s_cbranch_vccnz .LBB495_9
; %bb.6:                                ;   in Loop: Header=BB495_4 Depth=1
	s_mov_b32 s5, 0
	s_mov_b32 s19, 0
                                        ; implicit-def: $vgpr7
	s_and_saveexec_b32 s39, s0
	s_cbranch_execz .LBB495_10
; %bb.7:                                ;   in Loop: Header=BB495_4 Depth=1
	s_and_not1_b32 vcc_lo, exec_lo, s38
	s_wait_alu 0xfffe
	s_cbranch_vccnz .LBB495_11
; %bb.8:                                ;   in Loop: Header=BB495_4 Depth=1
	s_add_nc_u64 s[40:41], s[28:29], s[24:25]
	global_load_b32 v7, v11, s[40:41]
	s_wait_loadcnt 0x0
	v_mul_f32_e32 v7, s35, v7
	s_branch .LBB495_12
.LBB495_9:                              ;   in Loop: Header=BB495_4 Depth=1
	s_mov_b32 s19, 0
                                        ; implicit-def: $vgpr7
	s_cbranch_execnz .LBB495_13
	s_branch .LBB495_32
.LBB495_10:                             ;   in Loop: Header=BB495_4 Depth=1
	s_wait_alu 0xfffe
	s_or_b32 exec_lo, exec_lo, s39
	s_delay_alu instid0(SALU_CYCLE_1)
	s_and_b32 vcc_lo, exec_lo, s5
	s_wait_alu 0xfffe
	s_cbranch_vccnz .LBB495_13
	s_branch .LBB495_32
.LBB495_11:                             ;   in Loop: Header=BB495_4 Depth=1
	v_mov_b32_e32 v7, 0
.LBB495_12:                             ;   in Loop: Header=BB495_4 Depth=1
	s_mov_b32 s19, exec_lo
	s_or_b32 exec_lo, exec_lo, s39
	s_delay_alu instid0(SALU_CYCLE_1)
	s_and_b32 vcc_lo, exec_lo, s5
	s_wait_alu 0xfffe
	s_cbranch_vccz .LBB495_32
.LBB495_13:                             ;   in Loop: Header=BB495_4 Depth=1
	s_wait_dscnt 0x0
	v_mov_b32_e32 v18, 0
	s_and_saveexec_b32 s39, s2
	s_cbranch_execnz .LBB495_22
; %bb.14:                               ;   in Loop: Header=BB495_4 Depth=1
	s_wait_alu 0xfffe
	s_or_b32 exec_lo, exec_lo, s39
	s_and_saveexec_b32 s5, s3
	s_cbranch_execnz .LBB495_25
.LBB495_15:                             ;   in Loop: Header=BB495_4 Depth=1
	s_wait_alu 0xfffe
	s_or_b32 exec_lo, exec_lo, s5
	s_and_saveexec_b32 s5, s1
.LBB495_16:                             ;   in Loop: Header=BB495_4 Depth=1
	ds_store_b32 v12, v11
.LBB495_17:                             ;   in Loop: Header=BB495_4 Depth=1
	s_wait_alu 0xfffe
	s_or_b32 exec_lo, exec_lo, s5
	ds_bpermute_b32 v8, v17, v18
	v_cmp_gt_u32_e32 vcc_lo, 24, v16
	s_wait_dscnt 0x0
	s_barrier_signal -1
	s_barrier_wait -1
	global_inv scope:SCOPE_SE
	s_wait_alu 0xfffd
	v_cndmask_b32_e64 v7, 0, 8, vcc_lo
	v_cmp_gt_u32_e32 vcc_lo, 28, v16
	s_delay_alu instid0(VALU_DEP_2)
	v_add_lshl_u32 v7, v7, v16, 2
	v_add_f32_e32 v9, v18, v8
	s_wait_alu 0xfffd
	v_cndmask_b32_e64 v8, 0, 4, vcc_lo
	v_cmp_gt_u32_e32 vcc_lo, 30, v16
	ds_bpermute_b32 v10, v7, v9
	v_add_lshl_u32 v8, v8, v16, 2
	s_wait_dscnt 0x0
	v_add_f32_e32 v10, v9, v10
	s_wait_alu 0xfffd
	v_cndmask_b32_e64 v9, 0, 2, vcc_lo
	v_cmp_ne_u32_e32 vcc_lo, 31, v16
	ds_bpermute_b32 v18, v8, v10
	v_add_lshl_u32 v9, v9, v16, 2
	s_wait_alu 0xfffd
	v_add_co_ci_u32_e64 v19, null, 0, v16, vcc_lo
	s_wait_dscnt 0x0
	v_add_f32_e32 v10, v10, v18
	ds_bpermute_b32 v18, v9, v10
	s_wait_dscnt 0x0
	v_add_f32_e32 v18, v10, v18
	v_lshlrev_b32_e32 v10, 2, v19
	ds_bpermute_b32 v19, v10, v18
	s_and_saveexec_b32 s5, s4
	s_cbranch_execz .LBB495_19
; %bb.18:                               ;   in Loop: Header=BB495_4 Depth=1
	s_wait_dscnt 0x0
	v_add_f32_e32 v18, v18, v19
	ds_store_b32 v15, v18
.LBB495_19:                             ;   in Loop: Header=BB495_4 Depth=1
	s_wait_alu 0xfffe
	s_or_b32 exec_lo, exec_lo, s5
	v_mov_b32_e32 v18, 0
	s_wait_loadcnt_dscnt 0x0
	s_barrier_signal -1
	s_barrier_wait -1
	global_inv scope:SCOPE_SE
	s_and_saveexec_b32 s5, s1
	s_cbranch_execnz .LBB495_26
; %bb.20:                               ;   in Loop: Header=BB495_4 Depth=1
	s_wait_alu 0xfffe
	s_or_b32 exec_lo, exec_lo, s5
	s_and_saveexec_b32 s5, s1
	s_cbranch_execnz .LBB495_27
.LBB495_21:                             ;   in Loop: Header=BB495_4 Depth=1
	s_wait_alu 0xfffe
	s_or_b32 exec_lo, exec_lo, s5
                                        ; implicit-def: $vgpr7
	s_and_saveexec_b32 s5, s0
	s_cbranch_execnz .LBB495_28
	s_branch .LBB495_31
.LBB495_22:                             ;   in Loop: Header=BB495_4 Depth=1
	v_mad_co_u64_u32 v[7:8], null, s8, s6, v[1:2]
	v_mad_co_u64_u32 v[9:10], null, s12, s6, v[3:4]
	v_mov_b32_e32 v18, 0
	s_mov_b32 s40, 0
	s_delay_alu instid0(VALU_DEP_2) | instskip(NEXT) | instid1(VALU_DEP_3)
	v_mad_co_u64_u32 v[19:20], null, s9, s6, v[8:9]
	v_mad_co_u64_u32 v[20:21], null, s13, s6, v[10:11]
	s_delay_alu instid0(VALU_DEP_2) | instskip(NEXT) | instid1(VALU_DEP_2)
	v_dual_mov_b32 v8, v19 :: v_dual_mov_b32 v19, v0
	v_mov_b32_e32 v10, v20
.LBB495_23:                             ;   Parent Loop BB495_4 Depth=1
                                        ; =>  This Inner Loop Header: Depth=2
	global_load_u16 v20, v[7:8], off
	global_load_u16 v21, v[9:10], off
	v_add_co_u32 v7, vcc_lo, 0x800, v7
	s_wait_alu 0xfffd
	v_add_co_ci_u32_e64 v8, null, 0, v8, vcc_lo
	v_add_co_u32 v9, vcc_lo, v9, s20
	s_wait_alu 0xfffd
	v_add_co_ci_u32_e64 v10, null, s21, v10, vcc_lo
	s_wait_loadcnt 0x0
	v_mul_f16_e32 v20, v20, v21
	s_delay_alu instid0(VALU_DEP_1) | instskip(NEXT) | instid1(VALU_DEP_1)
	v_cvt_f32_f16_e32 v20, v20
	v_dual_add_f32 v18, v18, v20 :: v_dual_add_nc_u32 v19, 0x400, v19
	s_delay_alu instid0(VALU_DEP_1)
	v_cmp_le_i32_e64 s5, s18, v19
	s_wait_alu 0xfffe
	s_or_b32 s40, s5, s40
	s_wait_alu 0xfffe
	s_and_not1_b32 exec_lo, exec_lo, s40
	s_cbranch_execnz .LBB495_23
; %bb.24:                               ;   in Loop: Header=BB495_4 Depth=1
	s_or_b32 exec_lo, exec_lo, s40
	s_delay_alu instid0(SALU_CYCLE_1)
	s_or_b32 exec_lo, exec_lo, s39
	s_and_saveexec_b32 s5, s3
	s_cbranch_execz .LBB495_15
.LBB495_25:                             ;   in Loop: Header=BB495_4 Depth=1
	s_mul_u64 s[40:41], s[14:15], s[6:7]
	s_mul_u64 s[42:43], s[22:23], s[6:7]
	s_wait_alu 0xfffe
	s_lshl_b64 s[40:41], s[40:41], 1
	s_lshl_b64 s[42:43], s[42:43], 1
	s_wait_alu 0xfffe
	v_add_co_u32 v7, vcc_lo, v13, s40
	s_wait_alu 0xfffd
	v_add_co_ci_u32_e64 v8, null, s41, v14, vcc_lo
	s_add_nc_u64 s[40:41], s[10:11], s[42:43]
	v_add_co_u32 v7, vcc_lo, v7, s26
	s_wait_alu 0xfffd
	v_add_co_ci_u32_e64 v8, null, s27, v8, vcc_lo
	s_wait_alu 0xfffe
	v_add_co_u32 v9, vcc_lo, s40, v5
	s_wait_alu 0xfffd
	v_add_co_ci_u32_e64 v10, null, s41, v6, vcc_lo
	global_load_u16 v7, v[7:8], off
	global_load_u16 v8, v[9:10], off
	s_wait_loadcnt 0x0
	v_mul_f16_e32 v7, v7, v8
	s_delay_alu instid0(VALU_DEP_1) | instskip(NEXT) | instid1(VALU_DEP_1)
	v_cvt_f32_f16_e32 v7, v7
	v_add_f32_e32 v18, v18, v7
	s_or_b32 exec_lo, exec_lo, s5
	s_and_saveexec_b32 s5, s1
	s_cbranch_execnz .LBB495_16
	s_branch .LBB495_17
.LBB495_26:                             ;   in Loop: Header=BB495_4 Depth=1
	ds_load_b32 v18, v12
	s_wait_alu 0xfffe
	s_or_b32 exec_lo, exec_lo, s5
	s_and_saveexec_b32 s5, s1
	s_cbranch_execz .LBB495_21
.LBB495_27:                             ;   in Loop: Header=BB495_4 Depth=1
	s_wait_dscnt 0x0
	ds_bpermute_b32 v19, v17, v18
	s_wait_dscnt 0x0
	v_add_f32_e32 v18, v18, v19
	ds_bpermute_b32 v7, v7, v18
	s_wait_dscnt 0x0
	v_add_f32_e32 v7, v18, v7
	;; [unrolled: 3-line block ×5, first 2 shown]
	s_wait_alu 0xfffe
	s_or_b32 exec_lo, exec_lo, s5
                                        ; implicit-def: $vgpr7
	s_and_saveexec_b32 s5, s0
	s_cbranch_execz .LBB495_31
.LBB495_28:                             ;   in Loop: Header=BB495_4 Depth=1
	s_wait_dscnt 0x0
	v_mul_f32_e32 v7, s34, v18
	s_and_not1_b32 vcc_lo, exec_lo, s38
	s_wait_alu 0xfffe
	s_cbranch_vccnz .LBB495_30
; %bb.29:                               ;   in Loop: Header=BB495_4 Depth=1
	s_add_nc_u64 s[40:41], s[28:29], s[24:25]
	global_load_b32 v8, v11, s[40:41]
	s_wait_loadcnt 0x0
	v_fmac_f32_e32 v7, s35, v8
.LBB495_30:                             ;   in Loop: Header=BB495_4 Depth=1
	s_or_b32 s19, s19, exec_lo
.LBB495_31:                             ;   in Loop: Header=BB495_4 Depth=1
	s_wait_alu 0xfffe
	s_or_b32 exec_lo, exec_lo, s5
.LBB495_32:                             ;   in Loop: Header=BB495_4 Depth=1
	s_wait_alu 0xfffe
	s_and_saveexec_b32 s5, s19
	s_cbranch_execz .LBB495_2
; %bb.33:                               ;   in Loop: Header=BB495_4 Depth=1
	s_add_nc_u64 s[28:29], s[28:29], s[24:25]
	global_store_b32 v11, v7, s[28:29]
	s_branch .LBB495_2
.LBB495_34:
	s_endpgm
	.section	.rodata,"a",@progbits
	.p2align	6, 0x0
	.amdhsa_kernel _ZL32rocblas_gemvt_warp_reduce_kernelILb0ELi1024ElDF16_ffEviiT3_lPKT2_lT1_lS3_lS4_lS0_lPT4_lS4_li
		.amdhsa_group_segment_fixed_size 128
		.amdhsa_private_segment_fixed_size 0
		.amdhsa_kernarg_size 140
		.amdhsa_user_sgpr_count 2
		.amdhsa_user_sgpr_dispatch_ptr 0
		.amdhsa_user_sgpr_queue_ptr 0
		.amdhsa_user_sgpr_kernarg_segment_ptr 1
		.amdhsa_user_sgpr_dispatch_id 0
		.amdhsa_user_sgpr_private_segment_size 0
		.amdhsa_wavefront_size32 1
		.amdhsa_uses_dynamic_stack 0
		.amdhsa_enable_private_segment 0
		.amdhsa_system_sgpr_workgroup_id_x 1
		.amdhsa_system_sgpr_workgroup_id_y 0
		.amdhsa_system_sgpr_workgroup_id_z 1
		.amdhsa_system_sgpr_workgroup_info 0
		.amdhsa_system_vgpr_workitem_id 0
		.amdhsa_next_free_vgpr 22
		.amdhsa_next_free_sgpr 44
		.amdhsa_reserve_vcc 1
		.amdhsa_float_round_mode_32 0
		.amdhsa_float_round_mode_16_64 0
		.amdhsa_float_denorm_mode_32 3
		.amdhsa_float_denorm_mode_16_64 3
		.amdhsa_fp16_overflow 0
		.amdhsa_workgroup_processor_mode 1
		.amdhsa_memory_ordered 1
		.amdhsa_forward_progress 1
		.amdhsa_inst_pref_size 13
		.amdhsa_round_robin_scheduling 0
		.amdhsa_exception_fp_ieee_invalid_op 0
		.amdhsa_exception_fp_denorm_src 0
		.amdhsa_exception_fp_ieee_div_zero 0
		.amdhsa_exception_fp_ieee_overflow 0
		.amdhsa_exception_fp_ieee_underflow 0
		.amdhsa_exception_fp_ieee_inexact 0
		.amdhsa_exception_int_div_zero 0
	.end_amdhsa_kernel
	.section	.text._ZL32rocblas_gemvt_warp_reduce_kernelILb0ELi1024ElDF16_ffEviiT3_lPKT2_lT1_lS3_lS4_lS0_lPT4_lS4_li,"axG",@progbits,_ZL32rocblas_gemvt_warp_reduce_kernelILb0ELi1024ElDF16_ffEviiT3_lPKT2_lT1_lS3_lS4_lS0_lPT4_lS4_li,comdat
.Lfunc_end495:
	.size	_ZL32rocblas_gemvt_warp_reduce_kernelILb0ELi1024ElDF16_ffEviiT3_lPKT2_lT1_lS3_lS4_lS0_lPT4_lS4_li, .Lfunc_end495-_ZL32rocblas_gemvt_warp_reduce_kernelILb0ELi1024ElDF16_ffEviiT3_lPKT2_lT1_lS3_lS4_lS0_lPT4_lS4_li
                                        ; -- End function
	.set _ZL32rocblas_gemvt_warp_reduce_kernelILb0ELi1024ElDF16_ffEviiT3_lPKT2_lT1_lS3_lS4_lS0_lPT4_lS4_li.num_vgpr, 22
	.set _ZL32rocblas_gemvt_warp_reduce_kernelILb0ELi1024ElDF16_ffEviiT3_lPKT2_lT1_lS3_lS4_lS0_lPT4_lS4_li.num_agpr, 0
	.set _ZL32rocblas_gemvt_warp_reduce_kernelILb0ELi1024ElDF16_ffEviiT3_lPKT2_lT1_lS3_lS4_lS0_lPT4_lS4_li.numbered_sgpr, 44
	.set _ZL32rocblas_gemvt_warp_reduce_kernelILb0ELi1024ElDF16_ffEviiT3_lPKT2_lT1_lS3_lS4_lS0_lPT4_lS4_li.num_named_barrier, 0
	.set _ZL32rocblas_gemvt_warp_reduce_kernelILb0ELi1024ElDF16_ffEviiT3_lPKT2_lT1_lS3_lS4_lS0_lPT4_lS4_li.private_seg_size, 0
	.set _ZL32rocblas_gemvt_warp_reduce_kernelILb0ELi1024ElDF16_ffEviiT3_lPKT2_lT1_lS3_lS4_lS0_lPT4_lS4_li.uses_vcc, 1
	.set _ZL32rocblas_gemvt_warp_reduce_kernelILb0ELi1024ElDF16_ffEviiT3_lPKT2_lT1_lS3_lS4_lS0_lPT4_lS4_li.uses_flat_scratch, 0
	.set _ZL32rocblas_gemvt_warp_reduce_kernelILb0ELi1024ElDF16_ffEviiT3_lPKT2_lT1_lS3_lS4_lS0_lPT4_lS4_li.has_dyn_sized_stack, 0
	.set _ZL32rocblas_gemvt_warp_reduce_kernelILb0ELi1024ElDF16_ffEviiT3_lPKT2_lT1_lS3_lS4_lS0_lPT4_lS4_li.has_recursion, 0
	.set _ZL32rocblas_gemvt_warp_reduce_kernelILb0ELi1024ElDF16_ffEviiT3_lPKT2_lT1_lS3_lS4_lS0_lPT4_lS4_li.has_indirect_call, 0
	.section	.AMDGPU.csdata,"",@progbits
; Kernel info:
; codeLenInByte = 1580
; TotalNumSgprs: 46
; NumVgprs: 22
; ScratchSize: 0
; MemoryBound: 0
; FloatMode: 240
; IeeeMode: 1
; LDSByteSize: 128 bytes/workgroup (compile time only)
; SGPRBlocks: 0
; VGPRBlocks: 2
; NumSGPRsForWavesPerEU: 46
; NumVGPRsForWavesPerEU: 22
; Occupancy: 16
; WaveLimiterHint : 0
; COMPUTE_PGM_RSRC2:SCRATCH_EN: 0
; COMPUTE_PGM_RSRC2:USER_SGPR: 2
; COMPUTE_PGM_RSRC2:TRAP_HANDLER: 0
; COMPUTE_PGM_RSRC2:TGID_X_EN: 1
; COMPUTE_PGM_RSRC2:TGID_Y_EN: 0
; COMPUTE_PGM_RSRC2:TGID_Z_EN: 1
; COMPUTE_PGM_RSRC2:TIDIG_COMP_CNT: 0
	.section	.text._ZL22rocblas_gemvtsm_kernelILb1ELi256EDF16_PKffEviiT2_lPKT1_lilS5_lilS2_lPT3_lil,"axG",@progbits,_ZL22rocblas_gemvtsm_kernelILb1ELi256EDF16_PKffEviiT2_lPKT1_lilS5_lilS2_lPT3_lil,comdat
	.globl	_ZL22rocblas_gemvtsm_kernelILb1ELi256EDF16_PKffEviiT2_lPKT1_lilS5_lilS2_lPT3_lil ; -- Begin function _ZL22rocblas_gemvtsm_kernelILb1ELi256EDF16_PKffEviiT2_lPKT1_lilS5_lilS2_lPT3_lil
	.p2align	8
	.type	_ZL22rocblas_gemvtsm_kernelILb1ELi256EDF16_PKffEviiT2_lPKT1_lilS5_lilS2_lPT3_lil,@function
_ZL22rocblas_gemvtsm_kernelILb1ELi256EDF16_PKffEviiT2_lPKT1_lilS5_lilS2_lPT3_lil: ; @_ZL22rocblas_gemvtsm_kernelILb1ELi256EDF16_PKffEviiT2_lPKT1_lilS5_lilS2_lPT3_lil
; %bb.0:
	s_clause 0x1
	s_load_b256 s[4:11], s[0:1], 0x8
	s_load_b256 s[12:19], s[0:1], 0x50
	s_mov_b32 s24, ttmp9
	s_mov_b32 s25, 0
	s_wait_kmcnt 0x0
	s_mul_u64 s[2:3], s[6:7], s[24:25]
	s_delay_alu instid0(SALU_CYCLE_1) | instskip(NEXT) | instid1(SALU_CYCLE_1)
	s_lshl_b64 s[2:3], s[2:3], 2
	s_add_nc_u64 s[2:3], s[4:5], s[2:3]
	s_mul_u64 s[4:5], s[16:17], s[24:25]
	s_load_b32 s26, s[2:3], 0x0
	s_lshl_b64 s[2:3], s[4:5], 2
	s_delay_alu instid0(SALU_CYCLE_1)
	s_add_nc_u64 s[2:3], s[14:15], s[2:3]
	s_load_b32 s23, s[2:3], 0x0
	s_wait_kmcnt 0x0
	s_cmp_eq_f32 s26, 0
	s_cselect_b32 s2, -1, 0
	s_cmp_eq_f32 s23, 1.0
	s_cselect_b32 s3, -1, 0
	s_delay_alu instid0(SALU_CYCLE_1) | instskip(NEXT) | instid1(SALU_CYCLE_1)
	s_and_b32 s2, s2, s3
	s_and_b32 vcc_lo, exec_lo, s2
	s_cbranch_vccnz .LBB496_34
; %bb.1:
	s_clause 0x2
	s_load_b64 s[4:5], s[0:1], 0x80
	s_load_b96 s[20:22], s[0:1], 0x70
	s_load_b64 s[2:3], s[0:1], 0x0
	s_cmp_neq_f32 s26, 0
	s_wait_kmcnt 0x0
	s_mul_u64 s[14:15], s[4:5], s[24:25]
	s_cbranch_scc1 .LBB496_9
; %bb.2:
	s_cmp_gt_i32 s3, 0
	s_cselect_b32 s6, -1, 0
	s_cmp_neq_f32 s23, 0
	v_cndmask_b32_e64 v1, 0, 1, s6
	s_delay_alu instid0(VALU_DEP_1)
	v_cmp_ne_u32_e32 vcc_lo, 1, v1
	s_cbranch_scc1 .LBB496_10
; %bb.3:
	s_and_b32 vcc_lo, exec_lo, vcc_lo
	s_cbranch_vccnz .LBB496_8
; %bb.4:
	v_mad_co_i64_i32 v[1:2], null, s22, v0, 0
	s_lshl_b64 s[16:17], s[20:21], 2
	s_lshl_b64 s[28:29], s[14:15], 2
	s_add_nc_u64 s[16:17], s[18:19], s[16:17]
	v_mov_b32_e32 v3, 0
	s_add_nc_u64 s[16:17], s[16:17], s[28:29]
	s_ashr_i32 s5, s22, 31
	v_lshlrev_b64_e32 v[1:2], 2, v[1:2]
	s_mov_b32 s4, s22
	s_mov_b32 s7, 0
	s_lshl_b64 s[4:5], s[4:5], 10
	s_delay_alu instid0(VALU_DEP_1) | instskip(NEXT) | instid1(VALU_DEP_1)
	v_add_co_u32 v1, vcc_lo, s16, v1
	v_add_co_ci_u32_e64 v2, null, s17, v2, vcc_lo
	s_branch .LBB496_6
.LBB496_5:                              ;   in Loop: Header=BB496_6 Depth=1
	s_wait_alu 0xfffe
	s_or_b32 exec_lo, exec_lo, s16
	v_add_co_u32 v1, vcc_lo, v1, s4
	s_wait_alu 0xfffd
	v_add_co_ci_u32_e64 v2, null, s5, v2, vcc_lo
	s_addk_co_i32 s7, 0x100
	s_wait_alu 0xfffe
	s_cmp_ge_i32 s7, s3
	s_cbranch_scc1 .LBB496_8
.LBB496_6:                              ; =>This Inner Loop Header: Depth=1
	s_wait_alu 0xfffe
	v_add_nc_u32_e32 v4, s7, v0
	s_mov_b32 s16, exec_lo
	s_delay_alu instid0(VALU_DEP_1)
	v_cmpx_gt_i32_e64 s3, v4
	s_cbranch_execz .LBB496_5
; %bb.7:                                ;   in Loop: Header=BB496_6 Depth=1
	global_store_b32 v[1:2], v3, off
	s_branch .LBB496_5
.LBB496_8:
	s_cbranch_execz .LBB496_11
	s_branch .LBB496_16
.LBB496_9:
	s_branch .LBB496_17
.LBB496_10:
.LBB496_11:
	s_and_not1_b32 vcc_lo, exec_lo, s6
	s_wait_alu 0xfffe
	s_cbranch_vccnz .LBB496_16
; %bb.12:
	v_mad_co_i64_i32 v[1:2], null, s22, v0, 0
	s_lshl_b64 s[6:7], s[20:21], 2
	s_lshl_b64 s[16:17], s[14:15], 2
	s_wait_alu 0xfffe
	s_add_nc_u64 s[6:7], s[18:19], s[6:7]
	s_ashr_i32 s5, s22, 31
	s_wait_alu 0xfffe
	s_add_nc_u64 s[6:7], s[6:7], s[16:17]
	s_mov_b32 s4, s22
	v_lshlrev_b64_e32 v[1:2], 2, v[1:2]
	s_wait_alu 0xfffe
	s_lshl_b64 s[4:5], s[4:5], 10
	s_delay_alu instid0(VALU_DEP_1) | instskip(SKIP_1) | instid1(VALU_DEP_2)
	v_add_co_u32 v1, vcc_lo, s6, v1
	s_wait_alu 0xfffd
	v_add_co_ci_u32_e64 v2, null, s7, v2, vcc_lo
	s_mov_b32 s6, 0
	s_branch .LBB496_14
.LBB496_13:                             ;   in Loop: Header=BB496_14 Depth=1
	s_wait_alu 0xfffe
	s_or_b32 exec_lo, exec_lo, s7
	v_add_co_u32 v1, vcc_lo, v1, s4
	s_wait_alu 0xfffd
	v_add_co_ci_u32_e64 v2, null, s5, v2, vcc_lo
	s_addk_co_i32 s6, 0x100
	s_wait_alu 0xfffe
	s_cmp_ge_i32 s6, s3
	s_cbranch_scc1 .LBB496_16
.LBB496_14:                             ; =>This Inner Loop Header: Depth=1
	s_wait_alu 0xfffe
	v_add_nc_u32_e32 v3, s6, v0
	s_mov_b32 s7, exec_lo
	s_delay_alu instid0(VALU_DEP_1)
	v_cmpx_gt_i32_e64 s3, v3
	s_cbranch_execz .LBB496_13
; %bb.15:                               ;   in Loop: Header=BB496_14 Depth=1
	global_load_b32 v3, v[1:2], off
	s_wait_loadcnt 0x0
	v_mul_f32_e32 v3, s23, v3
	global_store_b32 v[1:2], v3, off
	s_branch .LBB496_13
.LBB496_16:
	s_cbranch_execnz .LBB496_34
.LBB496_17:
	s_clause 0x1
	s_load_b128 s[4:7], s[0:1], 0x30
	s_load_b64 s[16:17], s[0:1], 0x40
	s_mov_b32 s27, exec_lo
	v_cmpx_gt_i32_e64 s2, v0
	s_cbranch_execz .LBB496_19
; %bb.18:
	s_load_b32 s28, s[0:1], 0x48
	s_mul_u64 s[12:13], s[12:13], s[24:25]
	s_wait_kmcnt 0x0
	s_lshl_b64 s[16:17], s[16:17], 1
	s_lshl_b64 s[12:13], s[12:13], 1
	s_delay_alu instid0(SALU_CYCLE_1) | instskip(SKIP_3) | instid1(VALU_DEP_1)
	s_add_nc_u64 s[6:7], s[6:7], s[12:13]
	s_wait_alu 0xfffe
	s_add_nc_u64 s[6:7], s[6:7], s[16:17]
	v_mad_co_i64_i32 v[1:2], null, s28, v0, 0
	v_lshlrev_b64_e32 v[1:2], 1, v[1:2]
	s_wait_alu 0xfffe
	s_delay_alu instid0(VALU_DEP_1) | instskip(SKIP_1) | instid1(VALU_DEP_2)
	v_add_co_u32 v1, vcc_lo, s6, v1
	s_wait_alu 0xfffd
	v_add_co_ci_u32_e64 v2, null, s7, v2, vcc_lo
	global_load_u16 v1, v[1:2], off
	v_lshlrev_b32_e32 v2, 2, v0
	s_wait_loadcnt 0x0
	v_cvt_f32_f16_e32 v1, v1
	s_delay_alu instid0(VALU_DEP_1)
	v_mul_f32_e32 v1, s26, v1
	ds_store_b32 v2, v1
.LBB496_19:
	s_or_b32 exec_lo, exec_lo, s27
	s_cmp_lt_i32 s3, 1
	s_wait_storecnt_dscnt 0x0
	s_barrier_signal -1
	s_barrier_wait -1
	global_inv scope:SCOPE_SE
	s_cbranch_scc1 .LBB496_34
; %bb.20:
	s_wait_kmcnt 0x0
	s_load_b32 s16, s[0:1], 0x28
	s_lshl_b64 s[0:1], s[14:15], 2
	s_lshl_b64 s[12:13], s[20:21], 2
	s_ashr_i32 s6, s22, 31
	s_add_nc_u64 s[0:1], s[18:19], s[0:1]
	s_mul_u64 s[4:5], s[4:5], s[24:25]
	s_add_nc_u64 s[0:1], s[0:1], s[12:13]
	s_wait_kmcnt 0x0
	s_ashr_i32 s17, s16, 31
	s_cmp_neq_f32 s23, 0
	v_mad_co_i64_i32 v[1:2], null, s16, v0, 0
	s_cselect_b32 s7, -1, 0
	s_cmp_gt_i32 s2, 0
	s_cselect_b32 s12, -1, 0
	s_and_b32 s13, s2, 7
	s_cmp_gt_u32 s2, 7
	v_lshlrev_b64_e32 v[1:2], 1, v[1:2]
	s_cselect_b32 s14, -1, 0
	s_and_b32 s2, s2, 0x7ffffff8
	s_cmp_lg_u32 s13, 0
	s_cselect_b32 s15, -1, 0
	s_lshl_b64 s[10:11], s[10:11], 1
	s_wait_alu 0xfffe
	s_lshl_b64 s[4:5], s[4:5], 1
	s_add_nc_u64 s[8:9], s[8:9], s[10:11]
	s_wait_alu 0xfffe
	s_add_nc_u64 s[4:5], s[8:9], s[4:5]
	s_mov_b32 s8, s22
	s_wait_alu 0xfffe
	v_add_co_u32 v7, vcc_lo, s4, v1
	s_wait_alu 0xfffd
	v_add_co_ci_u32_e64 v8, null, s5, v2, vcc_lo
	s_mov_b32 s9, 0
	v_add_co_u32 v1, vcc_lo, v7, 14
	s_wait_alu 0xfffd
	v_add_co_ci_u32_e64 v2, null, 0, v8, vcc_lo
	s_lshl_b64 s[4:5], s[16:17], 9
	s_branch .LBB496_23
.LBB496_21:                             ;   in Loop: Header=BB496_23 Depth=1
	v_add_co_u32 v3, vcc_lo, s0, v3
	s_wait_alu 0xfffd
	v_add_co_ci_u32_e64 v4, null, s1, v4, vcc_lo
	global_store_b32 v[3:4], v9, off
.LBB496_22:                             ;   in Loop: Header=BB496_23 Depth=1
	s_wait_alu 0xfffe
	s_or_b32 exec_lo, exec_lo, s10
	v_add_co_u32 v1, vcc_lo, v1, s4
	s_wait_alu 0xfffd
	v_add_co_ci_u32_e64 v2, null, s5, v2, vcc_lo
	v_add_co_u32 v7, vcc_lo, v7, s4
	s_wait_alu 0xfffd
	v_add_co_ci_u32_e64 v8, null, s5, v8, vcc_lo
	s_addk_co_i32 s9, 0x100
	s_wait_alu 0xfffe
	s_cmp_ge_i32 s9, s3
	s_cbranch_scc1 .LBB496_34
.LBB496_23:                             ; =>This Loop Header: Depth=1
                                        ;     Child Loop BB496_29 Depth 2
                                        ;     Child Loop BB496_33 Depth 2
	v_add_nc_u32_e32 v3, s9, v0
	s_mov_b32 s10, exec_lo
	s_delay_alu instid0(VALU_DEP_1)
	v_cmpx_gt_i32_e64 s3, v3
	s_cbranch_execz .LBB496_22
; %bb.24:                               ;   in Loop: Header=BB496_23 Depth=1
	v_mad_co_u64_u32 v[4:5], null, v3, s8, 0
	s_and_not1_b32 vcc_lo, exec_lo, s7
	v_mad_co_u64_u32 v[5:6], null, v3, s6, v[5:6]
	s_delay_alu instid0(VALU_DEP_1)
	v_lshlrev_b64_e32 v[3:4], 2, v[4:5]
	s_wait_alu 0xfffe
	s_cbranch_vccnz .LBB496_26
; %bb.25:                               ;   in Loop: Header=BB496_23 Depth=1
	s_delay_alu instid0(VALU_DEP_1) | instskip(SKIP_1) | instid1(VALU_DEP_2)
	v_add_co_u32 v5, vcc_lo, s0, v3
	s_wait_alu 0xfffd
	v_add_co_ci_u32_e64 v6, null, s1, v4, vcc_lo
	global_load_b32 v5, v[5:6], off
	s_wait_loadcnt 0x0
	v_mul_f32_e32 v9, s23, v5
	s_and_not1_b32 vcc_lo, exec_lo, s12
	s_wait_alu 0xfffe
	s_cbranch_vccz .LBB496_27
	s_branch .LBB496_21
.LBB496_26:                             ;   in Loop: Header=BB496_23 Depth=1
	v_mov_b32_e32 v9, 0
	s_and_not1_b32 vcc_lo, exec_lo, s12
	s_wait_alu 0xfffe
	s_cbranch_vccnz .LBB496_21
.LBB496_27:                             ;   in Loop: Header=BB496_23 Depth=1
	s_and_not1_b32 vcc_lo, exec_lo, s14
	s_mov_b32 s11, 0
	s_wait_alu 0xfffe
	s_cbranch_vccnz .LBB496_31
; %bb.28:                               ;   in Loop: Header=BB496_23 Depth=1
	v_dual_mov_b32 v6, v2 :: v_dual_mov_b32 v5, v1
	s_mov_b32 s16, 0
.LBB496_29:                             ;   Parent Loop BB496_23 Depth=1
                                        ; =>  This Inner Loop Header: Depth=2
	global_load_b128 v[10:13], v[5:6], off offset:-14
	v_mov_b32_e32 v18, s11
	v_add_co_u32 v5, vcc_lo, v5, 16
	s_wait_alu 0xfffd
	v_add_co_ci_u32_e64 v6, null, 0, v6, vcc_lo
	ds_load_b128 v[14:17], v18
	ds_load_b128 v[18:21], v18 offset:16
	s_wait_alu 0xfffe
	s_add_co_i32 s16, s16, 8
	s_add_co_i32 s11, s11, 32
	s_wait_alu 0xfffe
	s_cmp_eq_u32 s2, s16
	s_wait_loadcnt_dscnt 0x1
	v_fma_mix_f32 v9, v14, v10, v9 op_sel_hi:[0,1,0]
	s_delay_alu instid0(VALU_DEP_1) | instskip(NEXT) | instid1(VALU_DEP_1)
	v_fma_mix_f32 v9, v15, v10, v9 op_sel:[0,1,0] op_sel_hi:[0,1,0]
	v_fma_mix_f32 v9, v16, v11, v9 op_sel_hi:[0,1,0]
	s_delay_alu instid0(VALU_DEP_1) | instskip(SKIP_1) | instid1(VALU_DEP_1)
	v_fma_mix_f32 v9, v17, v11, v9 op_sel:[0,1,0] op_sel_hi:[0,1,0]
	s_wait_dscnt 0x0
	v_fma_mix_f32 v9, v18, v12, v9 op_sel_hi:[0,1,0]
	s_delay_alu instid0(VALU_DEP_1) | instskip(NEXT) | instid1(VALU_DEP_1)
	v_fma_mix_f32 v9, v19, v12, v9 op_sel:[0,1,0] op_sel_hi:[0,1,0]
	v_fma_mix_f32 v9, v20, v13, v9 op_sel_hi:[0,1,0]
	s_delay_alu instid0(VALU_DEP_1)
	v_fma_mix_f32 v9, v21, v13, v9 op_sel:[0,1,0] op_sel_hi:[0,1,0]
	s_cbranch_scc0 .LBB496_29
; %bb.30:                               ;   in Loop: Header=BB496_23 Depth=1
	s_mov_b32 s11, s2
.LBB496_31:                             ;   in Loop: Header=BB496_23 Depth=1
	s_and_not1_b32 vcc_lo, exec_lo, s15
	s_wait_alu 0xfffe
	s_cbranch_vccnz .LBB496_21
; %bb.32:                               ;   in Loop: Header=BB496_23 Depth=1
	s_lshl_b32 s16, s11, 1
	s_lshl_b32 s11, s11, 2
	s_wait_alu 0xfffe
	v_add_co_u32 v5, vcc_lo, v7, s16
	s_wait_alu 0xfffd
	v_add_co_ci_u32_e64 v6, null, 0, v8, vcc_lo
	s_mov_b32 s16, s13
.LBB496_33:                             ;   Parent Loop BB496_23 Depth=1
                                        ; =>  This Inner Loop Header: Depth=2
	global_load_u16 v10, v[5:6], off
	v_mov_b32_e32 v11, s11
	v_add_co_u32 v5, vcc_lo, v5, 2
	s_wait_alu 0xfffd
	v_add_co_ci_u32_e64 v6, null, 0, v6, vcc_lo
	ds_load_b32 v11, v11
	s_wait_alu 0xfffe
	s_add_co_i32 s16, s16, -1
	s_add_co_i32 s11, s11, 4
	s_wait_alu 0xfffe
	s_cmp_lg_u32 s16, 0
	s_wait_loadcnt_dscnt 0x0
	v_fma_mix_f32 v9, v11, v10, v9 op_sel_hi:[0,1,0]
	s_cbranch_scc1 .LBB496_33
	s_branch .LBB496_21
.LBB496_34:
	s_endpgm
	.section	.rodata,"a",@progbits
	.p2align	6, 0x0
	.amdhsa_kernel _ZL22rocblas_gemvtsm_kernelILb1ELi256EDF16_PKffEviiT2_lPKT1_lilS5_lilS2_lPT3_lil
		.amdhsa_group_segment_fixed_size 256
		.amdhsa_private_segment_fixed_size 0
		.amdhsa_kernarg_size 136
		.amdhsa_user_sgpr_count 2
		.amdhsa_user_sgpr_dispatch_ptr 0
		.amdhsa_user_sgpr_queue_ptr 0
		.amdhsa_user_sgpr_kernarg_segment_ptr 1
		.amdhsa_user_sgpr_dispatch_id 0
		.amdhsa_user_sgpr_private_segment_size 0
		.amdhsa_wavefront_size32 1
		.amdhsa_uses_dynamic_stack 0
		.amdhsa_enable_private_segment 0
		.amdhsa_system_sgpr_workgroup_id_x 1
		.amdhsa_system_sgpr_workgroup_id_y 0
		.amdhsa_system_sgpr_workgroup_id_z 0
		.amdhsa_system_sgpr_workgroup_info 0
		.amdhsa_system_vgpr_workitem_id 0
		.amdhsa_next_free_vgpr 22
		.amdhsa_next_free_sgpr 30
		.amdhsa_reserve_vcc 1
		.amdhsa_float_round_mode_32 0
		.amdhsa_float_round_mode_16_64 0
		.amdhsa_float_denorm_mode_32 3
		.amdhsa_float_denorm_mode_16_64 3
		.amdhsa_fp16_overflow 0
		.amdhsa_workgroup_processor_mode 1
		.amdhsa_memory_ordered 1
		.amdhsa_forward_progress 1
		.amdhsa_inst_pref_size 12
		.amdhsa_round_robin_scheduling 0
		.amdhsa_exception_fp_ieee_invalid_op 0
		.amdhsa_exception_fp_denorm_src 0
		.amdhsa_exception_fp_ieee_div_zero 0
		.amdhsa_exception_fp_ieee_overflow 0
		.amdhsa_exception_fp_ieee_underflow 0
		.amdhsa_exception_fp_ieee_inexact 0
		.amdhsa_exception_int_div_zero 0
	.end_amdhsa_kernel
	.section	.text._ZL22rocblas_gemvtsm_kernelILb1ELi256EDF16_PKffEviiT2_lPKT1_lilS5_lilS2_lPT3_lil,"axG",@progbits,_ZL22rocblas_gemvtsm_kernelILb1ELi256EDF16_PKffEviiT2_lPKT1_lilS5_lilS2_lPT3_lil,comdat
.Lfunc_end496:
	.size	_ZL22rocblas_gemvtsm_kernelILb1ELi256EDF16_PKffEviiT2_lPKT1_lilS5_lilS2_lPT3_lil, .Lfunc_end496-_ZL22rocblas_gemvtsm_kernelILb1ELi256EDF16_PKffEviiT2_lPKT1_lilS5_lilS2_lPT3_lil
                                        ; -- End function
	.set _ZL22rocblas_gemvtsm_kernelILb1ELi256EDF16_PKffEviiT2_lPKT1_lilS5_lilS2_lPT3_lil.num_vgpr, 22
	.set _ZL22rocblas_gemvtsm_kernelILb1ELi256EDF16_PKffEviiT2_lPKT1_lilS5_lilS2_lPT3_lil.num_agpr, 0
	.set _ZL22rocblas_gemvtsm_kernelILb1ELi256EDF16_PKffEviiT2_lPKT1_lilS5_lilS2_lPT3_lil.numbered_sgpr, 30
	.set _ZL22rocblas_gemvtsm_kernelILb1ELi256EDF16_PKffEviiT2_lPKT1_lilS5_lilS2_lPT3_lil.num_named_barrier, 0
	.set _ZL22rocblas_gemvtsm_kernelILb1ELi256EDF16_PKffEviiT2_lPKT1_lilS5_lilS2_lPT3_lil.private_seg_size, 0
	.set _ZL22rocblas_gemvtsm_kernelILb1ELi256EDF16_PKffEviiT2_lPKT1_lilS5_lilS2_lPT3_lil.uses_vcc, 1
	.set _ZL22rocblas_gemvtsm_kernelILb1ELi256EDF16_PKffEviiT2_lPKT1_lilS5_lilS2_lPT3_lil.uses_flat_scratch, 0
	.set _ZL22rocblas_gemvtsm_kernelILb1ELi256EDF16_PKffEviiT2_lPKT1_lilS5_lilS2_lPT3_lil.has_dyn_sized_stack, 0
	.set _ZL22rocblas_gemvtsm_kernelILb1ELi256EDF16_PKffEviiT2_lPKT1_lilS5_lilS2_lPT3_lil.has_recursion, 0
	.set _ZL22rocblas_gemvtsm_kernelILb1ELi256EDF16_PKffEviiT2_lPKT1_lilS5_lilS2_lPT3_lil.has_indirect_call, 0
	.section	.AMDGPU.csdata,"",@progbits
; Kernel info:
; codeLenInByte = 1520
; TotalNumSgprs: 32
; NumVgprs: 22
; ScratchSize: 0
; MemoryBound: 0
; FloatMode: 240
; IeeeMode: 1
; LDSByteSize: 256 bytes/workgroup (compile time only)
; SGPRBlocks: 0
; VGPRBlocks: 2
; NumSGPRsForWavesPerEU: 32
; NumVGPRsForWavesPerEU: 22
; Occupancy: 16
; WaveLimiterHint : 1
; COMPUTE_PGM_RSRC2:SCRATCH_EN: 0
; COMPUTE_PGM_RSRC2:USER_SGPR: 2
; COMPUTE_PGM_RSRC2:TRAP_HANDLER: 0
; COMPUTE_PGM_RSRC2:TGID_X_EN: 1
; COMPUTE_PGM_RSRC2:TGID_Y_EN: 0
; COMPUTE_PGM_RSRC2:TGID_Z_EN: 0
; COMPUTE_PGM_RSRC2:TIDIG_COMP_CNT: 0
	.section	.text._ZL22rocblas_gemvtsm_kernelILb1ELi256EDF16_ffEviiT2_lPKT1_lilS3_lilS0_lPT3_lil,"axG",@progbits,_ZL22rocblas_gemvtsm_kernelILb1ELi256EDF16_ffEviiT2_lPKT1_lilS3_lilS0_lPT3_lil,comdat
	.globl	_ZL22rocblas_gemvtsm_kernelILb1ELi256EDF16_ffEviiT2_lPKT1_lilS3_lilS0_lPT3_lil ; -- Begin function _ZL22rocblas_gemvtsm_kernelILb1ELi256EDF16_ffEviiT2_lPKT1_lilS3_lilS0_lPT3_lil
	.p2align	8
	.type	_ZL22rocblas_gemvtsm_kernelILb1ELi256EDF16_ffEviiT2_lPKT1_lilS3_lilS0_lPT3_lil,@function
_ZL22rocblas_gemvtsm_kernelILb1ELi256EDF16_ffEviiT2_lPKT1_lilS3_lilS0_lPT3_lil: ; @_ZL22rocblas_gemvtsm_kernelILb1ELi256EDF16_ffEviiT2_lPKT1_lilS3_lilS0_lPT3_lil
; %bb.0:
	s_clause 0x1
	s_load_b96 s[12:14], s[0:1], 0x0
	s_load_b32 s15, s[0:1], 0x58
	s_mov_b32 s19, 0
	s_wait_kmcnt 0x0
	s_cmp_eq_f32 s14, 0
	s_cselect_b32 s2, -1, 0
	s_cmp_eq_f32 s15, 1.0
	s_cselect_b32 s3, -1, 0
	s_delay_alu instid0(SALU_CYCLE_1) | instskip(NEXT) | instid1(SALU_CYCLE_1)
	s_and_b32 s2, s2, s3
	s_and_b32 vcc_lo, exec_lo, s2
	s_cbranch_vccnz .LBB497_34
; %bb.1:
	s_clause 0x2
	s_load_b64 s[2:3], s[0:1], 0x80
	s_load_b128 s[4:7], s[0:1], 0x68
	s_load_b32 s16, s[0:1], 0x78
	s_mov_b32 s18, ttmp9
	s_cmp_neq_f32 s14, 0
	s_wait_kmcnt 0x0
	s_mul_u64 s[20:21], s[2:3], s[18:19]
	s_cbranch_scc1 .LBB497_9
; %bb.2:
	s_cmp_gt_i32 s13, 0
	s_cselect_b32 s8, -1, 0
	s_cmp_neq_f32 s15, 0
	v_cndmask_b32_e64 v1, 0, 1, s8
	s_delay_alu instid0(VALU_DEP_1)
	v_cmp_ne_u32_e32 vcc_lo, 1, v1
	s_cbranch_scc1 .LBB497_10
; %bb.3:
	s_and_b32 vcc_lo, exec_lo, vcc_lo
	s_cbranch_vccnz .LBB497_8
; %bb.4:
	v_mad_co_i64_i32 v[1:2], null, s16, v0, 0
	s_lshl_b64 s[2:3], s[6:7], 2
	s_lshl_b64 s[10:11], s[20:21], 2
	s_add_nc_u64 s[2:3], s[4:5], s[2:3]
	v_mov_b32_e32 v3, 0
	s_add_nc_u64 s[2:3], s[2:3], s[10:11]
	s_ashr_i32 s17, s16, 31
	v_lshlrev_b64_e32 v[1:2], 2, v[1:2]
	s_mov_b32 s9, 0
	s_delay_alu instid0(VALU_DEP_1) | instskip(NEXT) | instid1(VALU_DEP_1)
	v_add_co_u32 v1, vcc_lo, s2, v1
	v_add_co_ci_u32_e64 v2, null, s3, v2, vcc_lo
	s_wait_alu 0xfffe
	s_lshl_b64 s[2:3], s[16:17], 10
	s_branch .LBB497_6
.LBB497_5:                              ;   in Loop: Header=BB497_6 Depth=1
	s_or_b32 exec_lo, exec_lo, s10
	s_wait_alu 0xfffe
	v_add_co_u32 v1, vcc_lo, v1, s2
	s_wait_alu 0xfffd
	v_add_co_ci_u32_e64 v2, null, s3, v2, vcc_lo
	s_addk_co_i32 s9, 0x100
	s_wait_alu 0xfffe
	s_cmp_ge_i32 s9, s13
	s_cbranch_scc1 .LBB497_8
.LBB497_6:                              ; =>This Inner Loop Header: Depth=1
	v_add_nc_u32_e32 v4, s9, v0
	s_mov_b32 s10, exec_lo
	s_delay_alu instid0(VALU_DEP_1)
	v_cmpx_gt_i32_e64 s13, v4
	s_cbranch_execz .LBB497_5
; %bb.7:                                ;   in Loop: Header=BB497_6 Depth=1
	global_store_b32 v[1:2], v3, off
	s_branch .LBB497_5
.LBB497_8:
	s_cbranch_execz .LBB497_11
	s_branch .LBB497_16
.LBB497_9:
	s_branch .LBB497_17
.LBB497_10:
.LBB497_11:
	s_and_not1_b32 vcc_lo, exec_lo, s8
	s_wait_alu 0xfffe
	s_cbranch_vccnz .LBB497_16
; %bb.12:
	v_mad_co_i64_i32 v[1:2], null, s16, v0, 0
	s_lshl_b64 s[2:3], s[6:7], 2
	s_lshl_b64 s[8:9], s[20:21], 2
	s_wait_alu 0xfffe
	s_add_nc_u64 s[2:3], s[4:5], s[2:3]
	s_ashr_i32 s17, s16, 31
	s_wait_alu 0xfffe
	s_add_nc_u64 s[2:3], s[2:3], s[8:9]
	s_mov_b32 s8, 0
	v_lshlrev_b64_e32 v[1:2], 2, v[1:2]
	s_wait_alu 0xfffe
	s_delay_alu instid0(VALU_DEP_1) | instskip(SKIP_1) | instid1(VALU_DEP_2)
	v_add_co_u32 v1, vcc_lo, s2, v1
	s_wait_alu 0xfffd
	v_add_co_ci_u32_e64 v2, null, s3, v2, vcc_lo
	s_lshl_b64 s[2:3], s[16:17], 10
	s_branch .LBB497_14
.LBB497_13:                             ;   in Loop: Header=BB497_14 Depth=1
	s_wait_alu 0xfffe
	s_or_b32 exec_lo, exec_lo, s9
	v_add_co_u32 v1, vcc_lo, v1, s2
	s_wait_alu 0xfffd
	v_add_co_ci_u32_e64 v2, null, s3, v2, vcc_lo
	s_addk_co_i32 s8, 0x100
	s_wait_alu 0xfffe
	s_cmp_ge_i32 s8, s13
	s_cbranch_scc1 .LBB497_16
.LBB497_14:                             ; =>This Inner Loop Header: Depth=1
	v_add_nc_u32_e32 v3, s8, v0
	s_mov_b32 s9, exec_lo
	s_delay_alu instid0(VALU_DEP_1)
	v_cmpx_gt_i32_e64 s13, v3
	s_cbranch_execz .LBB497_13
; %bb.15:                               ;   in Loop: Header=BB497_14 Depth=1
	global_load_b32 v3, v[1:2], off
	s_wait_loadcnt 0x0
	v_mul_f32_e32 v3, s15, v3
	global_store_b32 v[1:2], v3, off
	s_branch .LBB497_13
.LBB497_16:
	s_cbranch_execnz .LBB497_34
.LBB497_17:
	s_clause 0x1
	s_load_b128 s[8:11], s[0:1], 0x30
	s_load_b64 s[2:3], s[0:1], 0x40
	s_mov_b32 s17, exec_lo
	v_cmpx_gt_i32_e64 s12, v0
	s_cbranch_execz .LBB497_19
; %bb.18:
	s_clause 0x1
	s_load_b32 s24, s[0:1], 0x48
	s_load_b64 s[22:23], s[0:1], 0x50
	s_wait_kmcnt 0x0
	s_lshl_b64 s[2:3], s[2:3], 1
	v_mad_co_i64_i32 v[1:2], null, s24, v0, 0
	s_mul_u64 s[22:23], s[22:23], s[18:19]
	s_delay_alu instid0(SALU_CYCLE_1) | instskip(NEXT) | instid1(SALU_CYCLE_1)
	s_lshl_b64 s[22:23], s[22:23], 1
	s_add_nc_u64 s[10:11], s[10:11], s[22:23]
	s_wait_alu 0xfffe
	s_add_nc_u64 s[2:3], s[10:11], s[2:3]
	v_lshlrev_b64_e32 v[1:2], 1, v[1:2]
	s_wait_alu 0xfffe
	s_delay_alu instid0(VALU_DEP_1) | instskip(SKIP_1) | instid1(VALU_DEP_2)
	v_add_co_u32 v1, vcc_lo, s2, v1
	s_wait_alu 0xfffd
	v_add_co_ci_u32_e64 v2, null, s3, v2, vcc_lo
	global_load_u16 v1, v[1:2], off
	v_lshlrev_b32_e32 v2, 2, v0
	s_wait_loadcnt 0x0
	v_cvt_f32_f16_e32 v1, v1
	s_delay_alu instid0(VALU_DEP_1)
	v_mul_f32_e32 v1, s14, v1
	ds_store_b32 v2, v1
.LBB497_19:
	s_wait_alu 0xfffe
	s_or_b32 exec_lo, exec_lo, s17
	s_cmp_lt_i32 s13, 1
	s_wait_storecnt_dscnt 0x0
	s_barrier_signal -1
	s_barrier_wait -1
	global_inv scope:SCOPE_SE
	s_cbranch_scc1 .LBB497_34
; %bb.20:
	s_load_b32 s22, s[0:1], 0x28
	s_wait_kmcnt 0x0
	s_load_b128 s[0:3], s[0:1], 0x18
	s_lshl_b64 s[10:11], s[20:21], 2
	s_lshl_b64 s[20:21], s[6:7], 2
	s_ashr_i32 s6, s16, 31
	s_add_nc_u64 s[24:25], s[4:5], s[10:11]
	s_mul_u64 s[18:19], s[8:9], s[18:19]
	s_mov_b32 s11, 0
	s_ashr_i32 s23, s22, 31
	s_cmp_neq_f32 s15, 0
	v_mad_co_i64_i32 v[1:2], null, s22, v0, 0
	s_cselect_b32 s4, -1, 0
	s_cmp_gt_i32 s12, 0
	s_cselect_b32 s5, -1, 0
	s_and_b32 s7, s12, 7
	s_cmp_gt_u32 s12, 7
	v_lshlrev_b64_e32 v[1:2], 1, v[1:2]
	s_cselect_b32 s8, -1, 0
	s_and_b32 s9, s12, 0x7ffffff8
	s_cmp_lg_u32 s7, 0
	s_cselect_b32 s10, -1, 0
	s_wait_kmcnt 0x0
	s_lshl_b64 s[2:3], s[2:3], 1
	s_lshl_b64 s[18:19], s[18:19], 1
	s_wait_alu 0xfffe
	s_add_nc_u64 s[0:1], s[0:1], s[2:3]
	s_lshl_b64 s[2:3], s[22:23], 9
	s_add_nc_u64 s[0:1], s[0:1], s[18:19]
	s_delay_alu instid0(SALU_CYCLE_1)
	v_add_co_u32 v7, vcc_lo, s0, v1
	s_wait_alu 0xfffd
	v_add_co_ci_u32_e64 v8, null, s1, v2, vcc_lo
	s_add_nc_u64 s[0:1], s[24:25], s[20:21]
	v_add_co_u32 v1, vcc_lo, v7, 14
	s_wait_alu 0xfffd
	v_add_co_ci_u32_e64 v2, null, 0, v8, vcc_lo
	s_branch .LBB497_23
.LBB497_21:                             ;   in Loop: Header=BB497_23 Depth=1
	v_add_co_u32 v3, vcc_lo, s0, v3
	s_wait_alu 0xfffd
	v_add_co_ci_u32_e64 v4, null, s1, v4, vcc_lo
	global_store_b32 v[3:4], v9, off
.LBB497_22:                             ;   in Loop: Header=BB497_23 Depth=1
	s_wait_alu 0xfffe
	s_or_b32 exec_lo, exec_lo, s12
	v_add_co_u32 v1, vcc_lo, v1, s2
	s_wait_alu 0xfffd
	v_add_co_ci_u32_e64 v2, null, s3, v2, vcc_lo
	v_add_co_u32 v7, vcc_lo, v7, s2
	s_wait_alu 0xfffd
	v_add_co_ci_u32_e64 v8, null, s3, v8, vcc_lo
	s_addk_co_i32 s11, 0x100
	s_wait_alu 0xfffe
	s_cmp_ge_i32 s11, s13
	s_cbranch_scc1 .LBB497_34
.LBB497_23:                             ; =>This Loop Header: Depth=1
                                        ;     Child Loop BB497_29 Depth 2
                                        ;     Child Loop BB497_33 Depth 2
	v_add_nc_u32_e32 v3, s11, v0
	s_mov_b32 s12, exec_lo
	s_delay_alu instid0(VALU_DEP_1)
	v_cmpx_gt_i32_e64 s13, v3
	s_cbranch_execz .LBB497_22
; %bb.24:                               ;   in Loop: Header=BB497_23 Depth=1
	v_mad_co_u64_u32 v[4:5], null, v3, s16, 0
	s_and_not1_b32 vcc_lo, exec_lo, s4
	v_mad_co_u64_u32 v[5:6], null, v3, s6, v[5:6]
	s_delay_alu instid0(VALU_DEP_1)
	v_lshlrev_b64_e32 v[3:4], 2, v[4:5]
	s_wait_alu 0xfffe
	s_cbranch_vccnz .LBB497_26
; %bb.25:                               ;   in Loop: Header=BB497_23 Depth=1
	s_delay_alu instid0(VALU_DEP_1) | instskip(SKIP_1) | instid1(VALU_DEP_2)
	v_add_co_u32 v5, vcc_lo, s0, v3
	s_wait_alu 0xfffd
	v_add_co_ci_u32_e64 v6, null, s1, v4, vcc_lo
	global_load_b32 v5, v[5:6], off
	s_wait_loadcnt 0x0
	v_mul_f32_e32 v9, s15, v5
	s_and_not1_b32 vcc_lo, exec_lo, s5
	s_wait_alu 0xfffe
	s_cbranch_vccz .LBB497_27
	s_branch .LBB497_21
.LBB497_26:                             ;   in Loop: Header=BB497_23 Depth=1
	v_mov_b32_e32 v9, 0
	s_and_not1_b32 vcc_lo, exec_lo, s5
	s_wait_alu 0xfffe
	s_cbranch_vccnz .LBB497_21
.LBB497_27:                             ;   in Loop: Header=BB497_23 Depth=1
	s_and_not1_b32 vcc_lo, exec_lo, s8
	s_mov_b32 s14, 0
	s_wait_alu 0xfffe
	s_cbranch_vccnz .LBB497_31
; %bb.28:                               ;   in Loop: Header=BB497_23 Depth=1
	v_dual_mov_b32 v6, v2 :: v_dual_mov_b32 v5, v1
	s_mov_b32 s17, 0
.LBB497_29:                             ;   Parent Loop BB497_23 Depth=1
                                        ; =>  This Inner Loop Header: Depth=2
	global_load_b128 v[10:13], v[5:6], off offset:-14
	v_mov_b32_e32 v18, s14
	v_add_co_u32 v5, vcc_lo, v5, 16
	s_wait_alu 0xfffd
	v_add_co_ci_u32_e64 v6, null, 0, v6, vcc_lo
	ds_load_b128 v[14:17], v18
	ds_load_b128 v[18:21], v18 offset:16
	s_wait_alu 0xfffe
	s_add_co_i32 s17, s17, 8
	s_add_co_i32 s14, s14, 32
	s_wait_alu 0xfffe
	s_cmp_eq_u32 s9, s17
	s_wait_loadcnt_dscnt 0x1
	v_fma_mix_f32 v9, v14, v10, v9 op_sel_hi:[0,1,0]
	s_delay_alu instid0(VALU_DEP_1) | instskip(NEXT) | instid1(VALU_DEP_1)
	v_fma_mix_f32 v9, v15, v10, v9 op_sel:[0,1,0] op_sel_hi:[0,1,0]
	v_fma_mix_f32 v9, v16, v11, v9 op_sel_hi:[0,1,0]
	s_delay_alu instid0(VALU_DEP_1) | instskip(SKIP_1) | instid1(VALU_DEP_1)
	v_fma_mix_f32 v9, v17, v11, v9 op_sel:[0,1,0] op_sel_hi:[0,1,0]
	s_wait_dscnt 0x0
	v_fma_mix_f32 v9, v18, v12, v9 op_sel_hi:[0,1,0]
	s_delay_alu instid0(VALU_DEP_1) | instskip(NEXT) | instid1(VALU_DEP_1)
	v_fma_mix_f32 v9, v19, v12, v9 op_sel:[0,1,0] op_sel_hi:[0,1,0]
	v_fma_mix_f32 v9, v20, v13, v9 op_sel_hi:[0,1,0]
	s_delay_alu instid0(VALU_DEP_1)
	v_fma_mix_f32 v9, v21, v13, v9 op_sel:[0,1,0] op_sel_hi:[0,1,0]
	s_cbranch_scc0 .LBB497_29
; %bb.30:                               ;   in Loop: Header=BB497_23 Depth=1
	s_mov_b32 s14, s9
.LBB497_31:                             ;   in Loop: Header=BB497_23 Depth=1
	s_and_not1_b32 vcc_lo, exec_lo, s10
	s_wait_alu 0xfffe
	s_cbranch_vccnz .LBB497_21
; %bb.32:                               ;   in Loop: Header=BB497_23 Depth=1
	s_lshl_b32 s17, s14, 1
	s_lshl_b32 s14, s14, 2
	s_wait_alu 0xfffe
	v_add_co_u32 v5, vcc_lo, v7, s17
	s_wait_alu 0xfffd
	v_add_co_ci_u32_e64 v6, null, 0, v8, vcc_lo
	s_mov_b32 s17, s7
.LBB497_33:                             ;   Parent Loop BB497_23 Depth=1
                                        ; =>  This Inner Loop Header: Depth=2
	global_load_u16 v10, v[5:6], off
	v_mov_b32_e32 v11, s14
	v_add_co_u32 v5, vcc_lo, v5, 2
	s_wait_alu 0xfffd
	v_add_co_ci_u32_e64 v6, null, 0, v6, vcc_lo
	ds_load_b32 v11, v11
	s_wait_alu 0xfffe
	s_add_co_i32 s17, s17, -1
	s_add_co_i32 s14, s14, 4
	s_wait_alu 0xfffe
	s_cmp_lg_u32 s17, 0
	s_wait_loadcnt_dscnt 0x0
	v_fma_mix_f32 v9, v11, v10, v9 op_sel_hi:[0,1,0]
	s_cbranch_scc1 .LBB497_33
	s_branch .LBB497_21
.LBB497_34:
	s_endpgm
	.section	.rodata,"a",@progbits
	.p2align	6, 0x0
	.amdhsa_kernel _ZL22rocblas_gemvtsm_kernelILb1ELi256EDF16_ffEviiT2_lPKT1_lilS3_lilS0_lPT3_lil
		.amdhsa_group_segment_fixed_size 256
		.amdhsa_private_segment_fixed_size 0
		.amdhsa_kernarg_size 136
		.amdhsa_user_sgpr_count 2
		.amdhsa_user_sgpr_dispatch_ptr 0
		.amdhsa_user_sgpr_queue_ptr 0
		.amdhsa_user_sgpr_kernarg_segment_ptr 1
		.amdhsa_user_sgpr_dispatch_id 0
		.amdhsa_user_sgpr_private_segment_size 0
		.amdhsa_wavefront_size32 1
		.amdhsa_uses_dynamic_stack 0
		.amdhsa_enable_private_segment 0
		.amdhsa_system_sgpr_workgroup_id_x 1
		.amdhsa_system_sgpr_workgroup_id_y 0
		.amdhsa_system_sgpr_workgroup_id_z 0
		.amdhsa_system_sgpr_workgroup_info 0
		.amdhsa_system_vgpr_workitem_id 0
		.amdhsa_next_free_vgpr 22
		.amdhsa_next_free_sgpr 26
		.amdhsa_reserve_vcc 1
		.amdhsa_float_round_mode_32 0
		.amdhsa_float_round_mode_16_64 0
		.amdhsa_float_denorm_mode_32 3
		.amdhsa_float_denorm_mode_16_64 3
		.amdhsa_fp16_overflow 0
		.amdhsa_workgroup_processor_mode 1
		.amdhsa_memory_ordered 1
		.amdhsa_forward_progress 1
		.amdhsa_inst_pref_size 12
		.amdhsa_round_robin_scheduling 0
		.amdhsa_exception_fp_ieee_invalid_op 0
		.amdhsa_exception_fp_denorm_src 0
		.amdhsa_exception_fp_ieee_div_zero 0
		.amdhsa_exception_fp_ieee_overflow 0
		.amdhsa_exception_fp_ieee_underflow 0
		.amdhsa_exception_fp_ieee_inexact 0
		.amdhsa_exception_int_div_zero 0
	.end_amdhsa_kernel
	.section	.text._ZL22rocblas_gemvtsm_kernelILb1ELi256EDF16_ffEviiT2_lPKT1_lilS3_lilS0_lPT3_lil,"axG",@progbits,_ZL22rocblas_gemvtsm_kernelILb1ELi256EDF16_ffEviiT2_lPKT1_lilS3_lilS0_lPT3_lil,comdat
.Lfunc_end497:
	.size	_ZL22rocblas_gemvtsm_kernelILb1ELi256EDF16_ffEviiT2_lPKT1_lilS3_lilS0_lPT3_lil, .Lfunc_end497-_ZL22rocblas_gemvtsm_kernelILb1ELi256EDF16_ffEviiT2_lPKT1_lilS3_lilS0_lPT3_lil
                                        ; -- End function
	.set _ZL22rocblas_gemvtsm_kernelILb1ELi256EDF16_ffEviiT2_lPKT1_lilS3_lilS0_lPT3_lil.num_vgpr, 22
	.set _ZL22rocblas_gemvtsm_kernelILb1ELi256EDF16_ffEviiT2_lPKT1_lilS3_lilS0_lPT3_lil.num_agpr, 0
	.set _ZL22rocblas_gemvtsm_kernelILb1ELi256EDF16_ffEviiT2_lPKT1_lilS3_lilS0_lPT3_lil.numbered_sgpr, 26
	.set _ZL22rocblas_gemvtsm_kernelILb1ELi256EDF16_ffEviiT2_lPKT1_lilS3_lilS0_lPT3_lil.num_named_barrier, 0
	.set _ZL22rocblas_gemvtsm_kernelILb1ELi256EDF16_ffEviiT2_lPKT1_lilS3_lilS0_lPT3_lil.private_seg_size, 0
	.set _ZL22rocblas_gemvtsm_kernelILb1ELi256EDF16_ffEviiT2_lPKT1_lilS3_lilS0_lPT3_lil.uses_vcc, 1
	.set _ZL22rocblas_gemvtsm_kernelILb1ELi256EDF16_ffEviiT2_lPKT1_lilS3_lilS0_lPT3_lil.uses_flat_scratch, 0
	.set _ZL22rocblas_gemvtsm_kernelILb1ELi256EDF16_ffEviiT2_lPKT1_lilS3_lilS0_lPT3_lil.has_dyn_sized_stack, 0
	.set _ZL22rocblas_gemvtsm_kernelILb1ELi256EDF16_ffEviiT2_lPKT1_lilS3_lilS0_lPT3_lil.has_recursion, 0
	.set _ZL22rocblas_gemvtsm_kernelILb1ELi256EDF16_ffEviiT2_lPKT1_lilS3_lilS0_lPT3_lil.has_indirect_call, 0
	.section	.AMDGPU.csdata,"",@progbits
; Kernel info:
; codeLenInByte = 1472
; TotalNumSgprs: 28
; NumVgprs: 22
; ScratchSize: 0
; MemoryBound: 0
; FloatMode: 240
; IeeeMode: 1
; LDSByteSize: 256 bytes/workgroup (compile time only)
; SGPRBlocks: 0
; VGPRBlocks: 2
; NumSGPRsForWavesPerEU: 28
; NumVGPRsForWavesPerEU: 22
; Occupancy: 16
; WaveLimiterHint : 1
; COMPUTE_PGM_RSRC2:SCRATCH_EN: 0
; COMPUTE_PGM_RSRC2:USER_SGPR: 2
; COMPUTE_PGM_RSRC2:TRAP_HANDLER: 0
; COMPUTE_PGM_RSRC2:TGID_X_EN: 1
; COMPUTE_PGM_RSRC2:TGID_Y_EN: 0
; COMPUTE_PGM_RSRC2:TGID_Z_EN: 0
; COMPUTE_PGM_RSRC2:TIDIG_COMP_CNT: 0
	.section	.text._ZL20rocblas_gemvt_kernelILb1ELi256EDF16_PKffEviiT2_lPKT1_lilS5_lilS2_lPT3_lili,"axG",@progbits,_ZL20rocblas_gemvt_kernelILb1ELi256EDF16_PKffEviiT2_lPKT1_lilS5_lilS2_lPT3_lili,comdat
	.globl	_ZL20rocblas_gemvt_kernelILb1ELi256EDF16_PKffEviiT2_lPKT1_lilS5_lilS2_lPT3_lili ; -- Begin function _ZL20rocblas_gemvt_kernelILb1ELi256EDF16_PKffEviiT2_lPKT1_lilS5_lilS2_lPT3_lili
	.p2align	8
	.type	_ZL20rocblas_gemvt_kernelILb1ELi256EDF16_PKffEviiT2_lPKT1_lilS5_lilS2_lPT3_lili,@function
_ZL20rocblas_gemvt_kernelILb1ELi256EDF16_PKffEviiT2_lPKT1_lilS5_lilS2_lPT3_lili: ; @_ZL20rocblas_gemvt_kernelILb1ELi256EDF16_PKffEviiT2_lPKT1_lilS5_lilS2_lPT3_lili
; %bb.0:
	s_load_b32 s33, s[0:1], 0x88
	s_lshr_b32 s10, ttmp7, 16
	s_wait_kmcnt 0x0
	s_cmp_ge_u32 s10, s33
	s_cbranch_scc1 .LBB498_41
; %bb.1:
	s_clause 0x7
	s_load_b32 s8, s[0:1], 0x28
	s_load_b96 s[4:6], s[0:1], 0x40
	s_load_b96 s[36:38], s[0:1], 0x70
	s_load_b256 s[12:19], s[0:1], 0x8
	s_load_b32 s7, s[0:1], 0x0
	s_load_b128 s[28:31], s[0:1], 0x30
	s_load_b256 s[20:27], s[0:1], 0x50
	s_load_b64 s[34:35], s[0:1], 0x80
	s_mov_b32 s2, ttmp9
	s_ashr_i32 s3, ttmp9, 31
	v_lshlrev_b32_e32 v13, 2, v0
	s_mov_b32 s11, 0
	v_mov_b32_e32 v10, 0
	s_wait_kmcnt 0x0
	s_ashr_i32 s9, s8, 31
	s_lshl_b64 s[0:1], s[4:5], 1
	s_lshl_b64 s[4:5], s[36:37], 2
	;; [unrolled: 1-line block ×3, first 2 shown]
	v_cmp_gt_i32_e32 vcc_lo, s7, v0
	s_ashr_i32 s39, s38, 31
	s_add_nc_u64 s[26:27], s[26:27], s[4:5]
	s_add_nc_u64 s[4:5], s[16:17], s[42:43]
	s_mul_u64 s[44:45], s[38:39], s[2:3]
	v_cndmask_b32_e32 v1, 0, v0, vcc_lo
	s_mul_u64 s[2:3], s[8:9], s[2:3]
	s_add_nc_u64 s[18:19], s[30:31], s[0:1]
	s_ashr_i32 s1, s7, 31
	s_lshl_b64 s[38:39], s[2:3], 1
	v_lshlrev_b32_e32 v3, 1, v1
	s_lshr_b32 s1, s1, 24
	s_add_nc_u64 s[42:43], s[38:39], s[42:43]
	s_add_co_i32 s1, s7, s1
	s_ashr_i32 s41, s6, 31
	v_add_co_u32 v1, s4, s4, v3
	s_wait_alu 0xf1ff
	v_add_co_ci_u32_e64 v2, null, s5, 0, s4
	s_and_b32 s30, s1, 0xffffff00
	v_add_co_u32 v11, vcc_lo, v1, s38
	s_wait_alu 0xfffd
	v_add_co_ci_u32_e64 v12, null, s39, v2, vcc_lo
	v_mad_co_i64_i32 v[1:2], null, s6, v0, 0
	v_or_b32_e32 v4, s30, v0
	s_mov_b32 s40, s6
	v_cmp_eq_u32_e64 s0, 0, v0
	s_cmp_gt_i32 s7, 0xff
	v_cmp_gt_u32_e64 s2, 0x80, v0
	v_cmp_gt_i32_e64 s1, s7, v4
	v_lshlrev_b64_e32 v[1:2], 1, v[1:2]
	v_mad_co_i64_i32 v[4:5], null, s6, v4, 0
	v_cmp_gt_u32_e64 s3, 64, v0
	v_cmp_gt_u32_e64 s4, 32, v0
	;; [unrolled: 1-line block ×6, first 2 shown]
	v_add_co_u32 v0, vcc_lo, s18, v1
	s_add_nc_u64 s[16:17], s[16:17], s[42:43]
	s_wait_alu 0xfffd
	v_add_co_ci_u32_e64 v1, null, s19, v2, vcc_lo
	v_add_co_u32 v2, s9, s16, v3
	v_lshlrev_b64_e32 v[4:5], 1, v[4:5]
	v_add_co_ci_u32_e64 v3, null, s17, 0, s9
	s_cselect_b32 s46, -1, 0
	s_ashr_i32 s31, s30, 31
	s_lshl_b64 s[36:37], s[20:21], 1
	s_lshl_b64 s[38:39], s[40:41], 9
	;; [unrolled: 1-line block ×4, first 2 shown]
	s_wait_alu 0xfffe
	s_lshl_b64 s[42:43], s[30:31], 1
	s_branch .LBB498_4
.LBB498_2:                              ;   in Loop: Header=BB498_4 Depth=1
	s_wait_alu 0xfffe
	s_or_b32 exec_lo, exec_lo, s31
.LBB498_3:                              ;   in Loop: Header=BB498_4 Depth=1
	s_add_co_i32 s10, s10, 0x10000
	s_wait_alu 0xfffe
	s_cmp_lt_u32 s10, s33
	s_cbranch_scc0 .LBB498_41
.LBB498_4:                              ; =>This Loop Header: Depth=1
                                        ;     Child Loop BB498_15 Depth 2
	s_mul_u64 s[44:45], s[14:15], s[10:11]
	s_mul_u64 s[48:49], s[24:25], s[10:11]
	s_lshl_b64 s[44:45], s[44:45], 2
	s_wait_alu 0xfffe
	s_lshl_b64 s[48:49], s[48:49], 2
	s_add_nc_u64 s[44:45], s[12:13], s[44:45]
	s_wait_alu 0xfffe
	s_add_nc_u64 s[48:49], s[22:23], s[48:49]
	s_clause 0x1
	global_load_b32 v15, v10, s[44:45]
	global_load_b32 v14, v10, s[48:49]
	s_wait_loadcnt 0x1
	v_cmp_eq_f32_e32 vcc_lo, 0, v15
	s_wait_loadcnt 0x0
	v_cmp_eq_f32_e64 s9, 1.0, v14
	s_and_b32 s9, vcc_lo, s9
	s_wait_alu 0xfffe
	s_and_b32 vcc_lo, exec_lo, s9
	s_wait_alu 0xfffe
	s_cbranch_vccnz .LBB498_3
; %bb.5:                                ;   in Loop: Header=BB498_4 Depth=1
	v_cmp_neq_f32_e32 vcc_lo, 0, v15
	s_mul_u64 s[44:45], s[34:35], s[10:11]
	s_delay_alu instid0(SALU_CYCLE_1) | instskip(NEXT) | instid1(SALU_CYCLE_1)
	s_lshl_b64 s[44:45], s[44:45], 2
	s_add_nc_u64 s[44:45], s[26:27], s[44:45]
	s_cbranch_vccnz .LBB498_9
; %bb.6:                                ;   in Loop: Header=BB498_4 Depth=1
	s_mov_b32 s31, 0
	s_mov_b32 s9, 0
                                        ; implicit-def: $vgpr6
	s_and_saveexec_b32 s47, s0
	s_cbranch_execz .LBB498_10
; %bb.7:                                ;   in Loop: Header=BB498_4 Depth=1
	v_cmp_eq_f32_e32 vcc_lo, 0, v14
	s_cbranch_vccnz .LBB498_11
; %bb.8:                                ;   in Loop: Header=BB498_4 Depth=1
	s_add_nc_u64 s[48:49], s[44:45], s[40:41]
	global_load_b32 v6, v10, s[48:49]
	s_wait_loadcnt 0x0
	v_mul_f32_e32 v6, v14, v6
	s_branch .LBB498_12
.LBB498_9:                              ;   in Loop: Header=BB498_4 Depth=1
	s_mov_b32 s9, 0
                                        ; implicit-def: $vgpr6
	s_cbranch_execnz .LBB498_13
	s_branch .LBB498_39
.LBB498_10:                             ;   in Loop: Header=BB498_4 Depth=1
	s_or_b32 exec_lo, exec_lo, s47
	s_wait_alu 0xfffe
	s_and_b32 vcc_lo, exec_lo, s31
	s_wait_alu 0xfffe
	s_cbranch_vccnz .LBB498_13
	s_branch .LBB498_39
.LBB498_11:                             ;   in Loop: Header=BB498_4 Depth=1
	v_mov_b32_e32 v6, 0
.LBB498_12:                             ;   in Loop: Header=BB498_4 Depth=1
	s_mov_b32 s9, exec_lo
	s_or_b32 exec_lo, exec_lo, s47
	s_wait_alu 0xfffe
	s_and_b32 vcc_lo, exec_lo, s31
	s_wait_alu 0xfffe
	s_cbranch_vccz .LBB498_39
.LBB498_13:                             ;   in Loop: Header=BB498_4 Depth=1
	v_mov_b32_e32 v16, 0
	s_and_not1_b32 vcc_lo, exec_lo, s46
	s_wait_alu 0xfffe
	s_cbranch_vccnz .LBB498_16
; %bb.14:                               ;   in Loop: Header=BB498_4 Depth=1
	v_mad_co_u64_u32 v[6:7], null, s36, s10, v[0:1]
	v_mad_co_u64_u32 v[8:9], null, s16, s10, v[2:3]
	s_mov_b32 s31, 0
	v_mad_co_u64_u32 v[16:17], null, s37, s10, v[7:8]
	v_mad_co_u64_u32 v[17:18], null, s17, s10, v[9:10]
	s_delay_alu instid0(VALU_DEP_2) | instskip(NEXT) | instid1(VALU_DEP_2)
	v_dual_mov_b32 v7, v16 :: v_dual_mov_b32 v16, 0
	v_mov_b32_e32 v9, v17
.LBB498_15:                             ;   Parent Loop BB498_4 Depth=1
                                        ; =>  This Inner Loop Header: Depth=2
	global_load_u16 v17, v[8:9], off
	global_load_u16 v18, v[6:7], off
	v_add_co_u32 v6, vcc_lo, v6, s38
	s_wait_alu 0xfffd
	v_add_co_ci_u32_e64 v7, null, s39, v7, vcc_lo
	v_add_co_u32 v8, vcc_lo, 0x200, v8
	s_wait_alu 0xfffd
	v_add_co_ci_u32_e64 v9, null, 0, v9, vcc_lo
	s_wait_alu 0xfffe
	s_addk_co_i32 s31, 0x100
	s_wait_alu 0xfffe
	s_cmp_ge_i32 s31, s30
	s_wait_loadcnt 0x0
	v_mul_f16_e32 v17, v17, v18
	s_delay_alu instid0(VALU_DEP_1) | instskip(NEXT) | instid1(VALU_DEP_1)
	v_cvt_f32_f16_e32 v17, v17
	v_add_f32_e32 v16, v16, v17
	s_cbranch_scc0 .LBB498_15
.LBB498_16:                             ;   in Loop: Header=BB498_4 Depth=1
	s_and_saveexec_b32 s31, s1
	s_cbranch_execz .LBB498_18
; %bb.17:                               ;   in Loop: Header=BB498_4 Depth=1
	s_mul_u64 s[48:49], s[28:29], s[10:11]
	s_mul_u64 s[50:51], s[20:21], s[10:11]
	s_wait_alu 0xfffe
	s_lshl_b64 s[48:49], s[48:49], 1
	s_lshl_b64 s[50:51], s[50:51], 1
	s_wait_alu 0xfffe
	v_add_co_u32 v6, vcc_lo, v11, s48
	s_wait_alu 0xfffd
	v_add_co_ci_u32_e64 v7, null, s49, v12, vcc_lo
	s_add_nc_u64 s[48:49], s[18:19], s[50:51]
	v_add_co_u32 v6, vcc_lo, v6, s42
	s_wait_alu 0xfffd
	v_add_co_ci_u32_e64 v7, null, s43, v7, vcc_lo
	s_wait_alu 0xfffe
	v_add_co_u32 v8, vcc_lo, s48, v4
	s_wait_alu 0xfffd
	v_add_co_ci_u32_e64 v9, null, s49, v5, vcc_lo
	global_load_u16 v6, v[6:7], off
	global_load_u16 v7, v[8:9], off
	s_wait_loadcnt 0x0
	v_mul_f16_e32 v6, v6, v7
	s_delay_alu instid0(VALU_DEP_1) | instskip(NEXT) | instid1(VALU_DEP_1)
	v_cvt_f32_f16_e32 v6, v6
	v_add_f32_e32 v16, v16, v6
.LBB498_18:                             ;   in Loop: Header=BB498_4 Depth=1
	s_wait_alu 0xfffe
	s_or_b32 exec_lo, exec_lo, s31
	ds_store_b32 v13, v16
	s_wait_dscnt 0x0
	s_barrier_signal -1
	s_barrier_wait -1
	global_inv scope:SCOPE_SE
	s_and_saveexec_b32 s31, s2
	s_cbranch_execz .LBB498_20
; %bb.19:                               ;   in Loop: Header=BB498_4 Depth=1
	ds_load_2addr_stride64_b32 v[6:7], v13 offset1:2
	s_wait_dscnt 0x0
	v_add_f32_e32 v6, v7, v6
	ds_store_b32 v13, v6
.LBB498_20:                             ;   in Loop: Header=BB498_4 Depth=1
	s_wait_alu 0xfffe
	s_or_b32 exec_lo, exec_lo, s31
	s_wait_loadcnt_dscnt 0x0
	s_barrier_signal -1
	s_barrier_wait -1
	global_inv scope:SCOPE_SE
	s_and_saveexec_b32 s31, s3
	s_cbranch_execz .LBB498_22
; %bb.21:                               ;   in Loop: Header=BB498_4 Depth=1
	ds_load_2addr_stride64_b32 v[6:7], v13 offset1:1
	s_wait_dscnt 0x0
	v_add_f32_e32 v6, v7, v6
	ds_store_b32 v13, v6
.LBB498_22:                             ;   in Loop: Header=BB498_4 Depth=1
	s_wait_alu 0xfffe
	s_or_b32 exec_lo, exec_lo, s31
	s_wait_loadcnt_dscnt 0x0
	s_barrier_signal -1
	s_barrier_wait -1
	global_inv scope:SCOPE_SE
	s_and_saveexec_b32 s31, s4
	s_cbranch_execz .LBB498_24
; %bb.23:                               ;   in Loop: Header=BB498_4 Depth=1
	ds_load_2addr_b32 v[6:7], v13 offset1:32
	s_wait_dscnt 0x0
	v_add_f32_e32 v6, v7, v6
	ds_store_b32 v13, v6
.LBB498_24:                             ;   in Loop: Header=BB498_4 Depth=1
	s_wait_alu 0xfffe
	s_or_b32 exec_lo, exec_lo, s31
	s_wait_loadcnt_dscnt 0x0
	s_barrier_signal -1
	s_barrier_wait -1
	global_inv scope:SCOPE_SE
	s_and_saveexec_b32 s31, s5
	s_cbranch_execz .LBB498_26
; %bb.25:                               ;   in Loop: Header=BB498_4 Depth=1
	ds_load_2addr_b32 v[6:7], v13 offset1:16
	s_wait_dscnt 0x0
	v_add_f32_e32 v6, v7, v6
	ds_store_b32 v13, v6
.LBB498_26:                             ;   in Loop: Header=BB498_4 Depth=1
	;; [unrolled: 14-line block ×5, first 2 shown]
	s_wait_alu 0xfffe
	s_or_b32 exec_lo, exec_lo, s31
	s_wait_loadcnt_dscnt 0x0
	s_barrier_signal -1
	s_barrier_wait -1
	global_inv scope:SCOPE_SE
	s_and_saveexec_b32 s31, s0
	s_cbranch_execz .LBB498_34
; %bb.33:                               ;   in Loop: Header=BB498_4 Depth=1
	ds_load_b64 v[6:7], v10
	s_wait_dscnt 0x0
	v_add_f32_e32 v6, v7, v6
	ds_store_b32 v10, v6
.LBB498_34:                             ;   in Loop: Header=BB498_4 Depth=1
	s_wait_alu 0xfffe
	s_or_b32 exec_lo, exec_lo, s31
	s_wait_loadcnt_dscnt 0x0
	s_barrier_signal -1
	s_barrier_wait -1
	global_inv scope:SCOPE_SE
                                        ; implicit-def: $vgpr6
	s_and_saveexec_b32 s31, s0
	s_cbranch_execz .LBB498_38
; %bb.35:                               ;   in Loop: Header=BB498_4 Depth=1
	ds_load_b32 v6, v10
	v_cmp_eq_f32_e32 vcc_lo, 0, v14
	s_wait_dscnt 0x0
	v_mul_f32_e32 v6, v15, v6
	s_cbranch_vccnz .LBB498_37
; %bb.36:                               ;   in Loop: Header=BB498_4 Depth=1
	s_add_nc_u64 s[48:49], s[44:45], s[40:41]
	global_load_b32 v7, v10, s[48:49]
	s_wait_loadcnt 0x0
	v_fmac_f32_e32 v6, v14, v7
.LBB498_37:                             ;   in Loop: Header=BB498_4 Depth=1
	s_or_b32 s9, s9, exec_lo
.LBB498_38:                             ;   in Loop: Header=BB498_4 Depth=1
	s_wait_alu 0xfffe
	s_or_b32 exec_lo, exec_lo, s31
.LBB498_39:                             ;   in Loop: Header=BB498_4 Depth=1
	s_wait_alu 0xfffe
	s_and_saveexec_b32 s31, s9
	s_cbranch_execz .LBB498_2
; %bb.40:                               ;   in Loop: Header=BB498_4 Depth=1
	s_add_nc_u64 s[44:45], s[44:45], s[40:41]
	global_store_b32 v10, v6, s[44:45]
	s_branch .LBB498_2
.LBB498_41:
	s_endpgm
	.section	.rodata,"a",@progbits
	.p2align	6, 0x0
	.amdhsa_kernel _ZL20rocblas_gemvt_kernelILb1ELi256EDF16_PKffEviiT2_lPKT1_lilS5_lilS2_lPT3_lili
		.amdhsa_group_segment_fixed_size 1024
		.amdhsa_private_segment_fixed_size 0
		.amdhsa_kernarg_size 140
		.amdhsa_user_sgpr_count 2
		.amdhsa_user_sgpr_dispatch_ptr 0
		.amdhsa_user_sgpr_queue_ptr 0
		.amdhsa_user_sgpr_kernarg_segment_ptr 1
		.amdhsa_user_sgpr_dispatch_id 0
		.amdhsa_user_sgpr_private_segment_size 0
		.amdhsa_wavefront_size32 1
		.amdhsa_uses_dynamic_stack 0
		.amdhsa_enable_private_segment 0
		.amdhsa_system_sgpr_workgroup_id_x 1
		.amdhsa_system_sgpr_workgroup_id_y 0
		.amdhsa_system_sgpr_workgroup_id_z 1
		.amdhsa_system_sgpr_workgroup_info 0
		.amdhsa_system_vgpr_workitem_id 0
		.amdhsa_next_free_vgpr 19
		.amdhsa_next_free_sgpr 52
		.amdhsa_reserve_vcc 1
		.amdhsa_float_round_mode_32 0
		.amdhsa_float_round_mode_16_64 0
		.amdhsa_float_denorm_mode_32 3
		.amdhsa_float_denorm_mode_16_64 3
		.amdhsa_fp16_overflow 0
		.amdhsa_workgroup_processor_mode 1
		.amdhsa_memory_ordered 1
		.amdhsa_forward_progress 1
		.amdhsa_inst_pref_size 14
		.amdhsa_round_robin_scheduling 0
		.amdhsa_exception_fp_ieee_invalid_op 0
		.amdhsa_exception_fp_denorm_src 0
		.amdhsa_exception_fp_ieee_div_zero 0
		.amdhsa_exception_fp_ieee_overflow 0
		.amdhsa_exception_fp_ieee_underflow 0
		.amdhsa_exception_fp_ieee_inexact 0
		.amdhsa_exception_int_div_zero 0
	.end_amdhsa_kernel
	.section	.text._ZL20rocblas_gemvt_kernelILb1ELi256EDF16_PKffEviiT2_lPKT1_lilS5_lilS2_lPT3_lili,"axG",@progbits,_ZL20rocblas_gemvt_kernelILb1ELi256EDF16_PKffEviiT2_lPKT1_lilS5_lilS2_lPT3_lili,comdat
.Lfunc_end498:
	.size	_ZL20rocblas_gemvt_kernelILb1ELi256EDF16_PKffEviiT2_lPKT1_lilS5_lilS2_lPT3_lili, .Lfunc_end498-_ZL20rocblas_gemvt_kernelILb1ELi256EDF16_PKffEviiT2_lPKT1_lilS5_lilS2_lPT3_lili
                                        ; -- End function
	.set _ZL20rocblas_gemvt_kernelILb1ELi256EDF16_PKffEviiT2_lPKT1_lilS5_lilS2_lPT3_lili.num_vgpr, 19
	.set _ZL20rocblas_gemvt_kernelILb1ELi256EDF16_PKffEviiT2_lPKT1_lilS5_lilS2_lPT3_lili.num_agpr, 0
	.set _ZL20rocblas_gemvt_kernelILb1ELi256EDF16_PKffEviiT2_lPKT1_lilS5_lilS2_lPT3_lili.numbered_sgpr, 52
	.set _ZL20rocblas_gemvt_kernelILb1ELi256EDF16_PKffEviiT2_lPKT1_lilS5_lilS2_lPT3_lili.num_named_barrier, 0
	.set _ZL20rocblas_gemvt_kernelILb1ELi256EDF16_PKffEviiT2_lPKT1_lilS5_lilS2_lPT3_lili.private_seg_size, 0
	.set _ZL20rocblas_gemvt_kernelILb1ELi256EDF16_PKffEviiT2_lPKT1_lilS5_lilS2_lPT3_lili.uses_vcc, 1
	.set _ZL20rocblas_gemvt_kernelILb1ELi256EDF16_PKffEviiT2_lPKT1_lilS5_lilS2_lPT3_lili.uses_flat_scratch, 0
	.set _ZL20rocblas_gemvt_kernelILb1ELi256EDF16_PKffEviiT2_lPKT1_lilS5_lilS2_lPT3_lili.has_dyn_sized_stack, 0
	.set _ZL20rocblas_gemvt_kernelILb1ELi256EDF16_PKffEviiT2_lPKT1_lilS5_lilS2_lPT3_lili.has_recursion, 0
	.set _ZL20rocblas_gemvt_kernelILb1ELi256EDF16_PKffEviiT2_lPKT1_lilS5_lilS2_lPT3_lili.has_indirect_call, 0
	.section	.AMDGPU.csdata,"",@progbits
; Kernel info:
; codeLenInByte = 1676
; TotalNumSgprs: 54
; NumVgprs: 19
; ScratchSize: 0
; MemoryBound: 0
; FloatMode: 240
; IeeeMode: 1
; LDSByteSize: 1024 bytes/workgroup (compile time only)
; SGPRBlocks: 0
; VGPRBlocks: 2
; NumSGPRsForWavesPerEU: 54
; NumVGPRsForWavesPerEU: 19
; Occupancy: 16
; WaveLimiterHint : 0
; COMPUTE_PGM_RSRC2:SCRATCH_EN: 0
; COMPUTE_PGM_RSRC2:USER_SGPR: 2
; COMPUTE_PGM_RSRC2:TRAP_HANDLER: 0
; COMPUTE_PGM_RSRC2:TGID_X_EN: 1
; COMPUTE_PGM_RSRC2:TGID_Y_EN: 0
; COMPUTE_PGM_RSRC2:TGID_Z_EN: 1
; COMPUTE_PGM_RSRC2:TIDIG_COMP_CNT: 0
	.section	.text._ZL20rocblas_gemvt_kernelILb1ELi256EDF16_ffEviiT2_lPKT1_lilS3_lilS0_lPT3_lili,"axG",@progbits,_ZL20rocblas_gemvt_kernelILb1ELi256EDF16_ffEviiT2_lPKT1_lilS3_lilS0_lPT3_lili,comdat
	.globl	_ZL20rocblas_gemvt_kernelILb1ELi256EDF16_ffEviiT2_lPKT1_lilS3_lilS0_lPT3_lili ; -- Begin function _ZL20rocblas_gemvt_kernelILb1ELi256EDF16_ffEviiT2_lPKT1_lilS3_lilS0_lPT3_lili
	.p2align	8
	.type	_ZL20rocblas_gemvt_kernelILb1ELi256EDF16_ffEviiT2_lPKT1_lilS3_lilS0_lPT3_lili,@function
_ZL20rocblas_gemvt_kernelILb1ELi256EDF16_ffEviiT2_lPKT1_lilS3_lilS0_lPT3_lili: ; @_ZL20rocblas_gemvt_kernelILb1ELi256EDF16_ffEviiT2_lPKT1_lilS3_lilS0_lPT3_lili
; %bb.0:
	s_load_b32 s9, s[0:1], 0x88
	s_lshr_b32 s10, ttmp7, 16
	s_wait_kmcnt 0x0
	s_cmp_ge_u32 s10, s9
	s_cbranch_scc1 .LBB499_41
; %bb.1:
	s_clause 0x9
	s_load_b32 s26, s[0:1], 0x28
	s_load_b96 s[4:6], s[0:1], 0x40
	s_load_b32 s34, s[0:1], 0x78
	s_load_b128 s[28:31], s[0:1], 0x68
	s_load_b128 s[16:19], s[0:1], 0x18
	s_load_b32 s23, s[0:1], 0x8
	s_load_b96 s[20:22], s[0:1], 0x50
	s_load_b32 s7, s[0:1], 0x0
	s_load_b128 s[12:15], s[0:1], 0x30
	s_load_b64 s[24:25], s[0:1], 0x80
	s_mov_b32 s2, ttmp9
	v_cmp_eq_u32_e64 s0, 0, v0
	v_lshlrev_b32_e32 v13, 2, v0
	v_cmp_gt_u32_e64 s8, 2, v0
	s_mov_b32 s11, 0
	s_wait_kmcnt 0x0
	s_ashr_i32 s27, s26, 31
	s_ashr_i32 s37, s6, 31
	;; [unrolled: 1-line block ×3, first 2 shown]
	s_lshl_b64 s[4:5], s[4:5], 1
	s_lshl_b64 s[30:31], s[30:31], 2
	;; [unrolled: 1-line block ×3, first 2 shown]
	s_cmp_eq_f32 s23, 0
	v_cmp_gt_i32_e32 vcc_lo, s7, v0
	v_mov_b32_e32 v10, 0
	s_add_nc_u64 s[14:15], s[14:15], s[4:5]
	s_cselect_b32 s33, -1, 0
	s_cmp_neq_f32 s23, 0
	v_cndmask_b32_e32 v1, 0, v0, vcc_lo
	s_add_nc_u64 s[4:5], s[16:17], s[38:39]
	s_add_nc_u64 s[18:19], s[28:29], s[30:31]
	s_cselect_b32 s1, -1, 0
	s_cmp_neq_f32 s22, 1.0
	v_lshlrev_b32_e32 v3, 1, v1
	s_mov_b32 s36, s6
	s_cselect_b32 s3, -1, 0
	s_delay_alu instid0(SALU_CYCLE_1)
	s_or_b32 s40, s1, s3
	s_cmp_neq_f32 s22, 0
	v_add_co_u32 v1, s4, s4, v3
	s_wait_alu 0xf1ff
	v_add_co_ci_u32_e64 v2, null, s5, 0, s4
	s_cselect_b32 s41, -1, 0
	s_ashr_i32 s3, ttmp9, 31
	s_ashr_i32 s1, s7, 31
	s_mul_u64 s[28:29], s[26:27], s[2:3]
	s_lshr_b32 s1, s1, 24
	s_lshl_b64 s[30:31], s[28:29], 1
	s_add_co_i32 s1, s7, s1
	v_add_co_u32 v11, vcc_lo, v1, s30
	s_wait_alu 0xfffd
	v_add_co_ci_u32_e64 v12, null, s31, v2, vcc_lo
	v_mad_co_i64_i32 v[1:2], null, s6, v0, 0
	s_and_b32 s26, s1, 0xffffff00
	s_add_nc_u64 s[38:39], s[30:31], s[38:39]
	v_or_b32_e32 v4, s26, v0
	s_mul_u64 s[34:35], s[34:35], s[2:3]
	s_cmp_gt_i32 s7, 0xff
	v_cmp_gt_u32_e64 s2, 0x80, v0
	v_lshlrev_b64_e32 v[1:2], 1, v[1:2]
	v_cmp_gt_i32_e64 s1, s7, v4
	v_mad_co_i64_i32 v[4:5], null, s6, v4, 0
	v_cmp_gt_u32_e64 s3, 64, v0
	v_cmp_gt_u32_e64 s4, 32, v0
	;; [unrolled: 1-line block ×5, first 2 shown]
	v_add_co_u32 v0, vcc_lo, s14, v1
	s_add_nc_u64 s[16:17], s[16:17], s[38:39]
	s_wait_alu 0xfffd
	v_add_co_ci_u32_e64 v1, null, s15, v2, vcc_lo
	v_add_co_u32 v2, s16, s16, v3
	v_lshlrev_b64_e32 v[4:5], 1, v[4:5]
	s_wait_alu 0xf1ff
	v_add_co_ci_u32_e64 v3, null, s17, 0, s16
	s_cselect_b32 s42, -1, 0
	s_ashr_i32 s27, s26, 31
	s_lshl_b64 s[28:29], s[20:21], 1
	s_lshl_b64 s[30:31], s[36:37], 9
	;; [unrolled: 1-line block ×4, first 2 shown]
	s_wait_alu 0xfffe
	s_lshl_b64 s[36:37], s[26:27], 1
	s_branch .LBB499_4
.LBB499_2:                              ;   in Loop: Header=BB499_4 Depth=1
	s_or_b32 exec_lo, exec_lo, s43
.LBB499_3:                              ;   in Loop: Header=BB499_4 Depth=1
	s_add_co_i32 s10, s10, 0x10000
	s_wait_alu 0xfffe
	s_cmp_lt_u32 s10, s9
	s_cbranch_scc0 .LBB499_41
.LBB499_4:                              ; =>This Loop Header: Depth=1
                                        ;     Child Loop BB499_15 Depth 2
	s_and_not1_b32 vcc_lo, exec_lo, s40
	s_wait_alu 0xfffe
	s_cbranch_vccnz .LBB499_3
; %bb.5:                                ;   in Loop: Header=BB499_4 Depth=1
	s_mul_u64 s[38:39], s[24:25], s[10:11]
	s_and_not1_b32 vcc_lo, exec_lo, s33
	s_lshl_b64 s[38:39], s[38:39], 2
	s_delay_alu instid0(SALU_CYCLE_1)
	s_add_nc_u64 s[38:39], s[18:19], s[38:39]
	s_wait_alu 0xfffe
	s_cbranch_vccnz .LBB499_9
; %bb.6:                                ;   in Loop: Header=BB499_4 Depth=1
	s_mov_b32 s43, 0
	s_mov_b32 s27, 0
                                        ; implicit-def: $vgpr6
	s_and_saveexec_b32 s44, s0
	s_cbranch_execz .LBB499_10
; %bb.7:                                ;   in Loop: Header=BB499_4 Depth=1
	s_and_not1_b32 vcc_lo, exec_lo, s41
	s_wait_alu 0xfffe
	s_cbranch_vccnz .LBB499_11
; %bb.8:                                ;   in Loop: Header=BB499_4 Depth=1
	s_add_nc_u64 s[46:47], s[38:39], s[34:35]
	global_load_b32 v6, v10, s[46:47]
	s_wait_loadcnt 0x0
	v_mul_f32_e32 v6, s22, v6
	s_branch .LBB499_12
.LBB499_9:                              ;   in Loop: Header=BB499_4 Depth=1
	s_mov_b32 s27, 0
                                        ; implicit-def: $vgpr6
	s_cbranch_execnz .LBB499_13
	s_branch .LBB499_39
.LBB499_10:                             ;   in Loop: Header=BB499_4 Depth=1
	s_wait_alu 0xfffe
	s_or_b32 exec_lo, exec_lo, s44
	s_delay_alu instid0(SALU_CYCLE_1)
	s_and_b32 vcc_lo, exec_lo, s43
	s_wait_alu 0xfffe
	s_cbranch_vccnz .LBB499_13
	s_branch .LBB499_39
.LBB499_11:                             ;   in Loop: Header=BB499_4 Depth=1
	v_mov_b32_e32 v6, 0
.LBB499_12:                             ;   in Loop: Header=BB499_4 Depth=1
	s_mov_b32 s27, exec_lo
	s_or_b32 exec_lo, exec_lo, s44
	s_delay_alu instid0(SALU_CYCLE_1)
	s_and_b32 vcc_lo, exec_lo, s43
	s_wait_alu 0xfffe
	s_cbranch_vccz .LBB499_39
.LBB499_13:                             ;   in Loop: Header=BB499_4 Depth=1
	v_mov_b32_e32 v14, 0
	s_and_not1_b32 vcc_lo, exec_lo, s42
	s_wait_alu 0xfffe
	s_cbranch_vccnz .LBB499_16
; %bb.14:                               ;   in Loop: Header=BB499_4 Depth=1
	v_mad_co_u64_u32 v[6:7], null, s28, s10, v[0:1]
	v_mad_co_u64_u32 v[8:9], null, s16, s10, v[2:3]
	s_mov_b32 s43, 0
	v_mad_co_u64_u32 v[14:15], null, s29, s10, v[7:8]
	v_mad_co_u64_u32 v[15:16], null, s17, s10, v[9:10]
	s_delay_alu instid0(VALU_DEP_2) | instskip(NEXT) | instid1(VALU_DEP_2)
	v_dual_mov_b32 v7, v14 :: v_dual_mov_b32 v14, 0
	v_mov_b32_e32 v9, v15
.LBB499_15:                             ;   Parent Loop BB499_4 Depth=1
                                        ; =>  This Inner Loop Header: Depth=2
	global_load_u16 v15, v[8:9], off
	global_load_u16 v16, v[6:7], off
	v_add_co_u32 v6, vcc_lo, v6, s30
	s_wait_alu 0xfffd
	v_add_co_ci_u32_e64 v7, null, s31, v7, vcc_lo
	v_add_co_u32 v8, vcc_lo, 0x200, v8
	s_wait_alu 0xfffd
	v_add_co_ci_u32_e64 v9, null, 0, v9, vcc_lo
	s_addk_co_i32 s43, 0x100
	s_delay_alu instid0(SALU_CYCLE_1) | instskip(SKIP_2) | instid1(VALU_DEP_1)
	s_cmp_ge_i32 s43, s26
	s_wait_loadcnt 0x0
	v_mul_f16_e32 v15, v15, v16
	v_cvt_f32_f16_e32 v15, v15
	s_delay_alu instid0(VALU_DEP_1)
	v_add_f32_e32 v14, v14, v15
	s_cbranch_scc0 .LBB499_15
.LBB499_16:                             ;   in Loop: Header=BB499_4 Depth=1
	s_and_saveexec_b32 s43, s1
	s_cbranch_execz .LBB499_18
; %bb.17:                               ;   in Loop: Header=BB499_4 Depth=1
	s_mul_u64 s[44:45], s[12:13], s[10:11]
	s_mul_u64 s[46:47], s[20:21], s[10:11]
	s_wait_alu 0xfffe
	s_lshl_b64 s[44:45], s[44:45], 1
	s_lshl_b64 s[46:47], s[46:47], 1
	s_wait_alu 0xfffe
	v_add_co_u32 v6, vcc_lo, v11, s44
	s_wait_alu 0xfffd
	v_add_co_ci_u32_e64 v7, null, s45, v12, vcc_lo
	s_add_nc_u64 s[44:45], s[14:15], s[46:47]
	v_add_co_u32 v6, vcc_lo, v6, s36
	s_wait_alu 0xfffd
	v_add_co_ci_u32_e64 v7, null, s37, v7, vcc_lo
	s_wait_alu 0xfffe
	v_add_co_u32 v8, vcc_lo, s44, v4
	s_wait_alu 0xfffd
	v_add_co_ci_u32_e64 v9, null, s45, v5, vcc_lo
	global_load_u16 v6, v[6:7], off
	global_load_u16 v7, v[8:9], off
	s_wait_loadcnt 0x0
	v_mul_f16_e32 v6, v6, v7
	s_delay_alu instid0(VALU_DEP_1) | instskip(NEXT) | instid1(VALU_DEP_1)
	v_cvt_f32_f16_e32 v6, v6
	v_add_f32_e32 v14, v14, v6
.LBB499_18:                             ;   in Loop: Header=BB499_4 Depth=1
	s_or_b32 exec_lo, exec_lo, s43
	ds_store_b32 v13, v14
	s_wait_dscnt 0x0
	s_barrier_signal -1
	s_barrier_wait -1
	global_inv scope:SCOPE_SE
	s_and_saveexec_b32 s43, s2
	s_cbranch_execz .LBB499_20
; %bb.19:                               ;   in Loop: Header=BB499_4 Depth=1
	ds_load_2addr_stride64_b32 v[6:7], v13 offset1:2
	s_wait_dscnt 0x0
	v_add_f32_e32 v6, v7, v6
	ds_store_b32 v13, v6
.LBB499_20:                             ;   in Loop: Header=BB499_4 Depth=1
	s_or_b32 exec_lo, exec_lo, s43
	s_wait_loadcnt_dscnt 0x0
	s_barrier_signal -1
	s_barrier_wait -1
	global_inv scope:SCOPE_SE
	s_and_saveexec_b32 s43, s3
	s_cbranch_execz .LBB499_22
; %bb.21:                               ;   in Loop: Header=BB499_4 Depth=1
	ds_load_2addr_stride64_b32 v[6:7], v13 offset1:1
	s_wait_dscnt 0x0
	v_add_f32_e32 v6, v7, v6
	ds_store_b32 v13, v6
.LBB499_22:                             ;   in Loop: Header=BB499_4 Depth=1
	s_or_b32 exec_lo, exec_lo, s43
	s_wait_loadcnt_dscnt 0x0
	s_barrier_signal -1
	s_barrier_wait -1
	global_inv scope:SCOPE_SE
	s_and_saveexec_b32 s43, s4
	s_cbranch_execz .LBB499_24
; %bb.23:                               ;   in Loop: Header=BB499_4 Depth=1
	ds_load_2addr_b32 v[6:7], v13 offset1:32
	s_wait_dscnt 0x0
	v_add_f32_e32 v6, v7, v6
	ds_store_b32 v13, v6
.LBB499_24:                             ;   in Loop: Header=BB499_4 Depth=1
	s_or_b32 exec_lo, exec_lo, s43
	s_wait_loadcnt_dscnt 0x0
	s_barrier_signal -1
	s_barrier_wait -1
	global_inv scope:SCOPE_SE
	s_and_saveexec_b32 s43, s5
	s_cbranch_execz .LBB499_26
; %bb.25:                               ;   in Loop: Header=BB499_4 Depth=1
	ds_load_2addr_b32 v[6:7], v13 offset1:16
	s_wait_dscnt 0x0
	v_add_f32_e32 v6, v7, v6
	ds_store_b32 v13, v6
.LBB499_26:                             ;   in Loop: Header=BB499_4 Depth=1
	;; [unrolled: 13-line block ×5, first 2 shown]
	s_or_b32 exec_lo, exec_lo, s43
	s_wait_loadcnt_dscnt 0x0
	s_barrier_signal -1
	s_barrier_wait -1
	global_inv scope:SCOPE_SE
	s_and_saveexec_b32 s43, s0
	s_cbranch_execz .LBB499_34
; %bb.33:                               ;   in Loop: Header=BB499_4 Depth=1
	ds_load_b64 v[6:7], v10
	s_wait_dscnt 0x0
	v_add_f32_e32 v6, v7, v6
	ds_store_b32 v10, v6
.LBB499_34:                             ;   in Loop: Header=BB499_4 Depth=1
	s_or_b32 exec_lo, exec_lo, s43
	s_wait_loadcnt_dscnt 0x0
	s_barrier_signal -1
	s_barrier_wait -1
	global_inv scope:SCOPE_SE
                                        ; implicit-def: $vgpr6
	s_and_saveexec_b32 s43, s0
	s_cbranch_execz .LBB499_38
; %bb.35:                               ;   in Loop: Header=BB499_4 Depth=1
	ds_load_b32 v6, v10
	s_and_not1_b32 vcc_lo, exec_lo, s41
	s_wait_dscnt 0x0
	v_mul_f32_e32 v6, s23, v6
	s_wait_alu 0xfffe
	s_cbranch_vccnz .LBB499_37
; %bb.36:                               ;   in Loop: Header=BB499_4 Depth=1
	s_add_nc_u64 s[44:45], s[38:39], s[34:35]
	global_load_b32 v7, v10, s[44:45]
	s_wait_loadcnt 0x0
	v_fmac_f32_e32 v6, s22, v7
.LBB499_37:                             ;   in Loop: Header=BB499_4 Depth=1
	s_or_b32 s27, s27, exec_lo
.LBB499_38:                             ;   in Loop: Header=BB499_4 Depth=1
	s_or_b32 exec_lo, exec_lo, s43
.LBB499_39:                             ;   in Loop: Header=BB499_4 Depth=1
	s_wait_alu 0xfffe
	s_and_saveexec_b32 s43, s27
	s_cbranch_execz .LBB499_2
; %bb.40:                               ;   in Loop: Header=BB499_4 Depth=1
	s_add_nc_u64 s[38:39], s[38:39], s[34:35]
	global_store_b32 v10, v6, s[38:39]
	s_branch .LBB499_2
.LBB499_41:
	s_endpgm
	.section	.rodata,"a",@progbits
	.p2align	6, 0x0
	.amdhsa_kernel _ZL20rocblas_gemvt_kernelILb1ELi256EDF16_ffEviiT2_lPKT1_lilS3_lilS0_lPT3_lili
		.amdhsa_group_segment_fixed_size 1024
		.amdhsa_private_segment_fixed_size 0
		.amdhsa_kernarg_size 140
		.amdhsa_user_sgpr_count 2
		.amdhsa_user_sgpr_dispatch_ptr 0
		.amdhsa_user_sgpr_queue_ptr 0
		.amdhsa_user_sgpr_kernarg_segment_ptr 1
		.amdhsa_user_sgpr_dispatch_id 0
		.amdhsa_user_sgpr_private_segment_size 0
		.amdhsa_wavefront_size32 1
		.amdhsa_uses_dynamic_stack 0
		.amdhsa_enable_private_segment 0
		.amdhsa_system_sgpr_workgroup_id_x 1
		.amdhsa_system_sgpr_workgroup_id_y 0
		.amdhsa_system_sgpr_workgroup_id_z 1
		.amdhsa_system_sgpr_workgroup_info 0
		.amdhsa_system_vgpr_workitem_id 0
		.amdhsa_next_free_vgpr 17
		.amdhsa_next_free_sgpr 48
		.amdhsa_reserve_vcc 1
		.amdhsa_float_round_mode_32 0
		.amdhsa_float_round_mode_16_64 0
		.amdhsa_float_denorm_mode_32 3
		.amdhsa_float_denorm_mode_16_64 3
		.amdhsa_fp16_overflow 0
		.amdhsa_workgroup_processor_mode 1
		.amdhsa_memory_ordered 1
		.amdhsa_forward_progress 1
		.amdhsa_inst_pref_size 13
		.amdhsa_round_robin_scheduling 0
		.amdhsa_exception_fp_ieee_invalid_op 0
		.amdhsa_exception_fp_denorm_src 0
		.amdhsa_exception_fp_ieee_div_zero 0
		.amdhsa_exception_fp_ieee_overflow 0
		.amdhsa_exception_fp_ieee_underflow 0
		.amdhsa_exception_fp_ieee_inexact 0
		.amdhsa_exception_int_div_zero 0
	.end_amdhsa_kernel
	.section	.text._ZL20rocblas_gemvt_kernelILb1ELi256EDF16_ffEviiT2_lPKT1_lilS3_lilS0_lPT3_lili,"axG",@progbits,_ZL20rocblas_gemvt_kernelILb1ELi256EDF16_ffEviiT2_lPKT1_lilS3_lilS0_lPT3_lili,comdat
.Lfunc_end499:
	.size	_ZL20rocblas_gemvt_kernelILb1ELi256EDF16_ffEviiT2_lPKT1_lilS3_lilS0_lPT3_lili, .Lfunc_end499-_ZL20rocblas_gemvt_kernelILb1ELi256EDF16_ffEviiT2_lPKT1_lilS3_lilS0_lPT3_lili
                                        ; -- End function
	.set _ZL20rocblas_gemvt_kernelILb1ELi256EDF16_ffEviiT2_lPKT1_lilS3_lilS0_lPT3_lili.num_vgpr, 17
	.set _ZL20rocblas_gemvt_kernelILb1ELi256EDF16_ffEviiT2_lPKT1_lilS3_lilS0_lPT3_lili.num_agpr, 0
	.set _ZL20rocblas_gemvt_kernelILb1ELi256EDF16_ffEviiT2_lPKT1_lilS3_lilS0_lPT3_lili.numbered_sgpr, 48
	.set _ZL20rocblas_gemvt_kernelILb1ELi256EDF16_ffEviiT2_lPKT1_lilS3_lilS0_lPT3_lili.num_named_barrier, 0
	.set _ZL20rocblas_gemvt_kernelILb1ELi256EDF16_ffEviiT2_lPKT1_lilS3_lilS0_lPT3_lili.private_seg_size, 0
	.set _ZL20rocblas_gemvt_kernelILb1ELi256EDF16_ffEviiT2_lPKT1_lilS3_lilS0_lPT3_lili.uses_vcc, 1
	.set _ZL20rocblas_gemvt_kernelILb1ELi256EDF16_ffEviiT2_lPKT1_lilS3_lilS0_lPT3_lili.uses_flat_scratch, 0
	.set _ZL20rocblas_gemvt_kernelILb1ELi256EDF16_ffEviiT2_lPKT1_lilS3_lilS0_lPT3_lili.has_dyn_sized_stack, 0
	.set _ZL20rocblas_gemvt_kernelILb1ELi256EDF16_ffEviiT2_lPKT1_lilS3_lilS0_lPT3_lili.has_recursion, 0
	.set _ZL20rocblas_gemvt_kernelILb1ELi256EDF16_ffEviiT2_lPKT1_lilS3_lilS0_lPT3_lili.has_indirect_call, 0
	.section	.AMDGPU.csdata,"",@progbits
; Kernel info:
; codeLenInByte = 1616
; TotalNumSgprs: 50
; NumVgprs: 17
; ScratchSize: 0
; MemoryBound: 0
; FloatMode: 240
; IeeeMode: 1
; LDSByteSize: 1024 bytes/workgroup (compile time only)
; SGPRBlocks: 0
; VGPRBlocks: 2
; NumSGPRsForWavesPerEU: 50
; NumVGPRsForWavesPerEU: 17
; Occupancy: 16
; WaveLimiterHint : 0
; COMPUTE_PGM_RSRC2:SCRATCH_EN: 0
; COMPUTE_PGM_RSRC2:USER_SGPR: 2
; COMPUTE_PGM_RSRC2:TRAP_HANDLER: 0
; COMPUTE_PGM_RSRC2:TGID_X_EN: 1
; COMPUTE_PGM_RSRC2:TGID_Y_EN: 0
; COMPUTE_PGM_RSRC2:TGID_Z_EN: 1
; COMPUTE_PGM_RSRC2:TIDIG_COMP_CNT: 0
	.section	.text._ZL32rocblas_gemvt_warp_reduce_kernelILb1ELi1024EiDF16_PKffEviiT3_lPKT2_lT1_lS5_lS6_lS2_lPT4_lS6_li,"axG",@progbits,_ZL32rocblas_gemvt_warp_reduce_kernelILb1ELi1024EiDF16_PKffEviiT3_lPKT2_lT1_lS5_lS6_lS2_lPT4_lS6_li,comdat
	.globl	_ZL32rocblas_gemvt_warp_reduce_kernelILb1ELi1024EiDF16_PKffEviiT3_lPKT2_lT1_lS5_lS6_lS2_lPT4_lS6_li ; -- Begin function _ZL32rocblas_gemvt_warp_reduce_kernelILb1ELi1024EiDF16_PKffEviiT3_lPKT2_lT1_lS5_lS6_lS2_lPT4_lS6_li
	.p2align	8
	.type	_ZL32rocblas_gemvt_warp_reduce_kernelILb1ELi1024EiDF16_PKffEviiT3_lPKT2_lT1_lS5_lS6_lS2_lPT4_lS6_li,@function
_ZL32rocblas_gemvt_warp_reduce_kernelILb1ELi1024EiDF16_PKffEviiT3_lPKT2_lT1_lS5_lS6_lS2_lPT4_lS6_li: ; @_ZL32rocblas_gemvt_warp_reduce_kernelILb1ELi1024EiDF16_PKffEviiT3_lPKT2_lT1_lS5_lS6_lS2_lPT4_lS6_li
; %bb.0:
	s_load_b32 s33, s[0:1], 0x88
	s_lshr_b32 s28, ttmp7, 16
	s_wait_kmcnt 0x0
	s_cmp_ge_u32 s28, s33
	s_cbranch_scc1 .LBB500_34
; %bb.1:
	s_clause 0x7
	s_load_b96 s[4:6], s[0:1], 0x40
	s_load_b96 s[36:38], s[0:1], 0x70
	s_load_b256 s[8:15], s[0:1], 0x8
	s_load_b32 s7, s[0:1], 0x0
	s_load_b32 s39, s[0:1], 0x28
	s_load_b128 s[24:27], s[0:1], 0x30
	s_load_b256 s[16:23], s[0:1], 0x50
	s_load_b64 s[30:31], s[0:1], 0x80
	v_mov_b32_e32 v9, 0
	v_mbcnt_lo_u32_b32 v15, -1, 0
	v_cmp_eq_u32_e64 s0, 0, v0
	s_mov_b32 s29, 0
	v_lshl_or_b32 v16, v15, 2, 64
	s_wait_kmcnt 0x0
	s_lshl_b64 s[2:3], s[4:5], 1
	s_lshl_b64 s[4:5], s[36:37], 2
	;; [unrolled: 1-line block ×3, first 2 shown]
	v_cmp_gt_i32_e32 vcc_lo, s7, v0
	s_ashr_i32 s1, s7, 31
	s_add_nc_u64 s[14:15], s[26:27], s[2:3]
	s_lshr_b32 s1, s1, 22
	s_add_nc_u64 s[2:3], s[12:13], s[34:35]
	s_add_co_i32 s1, s7, s1
	v_cndmask_b32_e32 v1, 0, v0, vcc_lo
	s_and_b32 s26, s1, 0xfffffc00
	s_mul_i32 s36, s38, ttmp9
	v_or_b32_e32 v2, s26, v0
	s_mul_i32 s38, s39, ttmp9
	v_lshlrev_b32_e32 v1, 1, v1
	s_ashr_i32 s39, s38, 31
	v_mul_lo_u32 v14, v0, s6
	v_mul_lo_u32 v3, s6, v2
	s_lshl_b64 s[38:39], s[38:39], 1
	v_add_co_u32 v4, s1, s2, v1
	s_delay_alu instid0(VALU_DEP_1)
	v_add_co_ci_u32_e64 v5, null, s3, 0, s1
	s_add_nc_u64 s[34:35], s[34:35], s[38:39]
	v_add_co_u32 v10, vcc_lo, v4, s38
	v_ashrrev_i32_e32 v4, 31, v3
	s_wait_alu 0xfffd
	v_add_co_ci_u32_e64 v11, null, s39, v5, vcc_lo
	v_cmp_gt_i32_e64 s2, s7, v2
	v_and_b32_e32 v2, 31, v0
	v_lshrrev_b32_e32 v5, 3, v0
	s_lshl_b32 s40, s6, 10
	s_add_nc_u64 s[6:7], s[12:13], s[34:35]
	s_add_nc_u64 s[22:23], s[22:23], s[4:5]
	s_wait_alu 0xfffe
	v_add_co_u32 v1, s5, s6, v1
	v_lshlrev_b64_e32 v[3:4], 1, v[3:4]
	v_cmp_gt_i32_e64 s1, s26, v0
	v_cmp_gt_u32_e64 s3, 32, v0
	v_lshlrev_b32_e32 v12, 2, v2
	v_cmp_eq_u32_e64 s4, 0, v2
	v_and_b32_e32 v13, 0x7c, v5
	v_add_co_ci_u32_e64 v2, null, s7, 0, s5
	s_ashr_i32 s37, s36, 31
	s_ashr_i32 s27, s26, 31
	s_lshl_b64 s[6:7], s[24:25], 1
	s_lshl_b64 s[12:13], s[36:37], 2
	s_wait_alu 0xfffe
	s_lshl_b64 s[34:35], s[26:27], 1
	s_branch .LBB500_4
.LBB500_2:                              ;   in Loop: Header=BB500_4 Depth=1
	s_wait_alu 0xfffe
	s_or_b32 exec_lo, exec_lo, s5
.LBB500_3:                              ;   in Loop: Header=BB500_4 Depth=1
	s_add_co_i32 s28, s28, 0x10000
	s_wait_alu 0xfffe
	s_cmp_lt_u32 s28, s33
	s_cbranch_scc0 .LBB500_34
.LBB500_4:                              ; =>This Loop Header: Depth=1
                                        ;     Child Loop BB500_23 Depth 2
	s_mul_u64 s[36:37], s[10:11], s[28:29]
	s_mul_u64 s[38:39], s[20:21], s[28:29]
	s_lshl_b64 s[36:37], s[36:37], 2
	s_wait_alu 0xfffe
	s_lshl_b64 s[38:39], s[38:39], 2
	s_add_nc_u64 s[36:37], s[8:9], s[36:37]
	s_wait_alu 0xfffe
	s_add_nc_u64 s[38:39], s[18:19], s[38:39]
	s_clause 0x1
	global_load_b32 v17, v9, s[36:37]
	global_load_b32 v5, v9, s[38:39]
	s_wait_loadcnt 0x1
	v_cmp_eq_f32_e32 vcc_lo, 0, v17
	s_wait_loadcnt 0x0
	v_cmp_eq_f32_e64 s5, 1.0, v5
	v_readfirstlane_b32 s27, v5
	s_and_b32 s5, vcc_lo, s5
	s_wait_alu 0xfffe
	s_and_b32 vcc_lo, exec_lo, s5
	s_wait_alu 0xfffe
	s_cbranch_vccnz .LBB500_3
; %bb.5:                                ;   in Loop: Header=BB500_4 Depth=1
	v_cmp_neq_f32_e32 vcc_lo, 0, v17
	s_mul_u64 s[36:37], s[30:31], s[28:29]
	s_delay_alu instid0(SALU_CYCLE_1) | instskip(NEXT) | instid1(SALU_CYCLE_1)
	s_lshl_b64 s[36:37], s[36:37], 2
	s_add_nc_u64 s[36:37], s[22:23], s[36:37]
	s_cbranch_vccnz .LBB500_9
; %bb.6:                                ;   in Loop: Header=BB500_4 Depth=1
	s_mov_b32 s5, 0
	s_mov_b32 s41, 0
                                        ; implicit-def: $vgpr5
	s_and_saveexec_b32 s38, s0
	s_cbranch_execz .LBB500_10
; %bb.7:                                ;   in Loop: Header=BB500_4 Depth=1
	s_cmp_eq_f32 s27, 0
	s_cbranch_scc1 .LBB500_11
; %bb.8:                                ;   in Loop: Header=BB500_4 Depth=1
	s_add_nc_u64 s[42:43], s[36:37], s[12:13]
	global_load_b32 v5, v9, s[42:43]
	s_wait_loadcnt 0x0
	v_mul_f32_e32 v5, s27, v5
	s_branch .LBB500_12
.LBB500_9:                              ;   in Loop: Header=BB500_4 Depth=1
	s_mov_b32 s41, 0
                                        ; implicit-def: $vgpr5
	s_cbranch_execnz .LBB500_13
	s_branch .LBB500_32
.LBB500_10:                             ;   in Loop: Header=BB500_4 Depth=1
	s_wait_alu 0xfffe
	s_or_b32 exec_lo, exec_lo, s38
	s_delay_alu instid0(SALU_CYCLE_1)
	s_and_b32 vcc_lo, exec_lo, s5
	s_wait_alu 0xfffe
	s_cbranch_vccnz .LBB500_13
	s_branch .LBB500_32
.LBB500_11:                             ;   in Loop: Header=BB500_4 Depth=1
	v_mov_b32_e32 v5, 0
.LBB500_12:                             ;   in Loop: Header=BB500_4 Depth=1
	s_mov_b32 s41, exec_lo
	s_wait_alu 0xfffe
	s_or_b32 exec_lo, exec_lo, s38
	s_delay_alu instid0(SALU_CYCLE_1)
	s_and_b32 vcc_lo, exec_lo, s5
	s_wait_alu 0xfffe
	s_cbranch_vccz .LBB500_32
.LBB500_13:                             ;   in Loop: Header=BB500_4 Depth=1
	s_mul_u64 s[38:39], s[16:17], s[28:29]
	s_wait_dscnt 0x0
	v_mov_b32_e32 v18, 0
	s_wait_alu 0xfffe
	s_lshl_b64 s[38:39], s[38:39], 1
	s_wait_alu 0xfffe
	s_add_nc_u64 s[38:39], s[14:15], s[38:39]
	s_and_saveexec_b32 s42, s1
	s_cbranch_execnz .LBB500_22
; %bb.14:                               ;   in Loop: Header=BB500_4 Depth=1
	s_wait_alu 0xfffe
	s_or_b32 exec_lo, exec_lo, s42
	s_and_saveexec_b32 s5, s2
	s_cbranch_execnz .LBB500_25
.LBB500_15:                             ;   in Loop: Header=BB500_4 Depth=1
	s_wait_alu 0xfffe
	s_or_b32 exec_lo, exec_lo, s5
	s_and_saveexec_b32 s5, s3
.LBB500_16:                             ;   in Loop: Header=BB500_4 Depth=1
	ds_store_b32 v12, v9
.LBB500_17:                             ;   in Loop: Header=BB500_4 Depth=1
	s_wait_alu 0xfffe
	s_or_b32 exec_lo, exec_lo, s5
	ds_bpermute_b32 v6, v16, v18
	v_cmp_gt_u32_e32 vcc_lo, 24, v15
	s_wait_dscnt 0x0
	s_barrier_signal -1
	s_barrier_wait -1
	global_inv scope:SCOPE_SE
	s_wait_alu 0xfffd
	v_cndmask_b32_e64 v5, 0, 8, vcc_lo
	v_cmp_gt_u32_e32 vcc_lo, 28, v15
	s_delay_alu instid0(VALU_DEP_2)
	v_add_lshl_u32 v5, v5, v15, 2
	v_add_f32_e32 v7, v18, v6
	s_wait_alu 0xfffd
	v_cndmask_b32_e64 v6, 0, 4, vcc_lo
	v_cmp_gt_u32_e32 vcc_lo, 30, v15
	ds_bpermute_b32 v8, v5, v7
	v_add_lshl_u32 v6, v6, v15, 2
	s_wait_dscnt 0x0
	v_add_f32_e32 v8, v7, v8
	s_wait_alu 0xfffd
	v_cndmask_b32_e64 v7, 0, 2, vcc_lo
	v_cmp_ne_u32_e32 vcc_lo, 31, v15
	ds_bpermute_b32 v18, v6, v8
	v_add_lshl_u32 v7, v7, v15, 2
	s_wait_alu 0xfffd
	v_add_co_ci_u32_e64 v19, null, 0, v15, vcc_lo
	s_wait_dscnt 0x0
	v_add_f32_e32 v8, v8, v18
	ds_bpermute_b32 v18, v7, v8
	s_wait_dscnt 0x0
	v_add_f32_e32 v18, v8, v18
	v_lshlrev_b32_e32 v8, 2, v19
	ds_bpermute_b32 v19, v8, v18
	s_and_saveexec_b32 s5, s4
	s_cbranch_execz .LBB500_19
; %bb.18:                               ;   in Loop: Header=BB500_4 Depth=1
	s_wait_dscnt 0x0
	v_add_f32_e32 v18, v18, v19
	ds_store_b32 v13, v18
.LBB500_19:                             ;   in Loop: Header=BB500_4 Depth=1
	s_wait_alu 0xfffe
	s_or_b32 exec_lo, exec_lo, s5
	v_mov_b32_e32 v18, 0
	s_wait_loadcnt_dscnt 0x0
	s_barrier_signal -1
	s_barrier_wait -1
	global_inv scope:SCOPE_SE
	s_and_saveexec_b32 s5, s3
	s_cbranch_execnz .LBB500_26
; %bb.20:                               ;   in Loop: Header=BB500_4 Depth=1
	s_wait_alu 0xfffe
	s_or_b32 exec_lo, exec_lo, s5
	s_and_saveexec_b32 s5, s3
	s_cbranch_execnz .LBB500_27
.LBB500_21:                             ;   in Loop: Header=BB500_4 Depth=1
	s_wait_alu 0xfffe
	s_or_b32 exec_lo, exec_lo, s5
                                        ; implicit-def: $vgpr5
	s_and_saveexec_b32 s5, s0
	s_cbranch_execnz .LBB500_28
	s_branch .LBB500_31
.LBB500_22:                             ;   in Loop: Header=BB500_4 Depth=1
	v_mad_co_u64_u32 v[5:6], null, s6, s28, v[1:2]
	v_dual_mov_b32 v18, 0 :: v_dual_mov_b32 v19, v0
	s_mov_b32 s43, 0
	s_delay_alu instid0(VALU_DEP_2)
	v_mad_co_u64_u32 v[6:7], null, s7, s28, v[6:7]
	v_mov_b32_e32 v7, v14
.LBB500_23:                             ;   Parent Loop BB500_4 Depth=1
                                        ; =>  This Inner Loop Header: Depth=2
	s_delay_alu instid0(VALU_DEP_1) | instskip(NEXT) | instid1(VALU_DEP_1)
	v_ashrrev_i32_e32 v8, 31, v7
	v_lshlrev_b64_e32 v[20:21], 1, v[7:8]
	v_add_nc_u32_e32 v7, s40, v7
	s_wait_alu 0xfffe
	s_delay_alu instid0(VALU_DEP_2) | instskip(SKIP_1) | instid1(VALU_DEP_3)
	v_add_co_u32 v20, vcc_lo, s38, v20
	s_wait_alu 0xfffd
	v_add_co_ci_u32_e64 v21, null, s39, v21, vcc_lo
	global_load_u16 v8, v[5:6], off
	global_load_u16 v20, v[20:21], off
	v_add_co_u32 v5, vcc_lo, 0x800, v5
	s_wait_alu 0xfffd
	v_add_co_ci_u32_e64 v6, null, 0, v6, vcc_lo
	s_wait_loadcnt 0x0
	v_mul_f16_e32 v8, v8, v20
	s_delay_alu instid0(VALU_DEP_1) | instskip(NEXT) | instid1(VALU_DEP_1)
	v_cvt_f32_f16_e32 v8, v8
	v_dual_add_f32 v18, v18, v8 :: v_dual_add_nc_u32 v19, 0x400, v19
	s_delay_alu instid0(VALU_DEP_1)
	v_cmp_le_i32_e64 s5, s26, v19
	s_or_b32 s43, s5, s43
	s_wait_alu 0xfffe
	s_and_not1_b32 exec_lo, exec_lo, s43
	s_cbranch_execnz .LBB500_23
; %bb.24:                               ;   in Loop: Header=BB500_4 Depth=1
	s_or_b32 exec_lo, exec_lo, s43
	s_delay_alu instid0(SALU_CYCLE_1)
	s_or_b32 exec_lo, exec_lo, s42
	s_and_saveexec_b32 s5, s2
	s_cbranch_execz .LBB500_15
.LBB500_25:                             ;   in Loop: Header=BB500_4 Depth=1
	s_mul_u64 s[42:43], s[24:25], s[28:29]
	s_wait_alu 0xfffe
	s_lshl_b64 s[42:43], s[42:43], 1
	s_wait_alu 0xfffe
	v_add_co_u32 v5, vcc_lo, v10, s42
	s_wait_alu 0xfffd
	v_add_co_ci_u32_e64 v6, null, s43, v11, vcc_lo
	s_delay_alu instid0(VALU_DEP_2) | instskip(SKIP_1) | instid1(VALU_DEP_2)
	v_add_co_u32 v5, vcc_lo, v5, s34
	s_wait_alu 0xfffd
	v_add_co_ci_u32_e64 v6, null, s35, v6, vcc_lo
	v_add_co_u32 v7, vcc_lo, s38, v3
	s_wait_alu 0xfffd
	v_add_co_ci_u32_e64 v8, null, s39, v4, vcc_lo
	global_load_u16 v5, v[5:6], off
	global_load_u16 v6, v[7:8], off
	s_wait_loadcnt 0x0
	v_mul_f16_e32 v5, v5, v6
	s_delay_alu instid0(VALU_DEP_1) | instskip(NEXT) | instid1(VALU_DEP_1)
	v_cvt_f32_f16_e32 v5, v5
	v_add_f32_e32 v18, v18, v5
	s_or_b32 exec_lo, exec_lo, s5
	s_and_saveexec_b32 s5, s3
	s_cbranch_execnz .LBB500_16
	s_branch .LBB500_17
.LBB500_26:                             ;   in Loop: Header=BB500_4 Depth=1
	ds_load_b32 v18, v12
	s_wait_alu 0xfffe
	s_or_b32 exec_lo, exec_lo, s5
	s_and_saveexec_b32 s5, s3
	s_cbranch_execz .LBB500_21
.LBB500_27:                             ;   in Loop: Header=BB500_4 Depth=1
	s_wait_dscnt 0x0
	ds_bpermute_b32 v19, v16, v18
	s_wait_dscnt 0x0
	v_add_f32_e32 v18, v18, v19
	ds_bpermute_b32 v5, v5, v18
	s_wait_dscnt 0x0
	v_add_f32_e32 v5, v18, v5
	;; [unrolled: 3-line block ×5, first 2 shown]
	s_wait_alu 0xfffe
	s_or_b32 exec_lo, exec_lo, s5
                                        ; implicit-def: $vgpr5
	s_and_saveexec_b32 s5, s0
	s_cbranch_execz .LBB500_31
.LBB500_28:                             ;   in Loop: Header=BB500_4 Depth=1
	s_wait_dscnt 0x0
	v_mul_f32_e32 v5, v17, v18
	s_cmp_eq_f32 s27, 0
	s_cbranch_scc1 .LBB500_30
; %bb.29:                               ;   in Loop: Header=BB500_4 Depth=1
	s_add_nc_u64 s[38:39], s[36:37], s[12:13]
	global_load_b32 v6, v9, s[38:39]
	s_wait_loadcnt 0x0
	v_fmac_f32_e32 v5, s27, v6
.LBB500_30:                             ;   in Loop: Header=BB500_4 Depth=1
	s_or_b32 s41, s41, exec_lo
.LBB500_31:                             ;   in Loop: Header=BB500_4 Depth=1
	s_wait_alu 0xfffe
	s_or_b32 exec_lo, exec_lo, s5
.LBB500_32:                             ;   in Loop: Header=BB500_4 Depth=1
	s_wait_alu 0xfffe
	s_and_saveexec_b32 s5, s41
	s_cbranch_execz .LBB500_2
; %bb.33:                               ;   in Loop: Header=BB500_4 Depth=1
	s_add_nc_u64 s[36:37], s[36:37], s[12:13]
	global_store_b32 v9, v5, s[36:37]
	s_branch .LBB500_2
.LBB500_34:
	s_endpgm
	.section	.rodata,"a",@progbits
	.p2align	6, 0x0
	.amdhsa_kernel _ZL32rocblas_gemvt_warp_reduce_kernelILb1ELi1024EiDF16_PKffEviiT3_lPKT2_lT1_lS5_lS6_lS2_lPT4_lS6_li
		.amdhsa_group_segment_fixed_size 128
		.amdhsa_private_segment_fixed_size 0
		.amdhsa_kernarg_size 140
		.amdhsa_user_sgpr_count 2
		.amdhsa_user_sgpr_dispatch_ptr 0
		.amdhsa_user_sgpr_queue_ptr 0
		.amdhsa_user_sgpr_kernarg_segment_ptr 1
		.amdhsa_user_sgpr_dispatch_id 0
		.amdhsa_user_sgpr_private_segment_size 0
		.amdhsa_wavefront_size32 1
		.amdhsa_uses_dynamic_stack 0
		.amdhsa_enable_private_segment 0
		.amdhsa_system_sgpr_workgroup_id_x 1
		.amdhsa_system_sgpr_workgroup_id_y 0
		.amdhsa_system_sgpr_workgroup_id_z 1
		.amdhsa_system_sgpr_workgroup_info 0
		.amdhsa_system_vgpr_workitem_id 0
		.amdhsa_next_free_vgpr 22
		.amdhsa_next_free_sgpr 44
		.amdhsa_reserve_vcc 1
		.amdhsa_float_round_mode_32 0
		.amdhsa_float_round_mode_16_64 0
		.amdhsa_float_denorm_mode_32 3
		.amdhsa_float_denorm_mode_16_64 3
		.amdhsa_fp16_overflow 0
		.amdhsa_workgroup_processor_mode 1
		.amdhsa_memory_ordered 1
		.amdhsa_forward_progress 1
		.amdhsa_inst_pref_size 13
		.amdhsa_round_robin_scheduling 0
		.amdhsa_exception_fp_ieee_invalid_op 0
		.amdhsa_exception_fp_denorm_src 0
		.amdhsa_exception_fp_ieee_div_zero 0
		.amdhsa_exception_fp_ieee_overflow 0
		.amdhsa_exception_fp_ieee_underflow 0
		.amdhsa_exception_fp_ieee_inexact 0
		.amdhsa_exception_int_div_zero 0
	.end_amdhsa_kernel
	.section	.text._ZL32rocblas_gemvt_warp_reduce_kernelILb1ELi1024EiDF16_PKffEviiT3_lPKT2_lT1_lS5_lS6_lS2_lPT4_lS6_li,"axG",@progbits,_ZL32rocblas_gemvt_warp_reduce_kernelILb1ELi1024EiDF16_PKffEviiT3_lPKT2_lT1_lS5_lS6_lS2_lPT4_lS6_li,comdat
.Lfunc_end500:
	.size	_ZL32rocblas_gemvt_warp_reduce_kernelILb1ELi1024EiDF16_PKffEviiT3_lPKT2_lT1_lS5_lS6_lS2_lPT4_lS6_li, .Lfunc_end500-_ZL32rocblas_gemvt_warp_reduce_kernelILb1ELi1024EiDF16_PKffEviiT3_lPKT2_lT1_lS5_lS6_lS2_lPT4_lS6_li
                                        ; -- End function
	.set _ZL32rocblas_gemvt_warp_reduce_kernelILb1ELi1024EiDF16_PKffEviiT3_lPKT2_lT1_lS5_lS6_lS2_lPT4_lS6_li.num_vgpr, 22
	.set _ZL32rocblas_gemvt_warp_reduce_kernelILb1ELi1024EiDF16_PKffEviiT3_lPKT2_lT1_lS5_lS6_lS2_lPT4_lS6_li.num_agpr, 0
	.set _ZL32rocblas_gemvt_warp_reduce_kernelILb1ELi1024EiDF16_PKffEviiT3_lPKT2_lT1_lS5_lS6_lS2_lPT4_lS6_li.numbered_sgpr, 44
	.set _ZL32rocblas_gemvt_warp_reduce_kernelILb1ELi1024EiDF16_PKffEviiT3_lPKT2_lT1_lS5_lS6_lS2_lPT4_lS6_li.num_named_barrier, 0
	.set _ZL32rocblas_gemvt_warp_reduce_kernelILb1ELi1024EiDF16_PKffEviiT3_lPKT2_lT1_lS5_lS6_lS2_lPT4_lS6_li.private_seg_size, 0
	.set _ZL32rocblas_gemvt_warp_reduce_kernelILb1ELi1024EiDF16_PKffEviiT3_lPKT2_lT1_lS5_lS6_lS2_lPT4_lS6_li.uses_vcc, 1
	.set _ZL32rocblas_gemvt_warp_reduce_kernelILb1ELi1024EiDF16_PKffEviiT3_lPKT2_lT1_lS5_lS6_lS2_lPT4_lS6_li.uses_flat_scratch, 0
	.set _ZL32rocblas_gemvt_warp_reduce_kernelILb1ELi1024EiDF16_PKffEviiT3_lPKT2_lT1_lS5_lS6_lS2_lPT4_lS6_li.has_dyn_sized_stack, 0
	.set _ZL32rocblas_gemvt_warp_reduce_kernelILb1ELi1024EiDF16_PKffEviiT3_lPKT2_lT1_lS5_lS6_lS2_lPT4_lS6_li.has_recursion, 0
	.set _ZL32rocblas_gemvt_warp_reduce_kernelILb1ELi1024EiDF16_PKffEviiT3_lPKT2_lT1_lS5_lS6_lS2_lPT4_lS6_li.has_indirect_call, 0
	.section	.AMDGPU.csdata,"",@progbits
; Kernel info:
; codeLenInByte = 1588
; TotalNumSgprs: 46
; NumVgprs: 22
; ScratchSize: 0
; MemoryBound: 0
; FloatMode: 240
; IeeeMode: 1
; LDSByteSize: 128 bytes/workgroup (compile time only)
; SGPRBlocks: 0
; VGPRBlocks: 2
; NumSGPRsForWavesPerEU: 46
; NumVGPRsForWavesPerEU: 22
; Occupancy: 16
; WaveLimiterHint : 0
; COMPUTE_PGM_RSRC2:SCRATCH_EN: 0
; COMPUTE_PGM_RSRC2:USER_SGPR: 2
; COMPUTE_PGM_RSRC2:TRAP_HANDLER: 0
; COMPUTE_PGM_RSRC2:TGID_X_EN: 1
; COMPUTE_PGM_RSRC2:TGID_Y_EN: 0
; COMPUTE_PGM_RSRC2:TGID_Z_EN: 1
; COMPUTE_PGM_RSRC2:TIDIG_COMP_CNT: 0
	.section	.text._ZL32rocblas_gemvt_warp_reduce_kernelILb1ELi1024ElDF16_PKffEviiT3_lPKT2_lT1_lS5_lS6_lS2_lPT4_lS6_li,"axG",@progbits,_ZL32rocblas_gemvt_warp_reduce_kernelILb1ELi1024ElDF16_PKffEviiT3_lPKT2_lT1_lS5_lS6_lS2_lPT4_lS6_li,comdat
	.globl	_ZL32rocblas_gemvt_warp_reduce_kernelILb1ELi1024ElDF16_PKffEviiT3_lPKT2_lT1_lS5_lS6_lS2_lPT4_lS6_li ; -- Begin function _ZL32rocblas_gemvt_warp_reduce_kernelILb1ELi1024ElDF16_PKffEviiT3_lPKT2_lT1_lS5_lS6_lS2_lPT4_lS6_li
	.p2align	8
	.type	_ZL32rocblas_gemvt_warp_reduce_kernelILb1ELi1024ElDF16_PKffEviiT3_lPKT2_lT1_lS5_lS6_lS2_lPT4_lS6_li,@function
_ZL32rocblas_gemvt_warp_reduce_kernelILb1ELi1024ElDF16_PKffEviiT3_lPKT2_lT1_lS5_lS6_lS2_lPT4_lS6_li: ; @_ZL32rocblas_gemvt_warp_reduce_kernelILb1ELi1024ElDF16_PKffEviiT3_lPKT2_lT1_lS5_lS6_lS2_lPT4_lS6_li
; %bb.0:
	s_load_b32 s33, s[0:1], 0x88
	s_lshr_b32 s6, ttmp7, 16
	s_wait_kmcnt 0x0
	s_cmp_ge_u32 s6, s33
	s_cbranch_scc1 .LBB501_34
; %bb.1:
	s_clause 0x2
	s_load_b512 s[8:23], s[0:1], 0x8
	s_load_b512 s[36:51], s[0:1], 0x48
	s_load_b32 s28, s[0:1], 0x0
	s_mov_b32 s2, ttmp9
	s_ashr_i32 s3, ttmp9, 31
	v_mbcnt_lo_u32_b32 v16, -1, 0
	v_cmp_eq_u32_e64 s0, 0, v0
	s_mov_b32 s7, 0
	v_lshl_or_b32 v17, v16, 2, 64
	s_wait_kmcnt 0x0
	s_lshl_b64 s[4:5], s[22:23], 1
	s_lshl_b64 s[24:25], s[14:15], 1
	v_cmp_gt_i32_e32 vcc_lo, s28, v0
	s_ashr_i32 s1, s28, 31
	v_mad_co_u64_u32 v[1:2], null, s36, v0, 0
	s_lshr_b32 s1, s1, 22
	v_cndmask_b32_e32 v3, 0, v0, vcc_lo
	s_add_nc_u64 s[14:15], s[20:21], s[4:5]
	s_add_nc_u64 s[4:5], s[12:13], s[24:25]
	s_add_co_i32 s1, s28, s1
	s_lshl_b64 s[22:23], s[46:47], 2
	v_lshlrev_b32_e32 v7, 1, v3
	s_and_b32 s20, s1, 0xfffffc00
	s_mul_u64 s[26:27], s[48:49], s[2:3]
	s_mul_u64 s[2:3], s[16:17], s[2:3]
	v_or_b32_e32 v4, s20, v0
	v_add_co_u32 v3, s1, s4, v7
	s_delay_alu instid0(VALU_DEP_1)
	v_add_co_ci_u32_e64 v5, null, s5, 0, s1
	s_add_nc_u64 s[16:17], s[44:45], s[22:23]
	s_lshl_b64 s[22:23], s[2:3], 1
	v_mul_lo_u32 v8, s37, v4
	v_add_co_u32 v12, vcc_lo, v3, s22
	v_mad_co_u64_u32 v[2:3], null, s37, v0, v[2:3]
	s_wait_alu 0xfffd
	v_add_co_ci_u32_e64 v13, null, s23, v5, vcc_lo
	v_mad_co_u64_u32 v[5:6], null, s36, v4, 0
	v_and_b32_e32 v3, 31, v0
	v_cmp_gt_i32_e64 s2, s28, v4
	v_lshrrev_b32_e32 v4, 3, v0
	s_ashr_i32 s21, s20, 31
	v_dual_mov_b32 v11, 0 :: v_dual_lshlrev_b32 v14, 2, v3
	s_wait_alu 0xfffe
	s_mul_i32 s3, s36, s21
	v_cmp_eq_u32_e64 s4, 0, v3
	v_and_b32_e32 v15, 0x7c, v4
	v_lshlrev_b64_e32 v[3:4], 1, v[1:2]
	v_add3_u32 v6, v6, s3, v8
	s_add_nc_u64 s[22:23], s[22:23], s[24:25]
	v_cmp_gt_i32_e64 s1, s20, v0
	s_wait_alu 0xfffe
	s_add_nc_u64 s[12:13], s[12:13], s[22:23]
	v_cmp_gt_u32_e64 s3, 32, v0
	v_add_co_u32 v1, s5, s12, v7
	v_add_co_u32 v3, vcc_lo, s14, v3
	v_lshlrev_b64_e32 v[5:6], 1, v[5:6]
	s_wait_alu 0xf1ff
	v_add_co_ci_u32_e64 v2, null, s13, 0, s5
	s_wait_alu 0xfffd
	v_add_co_ci_u32_e64 v4, null, s15, v4, vcc_lo
	s_lshl_b64 s[12:13], s[18:19], 1
	s_lshl_b64 s[22:23], s[38:39], 1
	;; [unrolled: 1-line block ×5, first 2 shown]
	s_branch .LBB501_4
.LBB501_2:                              ;   in Loop: Header=BB501_4 Depth=1
	s_wait_alu 0xfffe
	s_or_b32 exec_lo, exec_lo, s5
.LBB501_3:                              ;   in Loop: Header=BB501_4 Depth=1
	s_add_co_i32 s6, s6, 0x10000
	s_wait_alu 0xfffe
	s_cmp_lt_u32 s6, s33
	s_cbranch_scc0 .LBB501_34
.LBB501_4:                              ; =>This Loop Header: Depth=1
                                        ;     Child Loop BB501_23 Depth 2
	s_mul_u64 s[30:31], s[10:11], s[6:7]
	s_mul_u64 s[34:35], s[42:43], s[6:7]
	s_lshl_b64 s[30:31], s[30:31], 2
	s_lshl_b64 s[34:35], s[34:35], 2
	s_add_nc_u64 s[30:31], s[8:9], s[30:31]
	s_add_nc_u64 s[34:35], s[40:41], s[34:35]
	s_clause 0x1
	global_load_b32 v18, v11, s[30:31]
	global_load_b32 v7, v11, s[34:35]
	s_wait_loadcnt 0x1
	v_cmp_eq_f32_e32 vcc_lo, 0, v18
	s_wait_loadcnt 0x0
	v_cmp_eq_f32_e64 s5, 1.0, v7
	v_readfirstlane_b32 s21, v7
	s_and_b32 s5, vcc_lo, s5
	s_wait_alu 0xfffe
	s_and_b32 vcc_lo, exec_lo, s5
	s_wait_alu 0xfffe
	s_cbranch_vccnz .LBB501_3
; %bb.5:                                ;   in Loop: Header=BB501_4 Depth=1
	v_cmp_neq_f32_e32 vcc_lo, 0, v18
	s_mul_u64 s[30:31], s[50:51], s[6:7]
	s_delay_alu instid0(SALU_CYCLE_1) | instskip(NEXT) | instid1(SALU_CYCLE_1)
	s_lshl_b64 s[30:31], s[30:31], 2
	s_add_nc_u64 s[30:31], s[16:17], s[30:31]
	s_cbranch_vccnz .LBB501_9
; %bb.6:                                ;   in Loop: Header=BB501_4 Depth=1
	s_mov_b32 s5, 0
	s_mov_b32 s34, 0
                                        ; implicit-def: $vgpr7
	s_and_saveexec_b32 s35, s0
	s_cbranch_execz .LBB501_10
; %bb.7:                                ;   in Loop: Header=BB501_4 Depth=1
	s_cmp_eq_f32 s21, 0
	s_cbranch_scc1 .LBB501_11
; %bb.8:                                ;   in Loop: Header=BB501_4 Depth=1
	s_add_nc_u64 s[36:37], s[30:31], s[26:27]
	global_load_b32 v7, v11, s[36:37]
	s_wait_loadcnt 0x0
	v_mul_f32_e32 v7, s21, v7
	s_branch .LBB501_12
.LBB501_9:                              ;   in Loop: Header=BB501_4 Depth=1
	s_mov_b32 s34, 0
                                        ; implicit-def: $vgpr7
	s_cbranch_execnz .LBB501_13
	s_branch .LBB501_32
.LBB501_10:                             ;   in Loop: Header=BB501_4 Depth=1
	s_or_b32 exec_lo, exec_lo, s35
	s_wait_alu 0xfffe
	s_and_b32 vcc_lo, exec_lo, s5
	s_wait_alu 0xfffe
	s_cbranch_vccnz .LBB501_13
	s_branch .LBB501_32
.LBB501_11:                             ;   in Loop: Header=BB501_4 Depth=1
	v_mov_b32_e32 v7, 0
.LBB501_12:                             ;   in Loop: Header=BB501_4 Depth=1
	s_mov_b32 s34, exec_lo
	s_or_b32 exec_lo, exec_lo, s35
	s_wait_alu 0xfffe
	s_and_b32 vcc_lo, exec_lo, s5
	s_wait_alu 0xfffe
	s_cbranch_vccz .LBB501_32
.LBB501_13:                             ;   in Loop: Header=BB501_4 Depth=1
	s_wait_dscnt 0x0
	v_mov_b32_e32 v19, 0
	s_and_saveexec_b32 s35, s1
	s_cbranch_execnz .LBB501_22
; %bb.14:                               ;   in Loop: Header=BB501_4 Depth=1
	s_or_b32 exec_lo, exec_lo, s35
	s_and_saveexec_b32 s5, s2
	s_cbranch_execnz .LBB501_25
.LBB501_15:                             ;   in Loop: Header=BB501_4 Depth=1
	s_wait_alu 0xfffe
	s_or_b32 exec_lo, exec_lo, s5
	s_and_saveexec_b32 s5, s3
.LBB501_16:                             ;   in Loop: Header=BB501_4 Depth=1
	ds_store_b32 v14, v11
.LBB501_17:                             ;   in Loop: Header=BB501_4 Depth=1
	s_wait_alu 0xfffe
	s_or_b32 exec_lo, exec_lo, s5
	ds_bpermute_b32 v8, v17, v19
	v_cmp_gt_u32_e32 vcc_lo, 24, v16
	s_wait_dscnt 0x0
	s_barrier_signal -1
	s_barrier_wait -1
	global_inv scope:SCOPE_SE
	s_wait_alu 0xfffd
	v_cndmask_b32_e64 v7, 0, 8, vcc_lo
	v_cmp_gt_u32_e32 vcc_lo, 28, v16
	s_delay_alu instid0(VALU_DEP_2)
	v_add_lshl_u32 v7, v7, v16, 2
	v_add_f32_e32 v9, v19, v8
	s_wait_alu 0xfffd
	v_cndmask_b32_e64 v8, 0, 4, vcc_lo
	v_cmp_gt_u32_e32 vcc_lo, 30, v16
	ds_bpermute_b32 v10, v7, v9
	v_add_lshl_u32 v8, v8, v16, 2
	s_wait_dscnt 0x0
	v_add_f32_e32 v10, v9, v10
	s_wait_alu 0xfffd
	v_cndmask_b32_e64 v9, 0, 2, vcc_lo
	v_cmp_ne_u32_e32 vcc_lo, 31, v16
	ds_bpermute_b32 v19, v8, v10
	v_add_lshl_u32 v9, v9, v16, 2
	s_wait_alu 0xfffd
	v_add_co_ci_u32_e64 v20, null, 0, v16, vcc_lo
	s_wait_dscnt 0x0
	v_add_f32_e32 v10, v10, v19
	ds_bpermute_b32 v19, v9, v10
	s_wait_dscnt 0x0
	v_dual_add_f32 v19, v10, v19 :: v_dual_lshlrev_b32 v10, 2, v20
	ds_bpermute_b32 v20, v10, v19
	s_and_saveexec_b32 s5, s4
	s_cbranch_execz .LBB501_19
; %bb.18:                               ;   in Loop: Header=BB501_4 Depth=1
	s_wait_dscnt 0x0
	v_add_f32_e32 v19, v19, v20
	ds_store_b32 v15, v19
.LBB501_19:                             ;   in Loop: Header=BB501_4 Depth=1
	s_wait_alu 0xfffe
	s_or_b32 exec_lo, exec_lo, s5
	v_mov_b32_e32 v19, 0
	s_wait_loadcnt_dscnt 0x0
	s_barrier_signal -1
	s_barrier_wait -1
	global_inv scope:SCOPE_SE
	s_and_saveexec_b32 s5, s3
	s_cbranch_execnz .LBB501_26
; %bb.20:                               ;   in Loop: Header=BB501_4 Depth=1
	s_wait_alu 0xfffe
	s_or_b32 exec_lo, exec_lo, s5
	s_and_saveexec_b32 s5, s3
	s_cbranch_execnz .LBB501_27
.LBB501_21:                             ;   in Loop: Header=BB501_4 Depth=1
	s_wait_alu 0xfffe
	s_or_b32 exec_lo, exec_lo, s5
                                        ; implicit-def: $vgpr7
	s_and_saveexec_b32 s5, s0
	s_cbranch_execnz .LBB501_28
	s_branch .LBB501_31
.LBB501_22:                             ;   in Loop: Header=BB501_4 Depth=1
	v_mad_co_u64_u32 v[7:8], null, s12, s6, v[1:2]
	v_mad_co_u64_u32 v[9:10], null, s22, s6, v[3:4]
	s_mov_b32 s36, 0
	v_mad_co_u64_u32 v[20:21], null, s13, s6, v[8:9]
	v_mad_co_u64_u32 v[21:22], null, s23, s6, v[10:11]
	s_delay_alu instid0(VALU_DEP_2) | instskip(SKIP_1) | instid1(VALU_DEP_3)
	v_dual_mov_b32 v19, 0 :: v_dual_mov_b32 v8, v20
	v_mov_b32_e32 v20, v0
	v_mov_b32_e32 v10, v21
.LBB501_23:                             ;   Parent Loop BB501_4 Depth=1
                                        ; =>  This Inner Loop Header: Depth=2
	global_load_u16 v21, v[7:8], off
	global_load_u16 v22, v[9:10], off
	v_add_co_u32 v7, vcc_lo, 0x800, v7
	s_wait_alu 0xfffd
	v_add_co_ci_u32_e64 v8, null, 0, v8, vcc_lo
	v_add_co_u32 v9, vcc_lo, v9, s24
	s_wait_alu 0xfffd
	v_add_co_ci_u32_e64 v10, null, s25, v10, vcc_lo
	s_wait_loadcnt 0x0
	v_mul_f16_e32 v21, v21, v22
	s_delay_alu instid0(VALU_DEP_1) | instskip(NEXT) | instid1(VALU_DEP_1)
	v_cvt_f32_f16_e32 v21, v21
	v_dual_add_f32 v19, v19, v21 :: v_dual_add_nc_u32 v20, 0x400, v20
	s_delay_alu instid0(VALU_DEP_1)
	v_cmp_le_i32_e64 s5, s20, v20
	s_wait_alu 0xfffe
	s_or_b32 s36, s5, s36
	s_wait_alu 0xfffe
	s_and_not1_b32 exec_lo, exec_lo, s36
	s_cbranch_execnz .LBB501_23
; %bb.24:                               ;   in Loop: Header=BB501_4 Depth=1
	s_or_b32 exec_lo, exec_lo, s36
	s_delay_alu instid0(SALU_CYCLE_1)
	s_or_b32 exec_lo, exec_lo, s35
	s_and_saveexec_b32 s5, s2
	s_cbranch_execz .LBB501_15
.LBB501_25:                             ;   in Loop: Header=BB501_4 Depth=1
	s_mul_u64 s[36:37], s[18:19], s[6:7]
	s_mul_u64 s[44:45], s[38:39], s[6:7]
	s_wait_alu 0xfffe
	s_lshl_b64 s[36:37], s[36:37], 1
	s_lshl_b64 s[44:45], s[44:45], 1
	s_wait_alu 0xfffe
	v_add_co_u32 v7, vcc_lo, v12, s36
	s_wait_alu 0xfffd
	v_add_co_ci_u32_e64 v8, null, s37, v13, vcc_lo
	s_add_nc_u64 s[36:37], s[14:15], s[44:45]
	v_add_co_u32 v7, vcc_lo, v7, s28
	s_wait_alu 0xfffd
	v_add_co_ci_u32_e64 v8, null, s29, v8, vcc_lo
	s_wait_alu 0xfffe
	v_add_co_u32 v9, vcc_lo, s36, v5
	s_wait_alu 0xfffd
	v_add_co_ci_u32_e64 v10, null, s37, v6, vcc_lo
	global_load_u16 v7, v[7:8], off
	global_load_u16 v8, v[9:10], off
	s_wait_loadcnt 0x0
	v_mul_f16_e32 v7, v7, v8
	s_delay_alu instid0(VALU_DEP_1) | instskip(NEXT) | instid1(VALU_DEP_1)
	v_cvt_f32_f16_e32 v7, v7
	v_add_f32_e32 v19, v19, v7
	s_or_b32 exec_lo, exec_lo, s5
	s_and_saveexec_b32 s5, s3
	s_cbranch_execnz .LBB501_16
	s_branch .LBB501_17
.LBB501_26:                             ;   in Loop: Header=BB501_4 Depth=1
	ds_load_b32 v19, v14
	s_wait_alu 0xfffe
	s_or_b32 exec_lo, exec_lo, s5
	s_and_saveexec_b32 s5, s3
	s_cbranch_execz .LBB501_21
.LBB501_27:                             ;   in Loop: Header=BB501_4 Depth=1
	s_wait_dscnt 0x0
	ds_bpermute_b32 v20, v17, v19
	s_wait_dscnt 0x0
	v_add_f32_e32 v19, v19, v20
	ds_bpermute_b32 v7, v7, v19
	s_wait_dscnt 0x0
	v_add_f32_e32 v7, v19, v7
	;; [unrolled: 3-line block ×5, first 2 shown]
	s_wait_alu 0xfffe
	s_or_b32 exec_lo, exec_lo, s5
                                        ; implicit-def: $vgpr7
	s_and_saveexec_b32 s5, s0
	s_cbranch_execz .LBB501_31
.LBB501_28:                             ;   in Loop: Header=BB501_4 Depth=1
	s_wait_dscnt 0x0
	v_mul_f32_e32 v7, v18, v19
	s_cmp_eq_f32 s21, 0
	s_cbranch_scc1 .LBB501_30
; %bb.29:                               ;   in Loop: Header=BB501_4 Depth=1
	s_add_nc_u64 s[36:37], s[30:31], s[26:27]
	global_load_b32 v8, v11, s[36:37]
	s_wait_loadcnt 0x0
	v_fmac_f32_e32 v7, s21, v8
.LBB501_30:                             ;   in Loop: Header=BB501_4 Depth=1
	s_or_b32 s34, s34, exec_lo
.LBB501_31:                             ;   in Loop: Header=BB501_4 Depth=1
	s_wait_alu 0xfffe
	s_or_b32 exec_lo, exec_lo, s5
.LBB501_32:                             ;   in Loop: Header=BB501_4 Depth=1
	s_and_saveexec_b32 s5, s34
	s_cbranch_execz .LBB501_2
; %bb.33:                               ;   in Loop: Header=BB501_4 Depth=1
	s_add_nc_u64 s[30:31], s[30:31], s[26:27]
	global_store_b32 v11, v7, s[30:31]
	s_branch .LBB501_2
.LBB501_34:
	s_endpgm
	.section	.rodata,"a",@progbits
	.p2align	6, 0x0
	.amdhsa_kernel _ZL32rocblas_gemvt_warp_reduce_kernelILb1ELi1024ElDF16_PKffEviiT3_lPKT2_lT1_lS5_lS6_lS2_lPT4_lS6_li
		.amdhsa_group_segment_fixed_size 128
		.amdhsa_private_segment_fixed_size 0
		.amdhsa_kernarg_size 140
		.amdhsa_user_sgpr_count 2
		.amdhsa_user_sgpr_dispatch_ptr 0
		.amdhsa_user_sgpr_queue_ptr 0
		.amdhsa_user_sgpr_kernarg_segment_ptr 1
		.amdhsa_user_sgpr_dispatch_id 0
		.amdhsa_user_sgpr_private_segment_size 0
		.amdhsa_wavefront_size32 1
		.amdhsa_uses_dynamic_stack 0
		.amdhsa_enable_private_segment 0
		.amdhsa_system_sgpr_workgroup_id_x 1
		.amdhsa_system_sgpr_workgroup_id_y 0
		.amdhsa_system_sgpr_workgroup_id_z 1
		.amdhsa_system_sgpr_workgroup_info 0
		.amdhsa_system_vgpr_workitem_id 0
		.amdhsa_next_free_vgpr 23
		.amdhsa_next_free_sgpr 52
		.amdhsa_reserve_vcc 1
		.amdhsa_float_round_mode_32 0
		.amdhsa_float_round_mode_16_64 0
		.amdhsa_float_denorm_mode_32 3
		.amdhsa_float_denorm_mode_16_64 3
		.amdhsa_fp16_overflow 0
		.amdhsa_workgroup_processor_mode 1
		.amdhsa_memory_ordered 1
		.amdhsa_forward_progress 1
		.amdhsa_inst_pref_size 13
		.amdhsa_round_robin_scheduling 0
		.amdhsa_exception_fp_ieee_invalid_op 0
		.amdhsa_exception_fp_denorm_src 0
		.amdhsa_exception_fp_ieee_div_zero 0
		.amdhsa_exception_fp_ieee_overflow 0
		.amdhsa_exception_fp_ieee_underflow 0
		.amdhsa_exception_fp_ieee_inexact 0
		.amdhsa_exception_int_div_zero 0
	.end_amdhsa_kernel
	.section	.text._ZL32rocblas_gemvt_warp_reduce_kernelILb1ELi1024ElDF16_PKffEviiT3_lPKT2_lT1_lS5_lS6_lS2_lPT4_lS6_li,"axG",@progbits,_ZL32rocblas_gemvt_warp_reduce_kernelILb1ELi1024ElDF16_PKffEviiT3_lPKT2_lT1_lS5_lS6_lS2_lPT4_lS6_li,comdat
.Lfunc_end501:
	.size	_ZL32rocblas_gemvt_warp_reduce_kernelILb1ELi1024ElDF16_PKffEviiT3_lPKT2_lT1_lS5_lS6_lS2_lPT4_lS6_li, .Lfunc_end501-_ZL32rocblas_gemvt_warp_reduce_kernelILb1ELi1024ElDF16_PKffEviiT3_lPKT2_lT1_lS5_lS6_lS2_lPT4_lS6_li
                                        ; -- End function
	.set _ZL32rocblas_gemvt_warp_reduce_kernelILb1ELi1024ElDF16_PKffEviiT3_lPKT2_lT1_lS5_lS6_lS2_lPT4_lS6_li.num_vgpr, 23
	.set _ZL32rocblas_gemvt_warp_reduce_kernelILb1ELi1024ElDF16_PKffEviiT3_lPKT2_lT1_lS5_lS6_lS2_lPT4_lS6_li.num_agpr, 0
	.set _ZL32rocblas_gemvt_warp_reduce_kernelILb1ELi1024ElDF16_PKffEviiT3_lPKT2_lT1_lS5_lS6_lS2_lPT4_lS6_li.numbered_sgpr, 52
	.set _ZL32rocblas_gemvt_warp_reduce_kernelILb1ELi1024ElDF16_PKffEviiT3_lPKT2_lT1_lS5_lS6_lS2_lPT4_lS6_li.num_named_barrier, 0
	.set _ZL32rocblas_gemvt_warp_reduce_kernelILb1ELi1024ElDF16_PKffEviiT3_lPKT2_lT1_lS5_lS6_lS2_lPT4_lS6_li.private_seg_size, 0
	.set _ZL32rocblas_gemvt_warp_reduce_kernelILb1ELi1024ElDF16_PKffEviiT3_lPKT2_lT1_lS5_lS6_lS2_lPT4_lS6_li.uses_vcc, 1
	.set _ZL32rocblas_gemvt_warp_reduce_kernelILb1ELi1024ElDF16_PKffEviiT3_lPKT2_lT1_lS5_lS6_lS2_lPT4_lS6_li.uses_flat_scratch, 0
	.set _ZL32rocblas_gemvt_warp_reduce_kernelILb1ELi1024ElDF16_PKffEviiT3_lPKT2_lT1_lS5_lS6_lS2_lPT4_lS6_li.has_dyn_sized_stack, 0
	.set _ZL32rocblas_gemvt_warp_reduce_kernelILb1ELi1024ElDF16_PKffEviiT3_lPKT2_lT1_lS5_lS6_lS2_lPT4_lS6_li.has_recursion, 0
	.set _ZL32rocblas_gemvt_warp_reduce_kernelILb1ELi1024ElDF16_PKffEviiT3_lPKT2_lT1_lS5_lS6_lS2_lPT4_lS6_li.has_indirect_call, 0
	.section	.AMDGPU.csdata,"",@progbits
; Kernel info:
; codeLenInByte = 1572
; TotalNumSgprs: 54
; NumVgprs: 23
; ScratchSize: 0
; MemoryBound: 0
; FloatMode: 240
; IeeeMode: 1
; LDSByteSize: 128 bytes/workgroup (compile time only)
; SGPRBlocks: 0
; VGPRBlocks: 2
; NumSGPRsForWavesPerEU: 54
; NumVGPRsForWavesPerEU: 23
; Occupancy: 16
; WaveLimiterHint : 0
; COMPUTE_PGM_RSRC2:SCRATCH_EN: 0
; COMPUTE_PGM_RSRC2:USER_SGPR: 2
; COMPUTE_PGM_RSRC2:TRAP_HANDLER: 0
; COMPUTE_PGM_RSRC2:TGID_X_EN: 1
; COMPUTE_PGM_RSRC2:TGID_Y_EN: 0
; COMPUTE_PGM_RSRC2:TGID_Z_EN: 1
; COMPUTE_PGM_RSRC2:TIDIG_COMP_CNT: 0
	.section	.text._ZL32rocblas_gemvt_warp_reduce_kernelILb1ELi1024EiDF16_ffEviiT3_lPKT2_lT1_lS3_lS4_lS0_lPT4_lS4_li,"axG",@progbits,_ZL32rocblas_gemvt_warp_reduce_kernelILb1ELi1024EiDF16_ffEviiT3_lPKT2_lT1_lS3_lS4_lS0_lPT4_lS4_li,comdat
	.globl	_ZL32rocblas_gemvt_warp_reduce_kernelILb1ELi1024EiDF16_ffEviiT3_lPKT2_lT1_lS3_lS4_lS0_lPT4_lS4_li ; -- Begin function _ZL32rocblas_gemvt_warp_reduce_kernelILb1ELi1024EiDF16_ffEviiT3_lPKT2_lT1_lS3_lS4_lS0_lPT4_lS4_li
	.p2align	8
	.type	_ZL32rocblas_gemvt_warp_reduce_kernelILb1ELi1024EiDF16_ffEviiT3_lPKT2_lT1_lS3_lS4_lS0_lPT4_lS4_li,@function
_ZL32rocblas_gemvt_warp_reduce_kernelILb1ELi1024EiDF16_ffEviiT3_lPKT2_lT1_lS3_lS4_lS0_lPT4_lS4_li: ; @_ZL32rocblas_gemvt_warp_reduce_kernelILb1ELi1024EiDF16_ffEviiT3_lPKT2_lT1_lS3_lS4_lS0_lPT4_lS4_li
; %bb.0:
	s_load_b32 s19, s[0:1], 0x88
	s_lshr_b32 s24, ttmp7, 16
	s_wait_kmcnt 0x0
	s_cmp_ge_u32 s24, s19
	s_cbranch_scc1 .LBB502_34
; %bb.1:
	s_clause 0x9
	s_load_b96 s[20:22], s[0:1], 0x40
	s_load_b128 s[4:7], s[0:1], 0x68
	s_load_b128 s[12:15], s[0:1], 0x18
	s_load_b32 s33, s[0:1], 0x8
	s_load_b96 s[16:18], s[0:1], 0x50
	s_load_b128 s[8:11], s[0:1], 0x30
	s_load_b32 s23, s[0:1], 0x0
	s_load_b32 s3, s[0:1], 0x28
	;; [unrolled: 1-line block ×3, first 2 shown]
	s_load_b64 s[26:27], s[0:1], 0x80
	v_and_b32_e32 v1, 31, v0
	v_lshrrev_b32_e32 v2, 3, v0
	v_mov_b32_e32 v9, 0
	v_mbcnt_lo_u32_b32 v15, -1, 0
	v_cmp_eq_u32_e64 s0, 0, v0
	v_lshlrev_b32_e32 v10, 2, v1
	v_cmp_eq_u32_e64 s2, 0, v1
	v_and_b32_e32 v11, 0x7c, v2
	v_cmp_gt_u32_e64 s1, 32, v0
	v_lshl_or_b32 v16, v15, 2, 64
	s_wait_kmcnt 0x0
	s_lshl_b64 s[20:21], s[20:21], 1
	s_lshl_b64 s[28:29], s[6:7], 2
	;; [unrolled: 1-line block ×3, first 2 shown]
	s_cmp_eq_f32 s33, 0
	v_mul_lo_u32 v12, v0, s22
	s_mov_b32 s25, 0
	v_cmp_gt_i32_e32 vcc_lo, s23, v0
	s_cselect_b32 s34, -1, 0
	s_cmp_neq_f32 s33, 0
	s_mul_i32 s38, s35, ttmp9
	s_mul_i32 s40, s3, ttmp9
	v_cndmask_b32_e32 v1, 0, v0, vcc_lo
	s_cselect_b32 s6, -1, 0
	s_cmp_neq_f32 s18, 1.0
	s_delay_alu instid0(VALU_DEP_1) | instskip(SKIP_1) | instid1(SALU_CYCLE_1)
	v_lshlrev_b32_e32 v1, 1, v1
	s_cselect_b32 s7, -1, 0
	s_or_b32 s35, s6, s7
	s_cmp_neq_f32 s18, 0
	s_add_nc_u64 s[6:7], s[10:11], s[20:21]
	s_add_nc_u64 s[10:11], s[4:5], s[28:29]
	;; [unrolled: 1-line block ×3, first 2 shown]
	s_cselect_b32 s36, -1, 0
	s_ashr_i32 s3, s23, 31
	s_ashr_i32 s41, s40, 31
	s_lshr_b32 s3, s3, 22
	s_ashr_i32 s39, s38, 31
	s_add_co_i32 s3, s23, s3
	s_lshl_b32 s37, s22, 10
	s_and_b32 s14, s3, 0xfffffc00
	v_add_co_u32 v4, s3, s4, v1
	v_or_b32_e32 v2, s14, v0
	v_add_co_ci_u32_e64 v5, null, s5, 0, s3
	s_lshl_b64 s[4:5], s[40:41], 1
	v_cmp_gt_i32_e64 s3, s14, v0
	v_mul_lo_u32 v3, s22, v2
	s_wait_alu 0xfffe
	v_add_co_u32 v13, vcc_lo, v4, s4
	s_add_nc_u64 s[20:21], s[30:31], s[4:5]
	s_wait_alu 0xfffd
	v_add_co_ci_u32_e64 v14, null, s5, v5, vcc_lo
	s_add_nc_u64 s[12:13], s[12:13], s[20:21]
	v_cmp_gt_i32_e64 s4, s23, v2
	v_ashrrev_i32_e32 v4, 31, v3
	v_add_co_u32 v1, s5, s12, v1
	s_wait_alu 0xf1ff
	v_add_co_ci_u32_e64 v2, null, s13, 0, s5
	s_delay_alu instid0(VALU_DEP_3)
	v_lshlrev_b64_e32 v[3:4], 1, v[3:4]
	s_ashr_i32 s15, s14, 31
	s_lshl_b64 s[12:13], s[8:9], 1
	s_lshl_b64 s[20:21], s[38:39], 2
	s_wait_alu 0xfffe
	s_lshl_b64 s[22:23], s[14:15], 1
	s_branch .LBB502_4
.LBB502_2:                              ;   in Loop: Header=BB502_4 Depth=1
	s_wait_alu 0xfffe
	s_or_b32 exec_lo, exec_lo, s5
.LBB502_3:                              ;   in Loop: Header=BB502_4 Depth=1
	s_add_co_i32 s24, s24, 0x10000
	s_wait_alu 0xfffe
	s_cmp_lt_u32 s24, s19
	s_cbranch_scc0 .LBB502_34
.LBB502_4:                              ; =>This Loop Header: Depth=1
                                        ;     Child Loop BB502_23 Depth 2
	s_and_not1_b32 vcc_lo, exec_lo, s35
	s_wait_alu 0xfffe
	s_cbranch_vccnz .LBB502_3
; %bb.5:                                ;   in Loop: Header=BB502_4 Depth=1
	s_mul_u64 s[28:29], s[26:27], s[24:25]
	s_and_not1_b32 vcc_lo, exec_lo, s34
	s_lshl_b64 s[28:29], s[28:29], 2
	s_delay_alu instid0(SALU_CYCLE_1)
	s_add_nc_u64 s[28:29], s[10:11], s[28:29]
	s_wait_alu 0xfffe
	s_cbranch_vccnz .LBB502_9
; %bb.6:                                ;   in Loop: Header=BB502_4 Depth=1
	s_mov_b32 s5, 0
	s_mov_b32 s15, 0
                                        ; implicit-def: $vgpr5
	s_and_saveexec_b32 s30, s0
	s_cbranch_execz .LBB502_10
; %bb.7:                                ;   in Loop: Header=BB502_4 Depth=1
	s_and_not1_b32 vcc_lo, exec_lo, s36
	s_wait_alu 0xfffe
	s_cbranch_vccnz .LBB502_11
; %bb.8:                                ;   in Loop: Header=BB502_4 Depth=1
	s_add_nc_u64 s[38:39], s[28:29], s[20:21]
	global_load_b32 v5, v9, s[38:39]
	s_wait_loadcnt 0x0
	v_mul_f32_e32 v5, s18, v5
	s_branch .LBB502_12
.LBB502_9:                              ;   in Loop: Header=BB502_4 Depth=1
	s_mov_b32 s15, 0
                                        ; implicit-def: $vgpr5
	s_cbranch_execnz .LBB502_13
	s_branch .LBB502_32
.LBB502_10:                             ;   in Loop: Header=BB502_4 Depth=1
	s_wait_alu 0xfffe
	s_or_b32 exec_lo, exec_lo, s30
	s_delay_alu instid0(SALU_CYCLE_1)
	s_and_b32 vcc_lo, exec_lo, s5
	s_wait_alu 0xfffe
	s_cbranch_vccnz .LBB502_13
	s_branch .LBB502_32
.LBB502_11:                             ;   in Loop: Header=BB502_4 Depth=1
	v_mov_b32_e32 v5, 0
.LBB502_12:                             ;   in Loop: Header=BB502_4 Depth=1
	s_mov_b32 s15, exec_lo
	s_or_b32 exec_lo, exec_lo, s30
	s_delay_alu instid0(SALU_CYCLE_1)
	s_and_b32 vcc_lo, exec_lo, s5
	s_wait_alu 0xfffe
	s_cbranch_vccz .LBB502_32
.LBB502_13:                             ;   in Loop: Header=BB502_4 Depth=1
	s_mul_u64 s[30:31], s[16:17], s[24:25]
	s_wait_dscnt 0x0
	v_mov_b32_e32 v17, 0
	s_wait_alu 0xfffe
	s_lshl_b64 s[30:31], s[30:31], 1
	s_wait_alu 0xfffe
	s_add_nc_u64 s[30:31], s[6:7], s[30:31]
	s_and_saveexec_b32 s38, s3
	s_cbranch_execnz .LBB502_22
; %bb.14:                               ;   in Loop: Header=BB502_4 Depth=1
	s_wait_alu 0xfffe
	s_or_b32 exec_lo, exec_lo, s38
	s_and_saveexec_b32 s5, s4
	s_cbranch_execnz .LBB502_25
.LBB502_15:                             ;   in Loop: Header=BB502_4 Depth=1
	s_wait_alu 0xfffe
	s_or_b32 exec_lo, exec_lo, s5
	s_and_saveexec_b32 s5, s1
.LBB502_16:                             ;   in Loop: Header=BB502_4 Depth=1
	ds_store_b32 v10, v9
.LBB502_17:                             ;   in Loop: Header=BB502_4 Depth=1
	s_wait_alu 0xfffe
	s_or_b32 exec_lo, exec_lo, s5
	ds_bpermute_b32 v6, v16, v17
	v_cmp_gt_u32_e32 vcc_lo, 24, v15
	s_wait_dscnt 0x0
	s_barrier_signal -1
	s_barrier_wait -1
	global_inv scope:SCOPE_SE
	s_wait_alu 0xfffd
	v_cndmask_b32_e64 v5, 0, 8, vcc_lo
	v_cmp_gt_u32_e32 vcc_lo, 28, v15
	s_delay_alu instid0(VALU_DEP_2)
	v_add_lshl_u32 v5, v5, v15, 2
	v_add_f32_e32 v7, v17, v6
	s_wait_alu 0xfffd
	v_cndmask_b32_e64 v6, 0, 4, vcc_lo
	v_cmp_gt_u32_e32 vcc_lo, 30, v15
	ds_bpermute_b32 v8, v5, v7
	v_add_lshl_u32 v6, v6, v15, 2
	s_wait_dscnt 0x0
	v_add_f32_e32 v8, v7, v8
	s_wait_alu 0xfffd
	v_cndmask_b32_e64 v7, 0, 2, vcc_lo
	v_cmp_ne_u32_e32 vcc_lo, 31, v15
	ds_bpermute_b32 v17, v6, v8
	v_add_lshl_u32 v7, v7, v15, 2
	s_wait_alu 0xfffd
	v_add_co_ci_u32_e64 v18, null, 0, v15, vcc_lo
	s_wait_dscnt 0x0
	v_add_f32_e32 v8, v8, v17
	ds_bpermute_b32 v17, v7, v8
	s_wait_dscnt 0x0
	v_dual_add_f32 v17, v8, v17 :: v_dual_lshlrev_b32 v8, 2, v18
	ds_bpermute_b32 v18, v8, v17
	s_and_saveexec_b32 s5, s2
	s_cbranch_execz .LBB502_19
; %bb.18:                               ;   in Loop: Header=BB502_4 Depth=1
	s_wait_dscnt 0x0
	v_add_f32_e32 v17, v17, v18
	ds_store_b32 v11, v17
.LBB502_19:                             ;   in Loop: Header=BB502_4 Depth=1
	s_wait_alu 0xfffe
	s_or_b32 exec_lo, exec_lo, s5
	v_mov_b32_e32 v17, 0
	s_wait_loadcnt_dscnt 0x0
	s_barrier_signal -1
	s_barrier_wait -1
	global_inv scope:SCOPE_SE
	s_and_saveexec_b32 s5, s1
	s_cbranch_execnz .LBB502_26
; %bb.20:                               ;   in Loop: Header=BB502_4 Depth=1
	s_wait_alu 0xfffe
	s_or_b32 exec_lo, exec_lo, s5
	s_and_saveexec_b32 s5, s1
	s_cbranch_execnz .LBB502_27
.LBB502_21:                             ;   in Loop: Header=BB502_4 Depth=1
	s_wait_alu 0xfffe
	s_or_b32 exec_lo, exec_lo, s5
                                        ; implicit-def: $vgpr5
	s_and_saveexec_b32 s5, s0
	s_cbranch_execnz .LBB502_28
	s_branch .LBB502_31
.LBB502_22:                             ;   in Loop: Header=BB502_4 Depth=1
	v_mad_co_u64_u32 v[5:6], null, s12, s24, v[1:2]
	v_dual_mov_b32 v17, 0 :: v_dual_mov_b32 v18, v0
	s_mov_b32 s39, 0
	s_delay_alu instid0(VALU_DEP_2)
	v_mad_co_u64_u32 v[6:7], null, s13, s24, v[6:7]
	v_mov_b32_e32 v7, v12
.LBB502_23:                             ;   Parent Loop BB502_4 Depth=1
                                        ; =>  This Inner Loop Header: Depth=2
	s_delay_alu instid0(VALU_DEP_1) | instskip(NEXT) | instid1(VALU_DEP_1)
	v_ashrrev_i32_e32 v8, 31, v7
	v_lshlrev_b64_e32 v[19:20], 1, v[7:8]
	v_add_nc_u32_e32 v7, s37, v7
	s_wait_alu 0xfffe
	s_delay_alu instid0(VALU_DEP_2) | instskip(SKIP_1) | instid1(VALU_DEP_3)
	v_add_co_u32 v19, vcc_lo, s30, v19
	s_wait_alu 0xfffd
	v_add_co_ci_u32_e64 v20, null, s31, v20, vcc_lo
	global_load_u16 v8, v[5:6], off
	global_load_u16 v19, v[19:20], off
	v_add_co_u32 v5, vcc_lo, 0x800, v5
	s_wait_alu 0xfffd
	v_add_co_ci_u32_e64 v6, null, 0, v6, vcc_lo
	s_wait_loadcnt 0x0
	v_mul_f16_e32 v8, v8, v19
	s_delay_alu instid0(VALU_DEP_1) | instskip(NEXT) | instid1(VALU_DEP_1)
	v_cvt_f32_f16_e32 v8, v8
	v_dual_add_f32 v17, v17, v8 :: v_dual_add_nc_u32 v18, 0x400, v18
	s_delay_alu instid0(VALU_DEP_1)
	v_cmp_le_i32_e64 s5, s14, v18
	s_or_b32 s39, s5, s39
	s_wait_alu 0xfffe
	s_and_not1_b32 exec_lo, exec_lo, s39
	s_cbranch_execnz .LBB502_23
; %bb.24:                               ;   in Loop: Header=BB502_4 Depth=1
	s_or_b32 exec_lo, exec_lo, s39
	s_delay_alu instid0(SALU_CYCLE_1)
	s_or_b32 exec_lo, exec_lo, s38
	s_and_saveexec_b32 s5, s4
	s_cbranch_execz .LBB502_15
.LBB502_25:                             ;   in Loop: Header=BB502_4 Depth=1
	s_mul_u64 s[38:39], s[8:9], s[24:25]
	s_wait_alu 0xfffe
	s_lshl_b64 s[38:39], s[38:39], 1
	s_wait_alu 0xfffe
	v_add_co_u32 v5, vcc_lo, v13, s38
	s_wait_alu 0xfffd
	v_add_co_ci_u32_e64 v6, null, s39, v14, vcc_lo
	s_delay_alu instid0(VALU_DEP_2) | instskip(SKIP_1) | instid1(VALU_DEP_2)
	v_add_co_u32 v5, vcc_lo, v5, s22
	s_wait_alu 0xfffd
	v_add_co_ci_u32_e64 v6, null, s23, v6, vcc_lo
	v_add_co_u32 v7, vcc_lo, s30, v3
	s_wait_alu 0xfffd
	v_add_co_ci_u32_e64 v8, null, s31, v4, vcc_lo
	global_load_u16 v5, v[5:6], off
	global_load_u16 v6, v[7:8], off
	s_wait_loadcnt 0x0
	v_mul_f16_e32 v5, v5, v6
	s_delay_alu instid0(VALU_DEP_1) | instskip(NEXT) | instid1(VALU_DEP_1)
	v_cvt_f32_f16_e32 v5, v5
	v_add_f32_e32 v17, v17, v5
	s_or_b32 exec_lo, exec_lo, s5
	s_and_saveexec_b32 s5, s1
	s_cbranch_execnz .LBB502_16
	s_branch .LBB502_17
.LBB502_26:                             ;   in Loop: Header=BB502_4 Depth=1
	ds_load_b32 v17, v10
	s_wait_alu 0xfffe
	s_or_b32 exec_lo, exec_lo, s5
	s_and_saveexec_b32 s5, s1
	s_cbranch_execz .LBB502_21
.LBB502_27:                             ;   in Loop: Header=BB502_4 Depth=1
	s_wait_dscnt 0x0
	ds_bpermute_b32 v18, v16, v17
	s_wait_dscnt 0x0
	v_add_f32_e32 v17, v17, v18
	ds_bpermute_b32 v5, v5, v17
	s_wait_dscnt 0x0
	v_add_f32_e32 v5, v17, v5
	;; [unrolled: 3-line block ×5, first 2 shown]
	s_wait_alu 0xfffe
	s_or_b32 exec_lo, exec_lo, s5
                                        ; implicit-def: $vgpr5
	s_and_saveexec_b32 s5, s0
	s_cbranch_execz .LBB502_31
.LBB502_28:                             ;   in Loop: Header=BB502_4 Depth=1
	s_wait_dscnt 0x0
	v_mul_f32_e32 v5, s33, v17
	s_and_not1_b32 vcc_lo, exec_lo, s36
	s_wait_alu 0xfffe
	s_cbranch_vccnz .LBB502_30
; %bb.29:                               ;   in Loop: Header=BB502_4 Depth=1
	s_add_nc_u64 s[30:31], s[28:29], s[20:21]
	global_load_b32 v6, v9, s[30:31]
	s_wait_loadcnt 0x0
	v_fmac_f32_e32 v5, s18, v6
.LBB502_30:                             ;   in Loop: Header=BB502_4 Depth=1
	s_or_b32 s15, s15, exec_lo
.LBB502_31:                             ;   in Loop: Header=BB502_4 Depth=1
	s_wait_alu 0xfffe
	s_or_b32 exec_lo, exec_lo, s5
.LBB502_32:                             ;   in Loop: Header=BB502_4 Depth=1
	s_wait_alu 0xfffe
	s_and_saveexec_b32 s5, s15
	s_cbranch_execz .LBB502_2
; %bb.33:                               ;   in Loop: Header=BB502_4 Depth=1
	s_add_nc_u64 s[28:29], s[28:29], s[20:21]
	global_store_b32 v9, v5, s[28:29]
	s_branch .LBB502_2
.LBB502_34:
	s_endpgm
	.section	.rodata,"a",@progbits
	.p2align	6, 0x0
	.amdhsa_kernel _ZL32rocblas_gemvt_warp_reduce_kernelILb1ELi1024EiDF16_ffEviiT3_lPKT2_lT1_lS3_lS4_lS0_lPT4_lS4_li
		.amdhsa_group_segment_fixed_size 128
		.amdhsa_private_segment_fixed_size 0
		.amdhsa_kernarg_size 140
		.amdhsa_user_sgpr_count 2
		.amdhsa_user_sgpr_dispatch_ptr 0
		.amdhsa_user_sgpr_queue_ptr 0
		.amdhsa_user_sgpr_kernarg_segment_ptr 1
		.amdhsa_user_sgpr_dispatch_id 0
		.amdhsa_user_sgpr_private_segment_size 0
		.amdhsa_wavefront_size32 1
		.amdhsa_uses_dynamic_stack 0
		.amdhsa_enable_private_segment 0
		.amdhsa_system_sgpr_workgroup_id_x 1
		.amdhsa_system_sgpr_workgroup_id_y 0
		.amdhsa_system_sgpr_workgroup_id_z 1
		.amdhsa_system_sgpr_workgroup_info 0
		.amdhsa_system_vgpr_workitem_id 0
		.amdhsa_next_free_vgpr 21
		.amdhsa_next_free_sgpr 42
		.amdhsa_reserve_vcc 1
		.amdhsa_float_round_mode_32 0
		.amdhsa_float_round_mode_16_64 0
		.amdhsa_float_denorm_mode_32 3
		.amdhsa_float_denorm_mode_16_64 3
		.amdhsa_fp16_overflow 0
		.amdhsa_workgroup_processor_mode 1
		.amdhsa_memory_ordered 1
		.amdhsa_forward_progress 1
		.amdhsa_inst_pref_size 13
		.amdhsa_round_robin_scheduling 0
		.amdhsa_exception_fp_ieee_invalid_op 0
		.amdhsa_exception_fp_denorm_src 0
		.amdhsa_exception_fp_ieee_div_zero 0
		.amdhsa_exception_fp_ieee_overflow 0
		.amdhsa_exception_fp_ieee_underflow 0
		.amdhsa_exception_fp_ieee_inexact 0
		.amdhsa_exception_int_div_zero 0
	.end_amdhsa_kernel
	.section	.text._ZL32rocblas_gemvt_warp_reduce_kernelILb1ELi1024EiDF16_ffEviiT3_lPKT2_lT1_lS3_lS4_lS0_lPT4_lS4_li,"axG",@progbits,_ZL32rocblas_gemvt_warp_reduce_kernelILb1ELi1024EiDF16_ffEviiT3_lPKT2_lT1_lS3_lS4_lS0_lPT4_lS4_li,comdat
.Lfunc_end502:
	.size	_ZL32rocblas_gemvt_warp_reduce_kernelILb1ELi1024EiDF16_ffEviiT3_lPKT2_lT1_lS3_lS4_lS0_lPT4_lS4_li, .Lfunc_end502-_ZL32rocblas_gemvt_warp_reduce_kernelILb1ELi1024EiDF16_ffEviiT3_lPKT2_lT1_lS3_lS4_lS0_lPT4_lS4_li
                                        ; -- End function
	.set _ZL32rocblas_gemvt_warp_reduce_kernelILb1ELi1024EiDF16_ffEviiT3_lPKT2_lT1_lS3_lS4_lS0_lPT4_lS4_li.num_vgpr, 21
	.set _ZL32rocblas_gemvt_warp_reduce_kernelILb1ELi1024EiDF16_ffEviiT3_lPKT2_lT1_lS3_lS4_lS0_lPT4_lS4_li.num_agpr, 0
	.set _ZL32rocblas_gemvt_warp_reduce_kernelILb1ELi1024EiDF16_ffEviiT3_lPKT2_lT1_lS3_lS4_lS0_lPT4_lS4_li.numbered_sgpr, 42
	.set _ZL32rocblas_gemvt_warp_reduce_kernelILb1ELi1024EiDF16_ffEviiT3_lPKT2_lT1_lS3_lS4_lS0_lPT4_lS4_li.num_named_barrier, 0
	.set _ZL32rocblas_gemvt_warp_reduce_kernelILb1ELi1024EiDF16_ffEviiT3_lPKT2_lT1_lS3_lS4_lS0_lPT4_lS4_li.private_seg_size, 0
	.set _ZL32rocblas_gemvt_warp_reduce_kernelILb1ELi1024EiDF16_ffEviiT3_lPKT2_lT1_lS3_lS4_lS0_lPT4_lS4_li.uses_vcc, 1
	.set _ZL32rocblas_gemvt_warp_reduce_kernelILb1ELi1024EiDF16_ffEviiT3_lPKT2_lT1_lS3_lS4_lS0_lPT4_lS4_li.uses_flat_scratch, 0
	.set _ZL32rocblas_gemvt_warp_reduce_kernelILb1ELi1024EiDF16_ffEviiT3_lPKT2_lT1_lS3_lS4_lS0_lPT4_lS4_li.has_dyn_sized_stack, 0
	.set _ZL32rocblas_gemvt_warp_reduce_kernelILb1ELi1024EiDF16_ffEviiT3_lPKT2_lT1_lS3_lS4_lS0_lPT4_lS4_li.has_recursion, 0
	.set _ZL32rocblas_gemvt_warp_reduce_kernelILb1ELi1024EiDF16_ffEviiT3_lPKT2_lT1_lS3_lS4_lS0_lPT4_lS4_li.has_indirect_call, 0
	.section	.AMDGPU.csdata,"",@progbits
; Kernel info:
; codeLenInByte = 1564
; TotalNumSgprs: 44
; NumVgprs: 21
; ScratchSize: 0
; MemoryBound: 0
; FloatMode: 240
; IeeeMode: 1
; LDSByteSize: 128 bytes/workgroup (compile time only)
; SGPRBlocks: 0
; VGPRBlocks: 2
; NumSGPRsForWavesPerEU: 44
; NumVGPRsForWavesPerEU: 21
; Occupancy: 16
; WaveLimiterHint : 0
; COMPUTE_PGM_RSRC2:SCRATCH_EN: 0
; COMPUTE_PGM_RSRC2:USER_SGPR: 2
; COMPUTE_PGM_RSRC2:TRAP_HANDLER: 0
; COMPUTE_PGM_RSRC2:TGID_X_EN: 1
; COMPUTE_PGM_RSRC2:TGID_Y_EN: 0
; COMPUTE_PGM_RSRC2:TGID_Z_EN: 1
; COMPUTE_PGM_RSRC2:TIDIG_COMP_CNT: 0
	.section	.text._ZL32rocblas_gemvt_warp_reduce_kernelILb1ELi1024ElDF16_ffEviiT3_lPKT2_lT1_lS3_lS4_lS0_lPT4_lS4_li,"axG",@progbits,_ZL32rocblas_gemvt_warp_reduce_kernelILb1ELi1024ElDF16_ffEviiT3_lPKT2_lT1_lS3_lS4_lS0_lPT4_lS4_li,comdat
	.globl	_ZL32rocblas_gemvt_warp_reduce_kernelILb1ELi1024ElDF16_ffEviiT3_lPKT2_lT1_lS3_lS4_lS0_lPT4_lS4_li ; -- Begin function _ZL32rocblas_gemvt_warp_reduce_kernelILb1ELi1024ElDF16_ffEviiT3_lPKT2_lT1_lS3_lS4_lS0_lPT4_lS4_li
	.p2align	8
	.type	_ZL32rocblas_gemvt_warp_reduce_kernelILb1ELi1024ElDF16_ffEviiT3_lPKT2_lT1_lS3_lS4_lS0_lPT4_lS4_li,@function
_ZL32rocblas_gemvt_warp_reduce_kernelILb1ELi1024ElDF16_ffEviiT3_lPKT2_lT1_lS3_lS4_lS0_lPT4_lS4_li: ; @_ZL32rocblas_gemvt_warp_reduce_kernelILb1ELi1024ElDF16_ffEviiT3_lPKT2_lT1_lS3_lS4_lS0_lPT4_lS4_li
; %bb.0:
	s_load_b32 s33, s[0:1], 0x88
	s_lshr_b32 s6, ttmp7, 16
	s_wait_kmcnt 0x0
	s_cmp_ge_u32 s6, s33
	s_cbranch_scc1 .LBB503_34
; %bb.1:
	s_clause 0x4
	s_load_b512 s[8:23], s[0:1], 0x18
	s_load_b256 s[24:31], s[0:1], 0x68
	s_load_b32 s34, s[0:1], 0x8
	s_load_b32 s35, s[0:1], 0x58
	;; [unrolled: 1-line block ×3, first 2 shown]
	s_mov_b32 s2, ttmp9
	v_dual_mov_b32 v11, 0 :: v_dual_and_b32 v4, 31, v0
	v_lshrrev_b32_e32 v7, 3, v0
	v_mbcnt_lo_u32_b32 v16, -1, 0
	v_cmp_eq_u32_e64 s0, 0, v0
	v_cmp_gt_u32_e64 s1, 32, v0
	v_lshlrev_b32_e32 v12, 2, v4
	s_mov_b32 s7, 0
	v_lshl_or_b32 v17, v16, 2, 64
	s_wait_kmcnt 0x0
	s_lshl_b64 s[4:5], s[18:19], 1
	s_lshl_b64 s[18:19], s[26:27], 2
	;; [unrolled: 1-line block ×3, first 2 shown]
	s_cmp_eq_f32 s34, 0
	v_cmp_gt_i32_e32 vcc_lo, s39, v0
	v_mad_co_u64_u32 v[1:2], null, s20, v0, 0
	s_cselect_b32 s36, -1, 0
	s_cmp_neq_f32 s34, 0
	v_cndmask_b32_e32 v3, 0, v0, vcc_lo
	s_add_nc_u64 s[10:11], s[16:17], s[4:5]
	s_add_nc_u64 s[16:17], s[24:25], s[18:19]
	s_cselect_b32 s3, -1, 0
	s_cmp_neq_f32 s35, 1.0
	v_lshlrev_b32_e32 v8, 1, v3
	s_add_nc_u64 s[4:5], s[8:9], s[26:27]
	v_mad_co_u64_u32 v[2:3], null, s21, v0, v[2:3]
	s_cselect_b32 s37, -1, 0
	v_add_co_u32 v3, s4, s4, v8
	s_or_b32 s37, s3, s37
	s_cmp_neq_f32 s35, 0
	s_wait_alu 0xf1ff
	v_add_co_ci_u32_e64 v9, null, s5, 0, s4
	s_cselect_b32 s38, -1, 0
	s_ashr_i32 s3, s39, 31
	s_delay_alu instid0(SALU_CYCLE_1) | instskip(NEXT) | instid1(SALU_CYCLE_1)
	s_lshr_b32 s3, s3, 22
	s_add_co_i32 s3, s39, s3
	s_delay_alu instid0(SALU_CYCLE_1)
	s_and_b32 s18, s3, 0xfffffc00
	s_ashr_i32 s3, ttmp9, 31
	v_or_b32_e32 v10, s18, v0
	s_mul_u64 s[4:5], s[12:13], s[2:3]
	s_ashr_i32 s19, s18, 31
	s_wait_alu 0xfffe
	s_lshl_b64 s[12:13], s[4:5], 1
	s_mul_i32 s4, s20, s19
	v_mul_lo_u32 v15, s21, v10
	v_mad_co_u64_u32 v[5:6], null, s20, v10, 0
	v_add_co_u32 v13, vcc_lo, v3, s12
	s_wait_alu 0xfffd
	v_add_co_ci_u32_e64 v14, null, s13, v9, vcc_lo
	s_add_nc_u64 s[12:13], s[12:13], s[26:27]
	s_mul_u64 s[24:25], s[28:29], s[2:3]
	s_wait_alu 0xfffe
	v_add3_u32 v6, v6, s4, v15
	v_cmp_eq_u32_e64 s4, 0, v4
	v_lshlrev_b64_e32 v[3:4], 1, v[1:2]
	s_add_nc_u64 s[8:9], s[8:9], s[12:13]
	v_cmp_gt_i32_e64 s2, s18, v0
	v_add_co_u32 v1, s5, s8, v8
	v_lshlrev_b64_e32 v[5:6], 1, v[5:6]
	s_delay_alu instid0(VALU_DEP_4)
	v_add_co_u32 v3, vcc_lo, s10, v3
	v_cmp_gt_i32_e64 s3, s39, v10
	v_and_b32_e32 v15, 0x7c, v7
	s_wait_alu 0xf1ff
	v_add_co_ci_u32_e64 v2, null, s9, 0, s5
	s_wait_alu 0xfffd
	v_add_co_ci_u32_e64 v4, null, s11, v4, vcc_lo
	s_lshl_b64 s[8:9], s[14:15], 1
	s_lshl_b64 s[12:13], s[22:23], 1
	;; [unrolled: 1-line block ×5, first 2 shown]
	s_branch .LBB503_4
.LBB503_2:                              ;   in Loop: Header=BB503_4 Depth=1
	s_wait_alu 0xfffe
	s_or_b32 exec_lo, exec_lo, s5
.LBB503_3:                              ;   in Loop: Header=BB503_4 Depth=1
	s_add_co_i32 s6, s6, 0x10000
	s_wait_alu 0xfffe
	s_cmp_lt_u32 s6, s33
	s_cbranch_scc0 .LBB503_34
.LBB503_4:                              ; =>This Loop Header: Depth=1
                                        ;     Child Loop BB503_23 Depth 2
	s_and_not1_b32 vcc_lo, exec_lo, s37
	s_wait_alu 0xfffe
	s_cbranch_vccnz .LBB503_3
; %bb.5:                                ;   in Loop: Header=BB503_4 Depth=1
	s_mul_u64 s[28:29], s[30:31], s[6:7]
	s_and_not1_b32 vcc_lo, exec_lo, s36
	s_lshl_b64 s[28:29], s[28:29], 2
	s_delay_alu instid0(SALU_CYCLE_1)
	s_add_nc_u64 s[28:29], s[16:17], s[28:29]
	s_wait_alu 0xfffe
	s_cbranch_vccnz .LBB503_9
; %bb.6:                                ;   in Loop: Header=BB503_4 Depth=1
	s_mov_b32 s5, 0
	s_mov_b32 s19, 0
                                        ; implicit-def: $vgpr7
	s_and_saveexec_b32 s39, s0
	s_cbranch_execz .LBB503_10
; %bb.7:                                ;   in Loop: Header=BB503_4 Depth=1
	s_and_not1_b32 vcc_lo, exec_lo, s38
	s_wait_alu 0xfffe
	s_cbranch_vccnz .LBB503_11
; %bb.8:                                ;   in Loop: Header=BB503_4 Depth=1
	s_add_nc_u64 s[40:41], s[28:29], s[24:25]
	global_load_b32 v7, v11, s[40:41]
	s_wait_loadcnt 0x0
	v_mul_f32_e32 v7, s35, v7
	s_branch .LBB503_12
.LBB503_9:                              ;   in Loop: Header=BB503_4 Depth=1
	s_mov_b32 s19, 0
                                        ; implicit-def: $vgpr7
	s_cbranch_execnz .LBB503_13
	s_branch .LBB503_32
.LBB503_10:                             ;   in Loop: Header=BB503_4 Depth=1
	s_wait_alu 0xfffe
	s_or_b32 exec_lo, exec_lo, s39
	s_delay_alu instid0(SALU_CYCLE_1)
	s_and_b32 vcc_lo, exec_lo, s5
	s_wait_alu 0xfffe
	s_cbranch_vccnz .LBB503_13
	s_branch .LBB503_32
.LBB503_11:                             ;   in Loop: Header=BB503_4 Depth=1
	v_mov_b32_e32 v7, 0
.LBB503_12:                             ;   in Loop: Header=BB503_4 Depth=1
	s_mov_b32 s19, exec_lo
	s_or_b32 exec_lo, exec_lo, s39
	s_delay_alu instid0(SALU_CYCLE_1)
	s_and_b32 vcc_lo, exec_lo, s5
	s_wait_alu 0xfffe
	s_cbranch_vccz .LBB503_32
.LBB503_13:                             ;   in Loop: Header=BB503_4 Depth=1
	s_wait_dscnt 0x0
	v_mov_b32_e32 v18, 0
	s_and_saveexec_b32 s39, s2
	s_cbranch_execnz .LBB503_22
; %bb.14:                               ;   in Loop: Header=BB503_4 Depth=1
	s_wait_alu 0xfffe
	s_or_b32 exec_lo, exec_lo, s39
	s_and_saveexec_b32 s5, s3
	s_cbranch_execnz .LBB503_25
.LBB503_15:                             ;   in Loop: Header=BB503_4 Depth=1
	s_wait_alu 0xfffe
	s_or_b32 exec_lo, exec_lo, s5
	s_and_saveexec_b32 s5, s1
.LBB503_16:                             ;   in Loop: Header=BB503_4 Depth=1
	ds_store_b32 v12, v11
.LBB503_17:                             ;   in Loop: Header=BB503_4 Depth=1
	s_wait_alu 0xfffe
	s_or_b32 exec_lo, exec_lo, s5
	ds_bpermute_b32 v8, v17, v18
	v_cmp_gt_u32_e32 vcc_lo, 24, v16
	s_wait_dscnt 0x0
	s_barrier_signal -1
	s_barrier_wait -1
	global_inv scope:SCOPE_SE
	s_wait_alu 0xfffd
	v_cndmask_b32_e64 v7, 0, 8, vcc_lo
	v_cmp_gt_u32_e32 vcc_lo, 28, v16
	s_delay_alu instid0(VALU_DEP_2)
	v_add_lshl_u32 v7, v7, v16, 2
	v_add_f32_e32 v9, v18, v8
	s_wait_alu 0xfffd
	v_cndmask_b32_e64 v8, 0, 4, vcc_lo
	v_cmp_gt_u32_e32 vcc_lo, 30, v16
	ds_bpermute_b32 v10, v7, v9
	v_add_lshl_u32 v8, v8, v16, 2
	s_wait_dscnt 0x0
	v_add_f32_e32 v10, v9, v10
	s_wait_alu 0xfffd
	v_cndmask_b32_e64 v9, 0, 2, vcc_lo
	v_cmp_ne_u32_e32 vcc_lo, 31, v16
	ds_bpermute_b32 v18, v8, v10
	v_add_lshl_u32 v9, v9, v16, 2
	s_wait_alu 0xfffd
	v_add_co_ci_u32_e64 v19, null, 0, v16, vcc_lo
	s_wait_dscnt 0x0
	v_add_f32_e32 v10, v10, v18
	ds_bpermute_b32 v18, v9, v10
	s_wait_dscnt 0x0
	v_add_f32_e32 v18, v10, v18
	v_lshlrev_b32_e32 v10, 2, v19
	ds_bpermute_b32 v19, v10, v18
	s_and_saveexec_b32 s5, s4
	s_cbranch_execz .LBB503_19
; %bb.18:                               ;   in Loop: Header=BB503_4 Depth=1
	s_wait_dscnt 0x0
	v_add_f32_e32 v18, v18, v19
	ds_store_b32 v15, v18
.LBB503_19:                             ;   in Loop: Header=BB503_4 Depth=1
	s_wait_alu 0xfffe
	s_or_b32 exec_lo, exec_lo, s5
	v_mov_b32_e32 v18, 0
	s_wait_loadcnt_dscnt 0x0
	s_barrier_signal -1
	s_barrier_wait -1
	global_inv scope:SCOPE_SE
	s_and_saveexec_b32 s5, s1
	s_cbranch_execnz .LBB503_26
; %bb.20:                               ;   in Loop: Header=BB503_4 Depth=1
	s_wait_alu 0xfffe
	s_or_b32 exec_lo, exec_lo, s5
	s_and_saveexec_b32 s5, s1
	s_cbranch_execnz .LBB503_27
.LBB503_21:                             ;   in Loop: Header=BB503_4 Depth=1
	s_wait_alu 0xfffe
	s_or_b32 exec_lo, exec_lo, s5
                                        ; implicit-def: $vgpr7
	s_and_saveexec_b32 s5, s0
	s_cbranch_execnz .LBB503_28
	s_branch .LBB503_31
.LBB503_22:                             ;   in Loop: Header=BB503_4 Depth=1
	v_mad_co_u64_u32 v[7:8], null, s8, s6, v[1:2]
	v_mad_co_u64_u32 v[9:10], null, s12, s6, v[3:4]
	v_mov_b32_e32 v18, 0
	s_mov_b32 s40, 0
	s_delay_alu instid0(VALU_DEP_2) | instskip(NEXT) | instid1(VALU_DEP_3)
	v_mad_co_u64_u32 v[19:20], null, s9, s6, v[8:9]
	v_mad_co_u64_u32 v[20:21], null, s13, s6, v[10:11]
	s_delay_alu instid0(VALU_DEP_2) | instskip(NEXT) | instid1(VALU_DEP_2)
	v_dual_mov_b32 v8, v19 :: v_dual_mov_b32 v19, v0
	v_mov_b32_e32 v10, v20
.LBB503_23:                             ;   Parent Loop BB503_4 Depth=1
                                        ; =>  This Inner Loop Header: Depth=2
	global_load_u16 v20, v[7:8], off
	global_load_u16 v21, v[9:10], off
	v_add_co_u32 v7, vcc_lo, 0x800, v7
	s_wait_alu 0xfffd
	v_add_co_ci_u32_e64 v8, null, 0, v8, vcc_lo
	v_add_co_u32 v9, vcc_lo, v9, s20
	s_wait_alu 0xfffd
	v_add_co_ci_u32_e64 v10, null, s21, v10, vcc_lo
	s_wait_loadcnt 0x0
	v_mul_f16_e32 v20, v20, v21
	s_delay_alu instid0(VALU_DEP_1) | instskip(NEXT) | instid1(VALU_DEP_1)
	v_cvt_f32_f16_e32 v20, v20
	v_dual_add_f32 v18, v18, v20 :: v_dual_add_nc_u32 v19, 0x400, v19
	s_delay_alu instid0(VALU_DEP_1)
	v_cmp_le_i32_e64 s5, s18, v19
	s_wait_alu 0xfffe
	s_or_b32 s40, s5, s40
	s_wait_alu 0xfffe
	s_and_not1_b32 exec_lo, exec_lo, s40
	s_cbranch_execnz .LBB503_23
; %bb.24:                               ;   in Loop: Header=BB503_4 Depth=1
	s_or_b32 exec_lo, exec_lo, s40
	s_delay_alu instid0(SALU_CYCLE_1)
	s_or_b32 exec_lo, exec_lo, s39
	s_and_saveexec_b32 s5, s3
	s_cbranch_execz .LBB503_15
.LBB503_25:                             ;   in Loop: Header=BB503_4 Depth=1
	s_mul_u64 s[40:41], s[14:15], s[6:7]
	s_mul_u64 s[42:43], s[22:23], s[6:7]
	s_wait_alu 0xfffe
	s_lshl_b64 s[40:41], s[40:41], 1
	s_lshl_b64 s[42:43], s[42:43], 1
	s_wait_alu 0xfffe
	v_add_co_u32 v7, vcc_lo, v13, s40
	s_wait_alu 0xfffd
	v_add_co_ci_u32_e64 v8, null, s41, v14, vcc_lo
	s_add_nc_u64 s[40:41], s[10:11], s[42:43]
	v_add_co_u32 v7, vcc_lo, v7, s26
	s_wait_alu 0xfffd
	v_add_co_ci_u32_e64 v8, null, s27, v8, vcc_lo
	s_wait_alu 0xfffe
	v_add_co_u32 v9, vcc_lo, s40, v5
	s_wait_alu 0xfffd
	v_add_co_ci_u32_e64 v10, null, s41, v6, vcc_lo
	global_load_u16 v7, v[7:8], off
	global_load_u16 v8, v[9:10], off
	s_wait_loadcnt 0x0
	v_mul_f16_e32 v7, v7, v8
	s_delay_alu instid0(VALU_DEP_1) | instskip(NEXT) | instid1(VALU_DEP_1)
	v_cvt_f32_f16_e32 v7, v7
	v_add_f32_e32 v18, v18, v7
	s_or_b32 exec_lo, exec_lo, s5
	s_and_saveexec_b32 s5, s1
	s_cbranch_execnz .LBB503_16
	s_branch .LBB503_17
.LBB503_26:                             ;   in Loop: Header=BB503_4 Depth=1
	ds_load_b32 v18, v12
	s_wait_alu 0xfffe
	s_or_b32 exec_lo, exec_lo, s5
	s_and_saveexec_b32 s5, s1
	s_cbranch_execz .LBB503_21
.LBB503_27:                             ;   in Loop: Header=BB503_4 Depth=1
	s_wait_dscnt 0x0
	ds_bpermute_b32 v19, v17, v18
	s_wait_dscnt 0x0
	v_add_f32_e32 v18, v18, v19
	ds_bpermute_b32 v7, v7, v18
	s_wait_dscnt 0x0
	v_add_f32_e32 v7, v18, v7
	ds_bpermute_b32 v8, v8, v7
	s_wait_dscnt 0x0
	v_add_f32_e32 v7, v7, v8
	ds_bpermute_b32 v8, v9, v7
	s_wait_dscnt 0x0
	v_add_f32_e32 v7, v7, v8
	ds_bpermute_b32 v8, v10, v7
	s_wait_dscnt 0x0
	v_add_f32_e32 v18, v7, v8
	s_wait_alu 0xfffe
	s_or_b32 exec_lo, exec_lo, s5
                                        ; implicit-def: $vgpr7
	s_and_saveexec_b32 s5, s0
	s_cbranch_execz .LBB503_31
.LBB503_28:                             ;   in Loop: Header=BB503_4 Depth=1
	s_wait_dscnt 0x0
	v_mul_f32_e32 v7, s34, v18
	s_and_not1_b32 vcc_lo, exec_lo, s38
	s_wait_alu 0xfffe
	s_cbranch_vccnz .LBB503_30
; %bb.29:                               ;   in Loop: Header=BB503_4 Depth=1
	s_add_nc_u64 s[40:41], s[28:29], s[24:25]
	global_load_b32 v8, v11, s[40:41]
	s_wait_loadcnt 0x0
	v_fmac_f32_e32 v7, s35, v8
.LBB503_30:                             ;   in Loop: Header=BB503_4 Depth=1
	s_or_b32 s19, s19, exec_lo
.LBB503_31:                             ;   in Loop: Header=BB503_4 Depth=1
	s_wait_alu 0xfffe
	s_or_b32 exec_lo, exec_lo, s5
.LBB503_32:                             ;   in Loop: Header=BB503_4 Depth=1
	s_wait_alu 0xfffe
	s_and_saveexec_b32 s5, s19
	s_cbranch_execz .LBB503_2
; %bb.33:                               ;   in Loop: Header=BB503_4 Depth=1
	s_add_nc_u64 s[28:29], s[28:29], s[24:25]
	global_store_b32 v11, v7, s[28:29]
	s_branch .LBB503_2
.LBB503_34:
	s_endpgm
	.section	.rodata,"a",@progbits
	.p2align	6, 0x0
	.amdhsa_kernel _ZL32rocblas_gemvt_warp_reduce_kernelILb1ELi1024ElDF16_ffEviiT3_lPKT2_lT1_lS3_lS4_lS0_lPT4_lS4_li
		.amdhsa_group_segment_fixed_size 128
		.amdhsa_private_segment_fixed_size 0
		.amdhsa_kernarg_size 140
		.amdhsa_user_sgpr_count 2
		.amdhsa_user_sgpr_dispatch_ptr 0
		.amdhsa_user_sgpr_queue_ptr 0
		.amdhsa_user_sgpr_kernarg_segment_ptr 1
		.amdhsa_user_sgpr_dispatch_id 0
		.amdhsa_user_sgpr_private_segment_size 0
		.amdhsa_wavefront_size32 1
		.amdhsa_uses_dynamic_stack 0
		.amdhsa_enable_private_segment 0
		.amdhsa_system_sgpr_workgroup_id_x 1
		.amdhsa_system_sgpr_workgroup_id_y 0
		.amdhsa_system_sgpr_workgroup_id_z 1
		.amdhsa_system_sgpr_workgroup_info 0
		.amdhsa_system_vgpr_workitem_id 0
		.amdhsa_next_free_vgpr 22
		.amdhsa_next_free_sgpr 44
		.amdhsa_reserve_vcc 1
		.amdhsa_float_round_mode_32 0
		.amdhsa_float_round_mode_16_64 0
		.amdhsa_float_denorm_mode_32 3
		.amdhsa_float_denorm_mode_16_64 3
		.amdhsa_fp16_overflow 0
		.amdhsa_workgroup_processor_mode 1
		.amdhsa_memory_ordered 1
		.amdhsa_forward_progress 1
		.amdhsa_inst_pref_size 13
		.amdhsa_round_robin_scheduling 0
		.amdhsa_exception_fp_ieee_invalid_op 0
		.amdhsa_exception_fp_denorm_src 0
		.amdhsa_exception_fp_ieee_div_zero 0
		.amdhsa_exception_fp_ieee_overflow 0
		.amdhsa_exception_fp_ieee_underflow 0
		.amdhsa_exception_fp_ieee_inexact 0
		.amdhsa_exception_int_div_zero 0
	.end_amdhsa_kernel
	.section	.text._ZL32rocblas_gemvt_warp_reduce_kernelILb1ELi1024ElDF16_ffEviiT3_lPKT2_lT1_lS3_lS4_lS0_lPT4_lS4_li,"axG",@progbits,_ZL32rocblas_gemvt_warp_reduce_kernelILb1ELi1024ElDF16_ffEviiT3_lPKT2_lT1_lS3_lS4_lS0_lPT4_lS4_li,comdat
.Lfunc_end503:
	.size	_ZL32rocblas_gemvt_warp_reduce_kernelILb1ELi1024ElDF16_ffEviiT3_lPKT2_lT1_lS3_lS4_lS0_lPT4_lS4_li, .Lfunc_end503-_ZL32rocblas_gemvt_warp_reduce_kernelILb1ELi1024ElDF16_ffEviiT3_lPKT2_lT1_lS3_lS4_lS0_lPT4_lS4_li
                                        ; -- End function
	.set _ZL32rocblas_gemvt_warp_reduce_kernelILb1ELi1024ElDF16_ffEviiT3_lPKT2_lT1_lS3_lS4_lS0_lPT4_lS4_li.num_vgpr, 22
	.set _ZL32rocblas_gemvt_warp_reduce_kernelILb1ELi1024ElDF16_ffEviiT3_lPKT2_lT1_lS3_lS4_lS0_lPT4_lS4_li.num_agpr, 0
	.set _ZL32rocblas_gemvt_warp_reduce_kernelILb1ELi1024ElDF16_ffEviiT3_lPKT2_lT1_lS3_lS4_lS0_lPT4_lS4_li.numbered_sgpr, 44
	.set _ZL32rocblas_gemvt_warp_reduce_kernelILb1ELi1024ElDF16_ffEviiT3_lPKT2_lT1_lS3_lS4_lS0_lPT4_lS4_li.num_named_barrier, 0
	.set _ZL32rocblas_gemvt_warp_reduce_kernelILb1ELi1024ElDF16_ffEviiT3_lPKT2_lT1_lS3_lS4_lS0_lPT4_lS4_li.private_seg_size, 0
	.set _ZL32rocblas_gemvt_warp_reduce_kernelILb1ELi1024ElDF16_ffEviiT3_lPKT2_lT1_lS3_lS4_lS0_lPT4_lS4_li.uses_vcc, 1
	.set _ZL32rocblas_gemvt_warp_reduce_kernelILb1ELi1024ElDF16_ffEviiT3_lPKT2_lT1_lS3_lS4_lS0_lPT4_lS4_li.uses_flat_scratch, 0
	.set _ZL32rocblas_gemvt_warp_reduce_kernelILb1ELi1024ElDF16_ffEviiT3_lPKT2_lT1_lS3_lS4_lS0_lPT4_lS4_li.has_dyn_sized_stack, 0
	.set _ZL32rocblas_gemvt_warp_reduce_kernelILb1ELi1024ElDF16_ffEviiT3_lPKT2_lT1_lS3_lS4_lS0_lPT4_lS4_li.has_recursion, 0
	.set _ZL32rocblas_gemvt_warp_reduce_kernelILb1ELi1024ElDF16_ffEviiT3_lPKT2_lT1_lS3_lS4_lS0_lPT4_lS4_li.has_indirect_call, 0
	.section	.AMDGPU.csdata,"",@progbits
; Kernel info:
; codeLenInByte = 1580
; TotalNumSgprs: 46
; NumVgprs: 22
; ScratchSize: 0
; MemoryBound: 0
; FloatMode: 240
; IeeeMode: 1
; LDSByteSize: 128 bytes/workgroup (compile time only)
; SGPRBlocks: 0
; VGPRBlocks: 2
; NumSGPRsForWavesPerEU: 46
; NumVGPRsForWavesPerEU: 22
; Occupancy: 16
; WaveLimiterHint : 0
; COMPUTE_PGM_RSRC2:SCRATCH_EN: 0
; COMPUTE_PGM_RSRC2:USER_SGPR: 2
; COMPUTE_PGM_RSRC2:TRAP_HANDLER: 0
; COMPUTE_PGM_RSRC2:TGID_X_EN: 1
; COMPUTE_PGM_RSRC2:TGID_Y_EN: 0
; COMPUTE_PGM_RSRC2:TGID_Z_EN: 1
; COMPUTE_PGM_RSRC2:TIDIG_COMP_CNT: 0
	.section	.text._ZL34rocblas_gemvn_sm_mn_batched_kernelILi32ELi24EPKDF16_PKfKPfEviiT2_lPKT1_lilS9_lilS6_lPT3_lili,"axG",@progbits,_ZL34rocblas_gemvn_sm_mn_batched_kernelILi32ELi24EPKDF16_PKfKPfEviiT2_lPKT1_lilS9_lilS6_lPT3_lili,comdat
	.globl	_ZL34rocblas_gemvn_sm_mn_batched_kernelILi32ELi24EPKDF16_PKfKPfEviiT2_lPKT1_lilS9_lilS6_lPT3_lili ; -- Begin function _ZL34rocblas_gemvn_sm_mn_batched_kernelILi32ELi24EPKDF16_PKfKPfEviiT2_lPKT1_lilS9_lilS6_lPT3_lili
	.p2align	8
	.type	_ZL34rocblas_gemvn_sm_mn_batched_kernelILi32ELi24EPKDF16_PKfKPfEviiT2_lPKT1_lilS9_lilS6_lPT3_lili,@function
_ZL34rocblas_gemvn_sm_mn_batched_kernelILi32ELi24EPKDF16_PKfKPfEviiT2_lPKT1_lilS9_lilS6_lPT3_lili: ; @_ZL34rocblas_gemvn_sm_mn_batched_kernelILi32ELi24EPKDF16_PKfKPfEviiT2_lPKT1_lilS9_lilS6_lPT3_lili
; %bb.0:
	s_endpgm
	.section	.rodata,"a",@progbits
	.p2align	6, 0x0
	.amdhsa_kernel _ZL34rocblas_gemvn_sm_mn_batched_kernelILi32ELi24EPKDF16_PKfKPfEviiT2_lPKT1_lilS9_lilS6_lPT3_lili
		.amdhsa_group_segment_fixed_size 0
		.amdhsa_private_segment_fixed_size 0
		.amdhsa_kernarg_size 140
		.amdhsa_user_sgpr_count 2
		.amdhsa_user_sgpr_dispatch_ptr 0
		.amdhsa_user_sgpr_queue_ptr 0
		.amdhsa_user_sgpr_kernarg_segment_ptr 1
		.amdhsa_user_sgpr_dispatch_id 0
		.amdhsa_user_sgpr_private_segment_size 0
		.amdhsa_wavefront_size32 1
		.amdhsa_uses_dynamic_stack 0
		.amdhsa_enable_private_segment 0
		.amdhsa_system_sgpr_workgroup_id_x 1
		.amdhsa_system_sgpr_workgroup_id_y 0
		.amdhsa_system_sgpr_workgroup_id_z 0
		.amdhsa_system_sgpr_workgroup_info 0
		.amdhsa_system_vgpr_workitem_id 0
		.amdhsa_next_free_vgpr 1
		.amdhsa_next_free_sgpr 1
		.amdhsa_reserve_vcc 0
		.amdhsa_float_round_mode_32 0
		.amdhsa_float_round_mode_16_64 0
		.amdhsa_float_denorm_mode_32 3
		.amdhsa_float_denorm_mode_16_64 3
		.amdhsa_fp16_overflow 0
		.amdhsa_workgroup_processor_mode 1
		.amdhsa_memory_ordered 1
		.amdhsa_forward_progress 1
		.amdhsa_inst_pref_size 1
		.amdhsa_round_robin_scheduling 0
		.amdhsa_exception_fp_ieee_invalid_op 0
		.amdhsa_exception_fp_denorm_src 0
		.amdhsa_exception_fp_ieee_div_zero 0
		.amdhsa_exception_fp_ieee_overflow 0
		.amdhsa_exception_fp_ieee_underflow 0
		.amdhsa_exception_fp_ieee_inexact 0
		.amdhsa_exception_int_div_zero 0
	.end_amdhsa_kernel
	.section	.text._ZL34rocblas_gemvn_sm_mn_batched_kernelILi32ELi24EPKDF16_PKfKPfEviiT2_lPKT1_lilS9_lilS6_lPT3_lili,"axG",@progbits,_ZL34rocblas_gemvn_sm_mn_batched_kernelILi32ELi24EPKDF16_PKfKPfEviiT2_lPKT1_lilS9_lilS6_lPT3_lili,comdat
.Lfunc_end504:
	.size	_ZL34rocblas_gemvn_sm_mn_batched_kernelILi32ELi24EPKDF16_PKfKPfEviiT2_lPKT1_lilS9_lilS6_lPT3_lili, .Lfunc_end504-_ZL34rocblas_gemvn_sm_mn_batched_kernelILi32ELi24EPKDF16_PKfKPfEviiT2_lPKT1_lilS9_lilS6_lPT3_lili
                                        ; -- End function
	.set _ZL34rocblas_gemvn_sm_mn_batched_kernelILi32ELi24EPKDF16_PKfKPfEviiT2_lPKT1_lilS9_lilS6_lPT3_lili.num_vgpr, 0
	.set _ZL34rocblas_gemvn_sm_mn_batched_kernelILi32ELi24EPKDF16_PKfKPfEviiT2_lPKT1_lilS9_lilS6_lPT3_lili.num_agpr, 0
	.set _ZL34rocblas_gemvn_sm_mn_batched_kernelILi32ELi24EPKDF16_PKfKPfEviiT2_lPKT1_lilS9_lilS6_lPT3_lili.numbered_sgpr, 0
	.set _ZL34rocblas_gemvn_sm_mn_batched_kernelILi32ELi24EPKDF16_PKfKPfEviiT2_lPKT1_lilS9_lilS6_lPT3_lili.num_named_barrier, 0
	.set _ZL34rocblas_gemvn_sm_mn_batched_kernelILi32ELi24EPKDF16_PKfKPfEviiT2_lPKT1_lilS9_lilS6_lPT3_lili.private_seg_size, 0
	.set _ZL34rocblas_gemvn_sm_mn_batched_kernelILi32ELi24EPKDF16_PKfKPfEviiT2_lPKT1_lilS9_lilS6_lPT3_lili.uses_vcc, 0
	.set _ZL34rocblas_gemvn_sm_mn_batched_kernelILi32ELi24EPKDF16_PKfKPfEviiT2_lPKT1_lilS9_lilS6_lPT3_lili.uses_flat_scratch, 0
	.set _ZL34rocblas_gemvn_sm_mn_batched_kernelILi32ELi24EPKDF16_PKfKPfEviiT2_lPKT1_lilS9_lilS6_lPT3_lili.has_dyn_sized_stack, 0
	.set _ZL34rocblas_gemvn_sm_mn_batched_kernelILi32ELi24EPKDF16_PKfKPfEviiT2_lPKT1_lilS9_lilS6_lPT3_lili.has_recursion, 0
	.set _ZL34rocblas_gemvn_sm_mn_batched_kernelILi32ELi24EPKDF16_PKfKPfEviiT2_lPKT1_lilS9_lilS6_lPT3_lili.has_indirect_call, 0
	.section	.AMDGPU.csdata,"",@progbits
; Kernel info:
; codeLenInByte = 4
; TotalNumSgprs: 0
; NumVgprs: 0
; ScratchSize: 0
; MemoryBound: 0
; FloatMode: 240
; IeeeMode: 1
; LDSByteSize: 0 bytes/workgroup (compile time only)
; SGPRBlocks: 0
; VGPRBlocks: 0
; NumSGPRsForWavesPerEU: 1
; NumVGPRsForWavesPerEU: 1
; Occupancy: 16
; WaveLimiterHint : 0
; COMPUTE_PGM_RSRC2:SCRATCH_EN: 0
; COMPUTE_PGM_RSRC2:USER_SGPR: 2
; COMPUTE_PGM_RSRC2:TRAP_HANDLER: 0
; COMPUTE_PGM_RSRC2:TGID_X_EN: 1
; COMPUTE_PGM_RSRC2:TGID_Y_EN: 0
; COMPUTE_PGM_RSRC2:TGID_Z_EN: 0
; COMPUTE_PGM_RSRC2:TIDIG_COMP_CNT: 0
	.section	.text._ZL34rocblas_gemvn_sm_mn_batched_kernelILi32ELi24EPKDF16_fKPfEviiT2_lPKT1_lilS7_lilS4_lPT3_lili,"axG",@progbits,_ZL34rocblas_gemvn_sm_mn_batched_kernelILi32ELi24EPKDF16_fKPfEviiT2_lPKT1_lilS7_lilS4_lPT3_lili,comdat
	.globl	_ZL34rocblas_gemvn_sm_mn_batched_kernelILi32ELi24EPKDF16_fKPfEviiT2_lPKT1_lilS7_lilS4_lPT3_lili ; -- Begin function _ZL34rocblas_gemvn_sm_mn_batched_kernelILi32ELi24EPKDF16_fKPfEviiT2_lPKT1_lilS7_lilS4_lPT3_lili
	.p2align	8
	.type	_ZL34rocblas_gemvn_sm_mn_batched_kernelILi32ELi24EPKDF16_fKPfEviiT2_lPKT1_lilS7_lilS4_lPT3_lili,@function
_ZL34rocblas_gemvn_sm_mn_batched_kernelILi32ELi24EPKDF16_fKPfEviiT2_lPKT1_lilS7_lilS4_lPT3_lili: ; @_ZL34rocblas_gemvn_sm_mn_batched_kernelILi32ELi24EPKDF16_fKPfEviiT2_lPKT1_lilS7_lilS4_lPT3_lili
; %bb.0:
	s_endpgm
	.section	.rodata,"a",@progbits
	.p2align	6, 0x0
	.amdhsa_kernel _ZL34rocblas_gemvn_sm_mn_batched_kernelILi32ELi24EPKDF16_fKPfEviiT2_lPKT1_lilS7_lilS4_lPT3_lili
		.amdhsa_group_segment_fixed_size 0
		.amdhsa_private_segment_fixed_size 0
		.amdhsa_kernarg_size 140
		.amdhsa_user_sgpr_count 2
		.amdhsa_user_sgpr_dispatch_ptr 0
		.amdhsa_user_sgpr_queue_ptr 0
		.amdhsa_user_sgpr_kernarg_segment_ptr 1
		.amdhsa_user_sgpr_dispatch_id 0
		.amdhsa_user_sgpr_private_segment_size 0
		.amdhsa_wavefront_size32 1
		.amdhsa_uses_dynamic_stack 0
		.amdhsa_enable_private_segment 0
		.amdhsa_system_sgpr_workgroup_id_x 1
		.amdhsa_system_sgpr_workgroup_id_y 0
		.amdhsa_system_sgpr_workgroup_id_z 0
		.amdhsa_system_sgpr_workgroup_info 0
		.amdhsa_system_vgpr_workitem_id 0
		.amdhsa_next_free_vgpr 1
		.amdhsa_next_free_sgpr 1
		.amdhsa_reserve_vcc 0
		.amdhsa_float_round_mode_32 0
		.amdhsa_float_round_mode_16_64 0
		.amdhsa_float_denorm_mode_32 3
		.amdhsa_float_denorm_mode_16_64 3
		.amdhsa_fp16_overflow 0
		.amdhsa_workgroup_processor_mode 1
		.amdhsa_memory_ordered 1
		.amdhsa_forward_progress 1
		.amdhsa_inst_pref_size 1
		.amdhsa_round_robin_scheduling 0
		.amdhsa_exception_fp_ieee_invalid_op 0
		.amdhsa_exception_fp_denorm_src 0
		.amdhsa_exception_fp_ieee_div_zero 0
		.amdhsa_exception_fp_ieee_overflow 0
		.amdhsa_exception_fp_ieee_underflow 0
		.amdhsa_exception_fp_ieee_inexact 0
		.amdhsa_exception_int_div_zero 0
	.end_amdhsa_kernel
	.section	.text._ZL34rocblas_gemvn_sm_mn_batched_kernelILi32ELi24EPKDF16_fKPfEviiT2_lPKT1_lilS7_lilS4_lPT3_lili,"axG",@progbits,_ZL34rocblas_gemvn_sm_mn_batched_kernelILi32ELi24EPKDF16_fKPfEviiT2_lPKT1_lilS7_lilS4_lPT3_lili,comdat
.Lfunc_end505:
	.size	_ZL34rocblas_gemvn_sm_mn_batched_kernelILi32ELi24EPKDF16_fKPfEviiT2_lPKT1_lilS7_lilS4_lPT3_lili, .Lfunc_end505-_ZL34rocblas_gemvn_sm_mn_batched_kernelILi32ELi24EPKDF16_fKPfEviiT2_lPKT1_lilS7_lilS4_lPT3_lili
                                        ; -- End function
	.set _ZL34rocblas_gemvn_sm_mn_batched_kernelILi32ELi24EPKDF16_fKPfEviiT2_lPKT1_lilS7_lilS4_lPT3_lili.num_vgpr, 0
	.set _ZL34rocblas_gemvn_sm_mn_batched_kernelILi32ELi24EPKDF16_fKPfEviiT2_lPKT1_lilS7_lilS4_lPT3_lili.num_agpr, 0
	.set _ZL34rocblas_gemvn_sm_mn_batched_kernelILi32ELi24EPKDF16_fKPfEviiT2_lPKT1_lilS7_lilS4_lPT3_lili.numbered_sgpr, 0
	.set _ZL34rocblas_gemvn_sm_mn_batched_kernelILi32ELi24EPKDF16_fKPfEviiT2_lPKT1_lilS7_lilS4_lPT3_lili.num_named_barrier, 0
	.set _ZL34rocblas_gemvn_sm_mn_batched_kernelILi32ELi24EPKDF16_fKPfEviiT2_lPKT1_lilS7_lilS4_lPT3_lili.private_seg_size, 0
	.set _ZL34rocblas_gemvn_sm_mn_batched_kernelILi32ELi24EPKDF16_fKPfEviiT2_lPKT1_lilS7_lilS4_lPT3_lili.uses_vcc, 0
	.set _ZL34rocblas_gemvn_sm_mn_batched_kernelILi32ELi24EPKDF16_fKPfEviiT2_lPKT1_lilS7_lilS4_lPT3_lili.uses_flat_scratch, 0
	.set _ZL34rocblas_gemvn_sm_mn_batched_kernelILi32ELi24EPKDF16_fKPfEviiT2_lPKT1_lilS7_lilS4_lPT3_lili.has_dyn_sized_stack, 0
	.set _ZL34rocblas_gemvn_sm_mn_batched_kernelILi32ELi24EPKDF16_fKPfEviiT2_lPKT1_lilS7_lilS4_lPT3_lili.has_recursion, 0
	.set _ZL34rocblas_gemvn_sm_mn_batched_kernelILi32ELi24EPKDF16_fKPfEviiT2_lPKT1_lilS7_lilS4_lPT3_lili.has_indirect_call, 0
	.section	.AMDGPU.csdata,"",@progbits
; Kernel info:
; codeLenInByte = 4
; TotalNumSgprs: 0
; NumVgprs: 0
; ScratchSize: 0
; MemoryBound: 0
; FloatMode: 240
; IeeeMode: 1
; LDSByteSize: 0 bytes/workgroup (compile time only)
; SGPRBlocks: 0
; VGPRBlocks: 0
; NumSGPRsForWavesPerEU: 1
; NumVGPRsForWavesPerEU: 1
; Occupancy: 16
; WaveLimiterHint : 0
; COMPUTE_PGM_RSRC2:SCRATCH_EN: 0
; COMPUTE_PGM_RSRC2:USER_SGPR: 2
; COMPUTE_PGM_RSRC2:TRAP_HANDLER: 0
; COMPUTE_PGM_RSRC2:TGID_X_EN: 1
; COMPUTE_PGM_RSRC2:TGID_Y_EN: 0
; COMPUTE_PGM_RSRC2:TGID_Z_EN: 0
; COMPUTE_PGM_RSRC2:TIDIG_COMP_CNT: 0
	.section	.text._ZL20rocblas_gemvn_kernelILi64ELi4EiPKDF16_PKfKPfEviiT3_lPKT2_lT1_lS9_lSA_lS6_lPT4_lSA_li,"axG",@progbits,_ZL20rocblas_gemvn_kernelILi64ELi4EiPKDF16_PKfKPfEviiT3_lPKT2_lT1_lS9_lSA_lS6_lPT4_lSA_li,comdat
	.globl	_ZL20rocblas_gemvn_kernelILi64ELi4EiPKDF16_PKfKPfEviiT3_lPKT2_lT1_lS9_lSA_lS6_lPT4_lSA_li ; -- Begin function _ZL20rocblas_gemvn_kernelILi64ELi4EiPKDF16_PKfKPfEviiT3_lPKT2_lT1_lS9_lSA_lS6_lPT4_lSA_li
	.p2align	8
	.type	_ZL20rocblas_gemvn_kernelILi64ELi4EiPKDF16_PKfKPfEviiT3_lPKT2_lT1_lS9_lSA_lS6_lPT4_lSA_li,@function
_ZL20rocblas_gemvn_kernelILi64ELi4EiPKDF16_PKfKPfEviiT3_lPKT2_lT1_lS9_lSA_lS6_lPT4_lSA_li: ; @_ZL20rocblas_gemvn_kernelILi64ELi4EiPKDF16_PKfKPfEviiT3_lPKT2_lT1_lS9_lSA_lS6_lPT4_lSA_li
; %bb.0:
	s_clause 0x1
	s_load_b64 s[2:3], s[0:1], 0x9c
	s_load_b32 s33, s[0:1], 0x88
	s_lshr_b32 s10, ttmp7, 16
	s_wait_kmcnt 0x0
	s_lshr_b32 s4, s2, 16
	s_and_b32 s2, s2, 0xffff
	s_and_b32 s3, s3, 0xffff
	s_mul_i32 s2, s4, s2
	s_delay_alu instid0(SALU_CYCLE_1) | instskip(NEXT) | instid1(SALU_CYCLE_1)
	s_mul_i32 s2, s2, s3
	s_cmp_lg_u32 s2, 0x100
	s_cselect_b32 s2, -1, 0
	s_cmp_ge_u32 s10, s33
	s_cselect_b32 s3, -1, 0
	s_delay_alu instid0(SALU_CYCLE_1) | instskip(NEXT) | instid1(SALU_CYCLE_1)
	s_or_b32 s2, s2, s3
	s_and_b32 vcc_lo, exec_lo, s2
	s_cbranch_vccnz .LBB506_56
; %bb.1:
	s_clause 0x2
	s_load_b32 s6, s[0:1], 0x78
	s_load_b64 s[8:9], s[0:1], 0x0
	s_load_b256 s[12:19], s[0:1], 0x8
	v_and_b32_e32 v9, 0x3ff, v0
	v_bfe_u32 v8, v0, 10, 10
	s_clause 0x3
	s_load_b32 s35, s[0:1], 0x28
	s_load_b128 s[28:31], s[0:1], 0x38
	s_load_b32 s34, s[0:1], 0x48
	s_load_b256 s[20:27], s[0:1], 0x58
	s_lshl_b32 s36, ttmp9, 8
	v_mov_b32_e32 v1, 0
	v_or_b32_e32 v23, s36, v9
	v_lshl_add_u32 v5, v8, 6, v9
	v_lshlrev_b32_e32 v24, 2, v8
	v_lshlrev_b32_e32 v6, 2, v9
	s_mov_b32 s11, 0
	v_add_nc_u32_e32 v7, 0x80, v23
	v_add_nc_u32_e32 v0, s36, v5
	;; [unrolled: 1-line block ×3, first 2 shown]
	v_or_b32_e32 v11, s36, v5
	v_add_nc_u32_e32 v10, 0xc0, v23
	v_or_b32_e32 v12, 3, v24
	v_lshl_add_u32 v25, v8, 8, v6
	s_wait_kmcnt 0x0
	v_mad_co_u64_u32 v[2:3], null, s6, v0, 0
	s_ashr_i32 s3, s6, 31
	v_cmp_gt_i32_e64 s2, s8, v7
	v_mul_lo_u32 v7, s35, v24
	s_ashr_i32 s7, s9, 31
	v_cmp_gt_i32_e64 s1, s8, v4
	s_wait_alu 0xfffe
	s_lshr_b32 s7, s7, 28
	v_mad_co_u64_u32 v[3:4], null, s3, v0, v[3:4]
	v_mul_lo_u32 v4, s6, v11
	v_cmp_gt_i32_e64 s6, s8, v11
	v_mul_lo_u32 v11, v8, s35
	v_cmp_gt_i32_e64 s3, s8, v10
	v_or_b32_e32 v10, 2, v24
	s_wait_alu 0xfffe
	s_add_co_i32 s7, s9, s7
	v_mul_lo_u32 v13, v8, s34
	s_ashr_i32 s5, s8, 31
	s_mov_b32 s4, s8
	s_wait_alu 0xfffe
	s_and_b32 s37, s7, -16
	v_cmp_gt_i64_e32 vcc_lo, s[4:5], v[0:1]
	v_lshl_add_u32 v0, v8, 10, v6
	v_add3_u32 v26, v7, s35, v9
	v_mad_co_u64_u32 v[6:7], null, s35, v10, v[9:10]
	s_wait_alu 0xfffe
	s_sub_co_i32 s5, s9, s37
	v_mad_co_u64_u32 v[7:8], null, s35, v12, v[9:10]
	v_lshl_add_u32 v27, v11, 2, v9
	v_mad_co_u64_u32 v[8:9], null, s34, v24, s[34:35]
	v_mul_lo_u32 v28, s34, v10
	v_mul_lo_u32 v29, s34, v12
	s_wait_alu 0xfffe
	s_cmp_gt_i32 s5, 0
	v_cmp_gt_u32_e64 s5, 0x100, v5
	v_lshlrev_b64_e32 v[9:10], 2, v[2:3]
	v_cmp_gt_i32_e64 s0, s8, v23
	v_cmp_gt_i32_e64 s4, s37, v24
	v_ashrrev_i32_e32 v5, 31, v4
	v_lshlrev_b32_e32 v30, 2, v13
	s_cselect_b32 s38, -1, 0
	s_and_b32 s39, s5, vcc_lo
	s_lshl_b32 s40, s35, 4
	s_lshl_b32 s41, s34, 4
	s_lshl_b64 s[18:19], s[18:19], 1
	s_lshl_b64 s[30:31], s[30:31], 1
	;; [unrolled: 1-line block ×3, first 2 shown]
	s_branch .LBB506_4
.LBB506_2:                              ;   in Loop: Header=BB506_4 Depth=1
	s_wait_alu 0xfffe
	s_or_b32 exec_lo, exec_lo, s7
.LBB506_3:                              ;   in Loop: Header=BB506_4 Depth=1
	s_add_co_i32 s10, s10, 0x10000
	s_delay_alu instid0(SALU_CYCLE_1)
	s_cmp_lt_u32 s10, s33
	s_cbranch_scc0 .LBB506_56
.LBB506_4:                              ; =>This Loop Header: Depth=1
                                        ;     Child Loop BB506_24 Depth 2
	s_mul_u64 s[42:43], s[14:15], s[10:11]
	s_mul_u64 s[44:45], s[22:23], s[10:11]
	s_wait_alu 0xfffe
	s_lshl_b64 s[42:43], s[42:43], 2
	s_lshl_b64 s[44:45], s[44:45], 2
	s_wait_alu 0xfffe
	s_add_nc_u64 s[42:43], s[12:13], s[42:43]
	s_add_nc_u64 s[44:45], s[20:21], s[44:45]
	s_clause 0x1
	global_load_b32 v31, v1, s[42:43]
	global_load_b32 v11, v1, s[44:45]
	s_wait_loadcnt 0x1
	v_cmp_eq_f32_e64 s7, 0, v31
	s_wait_loadcnt 0x0
	v_cmp_eq_f32_e32 vcc_lo, 1.0, v11
	v_readfirstlane_b32 s42, v11
	s_and_b32 s8, s7, vcc_lo
	s_wait_alu 0xfffe
	s_and_b32 vcc_lo, exec_lo, s8
	s_wait_alu 0xfffe
	s_cbranch_vccnz .LBB506_3
; %bb.5:                                ;   in Loop: Header=BB506_4 Depth=1
	v_mov_b32_e32 v13, 0
	v_dual_mov_b32 v14, 0 :: v_dual_mov_b32 v11, 0
	v_cmp_neq_f32_e64 s8, 0, v31
	v_mov_b32_e32 v12, 0
	s_and_b32 vcc_lo, exec_lo, s7
	s_wait_alu 0xfffe
	s_cbranch_vccnz .LBB506_7
; %bb.6:                                ;   in Loop: Header=BB506_4 Depth=1
	s_lshl_b64 s[44:45], s[10:11], 3
	s_wait_alu 0xfffe
	s_add_nc_u64 s[44:45], s[16:17], s[44:45]
	global_load_b64 v[11:12], v1, s[44:45]
	s_wait_loadcnt 0x0
	v_add_co_u32 v11, vcc_lo, v11, s18
	s_wait_alu 0xfffd
	v_add_co_ci_u32_e64 v12, null, s19, v12, vcc_lo
.LBB506_7:                              ;   in Loop: Header=BB506_4 Depth=1
	s_and_not1_b32 vcc_lo, exec_lo, s8
	s_wait_alu 0xfffe
	s_cbranch_vccnz .LBB506_9
; %bb.8:                                ;   in Loop: Header=BB506_4 Depth=1
	s_lshl_b64 s[44:45], s[10:11], 3
	s_wait_alu 0xfffe
	s_add_nc_u64 s[44:45], s[28:29], s[44:45]
	global_load_b64 v[13:14], v1, s[44:45]
	s_wait_loadcnt 0x0
	v_add_co_u32 v13, vcc_lo, v13, s30
	s_wait_alu 0xfffd
	v_add_co_ci_u32_e64 v14, null, s31, v14, vcc_lo
.LBB506_9:                              ;   in Loop: Header=BB506_4 Depth=1
	s_lshl_b64 s[44:45], s[10:11], 3
	s_wait_alu 0xfffe
	s_add_nc_u64 s[44:45], s[24:25], s[44:45]
	global_load_b64 v[15:16], v1, s[44:45]
	s_wait_loadcnt 0x0
	v_add_co_u32 v32, vcc_lo, v15, s26
	s_wait_alu 0xfffd
	v_add_co_ci_u32_e64 v33, null, s27, v16, vcc_lo
	s_and_not1_b32 vcc_lo, exec_lo, s7
	s_wait_alu 0xfffe
	s_cbranch_vccnz .LBB506_13
; %bb.10:                               ;   in Loop: Header=BB506_4 Depth=1
	s_mov_b32 s7, 0
	s_mov_b32 s8, 0
                                        ; implicit-def: $vgpr15
	s_and_saveexec_b32 s43, s39
	s_cbranch_execz .LBB506_14
; %bb.11:                               ;   in Loop: Header=BB506_4 Depth=1
	s_cmp_eq_f32 s42, 0
	s_cbranch_scc1 .LBB506_16
; %bb.12:                               ;   in Loop: Header=BB506_4 Depth=1
	v_add_co_u32 v15, vcc_lo, v32, v9
	s_wait_alu 0xfffd
	v_add_co_ci_u32_e64 v16, null, v33, v10, vcc_lo
	flat_load_b32 v15, v[15:16]
	s_wait_loadcnt_dscnt 0x0
	v_mul_f32_e32 v15, s42, v15
	s_branch .LBB506_17
.LBB506_13:                             ;   in Loop: Header=BB506_4 Depth=1
	s_mov_b32 s8, 0
                                        ; implicit-def: $vgpr15
	s_cbranch_execz .LBB506_15
	s_branch .LBB506_18
.LBB506_14:                             ;   in Loop: Header=BB506_4 Depth=1
	s_wait_alu 0xfffe
	s_or_b32 exec_lo, exec_lo, s43
	s_delay_alu instid0(SALU_CYCLE_1)
	s_and_b32 vcc_lo, exec_lo, s7
	s_wait_alu 0xfffe
	s_cbranch_vccnz .LBB506_18
.LBB506_15:                             ;   in Loop: Header=BB506_4 Depth=1
	v_dual_mov_b32 v12, v3 :: v_dual_mov_b32 v11, v2
	s_wait_alu 0xfffe
	s_and_saveexec_b32 s7, s8
	s_cbranch_execz .LBB506_2
	s_branch .LBB506_55
.LBB506_16:                             ;   in Loop: Header=BB506_4 Depth=1
	v_mov_b32_e32 v15, 0
.LBB506_17:                             ;   in Loop: Header=BB506_4 Depth=1
	s_mov_b32 s8, exec_lo
	s_wait_alu 0xfffe
	s_or_b32 exec_lo, exec_lo, s43
	s_delay_alu instid0(SALU_CYCLE_1)
	s_and_b32 vcc_lo, exec_lo, s7
	s_wait_alu 0xfffe
	s_cbranch_vccz .LBB506_15
.LBB506_18:                             ;   in Loop: Header=BB506_4 Depth=1
	v_dual_mov_b32 v34, 0 :: v_dual_mov_b32 v35, 0
	v_dual_mov_b32 v38, v24 :: v_dual_mov_b32 v37, 0
	v_mov_b32_e32 v36, 0
	s_and_saveexec_b32 s7, s4
	s_cbranch_execz .LBB506_30
; %bb.19:                               ;   in Loop: Header=BB506_4 Depth=1
	v_dual_mov_b32 v34, 0 :: v_dual_mov_b32 v39, v27
	v_dual_mov_b32 v40, v7 :: v_dual_mov_b32 v41, v6
	;; [unrolled: 1-line block ×4, first 2 shown]
	v_mov_b32_e32 v36, 0
	s_mov_b32 s43, 0
	s_mov_b32 s44, 0
	s_branch .LBB506_24
.LBB506_20:                             ;   in Loop: Header=BB506_24 Depth=2
	s_or_b32 exec_lo, exec_lo, s48
	s_wait_loadcnt_dscnt 0x303
	v_fma_mix_f32 v15, v55, v59, v36 op_sel_hi:[0,1,0]
	s_wait_loadcnt_dscnt 0x202
	s_delay_alu instid0(VALU_DEP_1) | instskip(SKIP_1) | instid1(VALU_DEP_1)
	v_fma_mix_f32 v15, v56, v60, v15 op_sel_hi:[0,1,0]
	s_wait_loadcnt_dscnt 0x101
	v_fma_mix_f32 v15, v57, v61, v15 op_sel_hi:[0,1,0]
	s_wait_loadcnt_dscnt 0x0
	s_delay_alu instid0(VALU_DEP_1)
	v_fma_mix_f32 v36, v58, v62, v15 op_sel_hi:[0,1,0]
.LBB506_21:                             ;   in Loop: Header=BB506_24 Depth=2
	s_or_b32 exec_lo, exec_lo, s47
	s_wait_loadcnt_dscnt 0x303
	v_fma_mix_f32 v15, v55, v51, v35 op_sel_hi:[0,1,0]
	s_wait_loadcnt_dscnt 0x202
	s_delay_alu instid0(VALU_DEP_1) | instskip(SKIP_1) | instid1(VALU_DEP_1)
	v_fma_mix_f32 v15, v56, v52, v15 op_sel_hi:[0,1,0]
	s_wait_loadcnt_dscnt 0x101
	v_fma_mix_f32 v15, v57, v53, v15 op_sel_hi:[0,1,0]
	s_wait_loadcnt_dscnt 0x0
	s_delay_alu instid0(VALU_DEP_1)
	v_fma_mix_f32 v35, v58, v54, v15 op_sel_hi:[0,1,0]
.LBB506_22:                             ;   in Loop: Header=BB506_24 Depth=2
	s_or_b32 exec_lo, exec_lo, s46
	s_wait_loadcnt_dscnt 0x303
	v_fma_mix_f32 v15, v43, v47, v34 op_sel_hi:[1,1,0]
	s_wait_loadcnt_dscnt 0x202
	s_delay_alu instid0(VALU_DEP_1) | instskip(SKIP_1) | instid1(VALU_DEP_1)
	v_fma_mix_f32 v15, v44, v48, v15 op_sel_hi:[1,1,0]
	s_wait_loadcnt_dscnt 0x101
	v_fma_mix_f32 v15, v45, v49, v15 op_sel_hi:[1,1,0]
	s_wait_loadcnt_dscnt 0x0
	s_delay_alu instid0(VALU_DEP_1)
	v_fma_mix_f32 v34, v46, v50, v15 op_sel_hi:[1,1,0]
.LBB506_23:                             ;   in Loop: Header=BB506_24 Depth=2
	s_wait_alu 0xfffe
	s_or_b32 exec_lo, exec_lo, s45
	v_add_nc_u32_e32 v38, 16, v38
	v_add_nc_u32_e32 v42, s40, v42
	;; [unrolled: 1-line block ×5, first 2 shown]
	v_cmp_le_i32_e32 vcc_lo, s37, v38
	s_add_co_i32 s44, s44, s41
	s_or_b32 s43, vcc_lo, s43
	s_wait_alu 0xfffe
	s_and_not1_b32 exec_lo, exec_lo, s43
	s_cbranch_execz .LBB506_29
.LBB506_24:                             ;   Parent Loop BB506_4 Depth=1
                                        ; =>  This Inner Loop Header: Depth=2
	s_and_saveexec_b32 s45, s0
	s_cbranch_execz .LBB506_23
; %bb.25:                               ;   in Loop: Header=BB506_24 Depth=2
	s_wait_alu 0xfffe
	v_add_nc_u32_e32 v15, s44, v30
	v_add_nc_u32_e32 v17, s44, v8
	;; [unrolled: 1-line block ×5, first 2 shown]
	v_ashrrev_i32_e32 v16, 31, v15
	v_ashrrev_i32_e32 v18, 31, v17
	;; [unrolled: 1-line block ×5, first 2 shown]
	v_lshlrev_b64_e32 v[15:16], 1, v[15:16]
	v_lshlrev_b64_e32 v[17:18], 1, v[17:18]
	;; [unrolled: 1-line block ×3, first 2 shown]
	s_delay_alu instid0(VALU_DEP_3) | instskip(SKIP_1) | instid1(VALU_DEP_4)
	v_add_co_u32 v45, vcc_lo, v13, v15
	s_wait_alu 0xfffd
	v_add_co_ci_u32_e64 v46, null, v14, v16, vcc_lo
	s_delay_alu instid0(VALU_DEP_4)
	v_add_co_u32 v47, vcc_lo, v13, v17
	v_add_nc_u32_e32 v17, s36, v42
	s_wait_alu 0xfffd
	v_add_co_ci_u32_e64 v48, null, v14, v18, vcc_lo
	v_lshlrev_b64_e32 v[15:16], 1, v[21:22]
	v_add_co_u32 v49, vcc_lo, v13, v19
	v_add_nc_u32_e32 v21, s36, v41
	s_wait_alu 0xfffd
	v_add_co_ci_u32_e64 v50, null, v14, v20, vcc_lo
	v_lshlrev_b64_e32 v[19:20], 1, v[43:44]
	v_add_nc_u32_e32 v43, s36, v40
	v_ashrrev_i32_e32 v18, 31, v17
	v_ashrrev_i32_e32 v22, 31, v21
	v_add_co_u32 v51, vcc_lo, v13, v15
	s_delay_alu instid0(VALU_DEP_4)
	v_ashrrev_i32_e32 v44, 31, v43
	s_wait_alu 0xfffd
	v_add_co_ci_u32_e64 v52, null, v14, v16, vcc_lo
	v_lshlrev_b64_e32 v[17:18], 1, v[17:18]
	v_add_co_u32 v15, vcc_lo, v11, v19
	s_wait_alu 0xfffd
	v_add_co_ci_u32_e64 v16, null, v12, v20, vcc_lo
	v_lshlrev_b64_e32 v[19:20], 1, v[21:22]
	v_lshlrev_b64_e32 v[21:22], 1, v[43:44]
	v_add_co_u32 v17, vcc_lo, v11, v17
	s_wait_alu 0xfffd
	v_add_co_ci_u32_e64 v18, null, v12, v18, vcc_lo
	s_delay_alu instid0(VALU_DEP_4)
	v_add_co_u32 v19, vcc_lo, v11, v19
	s_wait_alu 0xfffd
	v_add_co_ci_u32_e64 v20, null, v12, v20, vcc_lo
	v_add_co_u32 v21, vcc_lo, v11, v21
	s_wait_alu 0xfffd
	v_add_co_ci_u32_e64 v22, null, v12, v22, vcc_lo
	s_clause 0x3
	flat_load_u16 v43, v[45:46]
	flat_load_u16 v44, v[47:48]
	;; [unrolled: 1-line block ×4, first 2 shown]
	s_clause 0x3
	flat_load_u16 v47, v[15:16]
	flat_load_u16 v48, v[17:18]
	;; [unrolled: 1-line block ×4, first 2 shown]
	s_and_saveexec_b32 s46, s1
	s_cbranch_execz .LBB506_22
; %bb.26:                               ;   in Loop: Header=BB506_24 Depth=2
	s_clause 0x3
	flat_load_u16 v51, v[15:16] offset:128
	flat_load_u16 v52, v[17:18] offset:128
	flat_load_u16 v53, v[19:20] offset:128
	flat_load_u16 v54, v[21:22] offset:128
	s_wait_loadcnt_dscnt 0xb0b
	v_cvt_f32_f16_e32 v55, v43
	s_wait_loadcnt_dscnt 0xa0a
	v_cvt_f32_f16_e32 v56, v44
	;; [unrolled: 2-line block ×4, first 2 shown]
	s_and_saveexec_b32 s47, s2
	s_cbranch_execz .LBB506_21
; %bb.27:                               ;   in Loop: Header=BB506_24 Depth=2
	s_clause 0x3
	flat_load_u16 v59, v[15:16] offset:256
	flat_load_u16 v60, v[17:18] offset:256
	;; [unrolled: 1-line block ×4, first 2 shown]
	s_and_saveexec_b32 s48, s3
	s_cbranch_execz .LBB506_20
; %bb.28:                               ;   in Loop: Header=BB506_24 Depth=2
	s_clause 0x3
	flat_load_u16 v15, v[15:16] offset:384
	flat_load_u16 v16, v[17:18] offset:384
	;; [unrolled: 1-line block ×4, first 2 shown]
	s_wait_loadcnt_dscnt 0x303
	v_fma_mix_f32 v15, v55, v15, v37 op_sel_hi:[0,1,0]
	s_wait_loadcnt_dscnt 0x202
	s_delay_alu instid0(VALU_DEP_1) | instskip(SKIP_1) | instid1(VALU_DEP_1)
	v_fma_mix_f32 v15, v56, v16, v15 op_sel_hi:[0,1,0]
	s_wait_loadcnt_dscnt 0x101
	v_fma_mix_f32 v15, v57, v17, v15 op_sel_hi:[0,1,0]
	s_wait_loadcnt_dscnt 0x0
	s_delay_alu instid0(VALU_DEP_1)
	v_fma_mix_f32 v37, v58, v18, v15 op_sel_hi:[0,1,0]
	s_branch .LBB506_20
.LBB506_29:                             ;   in Loop: Header=BB506_4 Depth=1
	s_or_b32 exec_lo, exec_lo, s43
.LBB506_30:                             ;   in Loop: Header=BB506_4 Depth=1
	s_wait_alu 0xfffe
	s_or_b32 exec_lo, exec_lo, s7
	s_delay_alu instid0(SALU_CYCLE_1)
	s_and_not1_b32 vcc_lo, exec_lo, s38
	s_wait_alu 0xfffe
	s_cbranch_vccnz .LBB506_48
; %bb.31:                               ;   in Loop: Header=BB506_4 Depth=1
	v_cmp_gt_i32_e32 vcc_lo, s9, v38
	v_dual_mov_b32 v19, 0 :: v_dual_mov_b32 v20, 0
	v_or_b32_e32 v15, 1, v38
	v_dual_mov_b32 v21, 0 :: v_dual_mov_b32 v22, 0
	s_and_saveexec_b32 s43, vcc_lo
	s_cbranch_execz .LBB506_39
; %bb.32:                               ;   in Loop: Header=BB506_4 Depth=1
	v_mul_lo_u32 v16, v38, s34
	v_dual_mov_b32 v21, 0 :: v_dual_mov_b32 v20, 0
	v_mov_b32_e32 v19, 0
	s_mov_b32 s44, exec_lo
	s_delay_alu instid0(VALU_DEP_3) | instskip(NEXT) | instid1(VALU_DEP_1)
	v_ashrrev_i32_e32 v17, 31, v16
	v_lshlrev_b64_e32 v[16:17], 1, v[16:17]
	s_delay_alu instid0(VALU_DEP_1) | instskip(SKIP_1) | instid1(VALU_DEP_2)
	v_add_co_u32 v16, s7, v13, v16
	s_wait_alu 0xf1ff
	v_add_co_ci_u32_e64 v17, null, v14, v17, s7
	flat_load_u16 v16, v[16:17]
	v_cmpx_gt_i32_e64 s9, v15
	s_cbranch_execz .LBB506_38
; %bb.33:                               ;   in Loop: Header=BB506_4 Depth=1
	v_mul_lo_u32 v17, v15, s34
	v_dual_mov_b32 v20, 0 :: v_dual_mov_b32 v19, 0
	s_mov_b32 s45, exec_lo
	s_delay_alu instid0(VALU_DEP_2) | instskip(NEXT) | instid1(VALU_DEP_1)
	v_ashrrev_i32_e32 v18, 31, v17
	v_lshlrev_b64_e32 v[17:18], 1, v[17:18]
	s_delay_alu instid0(VALU_DEP_1) | instskip(SKIP_1) | instid1(VALU_DEP_2)
	v_add_co_u32 v17, s7, v13, v17
	s_wait_alu 0xf1ff
	v_add_co_ci_u32_e64 v18, null, v14, v18, s7
	flat_load_u16 v17, v[17:18]
	v_or_b32_e32 v18, 2, v38
	s_delay_alu instid0(VALU_DEP_1)
	v_cmpx_gt_i32_e64 s9, v18
	s_cbranch_execz .LBB506_37
; %bb.34:                               ;   in Loop: Header=BB506_4 Depth=1
	v_mul_lo_u32 v18, v18, s34
	v_or_b32_e32 v20, 3, v38
	s_mov_b32 s46, exec_lo
	s_delay_alu instid0(VALU_DEP_2) | instskip(NEXT) | instid1(VALU_DEP_1)
	v_ashrrev_i32_e32 v19, 31, v18
	v_lshlrev_b64_e32 v[18:19], 1, v[18:19]
	s_delay_alu instid0(VALU_DEP_1) | instskip(SKIP_1) | instid1(VALU_DEP_2)
	v_add_co_u32 v18, s7, v13, v18
	s_wait_alu 0xf1ff
	v_add_co_ci_u32_e64 v19, null, v14, v19, s7
	flat_load_u16 v18, v[18:19]
	v_mov_b32_e32 v19, 0
	v_cmpx_gt_i32_e64 s9, v20
	s_cbranch_execz .LBB506_36
; %bb.35:                               ;   in Loop: Header=BB506_4 Depth=1
	v_mul_lo_u32 v19, v20, s34
	s_delay_alu instid0(VALU_DEP_1) | instskip(NEXT) | instid1(VALU_DEP_1)
	v_ashrrev_i32_e32 v20, 31, v19
	v_lshlrev_b64_e32 v[19:20], 1, v[19:20]
	s_delay_alu instid0(VALU_DEP_1) | instskip(SKIP_1) | instid1(VALU_DEP_2)
	v_add_co_u32 v13, s7, v13, v19
	s_wait_alu 0xf1ff
	v_add_co_ci_u32_e64 v14, null, v14, v20, s7
	flat_load_u16 v13, v[13:14]
	s_wait_loadcnt_dscnt 0x0
	v_cvt_f32_f16_e32 v19, v13
.LBB506_36:                             ;   in Loop: Header=BB506_4 Depth=1
	s_or_b32 exec_lo, exec_lo, s46
	s_wait_loadcnt_dscnt 0x0
	v_cvt_f32_f16_e32 v20, v18
.LBB506_37:                             ;   in Loop: Header=BB506_4 Depth=1
	s_wait_alu 0xfffe
	s_or_b32 exec_lo, exec_lo, s45
	s_wait_loadcnt_dscnt 0x0
	v_cvt_f32_f16_e32 v21, v17
.LBB506_38:                             ;   in Loop: Header=BB506_4 Depth=1
	s_wait_alu 0xfffe
	s_or_b32 exec_lo, exec_lo, s44
	s_wait_loadcnt_dscnt 0x0
	v_cvt_f32_f16_e32 v22, v16
.LBB506_39:                             ;   in Loop: Header=BB506_4 Depth=1
	s_wait_alu 0xfffe
	s_or_b32 exec_lo, exec_lo, s43
	s_and_saveexec_b32 s7, s0
	s_cbranch_execz .LBB506_47
; %bb.40:                               ;   in Loop: Header=BB506_4 Depth=1
	v_mul_lo_u32 v14, v38, s35
	v_or_b32_e32 v13, 2, v38
	v_mul_lo_u32 v17, v15, s35
	v_or_b32_e32 v16, 3, v38
	s_delay_alu instid0(VALU_DEP_3) | instskip(NEXT) | instid1(VALU_DEP_2)
	v_mul_lo_u32 v18, v13, s35
	v_mul_lo_u32 v38, v16, s35
	v_cndmask_b32_e32 v14, 0, v14, vcc_lo
	v_cmp_gt_i32_e32 vcc_lo, s9, v15
	s_wait_alu 0xfffd
	v_cndmask_b32_e32 v15, 0, v17, vcc_lo
	v_cmp_gt_i32_e32 vcc_lo, s9, v13
	v_add_nc_u32_e32 v13, v14, v23
	s_delay_alu instid0(VALU_DEP_3)
	v_add_nc_u32_e32 v15, v15, v23
	s_wait_alu 0xfffd
	v_cndmask_b32_e32 v17, 0, v18, vcc_lo
	v_cmp_gt_i32_e32 vcc_lo, s9, v16
	v_ashrrev_i32_e32 v14, 31, v13
	s_wait_alu 0xfffd
	v_cndmask_b32_e32 v16, 0, v38, vcc_lo
	s_delay_alu instid0(VALU_DEP_2) | instskip(NEXT) | instid1(VALU_DEP_2)
	v_lshlrev_b64_e32 v[13:14], 1, v[13:14]
	v_add_nc_u32_e32 v38, v16, v23
	v_add_nc_u32_e32 v17, v17, v23
	v_ashrrev_i32_e32 v16, 31, v15
	s_delay_alu instid0(VALU_DEP_4) | instskip(NEXT) | instid1(VALU_DEP_4)
	v_add_co_u32 v13, vcc_lo, v11, v13
	v_ashrrev_i32_e32 v39, 31, v38
	s_delay_alu instid0(VALU_DEP_4) | instskip(NEXT) | instid1(VALU_DEP_4)
	v_ashrrev_i32_e32 v18, 31, v17
	v_lshlrev_b64_e32 v[15:16], 1, v[15:16]
	s_wait_alu 0xfffd
	v_add_co_ci_u32_e64 v14, null, v12, v14, vcc_lo
	v_lshlrev_b64_e32 v[38:39], 1, v[38:39]
	v_lshlrev_b64_e32 v[17:18], 1, v[17:18]
	s_delay_alu instid0(VALU_DEP_4) | instskip(SKIP_2) | instid1(VALU_DEP_3)
	v_add_co_u32 v15, vcc_lo, v11, v15
	s_wait_alu 0xfffd
	v_add_co_ci_u32_e64 v16, null, v12, v16, vcc_lo
	v_add_co_u32 v17, vcc_lo, v11, v17
	s_wait_alu 0xfffd
	v_add_co_ci_u32_e64 v18, null, v12, v18, vcc_lo
	;; [unrolled: 3-line block ×3, first 2 shown]
	s_clause 0x3
	flat_load_u16 v38, v[13:14]
	flat_load_u16 v39, v[15:16]
	;; [unrolled: 1-line block ×4, first 2 shown]
	s_and_saveexec_b32 s43, s1
	s_cbranch_execz .LBB506_46
; %bb.41:                               ;   in Loop: Header=BB506_4 Depth=1
	s_clause 0x3
	flat_load_u16 v42, v[13:14] offset:128
	flat_load_u16 v43, v[15:16] offset:128
	flat_load_u16 v44, v[17:18] offset:128
	flat_load_u16 v45, v[11:12] offset:128
	s_and_saveexec_b32 s44, s2
	s_cbranch_execz .LBB506_45
; %bb.42:                               ;   in Loop: Header=BB506_4 Depth=1
	s_clause 0x3
	flat_load_u16 v46, v[13:14] offset:256
	flat_load_u16 v47, v[15:16] offset:256
	flat_load_u16 v48, v[17:18] offset:256
	flat_load_u16 v49, v[11:12] offset:256
	;; [unrolled: 8-line block ×3, first 2 shown]
	s_wait_loadcnt_dscnt 0x303
	v_fma_mix_f32 v12, v22, v13, v37 op_sel_hi:[0,1,0]
	s_wait_loadcnt_dscnt 0x202
	s_delay_alu instid0(VALU_DEP_1) | instskip(SKIP_1) | instid1(VALU_DEP_1)
	v_fma_mix_f32 v12, v21, v14, v12 op_sel_hi:[0,1,0]
	s_wait_loadcnt_dscnt 0x101
	v_fma_mix_f32 v12, v20, v15, v12 op_sel_hi:[0,1,0]
	s_wait_loadcnt_dscnt 0x0
	s_delay_alu instid0(VALU_DEP_1)
	v_fma_mix_f32 v37, v19, v11, v12 op_sel_hi:[0,1,0]
.LBB506_44:                             ;   in Loop: Header=BB506_4 Depth=1
	s_wait_alu 0xfffe
	s_or_b32 exec_lo, exec_lo, s45
	s_wait_loadcnt_dscnt 0x303
	v_fma_mix_f32 v11, v22, v46, v36 op_sel_hi:[0,1,0]
	s_wait_loadcnt_dscnt 0x202
	s_delay_alu instid0(VALU_DEP_1) | instskip(SKIP_1) | instid1(VALU_DEP_1)
	v_fma_mix_f32 v11, v21, v47, v11 op_sel_hi:[0,1,0]
	s_wait_loadcnt_dscnt 0x101
	v_fma_mix_f32 v11, v20, v48, v11 op_sel_hi:[0,1,0]
	s_wait_loadcnt_dscnt 0x0
	s_delay_alu instid0(VALU_DEP_1)
	v_fma_mix_f32 v36, v19, v49, v11 op_sel_hi:[0,1,0]
.LBB506_45:                             ;   in Loop: Header=BB506_4 Depth=1
	s_wait_alu 0xfffe
	s_or_b32 exec_lo, exec_lo, s44
	s_wait_loadcnt_dscnt 0x303
	v_fma_mix_f32 v11, v22, v42, v35 op_sel_hi:[0,1,0]
	s_wait_loadcnt_dscnt 0x202
	s_delay_alu instid0(VALU_DEP_1) | instskip(SKIP_1) | instid1(VALU_DEP_1)
	v_fma_mix_f32 v11, v21, v43, v11 op_sel_hi:[0,1,0]
	s_wait_loadcnt_dscnt 0x101
	v_fma_mix_f32 v11, v20, v44, v11 op_sel_hi:[0,1,0]
	s_wait_loadcnt_dscnt 0x0
	s_delay_alu instid0(VALU_DEP_1)
	v_fma_mix_f32 v35, v19, v45, v11 op_sel_hi:[0,1,0]
.LBB506_46:                             ;   in Loop: Header=BB506_4 Depth=1
	s_wait_alu 0xfffe
	s_or_b32 exec_lo, exec_lo, s43
	s_wait_loadcnt_dscnt 0x303
	v_fma_mix_f32 v11, v22, v38, v34 op_sel_hi:[0,1,0]
	s_wait_loadcnt_dscnt 0x202
	s_delay_alu instid0(VALU_DEP_1) | instskip(SKIP_1) | instid1(VALU_DEP_1)
	v_fma_mix_f32 v11, v21, v39, v11 op_sel_hi:[0,1,0]
	s_wait_loadcnt_dscnt 0x101
	v_fma_mix_f32 v11, v20, v40, v11 op_sel_hi:[0,1,0]
	s_wait_loadcnt_dscnt 0x0
	s_delay_alu instid0(VALU_DEP_1)
	v_fma_mix_f32 v34, v19, v41, v11 op_sel_hi:[0,1,0]
.LBB506_47:                             ;   in Loop: Header=BB506_4 Depth=1
	s_wait_alu 0xfffe
	s_or_b32 exec_lo, exec_lo, s7
.LBB506_48:                             ;   in Loop: Header=BB506_4 Depth=1
	ds_store_2addr_stride64_b32 v0, v34, v35 offset1:1
	ds_store_2addr_stride64_b32 v0, v36, v37 offset0:2 offset1:3
	s_wait_dscnt 0x0
	s_barrier_signal -1
	s_barrier_wait -1
	global_inv scope:SCOPE_SE
                                        ; implicit-def: $vgpr15
	s_and_saveexec_b32 s7, s5
	s_cbranch_execz .LBB506_54
; %bb.49:                               ;   in Loop: Header=BB506_4 Depth=1
	ds_load_2addr_stride64_b32 v[11:12], v25 offset1:4
	ds_load_2addr_stride64_b32 v[13:14], v25 offset0:8 offset1:12
	s_mov_b32 s44, s8
                                        ; implicit-def: $vgpr15
	s_wait_dscnt 0x1
	v_add_f32_e32 v11, v11, v12
	s_wait_dscnt 0x0
	s_delay_alu instid0(VALU_DEP_1) | instskip(NEXT) | instid1(VALU_DEP_1)
	v_add_f32_e32 v11, v13, v11
	v_add_f32_e32 v11, v14, v11
	ds_store_b32 v25, v11
	s_and_saveexec_b32 s43, s6
	s_cbranch_execz .LBB506_53
; %bb.50:                               ;   in Loop: Header=BB506_4 Depth=1
	v_mul_f32_e32 v15, v31, v11
	s_cmp_eq_f32 s42, 0
	s_cbranch_scc1 .LBB506_52
; %bb.51:                               ;   in Loop: Header=BB506_4 Depth=1
	v_lshlrev_b64_e32 v[11:12], 2, v[4:5]
	s_delay_alu instid0(VALU_DEP_1) | instskip(SKIP_1) | instid1(VALU_DEP_2)
	v_add_co_u32 v11, vcc_lo, v32, v11
	s_wait_alu 0xfffd
	v_add_co_ci_u32_e64 v12, null, v33, v12, vcc_lo
	flat_load_b32 v11, v[11:12]
	s_wait_loadcnt_dscnt 0x0
	v_fmac_f32_e32 v15, s42, v11
.LBB506_52:                             ;   in Loop: Header=BB506_4 Depth=1
	s_or_b32 s44, s8, exec_lo
.LBB506_53:                             ;   in Loop: Header=BB506_4 Depth=1
	s_wait_alu 0xfffe
	s_or_b32 exec_lo, exec_lo, s43
	s_delay_alu instid0(SALU_CYCLE_1)
	s_and_not1_b32 s8, s8, exec_lo
	s_and_b32 s42, s44, exec_lo
	s_wait_alu 0xfffe
	s_or_b32 s8, s8, s42
.LBB506_54:                             ;   in Loop: Header=BB506_4 Depth=1
	s_wait_alu 0xfffe
	s_or_b32 exec_lo, exec_lo, s7
	v_dual_mov_b32 v12, v5 :: v_dual_mov_b32 v11, v4
	s_and_saveexec_b32 s7, s8
	s_cbranch_execz .LBB506_2
.LBB506_55:                             ;   in Loop: Header=BB506_4 Depth=1
	s_delay_alu instid0(VALU_DEP_1) | instskip(NEXT) | instid1(VALU_DEP_1)
	v_lshlrev_b64_e32 v[11:12], 2, v[11:12]
	v_add_co_u32 v11, vcc_lo, v32, v11
	s_wait_alu 0xfffd
	s_delay_alu instid0(VALU_DEP_2)
	v_add_co_ci_u32_e64 v12, null, v33, v12, vcc_lo
	flat_store_b32 v[11:12], v15
	s_branch .LBB506_2
.LBB506_56:
	s_endpgm
	.section	.rodata,"a",@progbits
	.p2align	6, 0x0
	.amdhsa_kernel _ZL20rocblas_gemvn_kernelILi64ELi4EiPKDF16_PKfKPfEviiT3_lPKT2_lT1_lS9_lSA_lS6_lPT4_lSA_li
		.amdhsa_group_segment_fixed_size 4096
		.amdhsa_private_segment_fixed_size 0
		.amdhsa_kernarg_size 400
		.amdhsa_user_sgpr_count 2
		.amdhsa_user_sgpr_dispatch_ptr 0
		.amdhsa_user_sgpr_queue_ptr 0
		.amdhsa_user_sgpr_kernarg_segment_ptr 1
		.amdhsa_user_sgpr_dispatch_id 0
		.amdhsa_user_sgpr_private_segment_size 0
		.amdhsa_wavefront_size32 1
		.amdhsa_uses_dynamic_stack 0
		.amdhsa_enable_private_segment 0
		.amdhsa_system_sgpr_workgroup_id_x 1
		.amdhsa_system_sgpr_workgroup_id_y 0
		.amdhsa_system_sgpr_workgroup_id_z 1
		.amdhsa_system_sgpr_workgroup_info 0
		.amdhsa_system_vgpr_workitem_id 1
		.amdhsa_next_free_vgpr 63
		.amdhsa_next_free_sgpr 49
		.amdhsa_reserve_vcc 1
		.amdhsa_float_round_mode_32 0
		.amdhsa_float_round_mode_16_64 0
		.amdhsa_float_denorm_mode_32 3
		.amdhsa_float_denorm_mode_16_64 3
		.amdhsa_fp16_overflow 0
		.amdhsa_workgroup_processor_mode 1
		.amdhsa_memory_ordered 1
		.amdhsa_forward_progress 1
		.amdhsa_inst_pref_size 27
		.amdhsa_round_robin_scheduling 0
		.amdhsa_exception_fp_ieee_invalid_op 0
		.amdhsa_exception_fp_denorm_src 0
		.amdhsa_exception_fp_ieee_div_zero 0
		.amdhsa_exception_fp_ieee_overflow 0
		.amdhsa_exception_fp_ieee_underflow 0
		.amdhsa_exception_fp_ieee_inexact 0
		.amdhsa_exception_int_div_zero 0
	.end_amdhsa_kernel
	.section	.text._ZL20rocblas_gemvn_kernelILi64ELi4EiPKDF16_PKfKPfEviiT3_lPKT2_lT1_lS9_lSA_lS6_lPT4_lSA_li,"axG",@progbits,_ZL20rocblas_gemvn_kernelILi64ELi4EiPKDF16_PKfKPfEviiT3_lPKT2_lT1_lS9_lSA_lS6_lPT4_lSA_li,comdat
.Lfunc_end506:
	.size	_ZL20rocblas_gemvn_kernelILi64ELi4EiPKDF16_PKfKPfEviiT3_lPKT2_lT1_lS9_lSA_lS6_lPT4_lSA_li, .Lfunc_end506-_ZL20rocblas_gemvn_kernelILi64ELi4EiPKDF16_PKfKPfEviiT3_lPKT2_lT1_lS9_lSA_lS6_lPT4_lSA_li
                                        ; -- End function
	.set _ZL20rocblas_gemvn_kernelILi64ELi4EiPKDF16_PKfKPfEviiT3_lPKT2_lT1_lS9_lSA_lS6_lPT4_lSA_li.num_vgpr, 63
	.set _ZL20rocblas_gemvn_kernelILi64ELi4EiPKDF16_PKfKPfEviiT3_lPKT2_lT1_lS9_lSA_lS6_lPT4_lSA_li.num_agpr, 0
	.set _ZL20rocblas_gemvn_kernelILi64ELi4EiPKDF16_PKfKPfEviiT3_lPKT2_lT1_lS9_lSA_lS6_lPT4_lSA_li.numbered_sgpr, 49
	.set _ZL20rocblas_gemvn_kernelILi64ELi4EiPKDF16_PKfKPfEviiT3_lPKT2_lT1_lS9_lSA_lS6_lPT4_lSA_li.num_named_barrier, 0
	.set _ZL20rocblas_gemvn_kernelILi64ELi4EiPKDF16_PKfKPfEviiT3_lPKT2_lT1_lS9_lSA_lS6_lPT4_lSA_li.private_seg_size, 0
	.set _ZL20rocblas_gemvn_kernelILi64ELi4EiPKDF16_PKfKPfEviiT3_lPKT2_lT1_lS9_lSA_lS6_lPT4_lSA_li.uses_vcc, 1
	.set _ZL20rocblas_gemvn_kernelILi64ELi4EiPKDF16_PKfKPfEviiT3_lPKT2_lT1_lS9_lSA_lS6_lPT4_lSA_li.uses_flat_scratch, 1
	.set _ZL20rocblas_gemvn_kernelILi64ELi4EiPKDF16_PKfKPfEviiT3_lPKT2_lT1_lS9_lSA_lS6_lPT4_lSA_li.has_dyn_sized_stack, 0
	.set _ZL20rocblas_gemvn_kernelILi64ELi4EiPKDF16_PKfKPfEviiT3_lPKT2_lT1_lS9_lSA_lS6_lPT4_lSA_li.has_recursion, 0
	.set _ZL20rocblas_gemvn_kernelILi64ELi4EiPKDF16_PKfKPfEviiT3_lPKT2_lT1_lS9_lSA_lS6_lPT4_lSA_li.has_indirect_call, 0
	.section	.AMDGPU.csdata,"",@progbits
; Kernel info:
; codeLenInByte = 3428
; TotalNumSgprs: 51
; NumVgprs: 63
; ScratchSize: 0
; MemoryBound: 0
; FloatMode: 240
; IeeeMode: 1
; LDSByteSize: 4096 bytes/workgroup (compile time only)
; SGPRBlocks: 0
; VGPRBlocks: 7
; NumSGPRsForWavesPerEU: 51
; NumVGPRsForWavesPerEU: 63
; Occupancy: 16
; WaveLimiterHint : 1
; COMPUTE_PGM_RSRC2:SCRATCH_EN: 0
; COMPUTE_PGM_RSRC2:USER_SGPR: 2
; COMPUTE_PGM_RSRC2:TRAP_HANDLER: 0
; COMPUTE_PGM_RSRC2:TGID_X_EN: 1
; COMPUTE_PGM_RSRC2:TGID_Y_EN: 0
; COMPUTE_PGM_RSRC2:TGID_Z_EN: 1
; COMPUTE_PGM_RSRC2:TIDIG_COMP_CNT: 1
	.section	.text._ZL20rocblas_gemvn_kernelILi64ELi4ElPKDF16_PKfKPfEviiT3_lPKT2_lT1_lS9_lSA_lS6_lPT4_lSA_li,"axG",@progbits,_ZL20rocblas_gemvn_kernelILi64ELi4ElPKDF16_PKfKPfEviiT3_lPKT2_lT1_lS9_lSA_lS6_lPT4_lSA_li,comdat
	.globl	_ZL20rocblas_gemvn_kernelILi64ELi4ElPKDF16_PKfKPfEviiT3_lPKT2_lT1_lS9_lSA_lS6_lPT4_lSA_li ; -- Begin function _ZL20rocblas_gemvn_kernelILi64ELi4ElPKDF16_PKfKPfEviiT3_lPKT2_lT1_lS9_lSA_lS6_lPT4_lSA_li
	.p2align	8
	.type	_ZL20rocblas_gemvn_kernelILi64ELi4ElPKDF16_PKfKPfEviiT3_lPKT2_lT1_lS9_lSA_lS6_lPT4_lSA_li,@function
_ZL20rocblas_gemvn_kernelILi64ELi4ElPKDF16_PKfKPfEviiT3_lPKT2_lT1_lS9_lSA_lS6_lPT4_lSA_li: ; @_ZL20rocblas_gemvn_kernelILi64ELi4ElPKDF16_PKfKPfEviiT3_lPKT2_lT1_lS9_lSA_lS6_lPT4_lSA_li
; %bb.0:
	s_clause 0x1
	s_load_b64 s[2:3], s[0:1], 0x9c
	s_load_b32 s33, s[0:1], 0x88
	s_lshr_b32 s10, ttmp7, 16
	s_wait_kmcnt 0x0
	s_lshr_b32 s4, s2, 16
	s_and_b32 s2, s2, 0xffff
	s_and_b32 s3, s3, 0xffff
	s_mul_i32 s2, s4, s2
	s_delay_alu instid0(SALU_CYCLE_1) | instskip(NEXT) | instid1(SALU_CYCLE_1)
	s_mul_i32 s2, s2, s3
	s_cmp_lg_u32 s2, 0x100
	s_cselect_b32 s2, -1, 0
	s_cmp_ge_u32 s10, s33
	s_cselect_b32 s3, -1, 0
	s_delay_alu instid0(SALU_CYCLE_1) | instskip(NEXT) | instid1(SALU_CYCLE_1)
	s_or_b32 s2, s2, s3
	s_and_b32 vcc_lo, exec_lo, s2
	s_cbranch_vccnz .LBB507_56
; %bb.1:
	s_clause 0x6
	s_load_b64 s[38:39], s[0:1], 0x78
	s_load_b64 s[8:9], s[0:1], 0x0
	s_load_b256 s[12:19], s[0:1], 0x8
	s_load_b64 s[34:35], s[0:1], 0x28
	s_load_b128 s[28:31], s[0:1], 0x38
	s_load_b64 s[36:37], s[0:1], 0x48
	s_load_b256 s[20:27], s[0:1], 0x58
	v_dual_mov_b32 v1, 0 :: v_dual_and_b32 v2, 0x3ff, v0
	s_lshl_b32 s6, ttmp9, 8
	v_bfe_u32 v26, v0, 10, 10
	s_mov_b32 s11, 0
	s_delay_alu instid0(VALU_DEP_2) | instskip(SKIP_1) | instid1(VALU_DEP_3)
	v_or_b32_e32 v8, s6, v2
	v_lshlrev_b32_e32 v16, 2, v2
	v_lshl_add_u32 v5, v26, 6, v2
	s_delay_alu instid0(VALU_DEP_3) | instskip(SKIP_2) | instid1(VALU_DEP_4)
	v_add_nc_u32_e32 v6, 0x80, v8
	v_add_nc_u32_e32 v7, 0xc0, v8
	;; [unrolled: 1-line block ×3, first 2 shown]
	v_or_b32_e32 v17, s6, v5
	v_lshl_add_u32 v41, v26, 8, v16
	v_ashrrev_i32_e32 v9, 31, v8
	s_wait_kmcnt 0x0
	s_ashr_i32 s3, s9, 31
	v_cmp_gt_i32_e64 s2, s8, v6
	s_lshr_b32 s3, s3, 28
	s_ashr_i32 s5, s8, 31
	s_add_co_i32 s7, s9, s3
	v_cmp_gt_i32_e64 s3, s8, v7
	v_mad_co_u64_u32 v[6:7], null, s36, v26, 0
	s_mov_b32 s4, s8
	s_wait_alu 0xfffe
	s_and_b32 s42, s7, -16
	v_cmp_gt_i32_e64 s1, s8, v4
	v_mul_lo_u32 v18, s39, v17
	v_cmp_gt_i32_e64 s0, s8, v8
	v_mad_co_u64_u32 v[14:15], null, s37, v26, v[7:8]
	v_lshlrev_b32_e32 v40, 2, v26
	v_lshlrev_b64_e32 v[8:9], 1, v[8:9]
	s_delay_alu instid0(VALU_DEP_3) | instskip(NEXT) | instid1(VALU_DEP_3)
	v_mov_b32_e32 v7, v14
	v_or_b32_e32 v19, 3, v40
	v_or_b32_e32 v29, 2, v40
	v_mad_co_u64_u32 v[22:23], null, s36, v40, s[36:37]
	v_mad_co_u64_u32 v[24:25], null, s34, v40, s[34:35]
	s_delay_alu instid0(VALU_DEP_4) | instskip(SKIP_3) | instid1(VALU_DEP_3)
	v_mad_co_u64_u32 v[10:11], null, s34, v19, 0
	v_mad_co_u64_u32 v[12:13], null, s36, v19, 0
	;; [unrolled: 1-line block ×3, first 2 shown]
	v_lshlrev_b64_e32 v[6:7], 3, v[6:7]
	v_mad_co_u64_u32 v[14:15], null, s35, v19, v[11:12]
	s_delay_alu instid0(VALU_DEP_1) | instskip(NEXT) | instid1(VALU_DEP_1)
	v_dual_mov_b32 v11, v14 :: v_dual_add_nc_u32 v0, s6, v5
	v_mad_co_u64_u32 v[2:3], null, s38, v0, 0
	v_cmp_gt_i64_e32 vcc_lo, s[4:5], v[0:1]
	s_sub_co_i32 s5, s9, s42
	s_delay_alu instid0(VALU_DEP_3)
	v_lshlrev_b64_e32 v[10:11], 1, v[10:11]
	s_wait_alu 0xfffe
	s_cmp_gt_i32 s5, 0
	v_cmp_gt_u32_e64 s5, 0x100, v5
	s_cselect_b32 s43, -1, 0
	v_mad_co_u64_u32 v[3:4], null, s39, v0, v[3:4]
	v_mad_co_u64_u32 v[4:5], null, s38, v17, 0
	s_ashr_i32 s7, s6, 31
	v_lshl_add_u32 v0, v26, 10, v16
	s_wait_alu 0xfffe
	s_mul_i32 s7, s38, s7
	v_mad_co_u64_u32 v[15:16], null, s37, v19, v[13:14]
	v_cmp_gt_i32_e64 s6, s8, v17
	s_wait_alu 0xfffe
	v_add3_u32 v5, v5, s7, v18
	v_mad_co_u64_u32 v[16:17], null, s34, v26, 0
	v_mad_co_u64_u32 v[18:19], null, s34, v29, 0
	v_mov_b32_e32 v13, v15
	v_cmp_gt_i32_e64 s4, s42, v40
	s_and_b32 s44, s5, vcc_lo
	s_lshl_b64 s[38:39], s[36:37], 5
	v_dual_mov_b32 v14, v17 :: v_dual_mov_b32 v17, v25
	v_mov_b32_e32 v15, v19
	v_lshlrev_b64_e32 v[12:13], 1, v[12:13]
	s_lshl_b64 s[40:41], s[34:35], 5
	s_lshl_b64 s[18:19], s[18:19], 1
	;; [unrolled: 1-line block ×3, first 2 shown]
	v_mad_co_u64_u32 v[26:27], null, s35, v26, v[14:15]
	v_mov_b32_e32 v14, v21
	v_mad_co_u64_u32 v[27:28], null, s35, v29, v[15:16]
	v_mov_b32_e32 v15, v23
	s_lshl_b64 s[26:27], s[26:27], 2
	s_delay_alu instid0(VALU_DEP_1)
	v_mad_co_u64_u32 v[28:29], null, s37, v29, v[14:15]
	v_mad_co_u64_u32 v[14:15], null, s37, v40, v[15:16]
	;; [unrolled: 1-line block ×3, first 2 shown]
	v_mov_b32_e32 v17, v26
	v_mov_b32_e32 v19, v27
	;; [unrolled: 1-line block ×4, first 2 shown]
	s_delay_alu instid0(VALU_DEP_4) | instskip(SKIP_4) | instid1(VALU_DEP_4)
	v_lshlrev_b64_e32 v[14:15], 3, v[16:17]
	v_mov_b32_e32 v25, v29
	v_lshlrev_b64_e32 v[16:17], 1, v[18:19]
	v_lshlrev_b64_e32 v[18:19], 1, v[20:21]
	;; [unrolled: 1-line block ×5, first 2 shown]
	s_branch .LBB507_4
.LBB507_2:                              ;   in Loop: Header=BB507_4 Depth=1
	s_wait_alu 0xfffe
	s_or_b32 exec_lo, exec_lo, s7
.LBB507_3:                              ;   in Loop: Header=BB507_4 Depth=1
	s_add_co_i32 s10, s10, 0x10000
	s_delay_alu instid0(SALU_CYCLE_1)
	s_cmp_lt_u32 s10, s33
	s_cbranch_scc0 .LBB507_56
.LBB507_4:                              ; =>This Loop Header: Depth=1
                                        ;     Child Loop BB507_24 Depth 2
	s_mul_u64 s[46:47], s[14:15], s[10:11]
	s_mul_u64 s[48:49], s[22:23], s[10:11]
	s_lshl_b64 s[46:47], s[46:47], 2
	s_lshl_b64 s[48:49], s[48:49], 2
	s_add_nc_u64 s[46:47], s[12:13], s[46:47]
	s_add_nc_u64 s[48:49], s[20:21], s[48:49]
	s_clause 0x1
	global_load_b32 v42, v1, s[46:47]
	global_load_b32 v26, v1, s[48:49]
	s_wait_loadcnt 0x1
	v_cmp_eq_f32_e64 s7, 0, v42
	s_wait_loadcnt 0x0
	v_cmp_eq_f32_e32 vcc_lo, 1.0, v26
	v_readfirstlane_b32 s45, v26
	s_and_b32 s8, s7, vcc_lo
	s_wait_alu 0xfffe
	s_and_b32 vcc_lo, exec_lo, s8
	s_wait_alu 0xfffe
	s_cbranch_vccnz .LBB507_3
; %bb.5:                                ;   in Loop: Header=BB507_4 Depth=1
	v_mov_b32_e32 v28, 0
	v_dual_mov_b32 v29, 0 :: v_dual_mov_b32 v26, 0
	v_cmp_neq_f32_e64 s8, 0, v42
	v_mov_b32_e32 v27, 0
	s_and_b32 vcc_lo, exec_lo, s7
	s_wait_alu 0xfffe
	s_cbranch_vccnz .LBB507_7
; %bb.6:                                ;   in Loop: Header=BB507_4 Depth=1
	s_lshl_b64 s[46:47], s[10:11], 3
	s_delay_alu instid0(SALU_CYCLE_1)
	s_add_nc_u64 s[46:47], s[16:17], s[46:47]
	global_load_b64 v[26:27], v1, s[46:47]
	s_wait_loadcnt 0x0
	v_add_co_u32 v26, vcc_lo, v26, s18
	s_wait_alu 0xfffd
	v_add_co_ci_u32_e64 v27, null, s19, v27, vcc_lo
.LBB507_7:                              ;   in Loop: Header=BB507_4 Depth=1
	s_and_not1_b32 vcc_lo, exec_lo, s8
	s_wait_alu 0xfffe
	s_cbranch_vccnz .LBB507_9
; %bb.8:                                ;   in Loop: Header=BB507_4 Depth=1
	s_lshl_b64 s[46:47], s[10:11], 3
	s_delay_alu instid0(SALU_CYCLE_1)
	s_add_nc_u64 s[46:47], s[28:29], s[46:47]
	global_load_b64 v[28:29], v1, s[46:47]
	s_wait_loadcnt 0x0
	v_add_co_u32 v28, vcc_lo, v28, s30
	s_wait_alu 0xfffd
	v_add_co_ci_u32_e64 v29, null, s31, v29, vcc_lo
.LBB507_9:                              ;   in Loop: Header=BB507_4 Depth=1
	s_lshl_b64 s[46:47], s[10:11], 3
	s_delay_alu instid0(SALU_CYCLE_1)
	s_add_nc_u64 s[46:47], s[24:25], s[46:47]
	global_load_b64 v[30:31], v1, s[46:47]
	s_wait_loadcnt 0x0
	v_add_co_u32 v43, vcc_lo, v30, s26
	s_wait_alu 0xfffd
	v_add_co_ci_u32_e64 v44, null, s27, v31, vcc_lo
	s_and_not1_b32 vcc_lo, exec_lo, s7
	s_wait_alu 0xfffe
	s_cbranch_vccnz .LBB507_13
; %bb.10:                               ;   in Loop: Header=BB507_4 Depth=1
	s_mov_b32 s7, 0
	s_mov_b32 s8, 0
                                        ; implicit-def: $vgpr30
	s_and_saveexec_b32 s46, s44
	s_cbranch_execz .LBB507_14
; %bb.11:                               ;   in Loop: Header=BB507_4 Depth=1
	s_cmp_eq_f32 s45, 0
	s_cbranch_scc1 .LBB507_16
; %bb.12:                               ;   in Loop: Header=BB507_4 Depth=1
	v_add_co_u32 v30, vcc_lo, v43, v24
	s_wait_alu 0xfffd
	v_add_co_ci_u32_e64 v31, null, v44, v25, vcc_lo
	flat_load_b32 v30, v[30:31]
	s_wait_loadcnt_dscnt 0x0
	v_mul_f32_e32 v30, s45, v30
	s_branch .LBB507_17
.LBB507_13:                             ;   in Loop: Header=BB507_4 Depth=1
	s_mov_b32 s8, 0
                                        ; implicit-def: $vgpr30
	s_cbranch_execz .LBB507_15
	s_branch .LBB507_18
.LBB507_14:                             ;   in Loop: Header=BB507_4 Depth=1
	s_or_b32 exec_lo, exec_lo, s46
	s_wait_alu 0xfffe
	s_and_b32 vcc_lo, exec_lo, s7
	s_wait_alu 0xfffe
	s_cbranch_vccnz .LBB507_18
.LBB507_15:                             ;   in Loop: Header=BB507_4 Depth=1
	v_dual_mov_b32 v27, v3 :: v_dual_mov_b32 v26, v2
	s_wait_alu 0xfffe
	s_and_saveexec_b32 s7, s8
	s_cbranch_execz .LBB507_2
	s_branch .LBB507_55
.LBB507_16:                             ;   in Loop: Header=BB507_4 Depth=1
	v_mov_b32_e32 v30, 0
.LBB507_17:                             ;   in Loop: Header=BB507_4 Depth=1
	s_mov_b32 s8, exec_lo
	s_or_b32 exec_lo, exec_lo, s46
	s_wait_alu 0xfffe
	s_and_b32 vcc_lo, exec_lo, s7
	s_wait_alu 0xfffe
	s_cbranch_vccz .LBB507_15
.LBB507_18:                             ;   in Loop: Header=BB507_4 Depth=1
	v_dual_mov_b32 v45, 0 :: v_dual_mov_b32 v46, 0
	v_dual_mov_b32 v49, v40 :: v_dual_mov_b32 v48, 0
	v_mov_b32_e32 v47, 0
	s_and_saveexec_b32 s46, s4
	s_cbranch_execz .LBB507_30
; %bb.19:                               ;   in Loop: Header=BB507_4 Depth=1
	v_add_co_u32 v50, vcc_lo, v26, v10
	s_wait_alu 0xfffd
	v_add_co_ci_u32_e64 v51, null, v27, v11, vcc_lo
	v_add_co_u32 v52, vcc_lo, v26, v14
	s_wait_alu 0xfffd
	v_add_co_ci_u32_e64 v53, null, v27, v15, vcc_lo
	;; [unrolled: 3-line block ×3, first 2 shown]
	v_add_co_u32 v56, vcc_lo, v26, v22
	v_dual_mov_b32 v31, v29 :: v_dual_mov_b32 v46, 0
	s_wait_alu 0xfffd
	v_add_co_ci_u32_e64 v57, null, v27, v23, vcc_lo
	v_dual_mov_b32 v45, 0 :: v_dual_mov_b32 v30, v28
	v_dual_mov_b32 v49, v40 :: v_dual_mov_b32 v48, 0
	v_mov_b32_e32 v47, 0
	s_mov_b32 s47, 0
	s_branch .LBB507_24
.LBB507_20:                             ;   in Loop: Header=BB507_24 Depth=2
	s_or_b32 exec_lo, exec_lo, s50
	s_wait_loadcnt_dscnt 0x303
	v_fma_mix_f32 v32, v70, v74, v47 op_sel_hi:[0,1,0]
	s_wait_loadcnt_dscnt 0x202
	s_delay_alu instid0(VALU_DEP_1) | instskip(SKIP_1) | instid1(VALU_DEP_1)
	v_fma_mix_f32 v32, v71, v75, v32 op_sel_hi:[0,1,0]
	s_wait_loadcnt_dscnt 0x101
	v_fma_mix_f32 v32, v72, v76, v32 op_sel_hi:[0,1,0]
	s_wait_loadcnt_dscnt 0x0
	s_delay_alu instid0(VALU_DEP_1)
	v_fma_mix_f32 v47, v73, v77, v32 op_sel_hi:[0,1,0]
.LBB507_21:                             ;   in Loop: Header=BB507_24 Depth=2
	s_or_b32 exec_lo, exec_lo, s49
	s_wait_loadcnt_dscnt 0x303
	v_fma_mix_f32 v32, v70, v66, v46 op_sel_hi:[0,1,0]
	s_wait_loadcnt_dscnt 0x202
	s_delay_alu instid0(VALU_DEP_1) | instskip(SKIP_1) | instid1(VALU_DEP_1)
	v_fma_mix_f32 v32, v71, v67, v32 op_sel_hi:[0,1,0]
	s_wait_loadcnt_dscnt 0x101
	v_fma_mix_f32 v32, v72, v68, v32 op_sel_hi:[0,1,0]
	s_wait_loadcnt_dscnt 0x0
	s_delay_alu instid0(VALU_DEP_1)
	v_fma_mix_f32 v46, v73, v69, v32 op_sel_hi:[0,1,0]
.LBB507_22:                             ;   in Loop: Header=BB507_24 Depth=2
	s_or_b32 exec_lo, exec_lo, s48
	s_wait_loadcnt_dscnt 0x303
	v_fma_mix_f32 v32, v58, v62, v45 op_sel_hi:[1,1,0]
	s_wait_loadcnt_dscnt 0x202
	s_delay_alu instid0(VALU_DEP_1) | instskip(SKIP_1) | instid1(VALU_DEP_1)
	v_fma_mix_f32 v32, v59, v63, v32 op_sel_hi:[1,1,0]
	s_wait_loadcnt_dscnt 0x101
	v_fma_mix_f32 v32, v60, v64, v32 op_sel_hi:[1,1,0]
	s_wait_loadcnt_dscnt 0x0
	s_delay_alu instid0(VALU_DEP_1)
	v_fma_mix_f32 v45, v61, v65, v32 op_sel_hi:[1,1,0]
.LBB507_23:                             ;   in Loop: Header=BB507_24 Depth=2
	s_wait_alu 0xfffe
	s_or_b32 exec_lo, exec_lo, s7
	v_add_co_u32 v30, vcc_lo, v30, s38
	s_wait_alu 0xfffd
	v_add_co_ci_u32_e64 v31, null, s39, v31, vcc_lo
	v_add_co_u32 v50, vcc_lo, v50, s40
	v_add_nc_u32_e32 v49, 16, v49
	s_wait_alu 0xfffd
	v_add_co_ci_u32_e64 v51, null, s41, v51, vcc_lo
	v_add_co_u32 v52, vcc_lo, v52, s40
	s_wait_alu 0xfffd
	v_add_co_ci_u32_e64 v53, null, s41, v53, vcc_lo
	v_add_co_u32 v54, vcc_lo, v54, s40
	s_wait_alu 0xfffd
	v_add_co_ci_u32_e64 v55, null, s41, v55, vcc_lo
	v_cmp_le_i32_e32 vcc_lo, s42, v49
	v_add_co_u32 v56, s7, v56, s40
	s_wait_alu 0xf1ff
	v_add_co_ci_u32_e64 v57, null, s41, v57, s7
	s_or_b32 s47, vcc_lo, s47
	s_delay_alu instid0(SALU_CYCLE_1)
	s_and_not1_b32 exec_lo, exec_lo, s47
	s_cbranch_execz .LBB507_29
.LBB507_24:                             ;   Parent Loop BB507_4 Depth=1
                                        ; =>  This Inner Loop Header: Depth=2
	s_and_saveexec_b32 s7, s0
	s_cbranch_execz .LBB507_23
; %bb.25:                               ;   in Loop: Header=BB507_24 Depth=2
	v_add_co_u32 v58, vcc_lo, v30, v6
	s_wait_alu 0xfffd
	v_add_co_ci_u32_e64 v59, null, v31, v7, vcc_lo
	v_add_co_u32 v60, vcc_lo, v30, v20
	s_wait_alu 0xfffd
	v_add_co_ci_u32_e64 v61, null, v31, v21, vcc_lo
	;; [unrolled: 3-line block ×8, first 2 shown]
	s_clause 0x3
	flat_load_u16 v58, v[58:59]
	flat_load_u16 v59, v[60:61]
	;; [unrolled: 1-line block ×8, first 2 shown]
	s_and_saveexec_b32 s48, s1
	s_cbranch_execz .LBB507_22
; %bb.26:                               ;   in Loop: Header=BB507_24 Depth=2
	flat_load_u16 v66, v[32:33] offset:128
	flat_load_u16 v67, v[34:35] offset:128
	;; [unrolled: 1-line block ×4, first 2 shown]
	s_wait_loadcnt_dscnt 0xb0b
	v_cvt_f32_f16_e32 v70, v58
	s_wait_loadcnt_dscnt 0xa0a
	v_cvt_f32_f16_e32 v71, v59
	;; [unrolled: 2-line block ×4, first 2 shown]
	s_and_saveexec_b32 s49, s2
	s_cbranch_execz .LBB507_21
; %bb.27:                               ;   in Loop: Header=BB507_24 Depth=2
	flat_load_u16 v74, v[32:33] offset:256
	flat_load_u16 v75, v[34:35] offset:256
	flat_load_u16 v76, v[36:37] offset:256
	flat_load_u16 v77, v[38:39] offset:256
	s_and_saveexec_b32 s50, s3
	s_cbranch_execz .LBB507_20
; %bb.28:                               ;   in Loop: Header=BB507_24 Depth=2
	flat_load_u16 v32, v[32:33] offset:384
	flat_load_u16 v33, v[34:35] offset:384
	;; [unrolled: 1-line block ×4, first 2 shown]
	s_wait_loadcnt_dscnt 0x303
	v_fma_mix_f32 v32, v70, v32, v48 op_sel_hi:[0,1,0]
	s_wait_loadcnt_dscnt 0x202
	s_delay_alu instid0(VALU_DEP_1) | instskip(SKIP_1) | instid1(VALU_DEP_1)
	v_fma_mix_f32 v32, v71, v33, v32 op_sel_hi:[0,1,0]
	s_wait_loadcnt_dscnt 0x101
	v_fma_mix_f32 v32, v72, v34, v32 op_sel_hi:[0,1,0]
	s_wait_loadcnt_dscnt 0x0
	s_delay_alu instid0(VALU_DEP_1)
	v_fma_mix_f32 v48, v73, v35, v32 op_sel_hi:[0,1,0]
	s_branch .LBB507_20
.LBB507_29:                             ;   in Loop: Header=BB507_4 Depth=1
	s_or_b32 exec_lo, exec_lo, s47
.LBB507_30:                             ;   in Loop: Header=BB507_4 Depth=1
	s_delay_alu instid0(SALU_CYCLE_1) | instskip(NEXT) | instid1(SALU_CYCLE_1)
	s_or_b32 exec_lo, exec_lo, s46
	s_and_not1_b32 vcc_lo, exec_lo, s43
	s_wait_alu 0xfffe
	s_cbranch_vccnz .LBB507_48
; %bb.31:                               ;   in Loop: Header=BB507_4 Depth=1
	v_cmp_gt_i32_e32 vcc_lo, s9, v49
	v_dual_mov_b32 v34, 0 :: v_dual_mov_b32 v35, 0
	v_or_b32_e32 v30, 1, v49
	v_dual_mov_b32 v36, 0 :: v_dual_mov_b32 v37, 0
	s_and_saveexec_b32 s46, vcc_lo
	s_cbranch_execz .LBB507_39
; %bb.32:                               ;   in Loop: Header=BB507_4 Depth=1
	v_mad_co_u64_u32 v[31:32], null, s36, v49, 0
	v_dual_mov_b32 v36, 0 :: v_dual_mov_b32 v35, 0
	v_mov_b32_e32 v34, 0
	s_mov_b32 s47, exec_lo
	s_delay_alu instid0(VALU_DEP_3) | instskip(NEXT) | instid1(VALU_DEP_1)
	v_mad_co_u64_u32 v[32:33], null, s37, v49, v[32:33]
	v_lshlrev_b64_e32 v[31:32], 1, v[31:32]
	s_delay_alu instid0(VALU_DEP_1) | instskip(SKIP_1) | instid1(VALU_DEP_2)
	v_add_co_u32 v31, s7, v28, v31
	s_wait_alu 0xf1ff
	v_add_co_ci_u32_e64 v32, null, v29, v32, s7
	flat_load_u16 v31, v[31:32]
	v_cmpx_gt_i32_e64 s9, v30
	s_cbranch_execz .LBB507_38
; %bb.33:                               ;   in Loop: Header=BB507_4 Depth=1
	v_mad_co_u64_u32 v[32:33], null, s36, v30, 0
	v_mov_b32_e32 v35, 0
	s_mov_b32 s48, exec_lo
	s_delay_alu instid0(VALU_DEP_2) | instskip(SKIP_1) | instid1(VALU_DEP_2)
	v_mad_co_u64_u32 v[33:34], null, s37, v30, v[33:34]
	v_mov_b32_e32 v34, 0
	v_lshlrev_b64_e32 v[32:33], 1, v[32:33]
	s_delay_alu instid0(VALU_DEP_1) | instskip(SKIP_1) | instid1(VALU_DEP_2)
	v_add_co_u32 v32, s7, v28, v32
	s_wait_alu 0xf1ff
	v_add_co_ci_u32_e64 v33, null, v29, v33, s7
	flat_load_u16 v32, v[32:33]
	v_or_b32_e32 v33, 2, v49
	s_delay_alu instid0(VALU_DEP_1)
	v_cmpx_gt_i32_e64 s9, v33
	s_cbranch_execz .LBB507_37
; %bb.34:                               ;   in Loop: Header=BB507_4 Depth=1
	v_mad_co_u64_u32 v[34:35], null, s36, v33, 0
	s_mov_b32 s49, exec_lo
	v_mad_co_u64_u32 v[35:36], null, s37, v33, v[35:36]
	s_delay_alu instid0(VALU_DEP_1) | instskip(SKIP_1) | instid1(VALU_DEP_2)
	v_lshlrev_b64_e32 v[33:34], 1, v[34:35]
	v_or_b32_e32 v35, 3, v49
	v_add_co_u32 v33, s7, v28, v33
	s_wait_alu 0xf1ff
	s_delay_alu instid0(VALU_DEP_3)
	v_add_co_ci_u32_e64 v34, null, v29, v34, s7
	flat_load_u16 v33, v[33:34]
	v_mov_b32_e32 v34, 0
	v_cmpx_gt_i32_e64 s9, v35
	s_cbranch_execz .LBB507_36
; %bb.35:                               ;   in Loop: Header=BB507_4 Depth=1
	v_mad_co_u64_u32 v[36:37], null, s36, v35, 0
	s_delay_alu instid0(VALU_DEP_1) | instskip(NEXT) | instid1(VALU_DEP_1)
	v_mov_b32_e32 v34, v37
	v_mad_co_u64_u32 v[34:35], null, s37, v35, v[34:35]
	s_delay_alu instid0(VALU_DEP_1) | instskip(NEXT) | instid1(VALU_DEP_1)
	v_mov_b32_e32 v37, v34
	v_lshlrev_b64_e32 v[34:35], 1, v[36:37]
	s_delay_alu instid0(VALU_DEP_1) | instskip(SKIP_1) | instid1(VALU_DEP_2)
	v_add_co_u32 v28, s7, v28, v34
	s_wait_alu 0xf1ff
	v_add_co_ci_u32_e64 v29, null, v29, v35, s7
	flat_load_u16 v28, v[28:29]
	s_wait_loadcnt_dscnt 0x0
	v_cvt_f32_f16_e32 v34, v28
.LBB507_36:                             ;   in Loop: Header=BB507_4 Depth=1
	s_or_b32 exec_lo, exec_lo, s49
	s_wait_loadcnt_dscnt 0x0
	v_cvt_f32_f16_e32 v35, v33
.LBB507_37:                             ;   in Loop: Header=BB507_4 Depth=1
	s_or_b32 exec_lo, exec_lo, s48
	s_wait_loadcnt_dscnt 0x0
	v_cvt_f32_f16_e32 v36, v32
.LBB507_38:                             ;   in Loop: Header=BB507_4 Depth=1
	s_or_b32 exec_lo, exec_lo, s47
	s_wait_loadcnt_dscnt 0x0
	v_cvt_f32_f16_e32 v37, v31
.LBB507_39:                             ;   in Loop: Header=BB507_4 Depth=1
	s_or_b32 exec_lo, exec_lo, s46
	s_and_saveexec_b32 s46, s0
	s_cbranch_execz .LBB507_47
; %bb.40:                               ;   in Loop: Header=BB507_4 Depth=1
	v_mad_co_u64_u32 v[28:29], null, s34, v49, 0
	v_or_b32_e32 v52, 2, v49
	v_mad_co_u64_u32 v[31:32], null, s34, v30, 0
	v_or_b32_e32 v53, 3, v49
	v_cmp_gt_i32_e64 s7, s9, v30
	s_delay_alu instid0(VALU_DEP_4) | instskip(SKIP_3) | instid1(VALU_DEP_4)
	v_mad_co_u64_u32 v[38:39], null, s34, v52, 0
	v_mad_co_u64_u32 v[49:50], null, s35, v49, v[29:30]
	;; [unrolled: 1-line block ×4, first 2 shown]
	v_mov_b32_e32 v30, v39
	s_delay_alu instid0(VALU_DEP_4)
	v_dual_cndmask_b32 v50, 0, v28 :: v_dual_cndmask_b32 v51, 0, v49
	s_wait_alu 0xf1ff
	v_cndmask_b32_e64 v28, 0, v31, s7
	v_cndmask_b32_e64 v29, 0, v29, s7
	v_mad_co_u64_u32 v[30:31], null, s35, v52, v[30:31]
	v_mov_b32_e32 v31, v33
	v_lshlrev_b64_e32 v[49:50], 1, v[50:51]
	v_cmp_gt_i32_e32 vcc_lo, s9, v52
	v_lshlrev_b64_e32 v[51:52], 1, v[28:29]
	s_wait_alu 0xfffd
	v_cndmask_b32_e32 v39, 0, v30, vcc_lo
	s_delay_alu instid0(VALU_DEP_4)
	v_add_co_u32 v28, s7, v26, v49
	s_wait_alu 0xf1ff
	v_add_co_ci_u32_e64 v29, null, v27, v50, s7
	v_mad_co_u64_u32 v[30:31], null, s35, v53, v[31:32]
	v_cndmask_b32_e32 v38, 0, v38, vcc_lo
	v_add_co_u32 v28, vcc_lo, v28, v8
	s_wait_alu 0xfffd
	v_add_co_ci_u32_e64 v29, null, v29, v9, vcc_lo
	v_cmp_gt_i32_e32 vcc_lo, s9, v53
	v_add_co_u32 v31, s7, v26, v51
	s_wait_alu 0xf1ff
	v_add_co_ci_u32_e64 v49, null, v27, v52, s7
	s_wait_alu 0xfffd
	v_dual_cndmask_b32 v32, 0, v32 :: v_dual_cndmask_b32 v33, 0, v30
	v_lshlrev_b64_e32 v[38:39], 1, v[38:39]
	v_add_co_u32 v30, vcc_lo, v31, v8
	s_wait_alu 0xfffd
	v_add_co_ci_u32_e64 v31, null, v49, v9, vcc_lo
	v_lshlrev_b64_e32 v[32:33], 1, v[32:33]
	s_delay_alu instid0(VALU_DEP_4) | instskip(SKIP_2) | instid1(VALU_DEP_3)
	v_add_co_u32 v38, vcc_lo, v26, v38
	s_wait_alu 0xfffd
	v_add_co_ci_u32_e64 v39, null, v27, v39, vcc_lo
	v_add_co_u32 v32, vcc_lo, v26, v32
	s_wait_alu 0xfffd
	v_add_co_ci_u32_e64 v33, null, v27, v33, vcc_lo
	;; [unrolled: 3-line block ×4, first 2 shown]
	s_clause 0x3
	flat_load_u16 v38, v[28:29]
	flat_load_u16 v39, v[30:31]
	;; [unrolled: 1-line block ×4, first 2 shown]
	s_and_saveexec_b32 s7, s1
	s_cbranch_execz .LBB507_46
; %bb.41:                               ;   in Loop: Header=BB507_4 Depth=1
	s_clause 0x3
	flat_load_u16 v51, v[28:29] offset:128
	flat_load_u16 v52, v[30:31] offset:128
	flat_load_u16 v53, v[26:27] offset:128
	flat_load_u16 v54, v[32:33] offset:128
	s_and_saveexec_b32 s47, s2
	s_cbranch_execz .LBB507_45
; %bb.42:                               ;   in Loop: Header=BB507_4 Depth=1
	s_clause 0x3
	flat_load_u16 v55, v[28:29] offset:256
	flat_load_u16 v56, v[30:31] offset:256
	flat_load_u16 v57, v[26:27] offset:256
	flat_load_u16 v58, v[32:33] offset:256
	;; [unrolled: 8-line block ×3, first 2 shown]
	s_wait_loadcnt_dscnt 0x303
	v_fma_mix_f32 v28, v37, v28, v48 op_sel_hi:[0,1,0]
	s_wait_loadcnt_dscnt 0x202
	s_delay_alu instid0(VALU_DEP_1) | instskip(SKIP_1) | instid1(VALU_DEP_1)
	v_fma_mix_f32 v28, v36, v29, v28 op_sel_hi:[0,1,0]
	s_wait_loadcnt_dscnt 0x101
	v_fma_mix_f32 v26, v35, v26, v28 op_sel_hi:[0,1,0]
	s_wait_loadcnt_dscnt 0x0
	s_delay_alu instid0(VALU_DEP_1)
	v_fma_mix_f32 v48, v34, v27, v26 op_sel_hi:[0,1,0]
.LBB507_44:                             ;   in Loop: Header=BB507_4 Depth=1
	s_or_b32 exec_lo, exec_lo, s48
	s_wait_loadcnt_dscnt 0x303
	v_fma_mix_f32 v26, v37, v55, v47 op_sel_hi:[0,1,0]
	s_wait_loadcnt_dscnt 0x202
	s_delay_alu instid0(VALU_DEP_1) | instskip(SKIP_1) | instid1(VALU_DEP_1)
	v_fma_mix_f32 v26, v36, v56, v26 op_sel_hi:[0,1,0]
	s_wait_loadcnt_dscnt 0x101
	v_fma_mix_f32 v26, v35, v57, v26 op_sel_hi:[0,1,0]
	s_wait_loadcnt_dscnt 0x0
	s_delay_alu instid0(VALU_DEP_1)
	v_fma_mix_f32 v47, v34, v58, v26 op_sel_hi:[0,1,0]
.LBB507_45:                             ;   in Loop: Header=BB507_4 Depth=1
	s_or_b32 exec_lo, exec_lo, s47
	s_wait_loadcnt_dscnt 0x303
	v_fma_mix_f32 v26, v37, v51, v46 op_sel_hi:[0,1,0]
	s_wait_loadcnt_dscnt 0x202
	s_delay_alu instid0(VALU_DEP_1) | instskip(SKIP_1) | instid1(VALU_DEP_1)
	v_fma_mix_f32 v26, v36, v52, v26 op_sel_hi:[0,1,0]
	s_wait_loadcnt_dscnt 0x101
	v_fma_mix_f32 v26, v35, v53, v26 op_sel_hi:[0,1,0]
	s_wait_loadcnt_dscnt 0x0
	s_delay_alu instid0(VALU_DEP_1)
	v_fma_mix_f32 v46, v34, v54, v26 op_sel_hi:[0,1,0]
.LBB507_46:                             ;   in Loop: Header=BB507_4 Depth=1
	s_wait_alu 0xfffe
	s_or_b32 exec_lo, exec_lo, s7
	s_wait_loadcnt_dscnt 0x303
	v_fma_mix_f32 v26, v37, v38, v45 op_sel_hi:[0,1,0]
	s_wait_loadcnt_dscnt 0x202
	s_delay_alu instid0(VALU_DEP_1) | instskip(SKIP_1) | instid1(VALU_DEP_1)
	v_fma_mix_f32 v26, v36, v39, v26 op_sel_hi:[0,1,0]
	s_wait_loadcnt_dscnt 0x101
	v_fma_mix_f32 v26, v35, v49, v26 op_sel_hi:[0,1,0]
	s_wait_loadcnt_dscnt 0x0
	s_delay_alu instid0(VALU_DEP_1)
	v_fma_mix_f32 v45, v34, v50, v26 op_sel_hi:[0,1,0]
.LBB507_47:                             ;   in Loop: Header=BB507_4 Depth=1
	s_or_b32 exec_lo, exec_lo, s46
.LBB507_48:                             ;   in Loop: Header=BB507_4 Depth=1
	ds_store_2addr_stride64_b32 v0, v45, v46 offset1:1
	ds_store_2addr_stride64_b32 v0, v47, v48 offset0:2 offset1:3
	s_wait_dscnt 0x0
	s_barrier_signal -1
	s_barrier_wait -1
	global_inv scope:SCOPE_SE
                                        ; implicit-def: $vgpr30
	s_and_saveexec_b32 s7, s5
	s_cbranch_execz .LBB507_54
; %bb.49:                               ;   in Loop: Header=BB507_4 Depth=1
	ds_load_2addr_stride64_b32 v[26:27], v41 offset1:4
	ds_load_2addr_stride64_b32 v[28:29], v41 offset0:8 offset1:12
	s_mov_b32 s47, s8
                                        ; implicit-def: $vgpr30
	s_wait_dscnt 0x1
	v_add_f32_e32 v26, v26, v27
	s_wait_dscnt 0x0
	s_delay_alu instid0(VALU_DEP_1) | instskip(NEXT) | instid1(VALU_DEP_1)
	v_add_f32_e32 v26, v28, v26
	v_add_f32_e32 v26, v29, v26
	ds_store_b32 v41, v26
	s_and_saveexec_b32 s46, s6
	s_cbranch_execz .LBB507_53
; %bb.50:                               ;   in Loop: Header=BB507_4 Depth=1
	v_mul_f32_e32 v30, v42, v26
	s_cmp_eq_f32 s45, 0
	s_cbranch_scc1 .LBB507_52
; %bb.51:                               ;   in Loop: Header=BB507_4 Depth=1
	v_lshlrev_b64_e32 v[26:27], 2, v[4:5]
	s_delay_alu instid0(VALU_DEP_1) | instskip(SKIP_1) | instid1(VALU_DEP_2)
	v_add_co_u32 v26, vcc_lo, v43, v26
	s_wait_alu 0xfffd
	v_add_co_ci_u32_e64 v27, null, v44, v27, vcc_lo
	flat_load_b32 v26, v[26:27]
	s_wait_loadcnt_dscnt 0x0
	v_fmac_f32_e32 v30, s45, v26
.LBB507_52:                             ;   in Loop: Header=BB507_4 Depth=1
	s_or_b32 s47, s8, exec_lo
.LBB507_53:                             ;   in Loop: Header=BB507_4 Depth=1
	s_or_b32 exec_lo, exec_lo, s46
	s_delay_alu instid0(SALU_CYCLE_1)
	s_and_not1_b32 s8, s8, exec_lo
	s_and_b32 s45, s47, exec_lo
	s_wait_alu 0xfffe
	s_or_b32 s8, s8, s45
.LBB507_54:                             ;   in Loop: Header=BB507_4 Depth=1
	s_wait_alu 0xfffe
	s_or_b32 exec_lo, exec_lo, s7
	v_dual_mov_b32 v27, v5 :: v_dual_mov_b32 v26, v4
	s_and_saveexec_b32 s7, s8
	s_cbranch_execz .LBB507_2
.LBB507_55:                             ;   in Loop: Header=BB507_4 Depth=1
	s_delay_alu instid0(VALU_DEP_1) | instskip(NEXT) | instid1(VALU_DEP_1)
	v_lshlrev_b64_e32 v[26:27], 2, v[26:27]
	v_add_co_u32 v26, vcc_lo, v43, v26
	s_wait_alu 0xfffd
	s_delay_alu instid0(VALU_DEP_2)
	v_add_co_ci_u32_e64 v27, null, v44, v27, vcc_lo
	flat_store_b32 v[26:27], v30
	s_branch .LBB507_2
.LBB507_56:
	s_endpgm
	.section	.rodata,"a",@progbits
	.p2align	6, 0x0
	.amdhsa_kernel _ZL20rocblas_gemvn_kernelILi64ELi4ElPKDF16_PKfKPfEviiT3_lPKT2_lT1_lS9_lSA_lS6_lPT4_lSA_li
		.amdhsa_group_segment_fixed_size 4096
		.amdhsa_private_segment_fixed_size 0
		.amdhsa_kernarg_size 400
		.amdhsa_user_sgpr_count 2
		.amdhsa_user_sgpr_dispatch_ptr 0
		.amdhsa_user_sgpr_queue_ptr 0
		.amdhsa_user_sgpr_kernarg_segment_ptr 1
		.amdhsa_user_sgpr_dispatch_id 0
		.amdhsa_user_sgpr_private_segment_size 0
		.amdhsa_wavefront_size32 1
		.amdhsa_uses_dynamic_stack 0
		.amdhsa_enable_private_segment 0
		.amdhsa_system_sgpr_workgroup_id_x 1
		.amdhsa_system_sgpr_workgroup_id_y 0
		.amdhsa_system_sgpr_workgroup_id_z 1
		.amdhsa_system_sgpr_workgroup_info 0
		.amdhsa_system_vgpr_workitem_id 1
		.amdhsa_next_free_vgpr 78
		.amdhsa_next_free_sgpr 51
		.amdhsa_reserve_vcc 1
		.amdhsa_float_round_mode_32 0
		.amdhsa_float_round_mode_16_64 0
		.amdhsa_float_denorm_mode_32 3
		.amdhsa_float_denorm_mode_16_64 3
		.amdhsa_fp16_overflow 0
		.amdhsa_workgroup_processor_mode 1
		.amdhsa_memory_ordered 1
		.amdhsa_forward_progress 1
		.amdhsa_inst_pref_size 29
		.amdhsa_round_robin_scheduling 0
		.amdhsa_exception_fp_ieee_invalid_op 0
		.amdhsa_exception_fp_denorm_src 0
		.amdhsa_exception_fp_ieee_div_zero 0
		.amdhsa_exception_fp_ieee_overflow 0
		.amdhsa_exception_fp_ieee_underflow 0
		.amdhsa_exception_fp_ieee_inexact 0
		.amdhsa_exception_int_div_zero 0
	.end_amdhsa_kernel
	.section	.text._ZL20rocblas_gemvn_kernelILi64ELi4ElPKDF16_PKfKPfEviiT3_lPKT2_lT1_lS9_lSA_lS6_lPT4_lSA_li,"axG",@progbits,_ZL20rocblas_gemvn_kernelILi64ELi4ElPKDF16_PKfKPfEviiT3_lPKT2_lT1_lS9_lSA_lS6_lPT4_lSA_li,comdat
.Lfunc_end507:
	.size	_ZL20rocblas_gemvn_kernelILi64ELi4ElPKDF16_PKfKPfEviiT3_lPKT2_lT1_lS9_lSA_lS6_lPT4_lSA_li, .Lfunc_end507-_ZL20rocblas_gemvn_kernelILi64ELi4ElPKDF16_PKfKPfEviiT3_lPKT2_lT1_lS9_lSA_lS6_lPT4_lSA_li
                                        ; -- End function
	.set _ZL20rocblas_gemvn_kernelILi64ELi4ElPKDF16_PKfKPfEviiT3_lPKT2_lT1_lS9_lSA_lS6_lPT4_lSA_li.num_vgpr, 78
	.set _ZL20rocblas_gemvn_kernelILi64ELi4ElPKDF16_PKfKPfEviiT3_lPKT2_lT1_lS9_lSA_lS6_lPT4_lSA_li.num_agpr, 0
	.set _ZL20rocblas_gemvn_kernelILi64ELi4ElPKDF16_PKfKPfEviiT3_lPKT2_lT1_lS9_lSA_lS6_lPT4_lSA_li.numbered_sgpr, 51
	.set _ZL20rocblas_gemvn_kernelILi64ELi4ElPKDF16_PKfKPfEviiT3_lPKT2_lT1_lS9_lSA_lS6_lPT4_lSA_li.num_named_barrier, 0
	.set _ZL20rocblas_gemvn_kernelILi64ELi4ElPKDF16_PKfKPfEviiT3_lPKT2_lT1_lS9_lSA_lS6_lPT4_lSA_li.private_seg_size, 0
	.set _ZL20rocblas_gemvn_kernelILi64ELi4ElPKDF16_PKfKPfEviiT3_lPKT2_lT1_lS9_lSA_lS6_lPT4_lSA_li.uses_vcc, 1
	.set _ZL20rocblas_gemvn_kernelILi64ELi4ElPKDF16_PKfKPfEviiT3_lPKT2_lT1_lS9_lSA_lS6_lPT4_lSA_li.uses_flat_scratch, 1
	.set _ZL20rocblas_gemvn_kernelILi64ELi4ElPKDF16_PKfKPfEviiT3_lPKT2_lT1_lS9_lSA_lS6_lPT4_lSA_li.has_dyn_sized_stack, 0
	.set _ZL20rocblas_gemvn_kernelILi64ELi4ElPKDF16_PKfKPfEviiT3_lPKT2_lT1_lS9_lSA_lS6_lPT4_lSA_li.has_recursion, 0
	.set _ZL20rocblas_gemvn_kernelILi64ELi4ElPKDF16_PKfKPfEviiT3_lPKT2_lT1_lS9_lSA_lS6_lPT4_lSA_li.has_indirect_call, 0
	.section	.AMDGPU.csdata,"",@progbits
; Kernel info:
; codeLenInByte = 3708
; TotalNumSgprs: 53
; NumVgprs: 78
; ScratchSize: 0
; MemoryBound: 0
; FloatMode: 240
; IeeeMode: 1
; LDSByteSize: 4096 bytes/workgroup (compile time only)
; SGPRBlocks: 0
; VGPRBlocks: 9
; NumSGPRsForWavesPerEU: 53
; NumVGPRsForWavesPerEU: 78
; Occupancy: 16
; WaveLimiterHint : 1
; COMPUTE_PGM_RSRC2:SCRATCH_EN: 0
; COMPUTE_PGM_RSRC2:USER_SGPR: 2
; COMPUTE_PGM_RSRC2:TRAP_HANDLER: 0
; COMPUTE_PGM_RSRC2:TGID_X_EN: 1
; COMPUTE_PGM_RSRC2:TGID_Y_EN: 0
; COMPUTE_PGM_RSRC2:TGID_Z_EN: 1
; COMPUTE_PGM_RSRC2:TIDIG_COMP_CNT: 1
	.section	.text._ZL20rocblas_gemvn_kernelILi64ELi4EiPKDF16_fKPfEviiT3_lPKT2_lT1_lS7_lS8_lS4_lPT4_lS8_li,"axG",@progbits,_ZL20rocblas_gemvn_kernelILi64ELi4EiPKDF16_fKPfEviiT3_lPKT2_lT1_lS7_lS8_lS4_lPT4_lS8_li,comdat
	.globl	_ZL20rocblas_gemvn_kernelILi64ELi4EiPKDF16_fKPfEviiT3_lPKT2_lT1_lS7_lS8_lS4_lPT4_lS8_li ; -- Begin function _ZL20rocblas_gemvn_kernelILi64ELi4EiPKDF16_fKPfEviiT3_lPKT2_lT1_lS7_lS8_lS4_lPT4_lS8_li
	.p2align	8
	.type	_ZL20rocblas_gemvn_kernelILi64ELi4EiPKDF16_fKPfEviiT3_lPKT2_lT1_lS7_lS8_lS4_lPT4_lS8_li,@function
_ZL20rocblas_gemvn_kernelILi64ELi4EiPKDF16_fKPfEviiT3_lPKT2_lT1_lS7_lS8_lS4_lPT4_lS8_li: ; @_ZL20rocblas_gemvn_kernelILi64ELi4EiPKDF16_fKPfEviiT3_lPKT2_lT1_lS7_lS8_lS4_lPT4_lS8_li
; %bb.0:
	s_clause 0x1
	s_load_b64 s[2:3], s[0:1], 0x9c
	s_load_b32 s23, s[0:1], 0x88
	s_lshr_b32 s24, ttmp7, 16
	s_wait_kmcnt 0x0
	s_lshr_b32 s4, s2, 16
	s_and_b32 s2, s2, 0xffff
	s_and_b32 s3, s3, 0xffff
	s_mul_i32 s2, s4, s2
	s_delay_alu instid0(SALU_CYCLE_1) | instskip(NEXT) | instid1(SALU_CYCLE_1)
	s_mul_i32 s2, s2, s3
	s_cmp_lg_u32 s2, 0x100
	s_cselect_b32 s2, -1, 0
	s_cmp_ge_u32 s24, s23
	s_cselect_b32 s3, -1, 0
	s_delay_alu instid0(SALU_CYCLE_1) | instskip(NEXT) | instid1(SALU_CYCLE_1)
	s_or_b32 s2, s2, s3
	s_and_b32 vcc_lo, exec_lo, s2
	s_cbranch_vccnz .LBB508_59
; %bb.1:
	s_clause 0x7
	s_load_b32 s4, s[0:1], 0x78
	s_load_b96 s[20:22], s[0:1], 0x0
	s_load_b32 s27, s[0:1], 0x58
	s_load_b32 s28, s[0:1], 0x28
	s_load_b128 s[8:11], s[0:1], 0x38
	s_load_b32 s26, s[0:1], 0x48
	s_load_b128 s[12:15], s[0:1], 0x68
	s_load_b128 s[16:19], s[0:1], 0x18
	v_and_b32_e32 v9, 0x3ff, v0
	v_bfe_u32 v8, v0, 10, 10
	v_mov_b32_e32 v1, 0
	s_mov_b32 s25, 0
	s_delay_alu instid0(VALU_DEP_3) | instskip(NEXT) | instid1(VALU_DEP_3)
	v_lshlrev_b32_e32 v0, 2, v9
	v_lshl_add_u32 v2, v8, 6, v9
	v_lshlrev_b32_e32 v23, 2, v8
	s_delay_alu instid0(VALU_DEP_3)
	v_lshl_add_u32 v24, v8, 10, v0
	v_lshl_add_u32 v25, v8, 8, v0
	s_wait_kmcnt 0x0
	s_ashr_i32 s5, s4, 31
	s_cmp_eq_f32 s22, 0
	s_mov_b32 s2, s20
	v_cmp_gt_u32_e64 s0, 0x100, v2
	v_mul_lo_u32 v10, s28, v23
	s_cselect_b32 s29, -1, 0
	s_cmp_neq_f32 s27, 1.0
	v_or_b32_e32 v12, 3, v23
	v_mul_lo_u32 v13, v8, s26
	s_cselect_b32 s1, -1, 0
	s_cmp_neq_f32 s22, 0
	s_delay_alu instid0(VALU_DEP_2)
	v_mul_lo_u32 v30, s26, v12
	s_cselect_b32 s6, -1, 0
	s_lshl_b32 s30, ttmp9, 8
	s_ashr_i32 s3, s20, 31
	v_add_nc_u32_e32 v0, s30, v2
	v_or_b32_e32 v4, s30, v2
	v_or_b32_e32 v27, s30, v9
	s_or_b32 s31, s6, s1
	s_cmp_neq_f32 s27, 0
	v_cmp_gt_i64_e32 vcc_lo, s[2:3], v[0:1]
	v_mad_co_u64_u32 v[2:3], null, s4, v0, 0
	v_cmp_gt_i32_e64 s2, s20, v4
	v_mul_lo_u32 v4, s4, v4
	v_add_nc_u32_e32 v6, 0x80, v27
	v_add_nc_u32_e32 v11, 0xc0, v27
	s_cselect_b32 s33, -1, 0
	s_ashr_i32 s3, s21, 31
	v_cndmask_b32_e64 v26, 0, 1, s6
	v_cmp_gt_i32_e64 s4, s20, v6
	s_wait_alu 0xfffe
	s_lshr_b32 s3, s3, 28
	v_mad_co_u64_u32 v[6:7], null, s5, v0, v[3:4]
	v_cmp_gt_i32_e64 s5, s20, v11
	v_mul_lo_u32 v11, v8, s28
	v_add3_u32 v0, v10, s28, v9
	v_or_b32_e32 v10, 2, v23
	v_add_nc_u32_e32 v5, 64, v27
	s_wait_alu 0xfffe
	s_add_co_i32 s6, s21, s3
	v_mov_b32_e32 v3, v6
	s_wait_alu 0xfffe
	s_and_b32 s34, s6, -16
	v_mad_co_u64_u32 v[6:7], null, s28, v10, v[9:10]
	v_mad_co_u64_u32 v[7:8], null, s28, v12, v[9:10]
	v_lshl_add_u32 v28, v11, 2, v9
	v_mad_co_u64_u32 v[8:9], null, s26, v23, s[26:27]
	v_mul_lo_u32 v29, s26, v10
	s_sub_co_i32 s7, s21, s34
	v_lshlrev_b64_e32 v[9:10], 2, v[2:3]
	v_cmp_gt_i32_e64 s1, s20, v27
	v_cmp_gt_i32_e64 s3, s20, v5
	;; [unrolled: 1-line block ×3, first 2 shown]
	v_ashrrev_i32_e32 v5, 31, v4
	v_lshlrev_b32_e32 v31, 2, v13
	s_wait_alu 0xfffe
	s_cmp_gt_i32 s7, 0
	s_cselect_b32 s20, -1, 0
	s_and_b32 s35, s0, vcc_lo
	s_lshl_b32 s36, s28, 4
	s_lshl_b32 s37, s26, 4
	s_lshl_b64 s[18:19], s[18:19], 1
	s_lshl_b64 s[10:11], s[10:11], 1
	;; [unrolled: 1-line block ×3, first 2 shown]
	s_branch .LBB508_4
.LBB508_2:                              ;   in Loop: Header=BB508_4 Depth=1
	s_wait_alu 0xfffe
	s_or_b32 exec_lo, exec_lo, s7
.LBB508_3:                              ;   in Loop: Header=BB508_4 Depth=1
	s_add_co_i32 s24, s24, 0x10000
	s_delay_alu instid0(SALU_CYCLE_1)
	s_cmp_lt_u32 s24, s23
	s_cbranch_scc0 .LBB508_59
.LBB508_4:                              ; =>This Loop Header: Depth=1
                                        ;     Child Loop BB508_27 Depth 2
	s_and_not1_b32 vcc_lo, exec_lo, s31
	s_wait_alu 0xfffe
	s_cbranch_vccnz .LBB508_3
; %bb.5:                                ;   in Loop: Header=BB508_4 Depth=1
	s_and_not1_b32 vcc_lo, exec_lo, s29
	s_wait_alu 0xfffe
	s_cbranch_vccnz .LBB508_7
; %bb.6:                                ;   in Loop: Header=BB508_4 Depth=1
	s_mov_b32 s7, 0
	s_branch .LBB508_8
.LBB508_7:                              ;   in Loop: Header=BB508_4 Depth=1
	s_mov_b32 s7, -1
.LBB508_8:                              ;   in Loop: Header=BB508_4 Depth=1
	v_mov_b32_e32 v13, 0
	v_dual_mov_b32 v14, 0 :: v_dual_mov_b32 v11, 0
	v_mov_b32_e32 v12, 0
	s_wait_alu 0xfffe
	s_and_not1_b32 vcc_lo, exec_lo, s7
	s_wait_alu 0xfffe
	s_cbranch_vccnz .LBB508_10
; %bb.9:                                ;   in Loop: Header=BB508_4 Depth=1
	s_lshl_b64 s[38:39], s[24:25], 3
	s_delay_alu instid0(SALU_CYCLE_1)
	s_add_nc_u64 s[38:39], s[16:17], s[38:39]
	global_load_b64 v[11:12], v1, s[38:39]
	s_wait_loadcnt 0x0
	v_add_co_u32 v11, vcc_lo, v11, s18
	s_wait_alu 0xfffd
	v_add_co_ci_u32_e64 v12, null, s19, v12, vcc_lo
.LBB508_10:                             ;   in Loop: Header=BB508_4 Depth=1
	v_cmp_ne_u32_e32 vcc_lo, 1, v26
	s_cbranch_vccnz .LBB508_12
; %bb.11:                               ;   in Loop: Header=BB508_4 Depth=1
	s_lshl_b64 s[38:39], s[24:25], 3
	s_delay_alu instid0(SALU_CYCLE_1)
	s_add_nc_u64 s[38:39], s[8:9], s[38:39]
	global_load_b64 v[13:14], v1, s[38:39]
	s_wait_loadcnt 0x0
	v_add_co_u32 v13, vcc_lo, v13, s10
	s_wait_alu 0xfffd
	v_add_co_ci_u32_e64 v14, null, s11, v14, vcc_lo
.LBB508_12:                             ;   in Loop: Header=BB508_4 Depth=1
	s_lshl_b64 s[38:39], s[24:25], 3
	s_delay_alu instid0(SALU_CYCLE_1)
	s_add_nc_u64 s[38:39], s[12:13], s[38:39]
	global_load_b64 v[15:16], v1, s[38:39]
	s_wait_loadcnt 0x0
	v_add_co_u32 v32, vcc_lo, v15, s14
	s_wait_alu 0xfffd
	v_add_co_ci_u32_e64 v33, null, s15, v16, vcc_lo
	s_and_not1_b32 vcc_lo, exec_lo, s29
	s_wait_alu 0xfffe
	s_cbranch_vccnz .LBB508_16
; %bb.13:                               ;   in Loop: Header=BB508_4 Depth=1
	s_mov_b32 s7, 0
	s_mov_b32 s38, 0
                                        ; implicit-def: $vgpr15
	s_and_saveexec_b32 s39, s35
	s_cbranch_execz .LBB508_17
; %bb.14:                               ;   in Loop: Header=BB508_4 Depth=1
	s_and_not1_b32 vcc_lo, exec_lo, s33
	s_wait_alu 0xfffe
	s_cbranch_vccnz .LBB508_19
; %bb.15:                               ;   in Loop: Header=BB508_4 Depth=1
	v_add_co_u32 v15, vcc_lo, v32, v9
	s_wait_alu 0xfffd
	v_add_co_ci_u32_e64 v16, null, v33, v10, vcc_lo
	flat_load_b32 v15, v[15:16]
	s_wait_loadcnt_dscnt 0x0
	v_mul_f32_e32 v15, s27, v15
	s_branch .LBB508_20
.LBB508_16:                             ;   in Loop: Header=BB508_4 Depth=1
	s_mov_b32 s38, 0
                                        ; implicit-def: $vgpr15
	s_cbranch_execz .LBB508_18
	s_branch .LBB508_21
.LBB508_17:                             ;   in Loop: Header=BB508_4 Depth=1
	s_or_b32 exec_lo, exec_lo, s39
	s_wait_alu 0xfffe
	s_and_b32 vcc_lo, exec_lo, s7
	s_wait_alu 0xfffe
	s_cbranch_vccnz .LBB508_21
.LBB508_18:                             ;   in Loop: Header=BB508_4 Depth=1
	v_dual_mov_b32 v12, v3 :: v_dual_mov_b32 v11, v2
	s_and_saveexec_b32 s7, s38
	s_cbranch_execz .LBB508_2
	s_branch .LBB508_58
.LBB508_19:                             ;   in Loop: Header=BB508_4 Depth=1
	v_mov_b32_e32 v15, 0
.LBB508_20:                             ;   in Loop: Header=BB508_4 Depth=1
	s_mov_b32 s38, exec_lo
	s_or_b32 exec_lo, exec_lo, s39
	s_delay_alu instid0(SALU_CYCLE_1)
	s_and_b32 vcc_lo, exec_lo, s7
	s_wait_alu 0xfffe
	s_cbranch_vccz .LBB508_18
.LBB508_21:                             ;   in Loop: Header=BB508_4 Depth=1
	v_dual_mov_b32 v34, 0 :: v_dual_mov_b32 v35, 0
	v_dual_mov_b32 v38, v23 :: v_dual_mov_b32 v37, 0
	v_mov_b32_e32 v36, 0
	s_and_saveexec_b32 s7, s6
	s_cbranch_execz .LBB508_33
; %bb.22:                               ;   in Loop: Header=BB508_4 Depth=1
	v_dual_mov_b32 v34, 0 :: v_dual_mov_b32 v39, v28
	v_dual_mov_b32 v40, v7 :: v_dual_mov_b32 v41, v6
	;; [unrolled: 1-line block ×4, first 2 shown]
	v_mov_b32_e32 v36, 0
	s_mov_b32 s39, 0
	s_mov_b32 s40, 0
	s_branch .LBB508_27
.LBB508_23:                             ;   in Loop: Header=BB508_27 Depth=2
	s_or_b32 exec_lo, exec_lo, s44
	s_wait_loadcnt_dscnt 0x303
	v_fma_mix_f32 v15, v55, v59, v36 op_sel_hi:[0,1,0]
	s_wait_loadcnt_dscnt 0x202
	s_delay_alu instid0(VALU_DEP_1) | instskip(SKIP_1) | instid1(VALU_DEP_1)
	v_fma_mix_f32 v15, v56, v60, v15 op_sel_hi:[0,1,0]
	s_wait_loadcnt_dscnt 0x101
	v_fma_mix_f32 v15, v57, v61, v15 op_sel_hi:[0,1,0]
	s_wait_loadcnt_dscnt 0x0
	s_delay_alu instid0(VALU_DEP_1)
	v_fma_mix_f32 v36, v58, v62, v15 op_sel_hi:[0,1,0]
.LBB508_24:                             ;   in Loop: Header=BB508_27 Depth=2
	s_or_b32 exec_lo, exec_lo, s43
	s_wait_loadcnt_dscnt 0x303
	v_fma_mix_f32 v15, v55, v51, v35 op_sel_hi:[0,1,0]
	s_wait_loadcnt_dscnt 0x202
	s_delay_alu instid0(VALU_DEP_1) | instskip(SKIP_1) | instid1(VALU_DEP_1)
	v_fma_mix_f32 v15, v56, v52, v15 op_sel_hi:[0,1,0]
	s_wait_loadcnt_dscnt 0x101
	v_fma_mix_f32 v15, v57, v53, v15 op_sel_hi:[0,1,0]
	s_wait_loadcnt_dscnt 0x0
	s_delay_alu instid0(VALU_DEP_1)
	v_fma_mix_f32 v35, v58, v54, v15 op_sel_hi:[0,1,0]
.LBB508_25:                             ;   in Loop: Header=BB508_27 Depth=2
	s_or_b32 exec_lo, exec_lo, s42
	s_wait_loadcnt_dscnt 0x303
	v_fma_mix_f32 v15, v43, v47, v34 op_sel_hi:[1,1,0]
	s_wait_loadcnt_dscnt 0x202
	s_delay_alu instid0(VALU_DEP_1) | instskip(SKIP_1) | instid1(VALU_DEP_1)
	v_fma_mix_f32 v15, v44, v48, v15 op_sel_hi:[1,1,0]
	s_wait_loadcnt_dscnt 0x101
	v_fma_mix_f32 v15, v45, v49, v15 op_sel_hi:[1,1,0]
	s_wait_loadcnt_dscnt 0x0
	s_delay_alu instid0(VALU_DEP_1)
	v_fma_mix_f32 v34, v46, v50, v15 op_sel_hi:[1,1,0]
.LBB508_26:                             ;   in Loop: Header=BB508_27 Depth=2
	s_wait_alu 0xfffe
	s_or_b32 exec_lo, exec_lo, s41
	v_add_nc_u32_e32 v38, 16, v38
	v_add_nc_u32_e32 v42, s36, v42
	;; [unrolled: 1-line block ×5, first 2 shown]
	v_cmp_le_i32_e32 vcc_lo, s34, v38
	s_add_co_i32 s40, s40, s37
	s_or_b32 s39, vcc_lo, s39
	s_delay_alu instid0(SALU_CYCLE_1)
	s_and_not1_b32 exec_lo, exec_lo, s39
	s_cbranch_execz .LBB508_32
.LBB508_27:                             ;   Parent Loop BB508_4 Depth=1
                                        ; =>  This Inner Loop Header: Depth=2
	s_and_saveexec_b32 s41, s1
	s_cbranch_execz .LBB508_26
; %bb.28:                               ;   in Loop: Header=BB508_27 Depth=2
	s_wait_alu 0xfffe
	v_add_nc_u32_e32 v15, s40, v31
	v_add_nc_u32_e32 v17, s40, v8
	;; [unrolled: 1-line block ×5, first 2 shown]
	v_ashrrev_i32_e32 v16, 31, v15
	v_ashrrev_i32_e32 v18, 31, v17
	;; [unrolled: 1-line block ×5, first 2 shown]
	v_lshlrev_b64_e32 v[15:16], 1, v[15:16]
	v_lshlrev_b64_e32 v[17:18], 1, v[17:18]
	;; [unrolled: 1-line block ×3, first 2 shown]
	s_delay_alu instid0(VALU_DEP_3) | instskip(SKIP_1) | instid1(VALU_DEP_4)
	v_add_co_u32 v45, vcc_lo, v13, v15
	s_wait_alu 0xfffd
	v_add_co_ci_u32_e64 v46, null, v14, v16, vcc_lo
	s_delay_alu instid0(VALU_DEP_4)
	v_add_co_u32 v47, vcc_lo, v13, v17
	v_add_nc_u32_e32 v17, s30, v42
	s_wait_alu 0xfffd
	v_add_co_ci_u32_e64 v48, null, v14, v18, vcc_lo
	v_lshlrev_b64_e32 v[15:16], 1, v[21:22]
	v_add_co_u32 v49, vcc_lo, v13, v19
	v_add_nc_u32_e32 v21, s30, v41
	s_wait_alu 0xfffd
	v_add_co_ci_u32_e64 v50, null, v14, v20, vcc_lo
	v_lshlrev_b64_e32 v[19:20], 1, v[43:44]
	v_add_nc_u32_e32 v43, s30, v40
	v_ashrrev_i32_e32 v18, 31, v17
	v_ashrrev_i32_e32 v22, 31, v21
	v_add_co_u32 v51, vcc_lo, v13, v15
	s_delay_alu instid0(VALU_DEP_4)
	v_ashrrev_i32_e32 v44, 31, v43
	s_wait_alu 0xfffd
	v_add_co_ci_u32_e64 v52, null, v14, v16, vcc_lo
	v_lshlrev_b64_e32 v[17:18], 1, v[17:18]
	v_add_co_u32 v15, vcc_lo, v11, v19
	s_wait_alu 0xfffd
	v_add_co_ci_u32_e64 v16, null, v12, v20, vcc_lo
	v_lshlrev_b64_e32 v[19:20], 1, v[21:22]
	v_lshlrev_b64_e32 v[21:22], 1, v[43:44]
	v_add_co_u32 v17, vcc_lo, v11, v17
	s_wait_alu 0xfffd
	v_add_co_ci_u32_e64 v18, null, v12, v18, vcc_lo
	s_delay_alu instid0(VALU_DEP_4)
	v_add_co_u32 v19, vcc_lo, v11, v19
	s_wait_alu 0xfffd
	v_add_co_ci_u32_e64 v20, null, v12, v20, vcc_lo
	v_add_co_u32 v21, vcc_lo, v11, v21
	s_wait_alu 0xfffd
	v_add_co_ci_u32_e64 v22, null, v12, v22, vcc_lo
	s_clause 0x3
	flat_load_u16 v43, v[45:46]
	flat_load_u16 v44, v[47:48]
	;; [unrolled: 1-line block ×4, first 2 shown]
	s_clause 0x3
	flat_load_u16 v47, v[15:16]
	flat_load_u16 v48, v[17:18]
	;; [unrolled: 1-line block ×4, first 2 shown]
	s_and_saveexec_b32 s42, s3
	s_cbranch_execz .LBB508_25
; %bb.29:                               ;   in Loop: Header=BB508_27 Depth=2
	s_clause 0x3
	flat_load_u16 v51, v[15:16] offset:128
	flat_load_u16 v52, v[17:18] offset:128
	;; [unrolled: 1-line block ×4, first 2 shown]
	s_wait_loadcnt_dscnt 0xb0b
	v_cvt_f32_f16_e32 v55, v43
	s_wait_loadcnt_dscnt 0xa0a
	v_cvt_f32_f16_e32 v56, v44
	s_wait_loadcnt_dscnt 0x909
	v_cvt_f32_f16_e32 v57, v45
	s_wait_loadcnt_dscnt 0x808
	v_cvt_f32_f16_e32 v58, v46
	s_and_saveexec_b32 s43, s4
	s_cbranch_execz .LBB508_24
; %bb.30:                               ;   in Loop: Header=BB508_27 Depth=2
	s_clause 0x3
	flat_load_u16 v59, v[15:16] offset:256
	flat_load_u16 v60, v[17:18] offset:256
	;; [unrolled: 1-line block ×4, first 2 shown]
	s_and_saveexec_b32 s44, s5
	s_cbranch_execz .LBB508_23
; %bb.31:                               ;   in Loop: Header=BB508_27 Depth=2
	s_clause 0x3
	flat_load_u16 v15, v[15:16] offset:384
	flat_load_u16 v16, v[17:18] offset:384
	;; [unrolled: 1-line block ×4, first 2 shown]
	s_wait_loadcnt_dscnt 0x303
	v_fma_mix_f32 v15, v55, v15, v37 op_sel_hi:[0,1,0]
	s_wait_loadcnt_dscnt 0x202
	s_delay_alu instid0(VALU_DEP_1) | instskip(SKIP_1) | instid1(VALU_DEP_1)
	v_fma_mix_f32 v15, v56, v16, v15 op_sel_hi:[0,1,0]
	s_wait_loadcnt_dscnt 0x101
	v_fma_mix_f32 v15, v57, v17, v15 op_sel_hi:[0,1,0]
	s_wait_loadcnt_dscnt 0x0
	s_delay_alu instid0(VALU_DEP_1)
	v_fma_mix_f32 v37, v58, v18, v15 op_sel_hi:[0,1,0]
	s_branch .LBB508_23
.LBB508_32:                             ;   in Loop: Header=BB508_4 Depth=1
	s_or_b32 exec_lo, exec_lo, s39
.LBB508_33:                             ;   in Loop: Header=BB508_4 Depth=1
	s_wait_alu 0xfffe
	s_or_b32 exec_lo, exec_lo, s7
	s_delay_alu instid0(SALU_CYCLE_1)
	s_and_not1_b32 vcc_lo, exec_lo, s20
	s_wait_alu 0xfffe
	s_cbranch_vccnz .LBB508_51
; %bb.34:                               ;   in Loop: Header=BB508_4 Depth=1
	v_cmp_gt_i32_e32 vcc_lo, s21, v38
	v_dual_mov_b32 v19, 0 :: v_dual_mov_b32 v20, 0
	v_or_b32_e32 v15, 1, v38
	v_dual_mov_b32 v21, 0 :: v_dual_mov_b32 v22, 0
	s_and_saveexec_b32 s39, vcc_lo
	s_cbranch_execz .LBB508_42
; %bb.35:                               ;   in Loop: Header=BB508_4 Depth=1
	v_mul_lo_u32 v16, v38, s26
	v_dual_mov_b32 v21, 0 :: v_dual_mov_b32 v20, 0
	v_mov_b32_e32 v19, 0
	s_mov_b32 s40, exec_lo
	s_delay_alu instid0(VALU_DEP_3) | instskip(NEXT) | instid1(VALU_DEP_1)
	v_ashrrev_i32_e32 v17, 31, v16
	v_lshlrev_b64_e32 v[16:17], 1, v[16:17]
	s_delay_alu instid0(VALU_DEP_1) | instskip(SKIP_1) | instid1(VALU_DEP_2)
	v_add_co_u32 v16, s7, v13, v16
	s_wait_alu 0xf1ff
	v_add_co_ci_u32_e64 v17, null, v14, v17, s7
	flat_load_u16 v16, v[16:17]
	v_cmpx_gt_i32_e64 s21, v15
	s_cbranch_execz .LBB508_41
; %bb.36:                               ;   in Loop: Header=BB508_4 Depth=1
	v_mul_lo_u32 v17, v15, s26
	v_dual_mov_b32 v20, 0 :: v_dual_mov_b32 v19, 0
	s_mov_b32 s41, exec_lo
	s_delay_alu instid0(VALU_DEP_2) | instskip(NEXT) | instid1(VALU_DEP_1)
	v_ashrrev_i32_e32 v18, 31, v17
	v_lshlrev_b64_e32 v[17:18], 1, v[17:18]
	s_delay_alu instid0(VALU_DEP_1) | instskip(SKIP_1) | instid1(VALU_DEP_2)
	v_add_co_u32 v17, s7, v13, v17
	s_wait_alu 0xf1ff
	v_add_co_ci_u32_e64 v18, null, v14, v18, s7
	flat_load_u16 v17, v[17:18]
	v_or_b32_e32 v18, 2, v38
	s_delay_alu instid0(VALU_DEP_1)
	v_cmpx_gt_i32_e64 s21, v18
	s_cbranch_execz .LBB508_40
; %bb.37:                               ;   in Loop: Header=BB508_4 Depth=1
	v_mul_lo_u32 v18, v18, s26
	v_or_b32_e32 v20, 3, v38
	s_mov_b32 s42, exec_lo
	s_delay_alu instid0(VALU_DEP_2) | instskip(NEXT) | instid1(VALU_DEP_1)
	v_ashrrev_i32_e32 v19, 31, v18
	v_lshlrev_b64_e32 v[18:19], 1, v[18:19]
	s_delay_alu instid0(VALU_DEP_1) | instskip(SKIP_1) | instid1(VALU_DEP_2)
	v_add_co_u32 v18, s7, v13, v18
	s_wait_alu 0xf1ff
	v_add_co_ci_u32_e64 v19, null, v14, v19, s7
	flat_load_u16 v18, v[18:19]
	v_mov_b32_e32 v19, 0
	v_cmpx_gt_i32_e64 s21, v20
	s_cbranch_execz .LBB508_39
; %bb.38:                               ;   in Loop: Header=BB508_4 Depth=1
	v_mul_lo_u32 v19, v20, s26
	s_delay_alu instid0(VALU_DEP_1) | instskip(NEXT) | instid1(VALU_DEP_1)
	v_ashrrev_i32_e32 v20, 31, v19
	v_lshlrev_b64_e32 v[19:20], 1, v[19:20]
	s_delay_alu instid0(VALU_DEP_1) | instskip(SKIP_1) | instid1(VALU_DEP_2)
	v_add_co_u32 v13, s7, v13, v19
	s_wait_alu 0xf1ff
	v_add_co_ci_u32_e64 v14, null, v14, v20, s7
	flat_load_u16 v13, v[13:14]
	s_wait_loadcnt_dscnt 0x0
	v_cvt_f32_f16_e32 v19, v13
.LBB508_39:                             ;   in Loop: Header=BB508_4 Depth=1
	s_or_b32 exec_lo, exec_lo, s42
	s_wait_loadcnt_dscnt 0x0
	v_cvt_f32_f16_e32 v20, v18
.LBB508_40:                             ;   in Loop: Header=BB508_4 Depth=1
	s_wait_alu 0xfffe
	s_or_b32 exec_lo, exec_lo, s41
	s_wait_loadcnt_dscnt 0x0
	v_cvt_f32_f16_e32 v21, v17
.LBB508_41:                             ;   in Loop: Header=BB508_4 Depth=1
	s_wait_alu 0xfffe
	s_or_b32 exec_lo, exec_lo, s40
	s_wait_loadcnt_dscnt 0x0
	v_cvt_f32_f16_e32 v22, v16
.LBB508_42:                             ;   in Loop: Header=BB508_4 Depth=1
	s_or_b32 exec_lo, exec_lo, s39
	s_and_saveexec_b32 s7, s1
	s_cbranch_execz .LBB508_50
; %bb.43:                               ;   in Loop: Header=BB508_4 Depth=1
	v_mul_lo_u32 v14, v38, s28
	v_or_b32_e32 v13, 2, v38
	v_mul_lo_u32 v17, v15, s28
	v_or_b32_e32 v16, 3, v38
	s_delay_alu instid0(VALU_DEP_3) | instskip(NEXT) | instid1(VALU_DEP_2)
	v_mul_lo_u32 v18, v13, s28
	v_mul_lo_u32 v38, v16, s28
	v_cndmask_b32_e32 v14, 0, v14, vcc_lo
	v_cmp_gt_i32_e32 vcc_lo, s21, v15
	s_wait_alu 0xfffd
	v_cndmask_b32_e32 v15, 0, v17, vcc_lo
	v_cmp_gt_i32_e32 vcc_lo, s21, v13
	v_add_nc_u32_e32 v13, v14, v27
	s_delay_alu instid0(VALU_DEP_3)
	v_add_nc_u32_e32 v15, v15, v27
	s_wait_alu 0xfffd
	v_cndmask_b32_e32 v17, 0, v18, vcc_lo
	v_cmp_gt_i32_e32 vcc_lo, s21, v16
	v_ashrrev_i32_e32 v14, 31, v13
	s_wait_alu 0xfffd
	v_cndmask_b32_e32 v16, 0, v38, vcc_lo
	s_delay_alu instid0(VALU_DEP_2) | instskip(NEXT) | instid1(VALU_DEP_2)
	v_lshlrev_b64_e32 v[13:14], 1, v[13:14]
	v_add_nc_u32_e32 v38, v16, v27
	v_add_nc_u32_e32 v17, v17, v27
	v_ashrrev_i32_e32 v16, 31, v15
	s_delay_alu instid0(VALU_DEP_4) | instskip(NEXT) | instid1(VALU_DEP_4)
	v_add_co_u32 v13, vcc_lo, v11, v13
	v_ashrrev_i32_e32 v39, 31, v38
	s_delay_alu instid0(VALU_DEP_4) | instskip(NEXT) | instid1(VALU_DEP_4)
	v_ashrrev_i32_e32 v18, 31, v17
	v_lshlrev_b64_e32 v[15:16], 1, v[15:16]
	s_wait_alu 0xfffd
	v_add_co_ci_u32_e64 v14, null, v12, v14, vcc_lo
	v_lshlrev_b64_e32 v[38:39], 1, v[38:39]
	v_lshlrev_b64_e32 v[17:18], 1, v[17:18]
	s_delay_alu instid0(VALU_DEP_4) | instskip(SKIP_2) | instid1(VALU_DEP_3)
	v_add_co_u32 v15, vcc_lo, v11, v15
	s_wait_alu 0xfffd
	v_add_co_ci_u32_e64 v16, null, v12, v16, vcc_lo
	v_add_co_u32 v17, vcc_lo, v11, v17
	s_wait_alu 0xfffd
	v_add_co_ci_u32_e64 v18, null, v12, v18, vcc_lo
	;; [unrolled: 3-line block ×3, first 2 shown]
	s_clause 0x3
	flat_load_u16 v38, v[13:14]
	flat_load_u16 v39, v[15:16]
	;; [unrolled: 1-line block ×4, first 2 shown]
	s_and_saveexec_b32 s39, s3
	s_cbranch_execz .LBB508_49
; %bb.44:                               ;   in Loop: Header=BB508_4 Depth=1
	s_clause 0x3
	flat_load_u16 v42, v[13:14] offset:128
	flat_load_u16 v43, v[15:16] offset:128
	flat_load_u16 v44, v[17:18] offset:128
	flat_load_u16 v45, v[11:12] offset:128
	s_and_saveexec_b32 s40, s4
	s_cbranch_execz .LBB508_48
; %bb.45:                               ;   in Loop: Header=BB508_4 Depth=1
	s_clause 0x3
	flat_load_u16 v46, v[13:14] offset:256
	flat_load_u16 v47, v[15:16] offset:256
	flat_load_u16 v48, v[17:18] offset:256
	flat_load_u16 v49, v[11:12] offset:256
	;; [unrolled: 8-line block ×3, first 2 shown]
	s_wait_loadcnt_dscnt 0x303
	v_fma_mix_f32 v12, v22, v13, v37 op_sel_hi:[0,1,0]
	s_wait_loadcnt_dscnt 0x202
	s_delay_alu instid0(VALU_DEP_1) | instskip(SKIP_1) | instid1(VALU_DEP_1)
	v_fma_mix_f32 v12, v21, v14, v12 op_sel_hi:[0,1,0]
	s_wait_loadcnt_dscnt 0x101
	v_fma_mix_f32 v12, v20, v15, v12 op_sel_hi:[0,1,0]
	s_wait_loadcnt_dscnt 0x0
	s_delay_alu instid0(VALU_DEP_1)
	v_fma_mix_f32 v37, v19, v11, v12 op_sel_hi:[0,1,0]
.LBB508_47:                             ;   in Loop: Header=BB508_4 Depth=1
	s_wait_alu 0xfffe
	s_or_b32 exec_lo, exec_lo, s41
	s_wait_loadcnt_dscnt 0x303
	v_fma_mix_f32 v11, v22, v46, v36 op_sel_hi:[0,1,0]
	s_wait_loadcnt_dscnt 0x202
	s_delay_alu instid0(VALU_DEP_1) | instskip(SKIP_1) | instid1(VALU_DEP_1)
	v_fma_mix_f32 v11, v21, v47, v11 op_sel_hi:[0,1,0]
	s_wait_loadcnt_dscnt 0x101
	v_fma_mix_f32 v11, v20, v48, v11 op_sel_hi:[0,1,0]
	s_wait_loadcnt_dscnt 0x0
	s_delay_alu instid0(VALU_DEP_1)
	v_fma_mix_f32 v36, v19, v49, v11 op_sel_hi:[0,1,0]
.LBB508_48:                             ;   in Loop: Header=BB508_4 Depth=1
	s_wait_alu 0xfffe
	s_or_b32 exec_lo, exec_lo, s40
	s_wait_loadcnt_dscnt 0x303
	v_fma_mix_f32 v11, v22, v42, v35 op_sel_hi:[0,1,0]
	s_wait_loadcnt_dscnt 0x202
	s_delay_alu instid0(VALU_DEP_1) | instskip(SKIP_1) | instid1(VALU_DEP_1)
	v_fma_mix_f32 v11, v21, v43, v11 op_sel_hi:[0,1,0]
	s_wait_loadcnt_dscnt 0x101
	v_fma_mix_f32 v11, v20, v44, v11 op_sel_hi:[0,1,0]
	s_wait_loadcnt_dscnt 0x0
	s_delay_alu instid0(VALU_DEP_1)
	v_fma_mix_f32 v35, v19, v45, v11 op_sel_hi:[0,1,0]
.LBB508_49:                             ;   in Loop: Header=BB508_4 Depth=1
	s_or_b32 exec_lo, exec_lo, s39
	s_wait_loadcnt_dscnt 0x303
	v_fma_mix_f32 v11, v22, v38, v34 op_sel_hi:[0,1,0]
	s_wait_loadcnt_dscnt 0x202
	s_delay_alu instid0(VALU_DEP_1) | instskip(SKIP_1) | instid1(VALU_DEP_1)
	v_fma_mix_f32 v11, v21, v39, v11 op_sel_hi:[0,1,0]
	s_wait_loadcnt_dscnt 0x101
	v_fma_mix_f32 v11, v20, v40, v11 op_sel_hi:[0,1,0]
	s_wait_loadcnt_dscnt 0x0
	s_delay_alu instid0(VALU_DEP_1)
	v_fma_mix_f32 v34, v19, v41, v11 op_sel_hi:[0,1,0]
.LBB508_50:                             ;   in Loop: Header=BB508_4 Depth=1
	s_wait_alu 0xfffe
	s_or_b32 exec_lo, exec_lo, s7
.LBB508_51:                             ;   in Loop: Header=BB508_4 Depth=1
	ds_store_2addr_stride64_b32 v24, v34, v35 offset1:1
	ds_store_2addr_stride64_b32 v24, v36, v37 offset0:2 offset1:3
	s_wait_dscnt 0x0
	s_barrier_signal -1
	s_barrier_wait -1
	global_inv scope:SCOPE_SE
                                        ; implicit-def: $vgpr15
	s_and_saveexec_b32 s7, s0
	s_cbranch_execz .LBB508_57
; %bb.52:                               ;   in Loop: Header=BB508_4 Depth=1
	ds_load_2addr_stride64_b32 v[11:12], v25 offset1:4
	ds_load_2addr_stride64_b32 v[13:14], v25 offset0:8 offset1:12
	s_mov_b32 s40, s38
                                        ; implicit-def: $vgpr15
	s_wait_dscnt 0x1
	v_add_f32_e32 v11, v11, v12
	s_wait_dscnt 0x0
	s_delay_alu instid0(VALU_DEP_1) | instskip(NEXT) | instid1(VALU_DEP_1)
	v_add_f32_e32 v11, v13, v11
	v_add_f32_e32 v11, v14, v11
	ds_store_b32 v25, v11
	s_and_saveexec_b32 s39, s2
	s_cbranch_execz .LBB508_56
; %bb.53:                               ;   in Loop: Header=BB508_4 Depth=1
	v_mul_f32_e32 v15, s22, v11
	s_and_not1_b32 vcc_lo, exec_lo, s33
	s_wait_alu 0xfffe
	s_cbranch_vccnz .LBB508_55
; %bb.54:                               ;   in Loop: Header=BB508_4 Depth=1
	v_lshlrev_b64_e32 v[11:12], 2, v[4:5]
	s_delay_alu instid0(VALU_DEP_1) | instskip(SKIP_1) | instid1(VALU_DEP_2)
	v_add_co_u32 v11, vcc_lo, v32, v11
	s_wait_alu 0xfffd
	v_add_co_ci_u32_e64 v12, null, v33, v12, vcc_lo
	flat_load_b32 v11, v[11:12]
	s_wait_loadcnt_dscnt 0x0
	v_fmac_f32_e32 v15, s27, v11
.LBB508_55:                             ;   in Loop: Header=BB508_4 Depth=1
	s_or_b32 s40, s38, exec_lo
.LBB508_56:                             ;   in Loop: Header=BB508_4 Depth=1
	s_or_b32 exec_lo, exec_lo, s39
	s_delay_alu instid0(SALU_CYCLE_1) | instskip(SKIP_2) | instid1(SALU_CYCLE_1)
	s_and_not1_b32 s38, s38, exec_lo
	s_wait_alu 0xfffe
	s_and_b32 s39, s40, exec_lo
	s_or_b32 s38, s38, s39
.LBB508_57:                             ;   in Loop: Header=BB508_4 Depth=1
	s_wait_alu 0xfffe
	s_or_b32 exec_lo, exec_lo, s7
	v_dual_mov_b32 v12, v5 :: v_dual_mov_b32 v11, v4
	s_and_saveexec_b32 s7, s38
	s_cbranch_execz .LBB508_2
.LBB508_58:                             ;   in Loop: Header=BB508_4 Depth=1
	s_delay_alu instid0(VALU_DEP_1) | instskip(NEXT) | instid1(VALU_DEP_1)
	v_lshlrev_b64_e32 v[11:12], 2, v[11:12]
	v_add_co_u32 v11, vcc_lo, v32, v11
	s_wait_alu 0xfffd
	s_delay_alu instid0(VALU_DEP_2)
	v_add_co_ci_u32_e64 v12, null, v33, v12, vcc_lo
	flat_store_b32 v[11:12], v15
	s_branch .LBB508_2
.LBB508_59:
	s_endpgm
	.section	.rodata,"a",@progbits
	.p2align	6, 0x0
	.amdhsa_kernel _ZL20rocblas_gemvn_kernelILi64ELi4EiPKDF16_fKPfEviiT3_lPKT2_lT1_lS7_lS8_lS4_lPT4_lS8_li
		.amdhsa_group_segment_fixed_size 4096
		.amdhsa_private_segment_fixed_size 0
		.amdhsa_kernarg_size 400
		.amdhsa_user_sgpr_count 2
		.amdhsa_user_sgpr_dispatch_ptr 0
		.amdhsa_user_sgpr_queue_ptr 0
		.amdhsa_user_sgpr_kernarg_segment_ptr 1
		.amdhsa_user_sgpr_dispatch_id 0
		.amdhsa_user_sgpr_private_segment_size 0
		.amdhsa_wavefront_size32 1
		.amdhsa_uses_dynamic_stack 0
		.amdhsa_enable_private_segment 0
		.amdhsa_system_sgpr_workgroup_id_x 1
		.amdhsa_system_sgpr_workgroup_id_y 0
		.amdhsa_system_sgpr_workgroup_id_z 1
		.amdhsa_system_sgpr_workgroup_info 0
		.amdhsa_system_vgpr_workitem_id 1
		.amdhsa_next_free_vgpr 63
		.amdhsa_next_free_sgpr 45
		.amdhsa_reserve_vcc 1
		.amdhsa_float_round_mode_32 0
		.amdhsa_float_round_mode_16_64 0
		.amdhsa_float_denorm_mode_32 3
		.amdhsa_float_denorm_mode_16_64 3
		.amdhsa_fp16_overflow 0
		.amdhsa_workgroup_processor_mode 1
		.amdhsa_memory_ordered 1
		.amdhsa_forward_progress 1
		.amdhsa_inst_pref_size 27
		.amdhsa_round_robin_scheduling 0
		.amdhsa_exception_fp_ieee_invalid_op 0
		.amdhsa_exception_fp_denorm_src 0
		.amdhsa_exception_fp_ieee_div_zero 0
		.amdhsa_exception_fp_ieee_overflow 0
		.amdhsa_exception_fp_ieee_underflow 0
		.amdhsa_exception_fp_ieee_inexact 0
		.amdhsa_exception_int_div_zero 0
	.end_amdhsa_kernel
	.section	.text._ZL20rocblas_gemvn_kernelILi64ELi4EiPKDF16_fKPfEviiT3_lPKT2_lT1_lS7_lS8_lS4_lPT4_lS8_li,"axG",@progbits,_ZL20rocblas_gemvn_kernelILi64ELi4EiPKDF16_fKPfEviiT3_lPKT2_lT1_lS7_lS8_lS4_lPT4_lS8_li,comdat
.Lfunc_end508:
	.size	_ZL20rocblas_gemvn_kernelILi64ELi4EiPKDF16_fKPfEviiT3_lPKT2_lT1_lS7_lS8_lS4_lPT4_lS8_li, .Lfunc_end508-_ZL20rocblas_gemvn_kernelILi64ELi4EiPKDF16_fKPfEviiT3_lPKT2_lT1_lS7_lS8_lS4_lPT4_lS8_li
                                        ; -- End function
	.set _ZL20rocblas_gemvn_kernelILi64ELi4EiPKDF16_fKPfEviiT3_lPKT2_lT1_lS7_lS8_lS4_lPT4_lS8_li.num_vgpr, 63
	.set _ZL20rocblas_gemvn_kernelILi64ELi4EiPKDF16_fKPfEviiT3_lPKT2_lT1_lS7_lS8_lS4_lPT4_lS8_li.num_agpr, 0
	.set _ZL20rocblas_gemvn_kernelILi64ELi4EiPKDF16_fKPfEviiT3_lPKT2_lT1_lS7_lS8_lS4_lPT4_lS8_li.numbered_sgpr, 45
	.set _ZL20rocblas_gemvn_kernelILi64ELi4EiPKDF16_fKPfEviiT3_lPKT2_lT1_lS7_lS8_lS4_lPT4_lS8_li.num_named_barrier, 0
	.set _ZL20rocblas_gemvn_kernelILi64ELi4EiPKDF16_fKPfEviiT3_lPKT2_lT1_lS7_lS8_lS4_lPT4_lS8_li.private_seg_size, 0
	.set _ZL20rocblas_gemvn_kernelILi64ELi4EiPKDF16_fKPfEviiT3_lPKT2_lT1_lS7_lS8_lS4_lPT4_lS8_li.uses_vcc, 1
	.set _ZL20rocblas_gemvn_kernelILi64ELi4EiPKDF16_fKPfEviiT3_lPKT2_lT1_lS7_lS8_lS4_lPT4_lS8_li.uses_flat_scratch, 1
	.set _ZL20rocblas_gemvn_kernelILi64ELi4EiPKDF16_fKPfEviiT3_lPKT2_lT1_lS7_lS8_lS4_lPT4_lS8_li.has_dyn_sized_stack, 0
	.set _ZL20rocblas_gemvn_kernelILi64ELi4EiPKDF16_fKPfEviiT3_lPKT2_lT1_lS7_lS8_lS4_lPT4_lS8_li.has_recursion, 0
	.set _ZL20rocblas_gemvn_kernelILi64ELi4EiPKDF16_fKPfEviiT3_lPKT2_lT1_lS7_lS8_lS4_lPT4_lS8_li.has_indirect_call, 0
	.section	.AMDGPU.csdata,"",@progbits
; Kernel info:
; codeLenInByte = 3396
; TotalNumSgprs: 47
; NumVgprs: 63
; ScratchSize: 0
; MemoryBound: 0
; FloatMode: 240
; IeeeMode: 1
; LDSByteSize: 4096 bytes/workgroup (compile time only)
; SGPRBlocks: 0
; VGPRBlocks: 7
; NumSGPRsForWavesPerEU: 47
; NumVGPRsForWavesPerEU: 63
; Occupancy: 16
; WaveLimiterHint : 1
; COMPUTE_PGM_RSRC2:SCRATCH_EN: 0
; COMPUTE_PGM_RSRC2:USER_SGPR: 2
; COMPUTE_PGM_RSRC2:TRAP_HANDLER: 0
; COMPUTE_PGM_RSRC2:TGID_X_EN: 1
; COMPUTE_PGM_RSRC2:TGID_Y_EN: 0
; COMPUTE_PGM_RSRC2:TGID_Z_EN: 1
; COMPUTE_PGM_RSRC2:TIDIG_COMP_CNT: 1
	.section	.text._ZL20rocblas_gemvn_kernelILi64ELi4ElPKDF16_fKPfEviiT3_lPKT2_lT1_lS7_lS8_lS4_lPT4_lS8_li,"axG",@progbits,_ZL20rocblas_gemvn_kernelILi64ELi4ElPKDF16_fKPfEviiT3_lPKT2_lT1_lS7_lS8_lS4_lPT4_lS8_li,comdat
	.globl	_ZL20rocblas_gemvn_kernelILi64ELi4ElPKDF16_fKPfEviiT3_lPKT2_lT1_lS7_lS8_lS4_lPT4_lS8_li ; -- Begin function _ZL20rocblas_gemvn_kernelILi64ELi4ElPKDF16_fKPfEviiT3_lPKT2_lT1_lS7_lS8_lS4_lPT4_lS8_li
	.p2align	8
	.type	_ZL20rocblas_gemvn_kernelILi64ELi4ElPKDF16_fKPfEviiT3_lPKT2_lT1_lS7_lS8_lS4_lPT4_lS8_li,@function
_ZL20rocblas_gemvn_kernelILi64ELi4ElPKDF16_fKPfEviiT3_lPKT2_lT1_lS7_lS8_lS4_lPT4_lS8_li: ; @_ZL20rocblas_gemvn_kernelILi64ELi4ElPKDF16_fKPfEviiT3_lPKT2_lT1_lS7_lS8_lS4_lPT4_lS8_li
; %bb.0:
	s_clause 0x1
	s_load_b64 s[2:3], s[0:1], 0x9c
	s_load_b32 s23, s[0:1], 0x88
	s_lshr_b32 s24, ttmp7, 16
	s_wait_kmcnt 0x0
	s_lshr_b32 s4, s2, 16
	s_and_b32 s2, s2, 0xffff
	s_and_b32 s3, s3, 0xffff
	s_mul_i32 s2, s4, s2
	s_delay_alu instid0(SALU_CYCLE_1) | instskip(NEXT) | instid1(SALU_CYCLE_1)
	s_mul_i32 s2, s2, s3
	s_cmp_lg_u32 s2, 0x100
	s_cselect_b32 s2, -1, 0
	s_cmp_ge_u32 s24, s23
	s_cselect_b32 s3, -1, 0
	s_delay_alu instid0(SALU_CYCLE_1) | instskip(NEXT) | instid1(SALU_CYCLE_1)
	s_or_b32 s2, s2, s3
	s_and_b32 vcc_lo, exec_lo, s2
	s_cbranch_vccnz .LBB509_59
; %bb.1:
	s_clause 0x7
	s_load_b96 s[20:22], s[0:1], 0x0
	s_load_b32 s33, s[0:1], 0x58
	s_load_b64 s[26:27], s[0:1], 0x48
	s_load_b128 s[8:11], s[0:1], 0x18
	s_load_b64 s[28:29], s[0:1], 0x28
	s_load_b128 s[12:15], s[0:1], 0x38
	;; [unrolled: 2-line block ×3, first 2 shown]
	v_dual_mov_b32 v1, 0 :: v_dual_and_b32 v2, 0x3ff, v0
	v_bfe_u32 v26, v0, 10, 10
	s_mov_b32 s25, 0
	s_delay_alu instid0(VALU_DEP_2) | instskip(NEXT) | instid1(VALU_DEP_2)
	v_lshlrev_b32_e32 v16, 2, v2
	v_lshl_add_u32 v3, v26, 6, v2
	v_lshlrev_b32_e32 v40, 2, v26
	s_delay_alu instid0(VALU_DEP_2)
	v_cmp_gt_u32_e64 s0, 0x100, v3
	s_wait_kmcnt 0x0
	s_cmp_eq_f32 s22, 0
	v_mad_co_u64_u32 v[6:7], null, s26, v26, 0
	s_mov_b32 s2, s20
	s_cselect_b32 s36, -1, 0
	s_cmp_neq_f32 s33, 1.0
	v_or_b32_e32 v17, 3, v40
	s_cselect_b32 s1, -1, 0
	s_cmp_neq_f32 s22, 0
	s_delay_alu instid0(VALU_DEP_1)
	v_mad_co_u64_u32 v[12:13], null, s26, v17, 0
	s_cselect_b32 s4, -1, 0
	s_lshl_b32 s30, ttmp9, 8
	s_ashr_i32 s3, s20, 31
	v_add_nc_u32_e32 v0, s30, v3
	v_or_b32_e32 v8, s30, v2
	s_or_b32 s37, s4, s1
	s_cmp_neq_f32 s33, 0
	v_or_b32_e32 v18, s30, v3
	v_mad_co_u64_u32 v[2:3], null, s6, v0, 0
	v_add_nc_u32_e32 v4, 64, v8
	v_cmp_gt_i64_e32 vcc_lo, s[2:3], v[0:1]
	s_cselect_b32 s38, -1, 0
	s_ashr_i32 s2, s21, 31
	v_add_nc_u32_e32 v5, 0x80, v8
	s_wait_alu 0xfffe
	s_lshr_b32 s2, s2, 28
	v_add_nc_u32_e32 v10, 0xc0, v8
	s_wait_alu 0xfffe
	s_add_co_i32 s3, s21, s2
	v_cmp_gt_i32_e64 s2, s20, v4
	v_mad_co_u64_u32 v[3:4], null, s7, v0, v[3:4]
	v_mov_b32_e32 v0, v7
	v_cndmask_b32_e64 v42, 0, 1, s4
	v_cmp_gt_i32_e64 s4, s20, v10
	v_mad_co_u64_u32 v[10:11], null, s28, v17, 0
	s_delay_alu instid0(VALU_DEP_4)
	v_mad_co_u64_u32 v[14:15], null, s27, v26, v[0:1]
	s_wait_alu 0xfffe
	s_and_b32 s39, s3, -16
	v_mul_lo_u32 v19, s7, v18
	v_cmp_gt_i32_e64 s3, s20, v5
	s_sub_co_i32 s5, s21, s39
	v_mad_co_u64_u32 v[4:5], null, s6, v18, 0
	v_mov_b32_e32 v7, v14
	v_mad_co_u64_u32 v[14:15], null, s29, v17, v[11:12]
	s_wait_alu 0xfffe
	s_cmp_gt_i32 s5, 0
	v_lshl_add_u32 v41, v26, 10, v16
	s_cselect_b32 s40, -1, 0
	s_ashr_i32 s7, s30, 31
	v_lshl_add_u32 v0, v26, 8, v16
	s_wait_alu 0xfffe
	s_mul_i32 s7, s6, s7
	v_mov_b32_e32 v11, v14
	v_or_b32_e32 v29, 2, v40
	v_mad_co_u64_u32 v[15:16], null, s27, v17, v[13:14]
	v_cmp_gt_i32_e64 s6, s20, v18
	s_wait_alu 0xfffe
	v_add3_u32 v5, v5, s7, v19
	v_mad_co_u64_u32 v[16:17], null, s28, v26, 0
	v_mad_co_u64_u32 v[18:19], null, s28, v29, 0
	;; [unrolled: 1-line block ×5, first 2 shown]
	v_dual_mov_b32 v13, v15 :: v_dual_mov_b32 v14, v17
	s_delay_alu instid0(VALU_DEP_4)
	v_mov_b32_e32 v17, v25
	v_mov_b32_e32 v15, v19
	v_ashrrev_i32_e32 v9, 31, v8
	v_cmp_gt_i32_e64 s1, s20, v8
	v_lshlrev_b64_e32 v[6:7], 3, v[6:7]
	v_lshlrev_b64_e32 v[10:11], 1, v[10:11]
	v_mad_co_u64_u32 v[26:27], null, s29, v26, v[14:15]
	v_mov_b32_e32 v14, v21
	v_mad_co_u64_u32 v[27:28], null, s29, v29, v[15:16]
	v_mov_b32_e32 v15, v23
	v_lshlrev_b64_e32 v[8:9], 1, v[8:9]
	v_lshlrev_b64_e32 v[12:13], 1, v[12:13]
	v_cmp_gt_i32_e64 s5, s39, v40
	s_and_b32 s20, s0, vcc_lo
	v_mad_co_u64_u32 v[28:29], null, s27, v29, v[14:15]
	v_mad_co_u64_u32 v[14:15], null, s27, v40, v[15:16]
	;; [unrolled: 1-line block ×3, first 2 shown]
	v_mov_b32_e32 v17, v26
	v_mov_b32_e32 v19, v27
	;; [unrolled: 1-line block ×3, first 2 shown]
	s_lshl_b64 s[30:31], s[26:27], 5
	v_mov_b32_e32 v23, v14
	v_lshlrev_b64_e32 v[14:15], 3, v[16:17]
	v_mov_b32_e32 v25, v29
	v_lshlrev_b64_e32 v[16:17], 1, v[18:19]
	v_lshlrev_b64_e32 v[18:19], 1, v[20:21]
	;; [unrolled: 1-line block ×3, first 2 shown]
	s_lshl_b64 s[34:35], s[28:29], 5
	v_lshlrev_b64_e32 v[22:23], 1, v[24:25]
	v_lshlrev_b64_e32 v[24:25], 2, v[2:3]
	s_lshl_b64 s[10:11], s[10:11], 1
	s_lshl_b64 s[14:15], s[14:15], 1
	;; [unrolled: 1-line block ×3, first 2 shown]
	s_branch .LBB509_4
.LBB509_2:                              ;   in Loop: Header=BB509_4 Depth=1
	s_wait_alu 0xfffe
	s_or_b32 exec_lo, exec_lo, s7
.LBB509_3:                              ;   in Loop: Header=BB509_4 Depth=1
	s_add_co_i32 s24, s24, 0x10000
	s_delay_alu instid0(SALU_CYCLE_1)
	s_cmp_lt_u32 s24, s23
	s_cbranch_scc0 .LBB509_59
.LBB509_4:                              ; =>This Loop Header: Depth=1
                                        ;     Child Loop BB509_27 Depth 2
	s_and_not1_b32 vcc_lo, exec_lo, s37
	s_wait_alu 0xfffe
	s_cbranch_vccnz .LBB509_3
; %bb.5:                                ;   in Loop: Header=BB509_4 Depth=1
	s_and_not1_b32 vcc_lo, exec_lo, s36
	s_wait_alu 0xfffe
	s_cbranch_vccnz .LBB509_7
; %bb.6:                                ;   in Loop: Header=BB509_4 Depth=1
	s_mov_b32 s7, 0
	s_branch .LBB509_8
.LBB509_7:                              ;   in Loop: Header=BB509_4 Depth=1
	s_mov_b32 s7, -1
.LBB509_8:                              ;   in Loop: Header=BB509_4 Depth=1
	v_mov_b32_e32 v28, 0
	v_dual_mov_b32 v29, 0 :: v_dual_mov_b32 v26, 0
	v_mov_b32_e32 v27, 0
	s_wait_alu 0xfffe
	s_and_not1_b32 vcc_lo, exec_lo, s7
	s_wait_alu 0xfffe
	s_cbranch_vccnz .LBB509_10
; %bb.9:                                ;   in Loop: Header=BB509_4 Depth=1
	s_lshl_b64 s[42:43], s[24:25], 3
	s_delay_alu instid0(SALU_CYCLE_1)
	s_add_nc_u64 s[42:43], s[8:9], s[42:43]
	global_load_b64 v[26:27], v1, s[42:43]
	s_wait_loadcnt 0x0
	v_add_co_u32 v26, vcc_lo, v26, s10
	s_wait_alu 0xfffd
	v_add_co_ci_u32_e64 v27, null, s11, v27, vcc_lo
.LBB509_10:                             ;   in Loop: Header=BB509_4 Depth=1
	v_cmp_ne_u32_e32 vcc_lo, 1, v42
	s_cbranch_vccnz .LBB509_12
; %bb.11:                               ;   in Loop: Header=BB509_4 Depth=1
	s_lshl_b64 s[42:43], s[24:25], 3
	s_delay_alu instid0(SALU_CYCLE_1)
	s_add_nc_u64 s[42:43], s[12:13], s[42:43]
	global_load_b64 v[28:29], v1, s[42:43]
	s_wait_loadcnt 0x0
	v_add_co_u32 v28, vcc_lo, v28, s14
	s_wait_alu 0xfffd
	v_add_co_ci_u32_e64 v29, null, s15, v29, vcc_lo
.LBB509_12:                             ;   in Loop: Header=BB509_4 Depth=1
	s_lshl_b64 s[42:43], s[24:25], 3
	s_delay_alu instid0(SALU_CYCLE_1)
	s_add_nc_u64 s[42:43], s[16:17], s[42:43]
	global_load_b64 v[30:31], v1, s[42:43]
	s_wait_loadcnt 0x0
	v_add_co_u32 v43, vcc_lo, v30, s18
	s_wait_alu 0xfffd
	v_add_co_ci_u32_e64 v44, null, s19, v31, vcc_lo
	s_and_not1_b32 vcc_lo, exec_lo, s36
	s_wait_alu 0xfffe
	s_cbranch_vccnz .LBB509_16
; %bb.13:                               ;   in Loop: Header=BB509_4 Depth=1
	s_mov_b32 s7, 0
	s_mov_b32 s41, 0
                                        ; implicit-def: $vgpr30
	s_and_saveexec_b32 s42, s20
	s_cbranch_execz .LBB509_17
; %bb.14:                               ;   in Loop: Header=BB509_4 Depth=1
	s_and_not1_b32 vcc_lo, exec_lo, s38
	s_wait_alu 0xfffe
	s_cbranch_vccnz .LBB509_19
; %bb.15:                               ;   in Loop: Header=BB509_4 Depth=1
	v_add_co_u32 v30, vcc_lo, v43, v24
	s_wait_alu 0xfffd
	v_add_co_ci_u32_e64 v31, null, v44, v25, vcc_lo
	flat_load_b32 v30, v[30:31]
	s_wait_loadcnt_dscnt 0x0
	v_mul_f32_e32 v30, s33, v30
	s_branch .LBB509_20
.LBB509_16:                             ;   in Loop: Header=BB509_4 Depth=1
	s_mov_b32 s41, 0
                                        ; implicit-def: $vgpr30
	s_cbranch_execz .LBB509_18
	s_branch .LBB509_21
.LBB509_17:                             ;   in Loop: Header=BB509_4 Depth=1
	s_or_b32 exec_lo, exec_lo, s42
	s_wait_alu 0xfffe
	s_and_b32 vcc_lo, exec_lo, s7
	s_wait_alu 0xfffe
	s_cbranch_vccnz .LBB509_21
.LBB509_18:                             ;   in Loop: Header=BB509_4 Depth=1
	v_dual_mov_b32 v27, v3 :: v_dual_mov_b32 v26, v2
	s_and_saveexec_b32 s7, s41
	s_cbranch_execz .LBB509_2
	s_branch .LBB509_58
.LBB509_19:                             ;   in Loop: Header=BB509_4 Depth=1
	v_mov_b32_e32 v30, 0
.LBB509_20:                             ;   in Loop: Header=BB509_4 Depth=1
	s_mov_b32 s41, exec_lo
	s_or_b32 exec_lo, exec_lo, s42
	s_delay_alu instid0(SALU_CYCLE_1)
	s_and_b32 vcc_lo, exec_lo, s7
	s_wait_alu 0xfffe
	s_cbranch_vccz .LBB509_18
.LBB509_21:                             ;   in Loop: Header=BB509_4 Depth=1
	v_dual_mov_b32 v45, 0 :: v_dual_mov_b32 v46, 0
	v_dual_mov_b32 v49, v40 :: v_dual_mov_b32 v48, 0
	v_mov_b32_e32 v47, 0
	s_and_saveexec_b32 s42, s5
	s_cbranch_execz .LBB509_33
; %bb.22:                               ;   in Loop: Header=BB509_4 Depth=1
	v_add_co_u32 v50, vcc_lo, v26, v10
	s_wait_alu 0xfffd
	v_add_co_ci_u32_e64 v51, null, v27, v11, vcc_lo
	v_add_co_u32 v52, vcc_lo, v26, v14
	s_wait_alu 0xfffd
	v_add_co_ci_u32_e64 v53, null, v27, v15, vcc_lo
	;; [unrolled: 3-line block ×3, first 2 shown]
	v_add_co_u32 v56, vcc_lo, v26, v22
	v_dual_mov_b32 v31, v29 :: v_dual_mov_b32 v46, 0
	s_wait_alu 0xfffd
	v_add_co_ci_u32_e64 v57, null, v27, v23, vcc_lo
	v_dual_mov_b32 v45, 0 :: v_dual_mov_b32 v30, v28
	v_dual_mov_b32 v49, v40 :: v_dual_mov_b32 v48, 0
	v_mov_b32_e32 v47, 0
	s_mov_b32 s43, 0
	s_branch .LBB509_27
.LBB509_23:                             ;   in Loop: Header=BB509_27 Depth=2
	s_or_b32 exec_lo, exec_lo, s46
	s_wait_loadcnt_dscnt 0x303
	v_fma_mix_f32 v32, v70, v74, v47 op_sel_hi:[0,1,0]
	s_wait_loadcnt_dscnt 0x202
	s_delay_alu instid0(VALU_DEP_1) | instskip(SKIP_1) | instid1(VALU_DEP_1)
	v_fma_mix_f32 v32, v71, v75, v32 op_sel_hi:[0,1,0]
	s_wait_loadcnt_dscnt 0x101
	v_fma_mix_f32 v32, v72, v76, v32 op_sel_hi:[0,1,0]
	s_wait_loadcnt_dscnt 0x0
	s_delay_alu instid0(VALU_DEP_1)
	v_fma_mix_f32 v47, v73, v77, v32 op_sel_hi:[0,1,0]
.LBB509_24:                             ;   in Loop: Header=BB509_27 Depth=2
	s_or_b32 exec_lo, exec_lo, s45
	s_wait_loadcnt_dscnt 0x303
	v_fma_mix_f32 v32, v70, v66, v46 op_sel_hi:[0,1,0]
	s_wait_loadcnt_dscnt 0x202
	s_delay_alu instid0(VALU_DEP_1) | instskip(SKIP_1) | instid1(VALU_DEP_1)
	v_fma_mix_f32 v32, v71, v67, v32 op_sel_hi:[0,1,0]
	s_wait_loadcnt_dscnt 0x101
	v_fma_mix_f32 v32, v72, v68, v32 op_sel_hi:[0,1,0]
	s_wait_loadcnt_dscnt 0x0
	s_delay_alu instid0(VALU_DEP_1)
	v_fma_mix_f32 v46, v73, v69, v32 op_sel_hi:[0,1,0]
.LBB509_25:                             ;   in Loop: Header=BB509_27 Depth=2
	s_or_b32 exec_lo, exec_lo, s44
	s_wait_loadcnt_dscnt 0x303
	v_fma_mix_f32 v32, v58, v62, v45 op_sel_hi:[1,1,0]
	s_wait_loadcnt_dscnt 0x202
	s_delay_alu instid0(VALU_DEP_1) | instskip(SKIP_1) | instid1(VALU_DEP_1)
	v_fma_mix_f32 v32, v59, v63, v32 op_sel_hi:[1,1,0]
	s_wait_loadcnt_dscnt 0x101
	v_fma_mix_f32 v32, v60, v64, v32 op_sel_hi:[1,1,0]
	s_wait_loadcnt_dscnt 0x0
	s_delay_alu instid0(VALU_DEP_1)
	v_fma_mix_f32 v45, v61, v65, v32 op_sel_hi:[1,1,0]
.LBB509_26:                             ;   in Loop: Header=BB509_27 Depth=2
	s_wait_alu 0xfffe
	s_or_b32 exec_lo, exec_lo, s7
	v_add_co_u32 v30, vcc_lo, v30, s30
	s_wait_alu 0xfffd
	v_add_co_ci_u32_e64 v31, null, s31, v31, vcc_lo
	v_add_co_u32 v50, vcc_lo, v50, s34
	v_add_nc_u32_e32 v49, 16, v49
	s_wait_alu 0xfffd
	v_add_co_ci_u32_e64 v51, null, s35, v51, vcc_lo
	v_add_co_u32 v52, vcc_lo, v52, s34
	s_wait_alu 0xfffd
	v_add_co_ci_u32_e64 v53, null, s35, v53, vcc_lo
	v_add_co_u32 v54, vcc_lo, v54, s34
	s_wait_alu 0xfffd
	v_add_co_ci_u32_e64 v55, null, s35, v55, vcc_lo
	v_cmp_le_i32_e32 vcc_lo, s39, v49
	v_add_co_u32 v56, s7, v56, s34
	s_wait_alu 0xf1ff
	v_add_co_ci_u32_e64 v57, null, s35, v57, s7
	s_or_b32 s43, vcc_lo, s43
	s_delay_alu instid0(SALU_CYCLE_1)
	s_and_not1_b32 exec_lo, exec_lo, s43
	s_cbranch_execz .LBB509_32
.LBB509_27:                             ;   Parent Loop BB509_4 Depth=1
                                        ; =>  This Inner Loop Header: Depth=2
	s_and_saveexec_b32 s7, s1
	s_cbranch_execz .LBB509_26
; %bb.28:                               ;   in Loop: Header=BB509_27 Depth=2
	v_add_co_u32 v58, vcc_lo, v30, v6
	s_wait_alu 0xfffd
	v_add_co_ci_u32_e64 v59, null, v31, v7, vcc_lo
	v_add_co_u32 v60, vcc_lo, v30, v20
	s_wait_alu 0xfffd
	v_add_co_ci_u32_e64 v61, null, v31, v21, vcc_lo
	;; [unrolled: 3-line block ×8, first 2 shown]
	s_clause 0x3
	flat_load_u16 v58, v[58:59]
	flat_load_u16 v59, v[60:61]
	;; [unrolled: 1-line block ×8, first 2 shown]
	s_and_saveexec_b32 s44, s2
	s_cbranch_execz .LBB509_25
; %bb.29:                               ;   in Loop: Header=BB509_27 Depth=2
	flat_load_u16 v66, v[32:33] offset:128
	flat_load_u16 v67, v[34:35] offset:128
	;; [unrolled: 1-line block ×4, first 2 shown]
	s_wait_loadcnt_dscnt 0xb0b
	v_cvt_f32_f16_e32 v70, v58
	s_wait_loadcnt_dscnt 0xa0a
	v_cvt_f32_f16_e32 v71, v59
	;; [unrolled: 2-line block ×4, first 2 shown]
	s_and_saveexec_b32 s45, s3
	s_cbranch_execz .LBB509_24
; %bb.30:                               ;   in Loop: Header=BB509_27 Depth=2
	flat_load_u16 v74, v[32:33] offset:256
	flat_load_u16 v75, v[34:35] offset:256
	;; [unrolled: 1-line block ×4, first 2 shown]
	s_and_saveexec_b32 s46, s4
	s_cbranch_execz .LBB509_23
; %bb.31:                               ;   in Loop: Header=BB509_27 Depth=2
	flat_load_u16 v32, v[32:33] offset:384
	flat_load_u16 v33, v[34:35] offset:384
	;; [unrolled: 1-line block ×4, first 2 shown]
	s_wait_loadcnt_dscnt 0x303
	v_fma_mix_f32 v32, v70, v32, v48 op_sel_hi:[0,1,0]
	s_wait_loadcnt_dscnt 0x202
	s_delay_alu instid0(VALU_DEP_1) | instskip(SKIP_1) | instid1(VALU_DEP_1)
	v_fma_mix_f32 v32, v71, v33, v32 op_sel_hi:[0,1,0]
	s_wait_loadcnt_dscnt 0x101
	v_fma_mix_f32 v32, v72, v34, v32 op_sel_hi:[0,1,0]
	s_wait_loadcnt_dscnt 0x0
	s_delay_alu instid0(VALU_DEP_1)
	v_fma_mix_f32 v48, v73, v35, v32 op_sel_hi:[0,1,0]
	s_branch .LBB509_23
.LBB509_32:                             ;   in Loop: Header=BB509_4 Depth=1
	s_or_b32 exec_lo, exec_lo, s43
.LBB509_33:                             ;   in Loop: Header=BB509_4 Depth=1
	s_delay_alu instid0(SALU_CYCLE_1) | instskip(NEXT) | instid1(SALU_CYCLE_1)
	s_or_b32 exec_lo, exec_lo, s42
	s_and_not1_b32 vcc_lo, exec_lo, s40
	s_wait_alu 0xfffe
	s_cbranch_vccnz .LBB509_51
; %bb.34:                               ;   in Loop: Header=BB509_4 Depth=1
	v_cmp_gt_i32_e32 vcc_lo, s21, v49
	v_dual_mov_b32 v34, 0 :: v_dual_mov_b32 v35, 0
	v_or_b32_e32 v30, 1, v49
	v_dual_mov_b32 v36, 0 :: v_dual_mov_b32 v37, 0
	s_and_saveexec_b32 s42, vcc_lo
	s_cbranch_execz .LBB509_42
; %bb.35:                               ;   in Loop: Header=BB509_4 Depth=1
	v_mad_co_u64_u32 v[31:32], null, s26, v49, 0
	v_dual_mov_b32 v36, 0 :: v_dual_mov_b32 v35, 0
	v_mov_b32_e32 v34, 0
	s_mov_b32 s43, exec_lo
	s_delay_alu instid0(VALU_DEP_3) | instskip(NEXT) | instid1(VALU_DEP_1)
	v_mad_co_u64_u32 v[32:33], null, s27, v49, v[32:33]
	v_lshlrev_b64_e32 v[31:32], 1, v[31:32]
	s_delay_alu instid0(VALU_DEP_1) | instskip(SKIP_1) | instid1(VALU_DEP_2)
	v_add_co_u32 v31, s7, v28, v31
	s_wait_alu 0xf1ff
	v_add_co_ci_u32_e64 v32, null, v29, v32, s7
	flat_load_u16 v31, v[31:32]
	v_cmpx_gt_i32_e64 s21, v30
	s_cbranch_execz .LBB509_41
; %bb.36:                               ;   in Loop: Header=BB509_4 Depth=1
	v_mad_co_u64_u32 v[32:33], null, s26, v30, 0
	v_mov_b32_e32 v35, 0
	s_mov_b32 s44, exec_lo
	s_delay_alu instid0(VALU_DEP_2) | instskip(SKIP_1) | instid1(VALU_DEP_2)
	v_mad_co_u64_u32 v[33:34], null, s27, v30, v[33:34]
	v_mov_b32_e32 v34, 0
	v_lshlrev_b64_e32 v[32:33], 1, v[32:33]
	s_delay_alu instid0(VALU_DEP_1) | instskip(SKIP_1) | instid1(VALU_DEP_2)
	v_add_co_u32 v32, s7, v28, v32
	s_wait_alu 0xf1ff
	v_add_co_ci_u32_e64 v33, null, v29, v33, s7
	flat_load_u16 v32, v[32:33]
	v_or_b32_e32 v33, 2, v49
	s_delay_alu instid0(VALU_DEP_1)
	v_cmpx_gt_i32_e64 s21, v33
	s_cbranch_execz .LBB509_40
; %bb.37:                               ;   in Loop: Header=BB509_4 Depth=1
	v_mad_co_u64_u32 v[34:35], null, s26, v33, 0
	s_mov_b32 s45, exec_lo
	v_mad_co_u64_u32 v[35:36], null, s27, v33, v[35:36]
	s_delay_alu instid0(VALU_DEP_1) | instskip(SKIP_1) | instid1(VALU_DEP_2)
	v_lshlrev_b64_e32 v[33:34], 1, v[34:35]
	v_or_b32_e32 v35, 3, v49
	v_add_co_u32 v33, s7, v28, v33
	s_wait_alu 0xf1ff
	s_delay_alu instid0(VALU_DEP_3)
	v_add_co_ci_u32_e64 v34, null, v29, v34, s7
	flat_load_u16 v33, v[33:34]
	v_mov_b32_e32 v34, 0
	v_cmpx_gt_i32_e64 s21, v35
	s_cbranch_execz .LBB509_39
; %bb.38:                               ;   in Loop: Header=BB509_4 Depth=1
	v_mad_co_u64_u32 v[36:37], null, s26, v35, 0
	s_delay_alu instid0(VALU_DEP_1) | instskip(NEXT) | instid1(VALU_DEP_1)
	v_mov_b32_e32 v34, v37
	v_mad_co_u64_u32 v[34:35], null, s27, v35, v[34:35]
	s_delay_alu instid0(VALU_DEP_1) | instskip(NEXT) | instid1(VALU_DEP_1)
	v_mov_b32_e32 v37, v34
	v_lshlrev_b64_e32 v[34:35], 1, v[36:37]
	s_delay_alu instid0(VALU_DEP_1) | instskip(SKIP_1) | instid1(VALU_DEP_2)
	v_add_co_u32 v28, s7, v28, v34
	s_wait_alu 0xf1ff
	v_add_co_ci_u32_e64 v29, null, v29, v35, s7
	flat_load_u16 v28, v[28:29]
	s_wait_loadcnt_dscnt 0x0
	v_cvt_f32_f16_e32 v34, v28
.LBB509_39:                             ;   in Loop: Header=BB509_4 Depth=1
	s_or_b32 exec_lo, exec_lo, s45
	s_wait_loadcnt_dscnt 0x0
	v_cvt_f32_f16_e32 v35, v33
.LBB509_40:                             ;   in Loop: Header=BB509_4 Depth=1
	s_or_b32 exec_lo, exec_lo, s44
	s_wait_loadcnt_dscnt 0x0
	v_cvt_f32_f16_e32 v36, v32
.LBB509_41:                             ;   in Loop: Header=BB509_4 Depth=1
	s_or_b32 exec_lo, exec_lo, s43
	s_wait_loadcnt_dscnt 0x0
	v_cvt_f32_f16_e32 v37, v31
.LBB509_42:                             ;   in Loop: Header=BB509_4 Depth=1
	s_or_b32 exec_lo, exec_lo, s42
	s_and_saveexec_b32 s42, s1
	s_cbranch_execz .LBB509_50
; %bb.43:                               ;   in Loop: Header=BB509_4 Depth=1
	v_mad_co_u64_u32 v[28:29], null, s28, v49, 0
	v_or_b32_e32 v52, 2, v49
	v_mad_co_u64_u32 v[31:32], null, s28, v30, 0
	v_or_b32_e32 v53, 3, v49
	v_cmp_gt_i32_e64 s7, s21, v30
	s_delay_alu instid0(VALU_DEP_4) | instskip(SKIP_3) | instid1(VALU_DEP_4)
	v_mad_co_u64_u32 v[38:39], null, s28, v52, 0
	v_mad_co_u64_u32 v[49:50], null, s29, v49, v[29:30]
	;; [unrolled: 1-line block ×4, first 2 shown]
	v_mov_b32_e32 v30, v39
	s_delay_alu instid0(VALU_DEP_4)
	v_dual_cndmask_b32 v50, 0, v28 :: v_dual_cndmask_b32 v51, 0, v49
	s_wait_alu 0xf1ff
	v_cndmask_b32_e64 v28, 0, v31, s7
	v_cndmask_b32_e64 v29, 0, v29, s7
	v_mad_co_u64_u32 v[30:31], null, s29, v52, v[30:31]
	v_mov_b32_e32 v31, v33
	v_lshlrev_b64_e32 v[49:50], 1, v[50:51]
	v_cmp_gt_i32_e32 vcc_lo, s21, v52
	v_lshlrev_b64_e32 v[51:52], 1, v[28:29]
	s_wait_alu 0xfffd
	v_cndmask_b32_e32 v39, 0, v30, vcc_lo
	s_delay_alu instid0(VALU_DEP_4)
	v_add_co_u32 v28, s7, v26, v49
	s_wait_alu 0xf1ff
	v_add_co_ci_u32_e64 v29, null, v27, v50, s7
	v_mad_co_u64_u32 v[30:31], null, s29, v53, v[31:32]
	v_cndmask_b32_e32 v38, 0, v38, vcc_lo
	v_add_co_u32 v28, vcc_lo, v28, v8
	s_wait_alu 0xfffd
	v_add_co_ci_u32_e64 v29, null, v29, v9, vcc_lo
	v_cmp_gt_i32_e32 vcc_lo, s21, v53
	v_add_co_u32 v31, s7, v26, v51
	s_wait_alu 0xf1ff
	v_add_co_ci_u32_e64 v49, null, v27, v52, s7
	s_wait_alu 0xfffd
	v_dual_cndmask_b32 v32, 0, v32 :: v_dual_cndmask_b32 v33, 0, v30
	v_lshlrev_b64_e32 v[38:39], 1, v[38:39]
	v_add_co_u32 v30, vcc_lo, v31, v8
	s_wait_alu 0xfffd
	v_add_co_ci_u32_e64 v31, null, v49, v9, vcc_lo
	v_lshlrev_b64_e32 v[32:33], 1, v[32:33]
	s_delay_alu instid0(VALU_DEP_4) | instskip(SKIP_2) | instid1(VALU_DEP_3)
	v_add_co_u32 v38, vcc_lo, v26, v38
	s_wait_alu 0xfffd
	v_add_co_ci_u32_e64 v39, null, v27, v39, vcc_lo
	v_add_co_u32 v32, vcc_lo, v26, v32
	s_wait_alu 0xfffd
	v_add_co_ci_u32_e64 v33, null, v27, v33, vcc_lo
	;; [unrolled: 3-line block ×4, first 2 shown]
	s_clause 0x3
	flat_load_u16 v38, v[28:29]
	flat_load_u16 v39, v[30:31]
	;; [unrolled: 1-line block ×4, first 2 shown]
	s_and_saveexec_b32 s7, s2
	s_cbranch_execz .LBB509_49
; %bb.44:                               ;   in Loop: Header=BB509_4 Depth=1
	s_clause 0x3
	flat_load_u16 v51, v[28:29] offset:128
	flat_load_u16 v52, v[30:31] offset:128
	flat_load_u16 v53, v[26:27] offset:128
	flat_load_u16 v54, v[32:33] offset:128
	s_and_saveexec_b32 s43, s3
	s_cbranch_execz .LBB509_48
; %bb.45:                               ;   in Loop: Header=BB509_4 Depth=1
	s_clause 0x3
	flat_load_u16 v55, v[28:29] offset:256
	flat_load_u16 v56, v[30:31] offset:256
	flat_load_u16 v57, v[26:27] offset:256
	flat_load_u16 v58, v[32:33] offset:256
	;; [unrolled: 8-line block ×3, first 2 shown]
	s_wait_loadcnt_dscnt 0x303
	v_fma_mix_f32 v28, v37, v28, v48 op_sel_hi:[0,1,0]
	s_wait_loadcnt_dscnt 0x202
	s_delay_alu instid0(VALU_DEP_1) | instskip(SKIP_1) | instid1(VALU_DEP_1)
	v_fma_mix_f32 v28, v36, v29, v28 op_sel_hi:[0,1,0]
	s_wait_loadcnt_dscnt 0x101
	v_fma_mix_f32 v26, v35, v26, v28 op_sel_hi:[0,1,0]
	s_wait_loadcnt_dscnt 0x0
	s_delay_alu instid0(VALU_DEP_1)
	v_fma_mix_f32 v48, v34, v27, v26 op_sel_hi:[0,1,0]
.LBB509_47:                             ;   in Loop: Header=BB509_4 Depth=1
	s_or_b32 exec_lo, exec_lo, s44
	s_wait_loadcnt_dscnt 0x303
	v_fma_mix_f32 v26, v37, v55, v47 op_sel_hi:[0,1,0]
	s_wait_loadcnt_dscnt 0x202
	s_delay_alu instid0(VALU_DEP_1) | instskip(SKIP_1) | instid1(VALU_DEP_1)
	v_fma_mix_f32 v26, v36, v56, v26 op_sel_hi:[0,1,0]
	s_wait_loadcnt_dscnt 0x101
	v_fma_mix_f32 v26, v35, v57, v26 op_sel_hi:[0,1,0]
	s_wait_loadcnt_dscnt 0x0
	s_delay_alu instid0(VALU_DEP_1)
	v_fma_mix_f32 v47, v34, v58, v26 op_sel_hi:[0,1,0]
.LBB509_48:                             ;   in Loop: Header=BB509_4 Depth=1
	s_or_b32 exec_lo, exec_lo, s43
	s_wait_loadcnt_dscnt 0x303
	v_fma_mix_f32 v26, v37, v51, v46 op_sel_hi:[0,1,0]
	s_wait_loadcnt_dscnt 0x202
	s_delay_alu instid0(VALU_DEP_1) | instskip(SKIP_1) | instid1(VALU_DEP_1)
	v_fma_mix_f32 v26, v36, v52, v26 op_sel_hi:[0,1,0]
	s_wait_loadcnt_dscnt 0x101
	v_fma_mix_f32 v26, v35, v53, v26 op_sel_hi:[0,1,0]
	s_wait_loadcnt_dscnt 0x0
	s_delay_alu instid0(VALU_DEP_1)
	v_fma_mix_f32 v46, v34, v54, v26 op_sel_hi:[0,1,0]
.LBB509_49:                             ;   in Loop: Header=BB509_4 Depth=1
	s_wait_alu 0xfffe
	s_or_b32 exec_lo, exec_lo, s7
	s_wait_loadcnt_dscnt 0x303
	v_fma_mix_f32 v26, v37, v38, v45 op_sel_hi:[0,1,0]
	s_wait_loadcnt_dscnt 0x202
	s_delay_alu instid0(VALU_DEP_1) | instskip(SKIP_1) | instid1(VALU_DEP_1)
	v_fma_mix_f32 v26, v36, v39, v26 op_sel_hi:[0,1,0]
	s_wait_loadcnt_dscnt 0x101
	v_fma_mix_f32 v26, v35, v49, v26 op_sel_hi:[0,1,0]
	s_wait_loadcnt_dscnt 0x0
	s_delay_alu instid0(VALU_DEP_1)
	v_fma_mix_f32 v45, v34, v50, v26 op_sel_hi:[0,1,0]
.LBB509_50:                             ;   in Loop: Header=BB509_4 Depth=1
	s_or_b32 exec_lo, exec_lo, s42
.LBB509_51:                             ;   in Loop: Header=BB509_4 Depth=1
	ds_store_2addr_stride64_b32 v41, v45, v46 offset1:1
	ds_store_2addr_stride64_b32 v41, v47, v48 offset0:2 offset1:3
	s_wait_dscnt 0x0
	s_barrier_signal -1
	s_barrier_wait -1
	global_inv scope:SCOPE_SE
                                        ; implicit-def: $vgpr30
	s_and_saveexec_b32 s7, s0
	s_cbranch_execz .LBB509_57
; %bb.52:                               ;   in Loop: Header=BB509_4 Depth=1
	ds_load_2addr_stride64_b32 v[26:27], v0 offset1:4
	ds_load_2addr_stride64_b32 v[28:29], v0 offset0:8 offset1:12
	s_mov_b32 s43, s41
                                        ; implicit-def: $vgpr30
	s_wait_dscnt 0x1
	v_add_f32_e32 v26, v26, v27
	s_wait_dscnt 0x0
	s_delay_alu instid0(VALU_DEP_1) | instskip(NEXT) | instid1(VALU_DEP_1)
	v_add_f32_e32 v26, v28, v26
	v_add_f32_e32 v26, v29, v26
	ds_store_b32 v0, v26
	s_and_saveexec_b32 s42, s6
	s_cbranch_execz .LBB509_56
; %bb.53:                               ;   in Loop: Header=BB509_4 Depth=1
	v_mul_f32_e32 v30, s22, v26
	s_and_not1_b32 vcc_lo, exec_lo, s38
	s_wait_alu 0xfffe
	s_cbranch_vccnz .LBB509_55
; %bb.54:                               ;   in Loop: Header=BB509_4 Depth=1
	v_lshlrev_b64_e32 v[26:27], 2, v[4:5]
	s_delay_alu instid0(VALU_DEP_1) | instskip(SKIP_1) | instid1(VALU_DEP_2)
	v_add_co_u32 v26, vcc_lo, v43, v26
	s_wait_alu 0xfffd
	v_add_co_ci_u32_e64 v27, null, v44, v27, vcc_lo
	flat_load_b32 v26, v[26:27]
	s_wait_loadcnt_dscnt 0x0
	v_fmac_f32_e32 v30, s33, v26
.LBB509_55:                             ;   in Loop: Header=BB509_4 Depth=1
	s_or_b32 s43, s41, exec_lo
.LBB509_56:                             ;   in Loop: Header=BB509_4 Depth=1
	s_or_b32 exec_lo, exec_lo, s42
	s_delay_alu instid0(SALU_CYCLE_1) | instskip(SKIP_1) | instid1(SALU_CYCLE_1)
	s_and_not1_b32 s41, s41, exec_lo
	s_and_b32 s42, s43, exec_lo
	s_or_b32 s41, s41, s42
.LBB509_57:                             ;   in Loop: Header=BB509_4 Depth=1
	s_wait_alu 0xfffe
	s_or_b32 exec_lo, exec_lo, s7
	v_dual_mov_b32 v27, v5 :: v_dual_mov_b32 v26, v4
	s_and_saveexec_b32 s7, s41
	s_cbranch_execz .LBB509_2
.LBB509_58:                             ;   in Loop: Header=BB509_4 Depth=1
	s_delay_alu instid0(VALU_DEP_1) | instskip(NEXT) | instid1(VALU_DEP_1)
	v_lshlrev_b64_e32 v[26:27], 2, v[26:27]
	v_add_co_u32 v26, vcc_lo, v43, v26
	s_wait_alu 0xfffd
	s_delay_alu instid0(VALU_DEP_2)
	v_add_co_ci_u32_e64 v27, null, v44, v27, vcc_lo
	flat_store_b32 v[26:27], v30
	s_branch .LBB509_2
.LBB509_59:
	s_endpgm
	.section	.rodata,"a",@progbits
	.p2align	6, 0x0
	.amdhsa_kernel _ZL20rocblas_gemvn_kernelILi64ELi4ElPKDF16_fKPfEviiT3_lPKT2_lT1_lS7_lS8_lS4_lPT4_lS8_li
		.amdhsa_group_segment_fixed_size 4096
		.amdhsa_private_segment_fixed_size 0
		.amdhsa_kernarg_size 400
		.amdhsa_user_sgpr_count 2
		.amdhsa_user_sgpr_dispatch_ptr 0
		.amdhsa_user_sgpr_queue_ptr 0
		.amdhsa_user_sgpr_kernarg_segment_ptr 1
		.amdhsa_user_sgpr_dispatch_id 0
		.amdhsa_user_sgpr_private_segment_size 0
		.amdhsa_wavefront_size32 1
		.amdhsa_uses_dynamic_stack 0
		.amdhsa_enable_private_segment 0
		.amdhsa_system_sgpr_workgroup_id_x 1
		.amdhsa_system_sgpr_workgroup_id_y 0
		.amdhsa_system_sgpr_workgroup_id_z 1
		.amdhsa_system_sgpr_workgroup_info 0
		.amdhsa_system_vgpr_workitem_id 1
		.amdhsa_next_free_vgpr 78
		.amdhsa_next_free_sgpr 47
		.amdhsa_reserve_vcc 1
		.amdhsa_float_round_mode_32 0
		.amdhsa_float_round_mode_16_64 0
		.amdhsa_float_denorm_mode_32 3
		.amdhsa_float_denorm_mode_16_64 3
		.amdhsa_fp16_overflow 0
		.amdhsa_workgroup_processor_mode 1
		.amdhsa_memory_ordered 1
		.amdhsa_forward_progress 1
		.amdhsa_inst_pref_size 29
		.amdhsa_round_robin_scheduling 0
		.amdhsa_exception_fp_ieee_invalid_op 0
		.amdhsa_exception_fp_denorm_src 0
		.amdhsa_exception_fp_ieee_div_zero 0
		.amdhsa_exception_fp_ieee_overflow 0
		.amdhsa_exception_fp_ieee_underflow 0
		.amdhsa_exception_fp_ieee_inexact 0
		.amdhsa_exception_int_div_zero 0
	.end_amdhsa_kernel
	.section	.text._ZL20rocblas_gemvn_kernelILi64ELi4ElPKDF16_fKPfEviiT3_lPKT2_lT1_lS7_lS8_lS4_lPT4_lS8_li,"axG",@progbits,_ZL20rocblas_gemvn_kernelILi64ELi4ElPKDF16_fKPfEviiT3_lPKT2_lT1_lS7_lS8_lS4_lPT4_lS8_li,comdat
.Lfunc_end509:
	.size	_ZL20rocblas_gemvn_kernelILi64ELi4ElPKDF16_fKPfEviiT3_lPKT2_lT1_lS7_lS8_lS4_lPT4_lS8_li, .Lfunc_end509-_ZL20rocblas_gemvn_kernelILi64ELi4ElPKDF16_fKPfEviiT3_lPKT2_lT1_lS7_lS8_lS4_lPT4_lS8_li
                                        ; -- End function
	.set _ZL20rocblas_gemvn_kernelILi64ELi4ElPKDF16_fKPfEviiT3_lPKT2_lT1_lS7_lS8_lS4_lPT4_lS8_li.num_vgpr, 78
	.set _ZL20rocblas_gemvn_kernelILi64ELi4ElPKDF16_fKPfEviiT3_lPKT2_lT1_lS7_lS8_lS4_lPT4_lS8_li.num_agpr, 0
	.set _ZL20rocblas_gemvn_kernelILi64ELi4ElPKDF16_fKPfEviiT3_lPKT2_lT1_lS7_lS8_lS4_lPT4_lS8_li.numbered_sgpr, 47
	.set _ZL20rocblas_gemvn_kernelILi64ELi4ElPKDF16_fKPfEviiT3_lPKT2_lT1_lS7_lS8_lS4_lPT4_lS8_li.num_named_barrier, 0
	.set _ZL20rocblas_gemvn_kernelILi64ELi4ElPKDF16_fKPfEviiT3_lPKT2_lT1_lS7_lS8_lS4_lPT4_lS8_li.private_seg_size, 0
	.set _ZL20rocblas_gemvn_kernelILi64ELi4ElPKDF16_fKPfEviiT3_lPKT2_lT1_lS7_lS8_lS4_lPT4_lS8_li.uses_vcc, 1
	.set _ZL20rocblas_gemvn_kernelILi64ELi4ElPKDF16_fKPfEviiT3_lPKT2_lT1_lS7_lS8_lS4_lPT4_lS8_li.uses_flat_scratch, 1
	.set _ZL20rocblas_gemvn_kernelILi64ELi4ElPKDF16_fKPfEviiT3_lPKT2_lT1_lS7_lS8_lS4_lPT4_lS8_li.has_dyn_sized_stack, 0
	.set _ZL20rocblas_gemvn_kernelILi64ELi4ElPKDF16_fKPfEviiT3_lPKT2_lT1_lS7_lS8_lS4_lPT4_lS8_li.has_recursion, 0
	.set _ZL20rocblas_gemvn_kernelILi64ELi4ElPKDF16_fKPfEviiT3_lPKT2_lT1_lS7_lS8_lS4_lPT4_lS8_li.has_indirect_call, 0
	.section	.AMDGPU.csdata,"",@progbits
; Kernel info:
; codeLenInByte = 3692
; TotalNumSgprs: 49
; NumVgprs: 78
; ScratchSize: 0
; MemoryBound: 0
; FloatMode: 240
; IeeeMode: 1
; LDSByteSize: 4096 bytes/workgroup (compile time only)
; SGPRBlocks: 0
; VGPRBlocks: 9
; NumSGPRsForWavesPerEU: 49
; NumVGPRsForWavesPerEU: 78
; Occupancy: 16
; WaveLimiterHint : 1
; COMPUTE_PGM_RSRC2:SCRATCH_EN: 0
; COMPUTE_PGM_RSRC2:USER_SGPR: 2
; COMPUTE_PGM_RSRC2:TRAP_HANDLER: 0
; COMPUTE_PGM_RSRC2:TGID_X_EN: 1
; COMPUTE_PGM_RSRC2:TGID_Y_EN: 0
; COMPUTE_PGM_RSRC2:TGID_Z_EN: 1
; COMPUTE_PGM_RSRC2:TIDIG_COMP_CNT: 1
	.section	.text._ZL20rocblas_gemvn_kernelILi32ELi16EiPKDF16_PKfKPfEviiT3_lPKT2_lT1_lS9_lSA_lS6_lPT4_lSA_li,"axG",@progbits,_ZL20rocblas_gemvn_kernelILi32ELi16EiPKDF16_PKfKPfEviiT3_lPKT2_lT1_lS9_lSA_lS6_lPT4_lSA_li,comdat
	.globl	_ZL20rocblas_gemvn_kernelILi32ELi16EiPKDF16_PKfKPfEviiT3_lPKT2_lT1_lS9_lSA_lS6_lPT4_lSA_li ; -- Begin function _ZL20rocblas_gemvn_kernelILi32ELi16EiPKDF16_PKfKPfEviiT3_lPKT2_lT1_lS9_lSA_lS6_lPT4_lSA_li
	.p2align	8
	.type	_ZL20rocblas_gemvn_kernelILi32ELi16EiPKDF16_PKfKPfEviiT3_lPKT2_lT1_lS9_lSA_lS6_lPT4_lSA_li,@function
_ZL20rocblas_gemvn_kernelILi32ELi16EiPKDF16_PKfKPfEviiT3_lPKT2_lT1_lS9_lSA_lS6_lPT4_lSA_li: ; @_ZL20rocblas_gemvn_kernelILi32ELi16EiPKDF16_PKfKPfEviiT3_lPKT2_lT1_lS9_lSA_lS6_lPT4_lSA_li
; %bb.0:
	s_clause 0x1
	s_load_b64 s[2:3], s[0:1], 0x9c
	s_load_b32 s33, s[0:1], 0x88
	s_lshr_b32 s10, ttmp7, 16
	s_wait_kmcnt 0x0
	s_lshr_b32 s4, s2, 16
	s_and_b32 s2, s2, 0xffff
	s_and_b32 s3, s3, 0xffff
	s_mul_i32 s2, s4, s2
	s_delay_alu instid0(SALU_CYCLE_1) | instskip(NEXT) | instid1(SALU_CYCLE_1)
	s_mul_i32 s2, s2, s3
	s_cmp_lg_u32 s2, 0x200
	s_cselect_b32 s2, -1, 0
	s_cmp_ge_u32 s10, s33
	s_cselect_b32 s3, -1, 0
	s_delay_alu instid0(SALU_CYCLE_1) | instskip(NEXT) | instid1(SALU_CYCLE_1)
	s_or_b32 s2, s2, s3
	s_and_b32 vcc_lo, exec_lo, s2
	s_cbranch_vccnz .LBB510_56
; %bb.1:
	s_clause 0x2
	s_load_b32 s6, s[0:1], 0x78
	s_load_b64 s[8:9], s[0:1], 0x0
	s_load_b256 s[12:19], s[0:1], 0x8
	v_and_b32_e32 v9, 0x3ff, v0
	v_bfe_u32 v8, v0, 10, 10
	s_clause 0x3
	s_load_b32 s35, s[0:1], 0x28
	s_load_b128 s[28:31], s[0:1], 0x38
	s_load_b32 s34, s[0:1], 0x48
	s_load_b256 s[20:27], s[0:1], 0x58
	s_lshl_b32 s36, ttmp9, 7
	v_mov_b32_e32 v1, 0
	v_add_nc_u32_e32 v25, s36, v9
	v_lshl_add_u32 v5, v8, 5, v9
	v_lshlrev_b32_e32 v26, 2, v8
	v_lshlrev_b32_e32 v6, 2, v9
	s_mov_b32 s11, 0
	v_add_nc_u32_e32 v4, 32, v25
	v_add_nc_u32_e32 v0, s36, v5
	v_or_b32_e32 v11, s36, v5
	v_add_nc_u32_e32 v7, 64, v25
	v_add_nc_u32_e32 v10, 0x60, v25
	v_or_b32_e32 v12, 3, v26
	v_lshl_add_u32 v27, v8, 7, v6
	s_wait_kmcnt 0x0
	v_mad_co_u64_u32 v[2:3], null, s6, v0, 0
	s_ashr_i32 s3, s6, 31
	s_ashr_i32 s7, s9, 31
	v_cmp_gt_i32_e64 s1, s8, v4
	s_wait_alu 0xfffe
	s_lshr_b32 s7, s7, 26
	v_cmp_gt_i32_e64 s2, s8, v7
	v_mul_lo_u32 v7, s35, v26
	v_mad_co_u64_u32 v[3:4], null, s3, v0, v[3:4]
	v_mul_lo_u32 v4, s6, v11
	s_wait_alu 0xfffe
	s_add_co_i32 s37, s9, s7
	v_cmp_gt_i32_e64 s6, s8, v11
	v_mul_lo_u32 v11, v8, s35
	s_ashr_i32 s5, s8, 31
	s_mov_b32 s4, s8
	v_cmp_gt_i32_e64 s3, s8, v10
	s_wait_alu 0xfffe
	s_and_not1_b32 s37, s37, 63
	v_or_b32_e32 v10, 2, v26
	v_cmp_gt_i64_e32 vcc_lo, s[4:5], v[0:1]
	s_wait_alu 0xfffe
	s_sub_co_i32 s5, s9, s37
	v_mul_lo_u32 v13, v8, s34
	s_wait_alu 0xfffe
	s_cmp_gt_i32 s5, 0
	v_cmp_gt_u32_e64 s5, 0x80, v5
	v_ashrrev_i32_e32 v5, 31, v4
	v_lshl_add_u32 v0, v8, 9, v6
	v_add3_u32 v28, v7, s35, v9
	v_mad_co_u64_u32 v[6:7], null, s35, v10, v[9:10]
	v_mad_co_u64_u32 v[7:8], null, s35, v12, v[9:10]
	v_lshl_add_u32 v29, v11, 2, v9
	v_mad_co_u64_u32 v[8:9], null, s34, v26, s[34:35]
	v_mul_lo_u32 v30, s34, v10
	v_mul_lo_u32 v31, s34, v12
	v_lshlrev_b64_e32 v[9:10], 2, v[2:3]
	v_lshlrev_b64_e32 v[11:12], 2, v[4:5]
	v_cmp_gt_i32_e64 s0, s8, v25
	v_cmp_gt_i32_e64 s4, s37, v26
	v_lshlrev_b32_e32 v32, 2, v13
	s_cselect_b32 s38, -1, 0
	s_and_b32 s39, s5, vcc_lo
	s_lshl_b32 s40, s35, 6
	s_lshl_b32 s41, s34, 6
	s_lshl_b64 s[18:19], s[18:19], 1
	s_lshl_b64 s[30:31], s[30:31], 1
	;; [unrolled: 1-line block ×3, first 2 shown]
	s_branch .LBB510_4
.LBB510_2:                              ;   in Loop: Header=BB510_4 Depth=1
	s_wait_alu 0xfffe
	s_or_b32 exec_lo, exec_lo, s7
.LBB510_3:                              ;   in Loop: Header=BB510_4 Depth=1
	s_add_co_i32 s10, s10, 0x10000
	s_delay_alu instid0(SALU_CYCLE_1)
	s_cmp_lt_u32 s10, s33
	s_cbranch_scc0 .LBB510_56
.LBB510_4:                              ; =>This Loop Header: Depth=1
                                        ;     Child Loop BB510_24 Depth 2
	s_mul_u64 s[42:43], s[14:15], s[10:11]
	s_mul_u64 s[44:45], s[22:23], s[10:11]
	s_wait_alu 0xfffe
	s_lshl_b64 s[42:43], s[42:43], 2
	s_lshl_b64 s[44:45], s[44:45], 2
	s_wait_alu 0xfffe
	s_add_nc_u64 s[42:43], s[12:13], s[42:43]
	s_add_nc_u64 s[44:45], s[20:21], s[44:45]
	s_clause 0x1
	global_load_b32 v33, v1, s[42:43]
	global_load_b32 v13, v1, s[44:45]
	s_wait_loadcnt 0x1
	v_cmp_eq_f32_e64 s7, 0, v33
	s_wait_loadcnt 0x0
	v_cmp_eq_f32_e32 vcc_lo, 1.0, v13
	v_readfirstlane_b32 s42, v13
	s_and_b32 s8, s7, vcc_lo
	s_wait_alu 0xfffe
	s_and_b32 vcc_lo, exec_lo, s8
	s_wait_alu 0xfffe
	s_cbranch_vccnz .LBB510_3
; %bb.5:                                ;   in Loop: Header=BB510_4 Depth=1
	v_mov_b32_e32 v15, 0
	v_dual_mov_b32 v16, 0 :: v_dual_mov_b32 v13, 0
	v_cmp_neq_f32_e64 s8, 0, v33
	v_mov_b32_e32 v14, 0
	s_and_b32 vcc_lo, exec_lo, s7
	s_wait_alu 0xfffe
	s_cbranch_vccnz .LBB510_7
; %bb.6:                                ;   in Loop: Header=BB510_4 Depth=1
	s_lshl_b64 s[44:45], s[10:11], 3
	s_wait_alu 0xfffe
	s_add_nc_u64 s[44:45], s[16:17], s[44:45]
	global_load_b64 v[13:14], v1, s[44:45]
	s_wait_loadcnt 0x0
	v_add_co_u32 v13, vcc_lo, v13, s18
	s_wait_alu 0xfffd
	v_add_co_ci_u32_e64 v14, null, s19, v14, vcc_lo
.LBB510_7:                              ;   in Loop: Header=BB510_4 Depth=1
	s_and_not1_b32 vcc_lo, exec_lo, s8
	s_wait_alu 0xfffe
	s_cbranch_vccnz .LBB510_9
; %bb.8:                                ;   in Loop: Header=BB510_4 Depth=1
	s_lshl_b64 s[44:45], s[10:11], 3
	s_wait_alu 0xfffe
	s_add_nc_u64 s[44:45], s[28:29], s[44:45]
	global_load_b64 v[15:16], v1, s[44:45]
	s_wait_loadcnt 0x0
	v_add_co_u32 v15, vcc_lo, v15, s30
	s_wait_alu 0xfffd
	v_add_co_ci_u32_e64 v16, null, s31, v16, vcc_lo
.LBB510_9:                              ;   in Loop: Header=BB510_4 Depth=1
	s_lshl_b64 s[44:45], s[10:11], 3
	s_wait_alu 0xfffe
	s_add_nc_u64 s[44:45], s[24:25], s[44:45]
	global_load_b64 v[17:18], v1, s[44:45]
	s_wait_loadcnt 0x0
	v_add_co_u32 v34, vcc_lo, v17, s26
	s_wait_alu 0xfffd
	v_add_co_ci_u32_e64 v35, null, s27, v18, vcc_lo
	s_and_not1_b32 vcc_lo, exec_lo, s7
	s_wait_alu 0xfffe
	s_cbranch_vccnz .LBB510_13
; %bb.10:                               ;   in Loop: Header=BB510_4 Depth=1
	s_mov_b32 s7, 0
	s_mov_b32 s8, 0
                                        ; implicit-def: $vgpr17
	s_and_saveexec_b32 s43, s39
	s_cbranch_execz .LBB510_14
; %bb.11:                               ;   in Loop: Header=BB510_4 Depth=1
	s_cmp_eq_f32 s42, 0
	s_cbranch_scc1 .LBB510_16
; %bb.12:                               ;   in Loop: Header=BB510_4 Depth=1
	v_add_co_u32 v17, vcc_lo, v34, v9
	s_wait_alu 0xfffd
	v_add_co_ci_u32_e64 v18, null, v35, v10, vcc_lo
	flat_load_b32 v17, v[17:18]
	s_wait_loadcnt_dscnt 0x0
	v_mul_f32_e32 v17, s42, v17
	s_branch .LBB510_17
.LBB510_13:                             ;   in Loop: Header=BB510_4 Depth=1
	s_mov_b32 s8, 0
                                        ; implicit-def: $vgpr17
	s_cbranch_execz .LBB510_15
	s_branch .LBB510_18
.LBB510_14:                             ;   in Loop: Header=BB510_4 Depth=1
	s_wait_alu 0xfffe
	s_or_b32 exec_lo, exec_lo, s43
	s_delay_alu instid0(SALU_CYCLE_1)
	s_and_b32 vcc_lo, exec_lo, s7
	s_wait_alu 0xfffe
	s_cbranch_vccnz .LBB510_18
.LBB510_15:                             ;   in Loop: Header=BB510_4 Depth=1
	v_dual_mov_b32 v14, v3 :: v_dual_mov_b32 v13, v2
	s_wait_alu 0xfffe
	s_and_saveexec_b32 s7, s8
	s_cbranch_execz .LBB510_2
	s_branch .LBB510_55
.LBB510_16:                             ;   in Loop: Header=BB510_4 Depth=1
	v_mov_b32_e32 v17, 0
.LBB510_17:                             ;   in Loop: Header=BB510_4 Depth=1
	s_mov_b32 s8, exec_lo
	s_wait_alu 0xfffe
	s_or_b32 exec_lo, exec_lo, s43
	s_delay_alu instid0(SALU_CYCLE_1)
	s_and_b32 vcc_lo, exec_lo, s7
	s_wait_alu 0xfffe
	s_cbranch_vccz .LBB510_15
.LBB510_18:                             ;   in Loop: Header=BB510_4 Depth=1
	v_dual_mov_b32 v36, 0 :: v_dual_mov_b32 v37, 0
	v_dual_mov_b32 v40, v26 :: v_dual_mov_b32 v39, 0
	v_mov_b32_e32 v38, 0
	s_and_saveexec_b32 s7, s4
	s_cbranch_execz .LBB510_30
; %bb.19:                               ;   in Loop: Header=BB510_4 Depth=1
	v_dual_mov_b32 v36, 0 :: v_dual_mov_b32 v41, v29
	v_dual_mov_b32 v42, v7 :: v_dual_mov_b32 v43, v6
	;; [unrolled: 1-line block ×4, first 2 shown]
	v_mov_b32_e32 v38, 0
	s_mov_b32 s43, 0
	s_mov_b32 s44, 0
	s_branch .LBB510_24
.LBB510_20:                             ;   in Loop: Header=BB510_24 Depth=2
	s_or_b32 exec_lo, exec_lo, s48
	s_wait_loadcnt_dscnt 0x303
	v_fma_mix_f32 v17, v57, v61, v38 op_sel_hi:[0,1,0]
	s_wait_loadcnt_dscnt 0x202
	s_delay_alu instid0(VALU_DEP_1) | instskip(SKIP_1) | instid1(VALU_DEP_1)
	v_fma_mix_f32 v17, v58, v62, v17 op_sel_hi:[0,1,0]
	s_wait_loadcnt_dscnt 0x101
	v_fma_mix_f32 v17, v59, v63, v17 op_sel_hi:[0,1,0]
	s_wait_loadcnt_dscnt 0x0
	s_delay_alu instid0(VALU_DEP_1)
	v_fma_mix_f32 v38, v60, v64, v17 op_sel_hi:[0,1,0]
.LBB510_21:                             ;   in Loop: Header=BB510_24 Depth=2
	s_or_b32 exec_lo, exec_lo, s47
	s_wait_loadcnt_dscnt 0x303
	v_fma_mix_f32 v17, v57, v53, v37 op_sel_hi:[0,1,0]
	s_wait_loadcnt_dscnt 0x202
	s_delay_alu instid0(VALU_DEP_1) | instskip(SKIP_1) | instid1(VALU_DEP_1)
	v_fma_mix_f32 v17, v58, v54, v17 op_sel_hi:[0,1,0]
	s_wait_loadcnt_dscnt 0x101
	v_fma_mix_f32 v17, v59, v55, v17 op_sel_hi:[0,1,0]
	s_wait_loadcnt_dscnt 0x0
	s_delay_alu instid0(VALU_DEP_1)
	v_fma_mix_f32 v37, v60, v56, v17 op_sel_hi:[0,1,0]
.LBB510_22:                             ;   in Loop: Header=BB510_24 Depth=2
	s_or_b32 exec_lo, exec_lo, s46
	s_wait_loadcnt_dscnt 0x303
	v_fma_mix_f32 v17, v45, v49, v36 op_sel_hi:[1,1,0]
	s_wait_loadcnt_dscnt 0x202
	s_delay_alu instid0(VALU_DEP_1) | instskip(SKIP_1) | instid1(VALU_DEP_1)
	v_fma_mix_f32 v17, v46, v50, v17 op_sel_hi:[1,1,0]
	s_wait_loadcnt_dscnt 0x101
	v_fma_mix_f32 v17, v47, v51, v17 op_sel_hi:[1,1,0]
	s_wait_loadcnt_dscnt 0x0
	s_delay_alu instid0(VALU_DEP_1)
	v_fma_mix_f32 v36, v48, v52, v17 op_sel_hi:[1,1,0]
.LBB510_23:                             ;   in Loop: Header=BB510_24 Depth=2
	s_wait_alu 0xfffe
	s_or_b32 exec_lo, exec_lo, s45
	v_add_nc_u32_e32 v40, 64, v40
	v_add_nc_u32_e32 v44, s40, v44
	;; [unrolled: 1-line block ×5, first 2 shown]
	v_cmp_le_i32_e32 vcc_lo, s37, v40
	s_add_co_i32 s44, s44, s41
	s_or_b32 s43, vcc_lo, s43
	s_wait_alu 0xfffe
	s_and_not1_b32 exec_lo, exec_lo, s43
	s_cbranch_execz .LBB510_29
.LBB510_24:                             ;   Parent Loop BB510_4 Depth=1
                                        ; =>  This Inner Loop Header: Depth=2
	s_and_saveexec_b32 s45, s0
	s_cbranch_execz .LBB510_23
; %bb.25:                               ;   in Loop: Header=BB510_24 Depth=2
	s_wait_alu 0xfffe
	v_add_nc_u32_e32 v17, s44, v32
	v_add_nc_u32_e32 v19, s44, v8
	;; [unrolled: 1-line block ×5, first 2 shown]
	v_ashrrev_i32_e32 v18, 31, v17
	v_ashrrev_i32_e32 v20, 31, v19
	;; [unrolled: 1-line block ×5, first 2 shown]
	v_lshlrev_b64_e32 v[17:18], 1, v[17:18]
	v_lshlrev_b64_e32 v[19:20], 1, v[19:20]
	;; [unrolled: 1-line block ×3, first 2 shown]
	s_delay_alu instid0(VALU_DEP_3) | instskip(SKIP_1) | instid1(VALU_DEP_4)
	v_add_co_u32 v47, vcc_lo, v15, v17
	s_wait_alu 0xfffd
	v_add_co_ci_u32_e64 v48, null, v16, v18, vcc_lo
	s_delay_alu instid0(VALU_DEP_4)
	v_add_co_u32 v49, vcc_lo, v15, v19
	v_add_nc_u32_e32 v19, s36, v44
	s_wait_alu 0xfffd
	v_add_co_ci_u32_e64 v50, null, v16, v20, vcc_lo
	v_lshlrev_b64_e32 v[17:18], 1, v[23:24]
	v_add_co_u32 v51, vcc_lo, v15, v21
	v_add_nc_u32_e32 v23, s36, v43
	s_wait_alu 0xfffd
	v_add_co_ci_u32_e64 v52, null, v16, v22, vcc_lo
	v_lshlrev_b64_e32 v[21:22], 1, v[45:46]
	v_add_nc_u32_e32 v45, s36, v42
	v_ashrrev_i32_e32 v20, 31, v19
	v_ashrrev_i32_e32 v24, 31, v23
	v_add_co_u32 v53, vcc_lo, v15, v17
	s_delay_alu instid0(VALU_DEP_4)
	v_ashrrev_i32_e32 v46, 31, v45
	s_wait_alu 0xfffd
	v_add_co_ci_u32_e64 v54, null, v16, v18, vcc_lo
	v_lshlrev_b64_e32 v[19:20], 1, v[19:20]
	v_add_co_u32 v17, vcc_lo, v13, v21
	s_wait_alu 0xfffd
	v_add_co_ci_u32_e64 v18, null, v14, v22, vcc_lo
	v_lshlrev_b64_e32 v[21:22], 1, v[23:24]
	v_lshlrev_b64_e32 v[23:24], 1, v[45:46]
	v_add_co_u32 v19, vcc_lo, v13, v19
	s_wait_alu 0xfffd
	v_add_co_ci_u32_e64 v20, null, v14, v20, vcc_lo
	s_delay_alu instid0(VALU_DEP_4)
	v_add_co_u32 v21, vcc_lo, v13, v21
	s_wait_alu 0xfffd
	v_add_co_ci_u32_e64 v22, null, v14, v22, vcc_lo
	v_add_co_u32 v23, vcc_lo, v13, v23
	s_wait_alu 0xfffd
	v_add_co_ci_u32_e64 v24, null, v14, v24, vcc_lo
	s_clause 0x3
	flat_load_u16 v45, v[47:48]
	flat_load_u16 v46, v[49:50]
	;; [unrolled: 1-line block ×4, first 2 shown]
	s_clause 0x3
	flat_load_u16 v49, v[17:18]
	flat_load_u16 v50, v[19:20]
	;; [unrolled: 1-line block ×4, first 2 shown]
	s_and_saveexec_b32 s46, s1
	s_cbranch_execz .LBB510_22
; %bb.26:                               ;   in Loop: Header=BB510_24 Depth=2
	s_clause 0x3
	flat_load_u16 v53, v[17:18] offset:64
	flat_load_u16 v54, v[19:20] offset:64
	;; [unrolled: 1-line block ×4, first 2 shown]
	s_wait_loadcnt_dscnt 0xb0b
	v_cvt_f32_f16_e32 v57, v45
	s_wait_loadcnt_dscnt 0xa0a
	v_cvt_f32_f16_e32 v58, v46
	;; [unrolled: 2-line block ×4, first 2 shown]
	s_and_saveexec_b32 s47, s2
	s_cbranch_execz .LBB510_21
; %bb.27:                               ;   in Loop: Header=BB510_24 Depth=2
	s_clause 0x3
	flat_load_u16 v61, v[17:18] offset:128
	flat_load_u16 v62, v[19:20] offset:128
	;; [unrolled: 1-line block ×4, first 2 shown]
	s_and_saveexec_b32 s48, s3
	s_cbranch_execz .LBB510_20
; %bb.28:                               ;   in Loop: Header=BB510_24 Depth=2
	s_clause 0x3
	flat_load_u16 v17, v[17:18] offset:192
	flat_load_u16 v18, v[19:20] offset:192
	;; [unrolled: 1-line block ×4, first 2 shown]
	s_wait_loadcnt_dscnt 0x303
	v_fma_mix_f32 v17, v57, v17, v39 op_sel_hi:[0,1,0]
	s_wait_loadcnt_dscnt 0x202
	s_delay_alu instid0(VALU_DEP_1) | instskip(SKIP_1) | instid1(VALU_DEP_1)
	v_fma_mix_f32 v17, v58, v18, v17 op_sel_hi:[0,1,0]
	s_wait_loadcnt_dscnt 0x101
	v_fma_mix_f32 v17, v59, v19, v17 op_sel_hi:[0,1,0]
	s_wait_loadcnt_dscnt 0x0
	s_delay_alu instid0(VALU_DEP_1)
	v_fma_mix_f32 v39, v60, v20, v17 op_sel_hi:[0,1,0]
	s_branch .LBB510_20
.LBB510_29:                             ;   in Loop: Header=BB510_4 Depth=1
	s_or_b32 exec_lo, exec_lo, s43
.LBB510_30:                             ;   in Loop: Header=BB510_4 Depth=1
	s_wait_alu 0xfffe
	s_or_b32 exec_lo, exec_lo, s7
	s_delay_alu instid0(SALU_CYCLE_1)
	s_and_not1_b32 vcc_lo, exec_lo, s38
	s_wait_alu 0xfffe
	s_cbranch_vccnz .LBB510_48
; %bb.31:                               ;   in Loop: Header=BB510_4 Depth=1
	v_cmp_gt_i32_e32 vcc_lo, s9, v40
	v_dual_mov_b32 v21, 0 :: v_dual_mov_b32 v22, 0
	v_or_b32_e32 v17, 1, v40
	v_dual_mov_b32 v23, 0 :: v_dual_mov_b32 v24, 0
	s_and_saveexec_b32 s43, vcc_lo
	s_cbranch_execz .LBB510_39
; %bb.32:                               ;   in Loop: Header=BB510_4 Depth=1
	v_mul_lo_u32 v18, v40, s34
	v_dual_mov_b32 v23, 0 :: v_dual_mov_b32 v22, 0
	v_mov_b32_e32 v21, 0
	s_mov_b32 s44, exec_lo
	s_delay_alu instid0(VALU_DEP_3) | instskip(NEXT) | instid1(VALU_DEP_1)
	v_ashrrev_i32_e32 v19, 31, v18
	v_lshlrev_b64_e32 v[18:19], 1, v[18:19]
	s_delay_alu instid0(VALU_DEP_1) | instskip(SKIP_1) | instid1(VALU_DEP_2)
	v_add_co_u32 v18, s7, v15, v18
	s_wait_alu 0xf1ff
	v_add_co_ci_u32_e64 v19, null, v16, v19, s7
	flat_load_u16 v18, v[18:19]
	v_cmpx_gt_i32_e64 s9, v17
	s_cbranch_execz .LBB510_38
; %bb.33:                               ;   in Loop: Header=BB510_4 Depth=1
	v_mul_lo_u32 v19, v17, s34
	v_dual_mov_b32 v22, 0 :: v_dual_mov_b32 v21, 0
	s_mov_b32 s45, exec_lo
	s_delay_alu instid0(VALU_DEP_2) | instskip(NEXT) | instid1(VALU_DEP_1)
	v_ashrrev_i32_e32 v20, 31, v19
	v_lshlrev_b64_e32 v[19:20], 1, v[19:20]
	s_delay_alu instid0(VALU_DEP_1) | instskip(SKIP_1) | instid1(VALU_DEP_2)
	v_add_co_u32 v19, s7, v15, v19
	s_wait_alu 0xf1ff
	v_add_co_ci_u32_e64 v20, null, v16, v20, s7
	flat_load_u16 v19, v[19:20]
	v_or_b32_e32 v20, 2, v40
	s_delay_alu instid0(VALU_DEP_1)
	v_cmpx_gt_i32_e64 s9, v20
	s_cbranch_execz .LBB510_37
; %bb.34:                               ;   in Loop: Header=BB510_4 Depth=1
	v_mul_lo_u32 v20, v20, s34
	v_or_b32_e32 v22, 3, v40
	s_mov_b32 s46, exec_lo
	s_delay_alu instid0(VALU_DEP_2) | instskip(NEXT) | instid1(VALU_DEP_1)
	v_ashrrev_i32_e32 v21, 31, v20
	v_lshlrev_b64_e32 v[20:21], 1, v[20:21]
	s_delay_alu instid0(VALU_DEP_1) | instskip(SKIP_1) | instid1(VALU_DEP_2)
	v_add_co_u32 v20, s7, v15, v20
	s_wait_alu 0xf1ff
	v_add_co_ci_u32_e64 v21, null, v16, v21, s7
	flat_load_u16 v20, v[20:21]
	v_mov_b32_e32 v21, 0
	v_cmpx_gt_i32_e64 s9, v22
	s_cbranch_execz .LBB510_36
; %bb.35:                               ;   in Loop: Header=BB510_4 Depth=1
	v_mul_lo_u32 v21, v22, s34
	s_delay_alu instid0(VALU_DEP_1) | instskip(NEXT) | instid1(VALU_DEP_1)
	v_ashrrev_i32_e32 v22, 31, v21
	v_lshlrev_b64_e32 v[21:22], 1, v[21:22]
	s_delay_alu instid0(VALU_DEP_1) | instskip(SKIP_1) | instid1(VALU_DEP_2)
	v_add_co_u32 v15, s7, v15, v21
	s_wait_alu 0xf1ff
	v_add_co_ci_u32_e64 v16, null, v16, v22, s7
	flat_load_u16 v15, v[15:16]
	s_wait_loadcnt_dscnt 0x0
	v_cvt_f32_f16_e32 v21, v15
.LBB510_36:                             ;   in Loop: Header=BB510_4 Depth=1
	s_or_b32 exec_lo, exec_lo, s46
	s_wait_loadcnt_dscnt 0x0
	v_cvt_f32_f16_e32 v22, v20
.LBB510_37:                             ;   in Loop: Header=BB510_4 Depth=1
	s_wait_alu 0xfffe
	s_or_b32 exec_lo, exec_lo, s45
	s_wait_loadcnt_dscnt 0x0
	v_cvt_f32_f16_e32 v23, v19
.LBB510_38:                             ;   in Loop: Header=BB510_4 Depth=1
	s_wait_alu 0xfffe
	s_or_b32 exec_lo, exec_lo, s44
	s_wait_loadcnt_dscnt 0x0
	v_cvt_f32_f16_e32 v24, v18
.LBB510_39:                             ;   in Loop: Header=BB510_4 Depth=1
	s_wait_alu 0xfffe
	s_or_b32 exec_lo, exec_lo, s43
	s_and_saveexec_b32 s7, s0
	s_cbranch_execz .LBB510_47
; %bb.40:                               ;   in Loop: Header=BB510_4 Depth=1
	v_mul_lo_u32 v16, v40, s35
	v_or_b32_e32 v15, 2, v40
	v_mul_lo_u32 v19, v17, s35
	v_or_b32_e32 v18, 3, v40
	s_delay_alu instid0(VALU_DEP_3) | instskip(NEXT) | instid1(VALU_DEP_2)
	v_mul_lo_u32 v20, v15, s35
	v_mul_lo_u32 v40, v18, s35
	v_cndmask_b32_e32 v16, 0, v16, vcc_lo
	v_cmp_gt_i32_e32 vcc_lo, s9, v17
	s_wait_alu 0xfffd
	v_cndmask_b32_e32 v17, 0, v19, vcc_lo
	v_cmp_gt_i32_e32 vcc_lo, s9, v15
	v_add_nc_u32_e32 v15, v16, v25
	s_delay_alu instid0(VALU_DEP_3)
	v_add_nc_u32_e32 v17, v17, v25
	s_wait_alu 0xfffd
	v_cndmask_b32_e32 v19, 0, v20, vcc_lo
	v_cmp_gt_i32_e32 vcc_lo, s9, v18
	v_ashrrev_i32_e32 v16, 31, v15
	s_wait_alu 0xfffd
	v_cndmask_b32_e32 v18, 0, v40, vcc_lo
	s_delay_alu instid0(VALU_DEP_2) | instskip(NEXT) | instid1(VALU_DEP_2)
	v_lshlrev_b64_e32 v[15:16], 1, v[15:16]
	v_add_nc_u32_e32 v40, v18, v25
	v_add_nc_u32_e32 v19, v19, v25
	v_ashrrev_i32_e32 v18, 31, v17
	s_delay_alu instid0(VALU_DEP_4) | instskip(NEXT) | instid1(VALU_DEP_4)
	v_add_co_u32 v15, vcc_lo, v13, v15
	v_ashrrev_i32_e32 v41, 31, v40
	s_delay_alu instid0(VALU_DEP_4) | instskip(NEXT) | instid1(VALU_DEP_4)
	v_ashrrev_i32_e32 v20, 31, v19
	v_lshlrev_b64_e32 v[17:18], 1, v[17:18]
	s_wait_alu 0xfffd
	v_add_co_ci_u32_e64 v16, null, v14, v16, vcc_lo
	v_lshlrev_b64_e32 v[40:41], 1, v[40:41]
	v_lshlrev_b64_e32 v[19:20], 1, v[19:20]
	s_delay_alu instid0(VALU_DEP_4) | instskip(SKIP_2) | instid1(VALU_DEP_3)
	v_add_co_u32 v17, vcc_lo, v13, v17
	s_wait_alu 0xfffd
	v_add_co_ci_u32_e64 v18, null, v14, v18, vcc_lo
	v_add_co_u32 v19, vcc_lo, v13, v19
	s_wait_alu 0xfffd
	v_add_co_ci_u32_e64 v20, null, v14, v20, vcc_lo
	;; [unrolled: 3-line block ×3, first 2 shown]
	s_clause 0x3
	flat_load_u16 v40, v[15:16]
	flat_load_u16 v41, v[17:18]
	;; [unrolled: 1-line block ×4, first 2 shown]
	s_and_saveexec_b32 s43, s1
	s_cbranch_execz .LBB510_46
; %bb.41:                               ;   in Loop: Header=BB510_4 Depth=1
	s_clause 0x3
	flat_load_u16 v44, v[15:16] offset:64
	flat_load_u16 v45, v[17:18] offset:64
	flat_load_u16 v46, v[19:20] offset:64
	flat_load_u16 v47, v[13:14] offset:64
	s_and_saveexec_b32 s44, s2
	s_cbranch_execz .LBB510_45
; %bb.42:                               ;   in Loop: Header=BB510_4 Depth=1
	s_clause 0x3
	flat_load_u16 v48, v[15:16] offset:128
	flat_load_u16 v49, v[17:18] offset:128
	flat_load_u16 v50, v[19:20] offset:128
	flat_load_u16 v51, v[13:14] offset:128
	;; [unrolled: 8-line block ×3, first 2 shown]
	s_wait_loadcnt_dscnt 0x303
	v_fma_mix_f32 v14, v24, v15, v39 op_sel_hi:[0,1,0]
	s_wait_loadcnt_dscnt 0x202
	s_delay_alu instid0(VALU_DEP_1) | instskip(SKIP_1) | instid1(VALU_DEP_1)
	v_fma_mix_f32 v14, v23, v16, v14 op_sel_hi:[0,1,0]
	s_wait_loadcnt_dscnt 0x101
	v_fma_mix_f32 v14, v22, v17, v14 op_sel_hi:[0,1,0]
	s_wait_loadcnt_dscnt 0x0
	s_delay_alu instid0(VALU_DEP_1)
	v_fma_mix_f32 v39, v21, v13, v14 op_sel_hi:[0,1,0]
.LBB510_44:                             ;   in Loop: Header=BB510_4 Depth=1
	s_wait_alu 0xfffe
	s_or_b32 exec_lo, exec_lo, s45
	s_wait_loadcnt_dscnt 0x303
	v_fma_mix_f32 v13, v24, v48, v38 op_sel_hi:[0,1,0]
	s_wait_loadcnt_dscnt 0x202
	s_delay_alu instid0(VALU_DEP_1) | instskip(SKIP_1) | instid1(VALU_DEP_1)
	v_fma_mix_f32 v13, v23, v49, v13 op_sel_hi:[0,1,0]
	s_wait_loadcnt_dscnt 0x101
	v_fma_mix_f32 v13, v22, v50, v13 op_sel_hi:[0,1,0]
	s_wait_loadcnt_dscnt 0x0
	s_delay_alu instid0(VALU_DEP_1)
	v_fma_mix_f32 v38, v21, v51, v13 op_sel_hi:[0,1,0]
.LBB510_45:                             ;   in Loop: Header=BB510_4 Depth=1
	s_wait_alu 0xfffe
	s_or_b32 exec_lo, exec_lo, s44
	s_wait_loadcnt_dscnt 0x303
	v_fma_mix_f32 v13, v24, v44, v37 op_sel_hi:[0,1,0]
	s_wait_loadcnt_dscnt 0x202
	s_delay_alu instid0(VALU_DEP_1) | instskip(SKIP_1) | instid1(VALU_DEP_1)
	v_fma_mix_f32 v13, v23, v45, v13 op_sel_hi:[0,1,0]
	s_wait_loadcnt_dscnt 0x101
	v_fma_mix_f32 v13, v22, v46, v13 op_sel_hi:[0,1,0]
	s_wait_loadcnt_dscnt 0x0
	s_delay_alu instid0(VALU_DEP_1)
	v_fma_mix_f32 v37, v21, v47, v13 op_sel_hi:[0,1,0]
.LBB510_46:                             ;   in Loop: Header=BB510_4 Depth=1
	s_wait_alu 0xfffe
	s_or_b32 exec_lo, exec_lo, s43
	s_wait_loadcnt_dscnt 0x303
	v_fma_mix_f32 v13, v24, v40, v36 op_sel_hi:[0,1,0]
	s_wait_loadcnt_dscnt 0x202
	s_delay_alu instid0(VALU_DEP_1) | instskip(SKIP_1) | instid1(VALU_DEP_1)
	v_fma_mix_f32 v13, v23, v41, v13 op_sel_hi:[0,1,0]
	s_wait_loadcnt_dscnt 0x101
	v_fma_mix_f32 v13, v22, v42, v13 op_sel_hi:[0,1,0]
	s_wait_loadcnt_dscnt 0x0
	s_delay_alu instid0(VALU_DEP_1)
	v_fma_mix_f32 v36, v21, v43, v13 op_sel_hi:[0,1,0]
.LBB510_47:                             ;   in Loop: Header=BB510_4 Depth=1
	s_wait_alu 0xfffe
	s_or_b32 exec_lo, exec_lo, s7
.LBB510_48:                             ;   in Loop: Header=BB510_4 Depth=1
	ds_store_2addr_b32 v0, v36, v37 offset1:32
	ds_store_2addr_b32 v0, v38, v39 offset0:64 offset1:96
	s_wait_dscnt 0x0
	s_barrier_signal -1
	s_barrier_wait -1
	global_inv scope:SCOPE_SE
                                        ; implicit-def: $vgpr17
	s_and_saveexec_b32 s7, s5
	s_cbranch_execz .LBB510_54
; %bb.49:                               ;   in Loop: Header=BB510_4 Depth=1
	ds_load_2addr_stride64_b32 v[13:14], v27 offset1:2
	ds_load_2addr_stride64_b32 v[15:16], v27 offset0:4 offset1:6
	ds_load_2addr_stride64_b32 v[17:18], v27 offset0:8 offset1:10
	s_mov_b32 s44, s8
	s_wait_dscnt 0x2
	v_add_f32_e32 v19, v13, v14
	ds_load_2addr_stride64_b32 v[13:14], v27 offset0:12 offset1:14
	s_wait_dscnt 0x2
	v_add_f32_e32 v15, v15, v19
	s_delay_alu instid0(VALU_DEP_1) | instskip(SKIP_3) | instid1(VALU_DEP_1)
	v_add_f32_e32 v19, v16, v15
	ds_load_2addr_stride64_b32 v[15:16], v27 offset0:16 offset1:18
	s_wait_dscnt 0x2
	v_add_f32_e32 v17, v17, v19
	v_add_f32_e32 v19, v18, v17
	ds_load_2addr_stride64_b32 v[17:18], v27 offset0:20 offset1:22
	s_wait_dscnt 0x2
	v_add_f32_e32 v13, v13, v19
	s_delay_alu instid0(VALU_DEP_1) | instskip(SKIP_1) | instid1(VALU_DEP_1)
	v_add_f32_e32 v13, v14, v13
	s_wait_dscnt 0x1
	v_add_f32_e32 v15, v15, v13
	ds_load_2addr_stride64_b32 v[13:14], v27 offset0:24 offset1:26
	v_add_f32_e32 v15, v16, v15
	s_wait_dscnt 0x1
	s_delay_alu instid0(VALU_DEP_1) | instskip(SKIP_3) | instid1(VALU_DEP_1)
	v_add_f32_e32 v17, v17, v15
	ds_load_2addr_stride64_b32 v[15:16], v27 offset0:28 offset1:30
	v_add_f32_e32 v17, v18, v17
	s_wait_dscnt 0x1
	v_add_f32_e32 v13, v13, v17
                                        ; implicit-def: $vgpr17
	s_delay_alu instid0(VALU_DEP_1) | instskip(SKIP_1) | instid1(VALU_DEP_1)
	v_add_f32_e32 v13, v14, v13
	s_wait_dscnt 0x0
	v_add_f32_e32 v13, v15, v13
	s_delay_alu instid0(VALU_DEP_1)
	v_add_f32_e32 v13, v16, v13
	ds_store_b32 v27, v13
	s_and_saveexec_b32 s43, s6
	s_cbranch_execz .LBB510_53
; %bb.50:                               ;   in Loop: Header=BB510_4 Depth=1
	v_mul_f32_e32 v17, v33, v13
	s_cmp_eq_f32 s42, 0
	s_cbranch_scc1 .LBB510_52
; %bb.51:                               ;   in Loop: Header=BB510_4 Depth=1
	v_add_co_u32 v13, vcc_lo, v34, v11
	s_wait_alu 0xfffd
	v_add_co_ci_u32_e64 v14, null, v35, v12, vcc_lo
	flat_load_b32 v13, v[13:14]
	s_wait_loadcnt_dscnt 0x0
	v_fmac_f32_e32 v17, s42, v13
.LBB510_52:                             ;   in Loop: Header=BB510_4 Depth=1
	s_or_b32 s44, s8, exec_lo
.LBB510_53:                             ;   in Loop: Header=BB510_4 Depth=1
	s_wait_alu 0xfffe
	s_or_b32 exec_lo, exec_lo, s43
	s_delay_alu instid0(SALU_CYCLE_1)
	s_and_not1_b32 s8, s8, exec_lo
	s_and_b32 s42, s44, exec_lo
	s_wait_alu 0xfffe
	s_or_b32 s8, s8, s42
.LBB510_54:                             ;   in Loop: Header=BB510_4 Depth=1
	s_wait_alu 0xfffe
	s_or_b32 exec_lo, exec_lo, s7
	v_dual_mov_b32 v14, v5 :: v_dual_mov_b32 v13, v4
	s_and_saveexec_b32 s7, s8
	s_cbranch_execz .LBB510_2
.LBB510_55:                             ;   in Loop: Header=BB510_4 Depth=1
	s_delay_alu instid0(VALU_DEP_1) | instskip(NEXT) | instid1(VALU_DEP_1)
	v_lshlrev_b64_e32 v[13:14], 2, v[13:14]
	v_add_co_u32 v13, vcc_lo, v34, v13
	s_wait_alu 0xfffd
	s_delay_alu instid0(VALU_DEP_2)
	v_add_co_ci_u32_e64 v14, null, v35, v14, vcc_lo
	flat_store_b32 v[13:14], v17
	s_branch .LBB510_2
.LBB510_56:
	s_endpgm
	.section	.rodata,"a",@progbits
	.p2align	6, 0x0
	.amdhsa_kernel _ZL20rocblas_gemvn_kernelILi32ELi16EiPKDF16_PKfKPfEviiT3_lPKT2_lT1_lS9_lSA_lS6_lPT4_lSA_li
		.amdhsa_group_segment_fixed_size 8192
		.amdhsa_private_segment_fixed_size 0
		.amdhsa_kernarg_size 400
		.amdhsa_user_sgpr_count 2
		.amdhsa_user_sgpr_dispatch_ptr 0
		.amdhsa_user_sgpr_queue_ptr 0
		.amdhsa_user_sgpr_kernarg_segment_ptr 1
		.amdhsa_user_sgpr_dispatch_id 0
		.amdhsa_user_sgpr_private_segment_size 0
		.amdhsa_wavefront_size32 1
		.amdhsa_uses_dynamic_stack 0
		.amdhsa_enable_private_segment 0
		.amdhsa_system_sgpr_workgroup_id_x 1
		.amdhsa_system_sgpr_workgroup_id_y 0
		.amdhsa_system_sgpr_workgroup_id_z 1
		.amdhsa_system_sgpr_workgroup_info 0
		.amdhsa_system_vgpr_workitem_id 1
		.amdhsa_next_free_vgpr 65
		.amdhsa_next_free_sgpr 49
		.amdhsa_reserve_vcc 1
		.amdhsa_float_round_mode_32 0
		.amdhsa_float_round_mode_16_64 0
		.amdhsa_float_denorm_mode_32 3
		.amdhsa_float_denorm_mode_16_64 3
		.amdhsa_fp16_overflow 0
		.amdhsa_workgroup_processor_mode 1
		.amdhsa_memory_ordered 1
		.amdhsa_forward_progress 1
		.amdhsa_inst_pref_size 28
		.amdhsa_round_robin_scheduling 0
		.amdhsa_exception_fp_ieee_invalid_op 0
		.amdhsa_exception_fp_denorm_src 0
		.amdhsa_exception_fp_ieee_div_zero 0
		.amdhsa_exception_fp_ieee_overflow 0
		.amdhsa_exception_fp_ieee_underflow 0
		.amdhsa_exception_fp_ieee_inexact 0
		.amdhsa_exception_int_div_zero 0
	.end_amdhsa_kernel
	.section	.text._ZL20rocblas_gemvn_kernelILi32ELi16EiPKDF16_PKfKPfEviiT3_lPKT2_lT1_lS9_lSA_lS6_lPT4_lSA_li,"axG",@progbits,_ZL20rocblas_gemvn_kernelILi32ELi16EiPKDF16_PKfKPfEviiT3_lPKT2_lT1_lS9_lSA_lS6_lPT4_lSA_li,comdat
.Lfunc_end510:
	.size	_ZL20rocblas_gemvn_kernelILi32ELi16EiPKDF16_PKfKPfEviiT3_lPKT2_lT1_lS9_lSA_lS6_lPT4_lSA_li, .Lfunc_end510-_ZL20rocblas_gemvn_kernelILi32ELi16EiPKDF16_PKfKPfEviiT3_lPKT2_lT1_lS9_lSA_lS6_lPT4_lSA_li
                                        ; -- End function
	.set _ZL20rocblas_gemvn_kernelILi32ELi16EiPKDF16_PKfKPfEviiT3_lPKT2_lT1_lS9_lSA_lS6_lPT4_lSA_li.num_vgpr, 65
	.set _ZL20rocblas_gemvn_kernelILi32ELi16EiPKDF16_PKfKPfEviiT3_lPKT2_lT1_lS9_lSA_lS6_lPT4_lSA_li.num_agpr, 0
	.set _ZL20rocblas_gemvn_kernelILi32ELi16EiPKDF16_PKfKPfEviiT3_lPKT2_lT1_lS9_lSA_lS6_lPT4_lSA_li.numbered_sgpr, 49
	.set _ZL20rocblas_gemvn_kernelILi32ELi16EiPKDF16_PKfKPfEviiT3_lPKT2_lT1_lS9_lSA_lS6_lPT4_lSA_li.num_named_barrier, 0
	.set _ZL20rocblas_gemvn_kernelILi32ELi16EiPKDF16_PKfKPfEviiT3_lPKT2_lT1_lS9_lSA_lS6_lPT4_lSA_li.private_seg_size, 0
	.set _ZL20rocblas_gemvn_kernelILi32ELi16EiPKDF16_PKfKPfEviiT3_lPKT2_lT1_lS9_lSA_lS6_lPT4_lSA_li.uses_vcc, 1
	.set _ZL20rocblas_gemvn_kernelILi32ELi16EiPKDF16_PKfKPfEviiT3_lPKT2_lT1_lS9_lSA_lS6_lPT4_lSA_li.uses_flat_scratch, 1
	.set _ZL20rocblas_gemvn_kernelILi32ELi16EiPKDF16_PKfKPfEviiT3_lPKT2_lT1_lS9_lSA_lS6_lPT4_lSA_li.has_dyn_sized_stack, 0
	.set _ZL20rocblas_gemvn_kernelILi32ELi16EiPKDF16_PKfKPfEviiT3_lPKT2_lT1_lS9_lSA_lS6_lPT4_lSA_li.has_recursion, 0
	.set _ZL20rocblas_gemvn_kernelILi32ELi16EiPKDF16_PKfKPfEviiT3_lPKT2_lT1_lS9_lSA_lS6_lPT4_lSA_li.has_indirect_call, 0
	.section	.AMDGPU.csdata,"",@progbits
; Kernel info:
; codeLenInByte = 3556
; TotalNumSgprs: 51
; NumVgprs: 65
; ScratchSize: 0
; MemoryBound: 0
; FloatMode: 240
; IeeeMode: 1
; LDSByteSize: 8192 bytes/workgroup (compile time only)
; SGPRBlocks: 0
; VGPRBlocks: 8
; NumSGPRsForWavesPerEU: 51
; NumVGPRsForWavesPerEU: 65
; Occupancy: 16
; WaveLimiterHint : 1
; COMPUTE_PGM_RSRC2:SCRATCH_EN: 0
; COMPUTE_PGM_RSRC2:USER_SGPR: 2
; COMPUTE_PGM_RSRC2:TRAP_HANDLER: 0
; COMPUTE_PGM_RSRC2:TGID_X_EN: 1
; COMPUTE_PGM_RSRC2:TGID_Y_EN: 0
; COMPUTE_PGM_RSRC2:TGID_Z_EN: 1
; COMPUTE_PGM_RSRC2:TIDIG_COMP_CNT: 1
	.section	.text._ZL20rocblas_gemvn_kernelILi32ELi16ElPKDF16_PKfKPfEviiT3_lPKT2_lT1_lS9_lSA_lS6_lPT4_lSA_li,"axG",@progbits,_ZL20rocblas_gemvn_kernelILi32ELi16ElPKDF16_PKfKPfEviiT3_lPKT2_lT1_lS9_lSA_lS6_lPT4_lSA_li,comdat
	.globl	_ZL20rocblas_gemvn_kernelILi32ELi16ElPKDF16_PKfKPfEviiT3_lPKT2_lT1_lS9_lSA_lS6_lPT4_lSA_li ; -- Begin function _ZL20rocblas_gemvn_kernelILi32ELi16ElPKDF16_PKfKPfEviiT3_lPKT2_lT1_lS9_lSA_lS6_lPT4_lSA_li
	.p2align	8
	.type	_ZL20rocblas_gemvn_kernelILi32ELi16ElPKDF16_PKfKPfEviiT3_lPKT2_lT1_lS9_lSA_lS6_lPT4_lSA_li,@function
_ZL20rocblas_gemvn_kernelILi32ELi16ElPKDF16_PKfKPfEviiT3_lPKT2_lT1_lS9_lSA_lS6_lPT4_lSA_li: ; @_ZL20rocblas_gemvn_kernelILi32ELi16ElPKDF16_PKfKPfEviiT3_lPKT2_lT1_lS9_lSA_lS6_lPT4_lSA_li
; %bb.0:
	s_clause 0x1
	s_load_b64 s[2:3], s[0:1], 0x9c
	s_load_b32 s33, s[0:1], 0x88
	s_lshr_b32 s10, ttmp7, 16
	s_wait_kmcnt 0x0
	s_lshr_b32 s4, s2, 16
	s_and_b32 s2, s2, 0xffff
	s_and_b32 s3, s3, 0xffff
	s_mul_i32 s2, s4, s2
	s_delay_alu instid0(SALU_CYCLE_1) | instskip(NEXT) | instid1(SALU_CYCLE_1)
	s_mul_i32 s2, s2, s3
	s_cmp_lg_u32 s2, 0x200
	s_cselect_b32 s2, -1, 0
	s_cmp_ge_u32 s10, s33
	s_cselect_b32 s3, -1, 0
	s_delay_alu instid0(SALU_CYCLE_1) | instskip(NEXT) | instid1(SALU_CYCLE_1)
	s_or_b32 s2, s2, s3
	s_and_b32 vcc_lo, exec_lo, s2
	s_cbranch_vccnz .LBB511_56
; %bb.1:
	s_clause 0x6
	s_load_b64 s[6:7], s[0:1], 0x78
	s_load_b64 s[8:9], s[0:1], 0x0
	s_load_b256 s[12:19], s[0:1], 0x8
	s_load_b64 s[34:35], s[0:1], 0x28
	s_load_b128 s[28:31], s[0:1], 0x38
	s_load_b64 s[36:37], s[0:1], 0x48
	s_load_b256 s[20:27], s[0:1], 0x58
	v_dual_mov_b32 v1, 0 :: v_dual_and_b32 v2, 0x3ff, v0
	s_lshl_b32 s38, ttmp9, 7
	v_bfe_u32 v26, v0, 10, 10
	s_mov_b32 s11, 0
	s_delay_alu instid0(VALU_DEP_2) | instskip(SKIP_1) | instid1(VALU_DEP_3)
	v_add_nc_u32_e32 v8, s38, v2
	v_lshlrev_b32_e32 v16, 2, v2
	v_lshlrev_b32_e32 v40, 2, v26
	v_lshl_add_u32 v5, v26, 5, v2
	s_delay_alu instid0(VALU_DEP_4)
	v_add_nc_u32_e32 v6, 64, v8
	v_add_nc_u32_e32 v7, 0x60, v8
	v_lshl_add_u32 v41, v26, 7, v16
	v_or_b32_e32 v19, 3, v40
	v_add_nc_u32_e32 v0, s38, v5
	v_or_b32_e32 v17, s38, v5
	s_wait_kmcnt 0x0
	s_ashr_i32 s2, s9, 31
	v_mad_co_u64_u32 v[10:11], null, s34, v19, 0
	s_lshr_b32 s3, s2, 26
	v_cmp_gt_i32_e64 s2, s8, v6
	s_add_co_i32 s42, s9, s3
	v_cmp_gt_i32_e64 s3, s8, v7
	v_mad_co_u64_u32 v[6:7], null, s36, v26, 0
	v_mad_co_u64_u32 v[12:13], null, s36, v19, 0
	;; [unrolled: 1-line block ×3, first 2 shown]
	s_ashr_i32 s5, s8, 31
	s_mov_b32 s4, s8
	v_mad_co_u64_u32 v[14:15], null, s37, v26, v[7:8]
	s_and_not1_b32 s42, s42, 63
	v_cmp_gt_i64_e32 vcc_lo, s[4:5], v[0:1]
	s_sub_co_i32 s39, s9, s42
	v_cmp_gt_u32_e64 s5, 0x80, v5
	v_mul_lo_u32 v18, s7, v17
	s_wait_alu 0xfffe
	s_cmp_gt_i32 s39, 0
	v_mov_b32_e32 v7, v14
	v_mad_co_u64_u32 v[14:15], null, s35, v19, v[11:12]
	s_cselect_b32 s43, -1, 0
	s_ashr_i32 s38, s38, 31
	v_ashrrev_i32_e32 v9, 31, v8
	v_cmp_gt_i32_e64 s0, s8, v8
	v_lshlrev_b64_e32 v[6:7], 3, v[6:7]
	s_and_b32 s44, s5, vcc_lo
	v_mov_b32_e32 v11, v14
	v_mad_co_u64_u32 v[22:23], null, s36, v40, s[36:37]
	v_add_nc_u32_e32 v4, 32, v8
	v_or_b32_e32 v29, 2, v40
	v_mad_co_u64_u32 v[24:25], null, s34, v40, s[34:35]
	v_lshlrev_b64_e32 v[8:9], 1, v[8:9]
	s_delay_alu instid0(VALU_DEP_4)
	v_cmp_gt_i32_e64 s1, s8, v4
	v_mad_co_u64_u32 v[3:4], null, s7, v0, v[3:4]
	v_mad_co_u64_u32 v[4:5], null, s6, v17, 0
	s_wait_alu 0xfffe
	s_mul_i32 s7, s6, s38
	v_lshl_add_u32 v0, v26, 9, v16
	v_mad_co_u64_u32 v[15:16], null, s37, v19, v[13:14]
	v_cmp_gt_i32_e64 s6, s8, v17
	v_mad_co_u64_u32 v[16:17], null, s34, v26, 0
	s_wait_alu 0xfffe
	v_add3_u32 v5, v5, s7, v18
	v_mad_co_u64_u32 v[18:19], null, s34, v29, 0
	v_mad_co_u64_u32 v[20:21], null, s36, v29, 0
	s_delay_alu instid0(VALU_DEP_4) | instskip(SKIP_3) | instid1(VALU_DEP_4)
	v_dual_mov_b32 v13, v15 :: v_dual_mov_b32 v14, v17
	v_mov_b32_e32 v17, v25
	v_lshlrev_b64_e32 v[10:11], 1, v[10:11]
	v_mov_b32_e32 v15, v19
	v_lshlrev_b64_e32 v[12:13], 1, v[12:13]
	v_cmp_gt_i32_e64 s4, s42, v40
	s_lshl_b64 s[38:39], s[36:37], 7
	s_lshl_b64 s[40:41], s[34:35], 7
	v_mad_co_u64_u32 v[26:27], null, s35, v26, v[14:15]
	v_mov_b32_e32 v14, v21
	v_mad_co_u64_u32 v[27:28], null, s35, v29, v[15:16]
	v_mov_b32_e32 v15, v23
	s_lshl_b64 s[18:19], s[18:19], 1
	s_lshl_b64 s[30:31], s[30:31], 1
	;; [unrolled: 1-line block ×3, first 2 shown]
	s_delay_alu instid0(VALU_DEP_1)
	v_mad_co_u64_u32 v[28:29], null, s37, v29, v[14:15]
	v_mad_co_u64_u32 v[14:15], null, s37, v40, v[15:16]
	;; [unrolled: 1-line block ×3, first 2 shown]
	v_mov_b32_e32 v17, v26
	v_mov_b32_e32 v19, v27
	;; [unrolled: 1-line block ×4, first 2 shown]
	s_delay_alu instid0(VALU_DEP_4) | instskip(SKIP_4) | instid1(VALU_DEP_4)
	v_lshlrev_b64_e32 v[14:15], 3, v[16:17]
	v_mov_b32_e32 v25, v29
	v_lshlrev_b64_e32 v[16:17], 1, v[18:19]
	v_lshlrev_b64_e32 v[18:19], 1, v[20:21]
	;; [unrolled: 1-line block ×5, first 2 shown]
	s_branch .LBB511_4
.LBB511_2:                              ;   in Loop: Header=BB511_4 Depth=1
	s_wait_alu 0xfffe
	s_or_b32 exec_lo, exec_lo, s7
.LBB511_3:                              ;   in Loop: Header=BB511_4 Depth=1
	s_add_co_i32 s10, s10, 0x10000
	s_delay_alu instid0(SALU_CYCLE_1)
	s_cmp_lt_u32 s10, s33
	s_cbranch_scc0 .LBB511_56
.LBB511_4:                              ; =>This Loop Header: Depth=1
                                        ;     Child Loop BB511_24 Depth 2
	s_mul_u64 s[46:47], s[14:15], s[10:11]
	s_mul_u64 s[48:49], s[22:23], s[10:11]
	s_lshl_b64 s[46:47], s[46:47], 2
	s_lshl_b64 s[48:49], s[48:49], 2
	s_add_nc_u64 s[46:47], s[12:13], s[46:47]
	s_add_nc_u64 s[48:49], s[20:21], s[48:49]
	s_clause 0x1
	global_load_b32 v42, v1, s[46:47]
	global_load_b32 v26, v1, s[48:49]
	s_wait_loadcnt 0x1
	v_cmp_eq_f32_e64 s7, 0, v42
	s_wait_loadcnt 0x0
	v_cmp_eq_f32_e32 vcc_lo, 1.0, v26
	v_readfirstlane_b32 s45, v26
	s_and_b32 s8, s7, vcc_lo
	s_wait_alu 0xfffe
	s_and_b32 vcc_lo, exec_lo, s8
	s_wait_alu 0xfffe
	s_cbranch_vccnz .LBB511_3
; %bb.5:                                ;   in Loop: Header=BB511_4 Depth=1
	v_mov_b32_e32 v28, 0
	v_dual_mov_b32 v29, 0 :: v_dual_mov_b32 v26, 0
	v_cmp_neq_f32_e64 s8, 0, v42
	v_mov_b32_e32 v27, 0
	s_and_b32 vcc_lo, exec_lo, s7
	s_wait_alu 0xfffe
	s_cbranch_vccnz .LBB511_7
; %bb.6:                                ;   in Loop: Header=BB511_4 Depth=1
	s_lshl_b64 s[46:47], s[10:11], 3
	s_delay_alu instid0(SALU_CYCLE_1)
	s_add_nc_u64 s[46:47], s[16:17], s[46:47]
	global_load_b64 v[26:27], v1, s[46:47]
	s_wait_loadcnt 0x0
	v_add_co_u32 v26, vcc_lo, v26, s18
	s_wait_alu 0xfffd
	v_add_co_ci_u32_e64 v27, null, s19, v27, vcc_lo
.LBB511_7:                              ;   in Loop: Header=BB511_4 Depth=1
	s_and_not1_b32 vcc_lo, exec_lo, s8
	s_wait_alu 0xfffe
	s_cbranch_vccnz .LBB511_9
; %bb.8:                                ;   in Loop: Header=BB511_4 Depth=1
	s_lshl_b64 s[46:47], s[10:11], 3
	s_delay_alu instid0(SALU_CYCLE_1)
	s_add_nc_u64 s[46:47], s[28:29], s[46:47]
	global_load_b64 v[28:29], v1, s[46:47]
	s_wait_loadcnt 0x0
	v_add_co_u32 v28, vcc_lo, v28, s30
	s_wait_alu 0xfffd
	v_add_co_ci_u32_e64 v29, null, s31, v29, vcc_lo
.LBB511_9:                              ;   in Loop: Header=BB511_4 Depth=1
	s_lshl_b64 s[46:47], s[10:11], 3
	s_delay_alu instid0(SALU_CYCLE_1)
	s_add_nc_u64 s[46:47], s[24:25], s[46:47]
	global_load_b64 v[30:31], v1, s[46:47]
	s_wait_loadcnt 0x0
	v_add_co_u32 v43, vcc_lo, v30, s26
	s_wait_alu 0xfffd
	v_add_co_ci_u32_e64 v44, null, s27, v31, vcc_lo
	s_and_not1_b32 vcc_lo, exec_lo, s7
	s_wait_alu 0xfffe
	s_cbranch_vccnz .LBB511_13
; %bb.10:                               ;   in Loop: Header=BB511_4 Depth=1
	s_mov_b32 s7, 0
	s_mov_b32 s8, 0
                                        ; implicit-def: $vgpr30
	s_and_saveexec_b32 s46, s44
	s_cbranch_execz .LBB511_14
; %bb.11:                               ;   in Loop: Header=BB511_4 Depth=1
	s_cmp_eq_f32 s45, 0
	s_cbranch_scc1 .LBB511_16
; %bb.12:                               ;   in Loop: Header=BB511_4 Depth=1
	v_add_co_u32 v30, vcc_lo, v43, v24
	s_wait_alu 0xfffd
	v_add_co_ci_u32_e64 v31, null, v44, v25, vcc_lo
	flat_load_b32 v30, v[30:31]
	s_wait_loadcnt_dscnt 0x0
	v_mul_f32_e32 v30, s45, v30
	s_branch .LBB511_17
.LBB511_13:                             ;   in Loop: Header=BB511_4 Depth=1
	s_mov_b32 s8, 0
                                        ; implicit-def: $vgpr30
	s_cbranch_execz .LBB511_15
	s_branch .LBB511_18
.LBB511_14:                             ;   in Loop: Header=BB511_4 Depth=1
	s_or_b32 exec_lo, exec_lo, s46
	s_wait_alu 0xfffe
	s_and_b32 vcc_lo, exec_lo, s7
	s_wait_alu 0xfffe
	s_cbranch_vccnz .LBB511_18
.LBB511_15:                             ;   in Loop: Header=BB511_4 Depth=1
	v_dual_mov_b32 v27, v3 :: v_dual_mov_b32 v26, v2
	s_wait_alu 0xfffe
	s_and_saveexec_b32 s7, s8
	s_cbranch_execz .LBB511_2
	s_branch .LBB511_55
.LBB511_16:                             ;   in Loop: Header=BB511_4 Depth=1
	v_mov_b32_e32 v30, 0
.LBB511_17:                             ;   in Loop: Header=BB511_4 Depth=1
	s_mov_b32 s8, exec_lo
	s_or_b32 exec_lo, exec_lo, s46
	s_wait_alu 0xfffe
	s_and_b32 vcc_lo, exec_lo, s7
	s_wait_alu 0xfffe
	s_cbranch_vccz .LBB511_15
.LBB511_18:                             ;   in Loop: Header=BB511_4 Depth=1
	v_dual_mov_b32 v45, 0 :: v_dual_mov_b32 v46, 0
	v_dual_mov_b32 v49, v40 :: v_dual_mov_b32 v48, 0
	v_mov_b32_e32 v47, 0
	s_and_saveexec_b32 s46, s4
	s_cbranch_execz .LBB511_30
; %bb.19:                               ;   in Loop: Header=BB511_4 Depth=1
	v_add_co_u32 v50, vcc_lo, v26, v10
	s_wait_alu 0xfffd
	v_add_co_ci_u32_e64 v51, null, v27, v11, vcc_lo
	v_add_co_u32 v52, vcc_lo, v26, v14
	s_wait_alu 0xfffd
	v_add_co_ci_u32_e64 v53, null, v27, v15, vcc_lo
	;; [unrolled: 3-line block ×3, first 2 shown]
	v_add_co_u32 v56, vcc_lo, v26, v22
	v_dual_mov_b32 v31, v29 :: v_dual_mov_b32 v46, 0
	s_wait_alu 0xfffd
	v_add_co_ci_u32_e64 v57, null, v27, v23, vcc_lo
	v_dual_mov_b32 v45, 0 :: v_dual_mov_b32 v30, v28
	v_dual_mov_b32 v49, v40 :: v_dual_mov_b32 v48, 0
	v_mov_b32_e32 v47, 0
	s_mov_b32 s47, 0
	s_branch .LBB511_24
.LBB511_20:                             ;   in Loop: Header=BB511_24 Depth=2
	s_or_b32 exec_lo, exec_lo, s50
	s_wait_loadcnt_dscnt 0x303
	v_fma_mix_f32 v32, v70, v74, v47 op_sel_hi:[0,1,0]
	s_wait_loadcnt_dscnt 0x202
	s_delay_alu instid0(VALU_DEP_1) | instskip(SKIP_1) | instid1(VALU_DEP_1)
	v_fma_mix_f32 v32, v71, v75, v32 op_sel_hi:[0,1,0]
	s_wait_loadcnt_dscnt 0x101
	v_fma_mix_f32 v32, v72, v76, v32 op_sel_hi:[0,1,0]
	s_wait_loadcnt_dscnt 0x0
	s_delay_alu instid0(VALU_DEP_1)
	v_fma_mix_f32 v47, v73, v77, v32 op_sel_hi:[0,1,0]
.LBB511_21:                             ;   in Loop: Header=BB511_24 Depth=2
	s_or_b32 exec_lo, exec_lo, s49
	s_wait_loadcnt_dscnt 0x303
	v_fma_mix_f32 v32, v70, v66, v46 op_sel_hi:[0,1,0]
	s_wait_loadcnt_dscnt 0x202
	s_delay_alu instid0(VALU_DEP_1) | instskip(SKIP_1) | instid1(VALU_DEP_1)
	v_fma_mix_f32 v32, v71, v67, v32 op_sel_hi:[0,1,0]
	s_wait_loadcnt_dscnt 0x101
	v_fma_mix_f32 v32, v72, v68, v32 op_sel_hi:[0,1,0]
	s_wait_loadcnt_dscnt 0x0
	s_delay_alu instid0(VALU_DEP_1)
	v_fma_mix_f32 v46, v73, v69, v32 op_sel_hi:[0,1,0]
.LBB511_22:                             ;   in Loop: Header=BB511_24 Depth=2
	s_or_b32 exec_lo, exec_lo, s48
	s_wait_loadcnt_dscnt 0x303
	v_fma_mix_f32 v32, v58, v62, v45 op_sel_hi:[1,1,0]
	s_wait_loadcnt_dscnt 0x202
	s_delay_alu instid0(VALU_DEP_1) | instskip(SKIP_1) | instid1(VALU_DEP_1)
	v_fma_mix_f32 v32, v59, v63, v32 op_sel_hi:[1,1,0]
	s_wait_loadcnt_dscnt 0x101
	v_fma_mix_f32 v32, v60, v64, v32 op_sel_hi:[1,1,0]
	s_wait_loadcnt_dscnt 0x0
	s_delay_alu instid0(VALU_DEP_1)
	v_fma_mix_f32 v45, v61, v65, v32 op_sel_hi:[1,1,0]
.LBB511_23:                             ;   in Loop: Header=BB511_24 Depth=2
	s_wait_alu 0xfffe
	s_or_b32 exec_lo, exec_lo, s7
	v_add_co_u32 v30, vcc_lo, v30, s38
	s_wait_alu 0xfffd
	v_add_co_ci_u32_e64 v31, null, s39, v31, vcc_lo
	v_add_co_u32 v50, vcc_lo, v50, s40
	v_add_nc_u32_e32 v49, 64, v49
	s_wait_alu 0xfffd
	v_add_co_ci_u32_e64 v51, null, s41, v51, vcc_lo
	v_add_co_u32 v52, vcc_lo, v52, s40
	s_wait_alu 0xfffd
	v_add_co_ci_u32_e64 v53, null, s41, v53, vcc_lo
	v_add_co_u32 v54, vcc_lo, v54, s40
	s_wait_alu 0xfffd
	v_add_co_ci_u32_e64 v55, null, s41, v55, vcc_lo
	v_cmp_le_i32_e32 vcc_lo, s42, v49
	v_add_co_u32 v56, s7, v56, s40
	s_wait_alu 0xf1ff
	v_add_co_ci_u32_e64 v57, null, s41, v57, s7
	s_or_b32 s47, vcc_lo, s47
	s_delay_alu instid0(SALU_CYCLE_1)
	s_and_not1_b32 exec_lo, exec_lo, s47
	s_cbranch_execz .LBB511_29
.LBB511_24:                             ;   Parent Loop BB511_4 Depth=1
                                        ; =>  This Inner Loop Header: Depth=2
	s_and_saveexec_b32 s7, s0
	s_cbranch_execz .LBB511_23
; %bb.25:                               ;   in Loop: Header=BB511_24 Depth=2
	v_add_co_u32 v58, vcc_lo, v30, v6
	s_wait_alu 0xfffd
	v_add_co_ci_u32_e64 v59, null, v31, v7, vcc_lo
	v_add_co_u32 v60, vcc_lo, v30, v20
	s_wait_alu 0xfffd
	v_add_co_ci_u32_e64 v61, null, v31, v21, vcc_lo
	;; [unrolled: 3-line block ×8, first 2 shown]
	s_clause 0x3
	flat_load_u16 v58, v[58:59]
	flat_load_u16 v59, v[60:61]
	;; [unrolled: 1-line block ×8, first 2 shown]
	s_and_saveexec_b32 s48, s1
	s_cbranch_execz .LBB511_22
; %bb.26:                               ;   in Loop: Header=BB511_24 Depth=2
	flat_load_u16 v66, v[32:33] offset:64
	flat_load_u16 v67, v[34:35] offset:64
	;; [unrolled: 1-line block ×4, first 2 shown]
	s_wait_loadcnt_dscnt 0xb0b
	v_cvt_f32_f16_e32 v70, v58
	s_wait_loadcnt_dscnt 0xa0a
	v_cvt_f32_f16_e32 v71, v59
	;; [unrolled: 2-line block ×4, first 2 shown]
	s_and_saveexec_b32 s49, s2
	s_cbranch_execz .LBB511_21
; %bb.27:                               ;   in Loop: Header=BB511_24 Depth=2
	flat_load_u16 v74, v[32:33] offset:128
	flat_load_u16 v75, v[34:35] offset:128
	flat_load_u16 v76, v[36:37] offset:128
	flat_load_u16 v77, v[38:39] offset:128
	s_and_saveexec_b32 s50, s3
	s_cbranch_execz .LBB511_20
; %bb.28:                               ;   in Loop: Header=BB511_24 Depth=2
	flat_load_u16 v32, v[32:33] offset:192
	flat_load_u16 v33, v[34:35] offset:192
	flat_load_u16 v34, v[36:37] offset:192
	flat_load_u16 v35, v[38:39] offset:192
	s_wait_loadcnt_dscnt 0x303
	v_fma_mix_f32 v32, v70, v32, v48 op_sel_hi:[0,1,0]
	s_wait_loadcnt_dscnt 0x202
	s_delay_alu instid0(VALU_DEP_1) | instskip(SKIP_1) | instid1(VALU_DEP_1)
	v_fma_mix_f32 v32, v71, v33, v32 op_sel_hi:[0,1,0]
	s_wait_loadcnt_dscnt 0x101
	v_fma_mix_f32 v32, v72, v34, v32 op_sel_hi:[0,1,0]
	s_wait_loadcnt_dscnt 0x0
	s_delay_alu instid0(VALU_DEP_1)
	v_fma_mix_f32 v48, v73, v35, v32 op_sel_hi:[0,1,0]
	s_branch .LBB511_20
.LBB511_29:                             ;   in Loop: Header=BB511_4 Depth=1
	s_or_b32 exec_lo, exec_lo, s47
.LBB511_30:                             ;   in Loop: Header=BB511_4 Depth=1
	s_delay_alu instid0(SALU_CYCLE_1) | instskip(NEXT) | instid1(SALU_CYCLE_1)
	s_or_b32 exec_lo, exec_lo, s46
	s_and_not1_b32 vcc_lo, exec_lo, s43
	s_wait_alu 0xfffe
	s_cbranch_vccnz .LBB511_48
; %bb.31:                               ;   in Loop: Header=BB511_4 Depth=1
	v_cmp_gt_i32_e32 vcc_lo, s9, v49
	v_dual_mov_b32 v34, 0 :: v_dual_mov_b32 v35, 0
	v_or_b32_e32 v30, 1, v49
	v_dual_mov_b32 v36, 0 :: v_dual_mov_b32 v37, 0
	s_and_saveexec_b32 s46, vcc_lo
	s_cbranch_execz .LBB511_39
; %bb.32:                               ;   in Loop: Header=BB511_4 Depth=1
	v_mad_co_u64_u32 v[31:32], null, s36, v49, 0
	v_dual_mov_b32 v36, 0 :: v_dual_mov_b32 v35, 0
	v_mov_b32_e32 v34, 0
	s_mov_b32 s47, exec_lo
	s_delay_alu instid0(VALU_DEP_3) | instskip(NEXT) | instid1(VALU_DEP_1)
	v_mad_co_u64_u32 v[32:33], null, s37, v49, v[32:33]
	v_lshlrev_b64_e32 v[31:32], 1, v[31:32]
	s_delay_alu instid0(VALU_DEP_1) | instskip(SKIP_1) | instid1(VALU_DEP_2)
	v_add_co_u32 v31, s7, v28, v31
	s_wait_alu 0xf1ff
	v_add_co_ci_u32_e64 v32, null, v29, v32, s7
	flat_load_u16 v31, v[31:32]
	v_cmpx_gt_i32_e64 s9, v30
	s_cbranch_execz .LBB511_38
; %bb.33:                               ;   in Loop: Header=BB511_4 Depth=1
	v_mad_co_u64_u32 v[32:33], null, s36, v30, 0
	v_mov_b32_e32 v35, 0
	s_mov_b32 s48, exec_lo
	s_delay_alu instid0(VALU_DEP_2) | instskip(SKIP_1) | instid1(VALU_DEP_2)
	v_mad_co_u64_u32 v[33:34], null, s37, v30, v[33:34]
	v_mov_b32_e32 v34, 0
	v_lshlrev_b64_e32 v[32:33], 1, v[32:33]
	s_delay_alu instid0(VALU_DEP_1) | instskip(SKIP_1) | instid1(VALU_DEP_2)
	v_add_co_u32 v32, s7, v28, v32
	s_wait_alu 0xf1ff
	v_add_co_ci_u32_e64 v33, null, v29, v33, s7
	flat_load_u16 v32, v[32:33]
	v_or_b32_e32 v33, 2, v49
	s_delay_alu instid0(VALU_DEP_1)
	v_cmpx_gt_i32_e64 s9, v33
	s_cbranch_execz .LBB511_37
; %bb.34:                               ;   in Loop: Header=BB511_4 Depth=1
	v_mad_co_u64_u32 v[34:35], null, s36, v33, 0
	s_mov_b32 s49, exec_lo
	v_mad_co_u64_u32 v[35:36], null, s37, v33, v[35:36]
	s_delay_alu instid0(VALU_DEP_1) | instskip(SKIP_1) | instid1(VALU_DEP_2)
	v_lshlrev_b64_e32 v[33:34], 1, v[34:35]
	v_or_b32_e32 v35, 3, v49
	v_add_co_u32 v33, s7, v28, v33
	s_wait_alu 0xf1ff
	s_delay_alu instid0(VALU_DEP_3)
	v_add_co_ci_u32_e64 v34, null, v29, v34, s7
	flat_load_u16 v33, v[33:34]
	v_mov_b32_e32 v34, 0
	v_cmpx_gt_i32_e64 s9, v35
	s_cbranch_execz .LBB511_36
; %bb.35:                               ;   in Loop: Header=BB511_4 Depth=1
	v_mad_co_u64_u32 v[36:37], null, s36, v35, 0
	s_delay_alu instid0(VALU_DEP_1) | instskip(NEXT) | instid1(VALU_DEP_1)
	v_mov_b32_e32 v34, v37
	v_mad_co_u64_u32 v[34:35], null, s37, v35, v[34:35]
	s_delay_alu instid0(VALU_DEP_1) | instskip(NEXT) | instid1(VALU_DEP_1)
	v_mov_b32_e32 v37, v34
	v_lshlrev_b64_e32 v[34:35], 1, v[36:37]
	s_delay_alu instid0(VALU_DEP_1) | instskip(SKIP_1) | instid1(VALU_DEP_2)
	v_add_co_u32 v28, s7, v28, v34
	s_wait_alu 0xf1ff
	v_add_co_ci_u32_e64 v29, null, v29, v35, s7
	flat_load_u16 v28, v[28:29]
	s_wait_loadcnt_dscnt 0x0
	v_cvt_f32_f16_e32 v34, v28
.LBB511_36:                             ;   in Loop: Header=BB511_4 Depth=1
	s_or_b32 exec_lo, exec_lo, s49
	s_wait_loadcnt_dscnt 0x0
	v_cvt_f32_f16_e32 v35, v33
.LBB511_37:                             ;   in Loop: Header=BB511_4 Depth=1
	s_or_b32 exec_lo, exec_lo, s48
	s_wait_loadcnt_dscnt 0x0
	v_cvt_f32_f16_e32 v36, v32
.LBB511_38:                             ;   in Loop: Header=BB511_4 Depth=1
	s_or_b32 exec_lo, exec_lo, s47
	s_wait_loadcnt_dscnt 0x0
	v_cvt_f32_f16_e32 v37, v31
.LBB511_39:                             ;   in Loop: Header=BB511_4 Depth=1
	s_or_b32 exec_lo, exec_lo, s46
	s_and_saveexec_b32 s46, s0
	s_cbranch_execz .LBB511_47
; %bb.40:                               ;   in Loop: Header=BB511_4 Depth=1
	v_mad_co_u64_u32 v[28:29], null, s34, v49, 0
	v_or_b32_e32 v52, 2, v49
	v_mad_co_u64_u32 v[31:32], null, s34, v30, 0
	v_or_b32_e32 v53, 3, v49
	v_cmp_gt_i32_e64 s7, s9, v30
	s_delay_alu instid0(VALU_DEP_4) | instskip(SKIP_3) | instid1(VALU_DEP_4)
	v_mad_co_u64_u32 v[38:39], null, s34, v52, 0
	v_mad_co_u64_u32 v[49:50], null, s35, v49, v[29:30]
	;; [unrolled: 1-line block ×4, first 2 shown]
	v_mov_b32_e32 v30, v39
	s_delay_alu instid0(VALU_DEP_4)
	v_dual_cndmask_b32 v50, 0, v28 :: v_dual_cndmask_b32 v51, 0, v49
	s_wait_alu 0xf1ff
	v_cndmask_b32_e64 v28, 0, v31, s7
	v_cndmask_b32_e64 v29, 0, v29, s7
	v_mad_co_u64_u32 v[30:31], null, s35, v52, v[30:31]
	v_mov_b32_e32 v31, v33
	v_lshlrev_b64_e32 v[49:50], 1, v[50:51]
	v_cmp_gt_i32_e32 vcc_lo, s9, v52
	v_lshlrev_b64_e32 v[51:52], 1, v[28:29]
	s_wait_alu 0xfffd
	v_cndmask_b32_e32 v39, 0, v30, vcc_lo
	s_delay_alu instid0(VALU_DEP_4)
	v_add_co_u32 v28, s7, v26, v49
	s_wait_alu 0xf1ff
	v_add_co_ci_u32_e64 v29, null, v27, v50, s7
	v_mad_co_u64_u32 v[30:31], null, s35, v53, v[31:32]
	v_cndmask_b32_e32 v38, 0, v38, vcc_lo
	v_add_co_u32 v28, vcc_lo, v28, v8
	s_wait_alu 0xfffd
	v_add_co_ci_u32_e64 v29, null, v29, v9, vcc_lo
	v_cmp_gt_i32_e32 vcc_lo, s9, v53
	v_add_co_u32 v31, s7, v26, v51
	s_wait_alu 0xf1ff
	v_add_co_ci_u32_e64 v49, null, v27, v52, s7
	s_wait_alu 0xfffd
	v_dual_cndmask_b32 v32, 0, v32 :: v_dual_cndmask_b32 v33, 0, v30
	v_lshlrev_b64_e32 v[38:39], 1, v[38:39]
	v_add_co_u32 v30, vcc_lo, v31, v8
	s_wait_alu 0xfffd
	v_add_co_ci_u32_e64 v31, null, v49, v9, vcc_lo
	v_lshlrev_b64_e32 v[32:33], 1, v[32:33]
	s_delay_alu instid0(VALU_DEP_4) | instskip(SKIP_2) | instid1(VALU_DEP_3)
	v_add_co_u32 v38, vcc_lo, v26, v38
	s_wait_alu 0xfffd
	v_add_co_ci_u32_e64 v39, null, v27, v39, vcc_lo
	v_add_co_u32 v32, vcc_lo, v26, v32
	s_wait_alu 0xfffd
	v_add_co_ci_u32_e64 v33, null, v27, v33, vcc_lo
	v_add_co_u32 v26, vcc_lo, v38, v8
	s_wait_alu 0xfffd
	v_add_co_ci_u32_e64 v27, null, v39, v9, vcc_lo
	v_add_co_u32 v32, vcc_lo, v32, v8
	s_wait_alu 0xfffd
	v_add_co_ci_u32_e64 v33, null, v33, v9, vcc_lo
	s_clause 0x3
	flat_load_u16 v38, v[28:29]
	flat_load_u16 v39, v[30:31]
	;; [unrolled: 1-line block ×4, first 2 shown]
	s_and_saveexec_b32 s7, s1
	s_cbranch_execz .LBB511_46
; %bb.41:                               ;   in Loop: Header=BB511_4 Depth=1
	s_clause 0x3
	flat_load_u16 v51, v[28:29] offset:64
	flat_load_u16 v52, v[30:31] offset:64
	flat_load_u16 v53, v[26:27] offset:64
	flat_load_u16 v54, v[32:33] offset:64
	s_and_saveexec_b32 s47, s2
	s_cbranch_execz .LBB511_45
; %bb.42:                               ;   in Loop: Header=BB511_4 Depth=1
	s_clause 0x3
	flat_load_u16 v55, v[28:29] offset:128
	flat_load_u16 v56, v[30:31] offset:128
	flat_load_u16 v57, v[26:27] offset:128
	flat_load_u16 v58, v[32:33] offset:128
	;; [unrolled: 8-line block ×3, first 2 shown]
	s_wait_loadcnt_dscnt 0x303
	v_fma_mix_f32 v28, v37, v28, v48 op_sel_hi:[0,1,0]
	s_wait_loadcnt_dscnt 0x202
	s_delay_alu instid0(VALU_DEP_1) | instskip(SKIP_1) | instid1(VALU_DEP_1)
	v_fma_mix_f32 v28, v36, v29, v28 op_sel_hi:[0,1,0]
	s_wait_loadcnt_dscnt 0x101
	v_fma_mix_f32 v26, v35, v26, v28 op_sel_hi:[0,1,0]
	s_wait_loadcnt_dscnt 0x0
	s_delay_alu instid0(VALU_DEP_1)
	v_fma_mix_f32 v48, v34, v27, v26 op_sel_hi:[0,1,0]
.LBB511_44:                             ;   in Loop: Header=BB511_4 Depth=1
	s_or_b32 exec_lo, exec_lo, s48
	s_wait_loadcnt_dscnt 0x303
	v_fma_mix_f32 v26, v37, v55, v47 op_sel_hi:[0,1,0]
	s_wait_loadcnt_dscnt 0x202
	s_delay_alu instid0(VALU_DEP_1) | instskip(SKIP_1) | instid1(VALU_DEP_1)
	v_fma_mix_f32 v26, v36, v56, v26 op_sel_hi:[0,1,0]
	s_wait_loadcnt_dscnt 0x101
	v_fma_mix_f32 v26, v35, v57, v26 op_sel_hi:[0,1,0]
	s_wait_loadcnt_dscnt 0x0
	s_delay_alu instid0(VALU_DEP_1)
	v_fma_mix_f32 v47, v34, v58, v26 op_sel_hi:[0,1,0]
.LBB511_45:                             ;   in Loop: Header=BB511_4 Depth=1
	s_or_b32 exec_lo, exec_lo, s47
	s_wait_loadcnt_dscnt 0x303
	v_fma_mix_f32 v26, v37, v51, v46 op_sel_hi:[0,1,0]
	s_wait_loadcnt_dscnt 0x202
	s_delay_alu instid0(VALU_DEP_1) | instskip(SKIP_1) | instid1(VALU_DEP_1)
	v_fma_mix_f32 v26, v36, v52, v26 op_sel_hi:[0,1,0]
	s_wait_loadcnt_dscnt 0x101
	v_fma_mix_f32 v26, v35, v53, v26 op_sel_hi:[0,1,0]
	s_wait_loadcnt_dscnt 0x0
	s_delay_alu instid0(VALU_DEP_1)
	v_fma_mix_f32 v46, v34, v54, v26 op_sel_hi:[0,1,0]
.LBB511_46:                             ;   in Loop: Header=BB511_4 Depth=1
	s_wait_alu 0xfffe
	s_or_b32 exec_lo, exec_lo, s7
	s_wait_loadcnt_dscnt 0x303
	v_fma_mix_f32 v26, v37, v38, v45 op_sel_hi:[0,1,0]
	s_wait_loadcnt_dscnt 0x202
	s_delay_alu instid0(VALU_DEP_1) | instskip(SKIP_1) | instid1(VALU_DEP_1)
	v_fma_mix_f32 v26, v36, v39, v26 op_sel_hi:[0,1,0]
	s_wait_loadcnt_dscnt 0x101
	v_fma_mix_f32 v26, v35, v49, v26 op_sel_hi:[0,1,0]
	s_wait_loadcnt_dscnt 0x0
	s_delay_alu instid0(VALU_DEP_1)
	v_fma_mix_f32 v45, v34, v50, v26 op_sel_hi:[0,1,0]
.LBB511_47:                             ;   in Loop: Header=BB511_4 Depth=1
	s_or_b32 exec_lo, exec_lo, s46
.LBB511_48:                             ;   in Loop: Header=BB511_4 Depth=1
	ds_store_2addr_b32 v0, v45, v46 offset1:32
	ds_store_2addr_b32 v0, v47, v48 offset0:64 offset1:96
	s_wait_dscnt 0x0
	s_barrier_signal -1
	s_barrier_wait -1
	global_inv scope:SCOPE_SE
                                        ; implicit-def: $vgpr30
	s_and_saveexec_b32 s7, s5
	s_cbranch_execz .LBB511_54
; %bb.49:                               ;   in Loop: Header=BB511_4 Depth=1
	ds_load_2addr_stride64_b32 v[26:27], v41 offset1:2
	ds_load_2addr_stride64_b32 v[28:29], v41 offset0:4 offset1:6
	ds_load_2addr_stride64_b32 v[30:31], v41 offset0:8 offset1:10
	s_mov_b32 s47, s8
	s_wait_dscnt 0x2
	v_add_f32_e32 v32, v26, v27
	ds_load_2addr_stride64_b32 v[26:27], v41 offset0:12 offset1:14
	s_wait_dscnt 0x2
	v_add_f32_e32 v28, v28, v32
	s_delay_alu instid0(VALU_DEP_1) | instskip(SKIP_3) | instid1(VALU_DEP_1)
	v_add_f32_e32 v32, v29, v28
	ds_load_2addr_stride64_b32 v[28:29], v41 offset0:16 offset1:18
	s_wait_dscnt 0x2
	v_add_f32_e32 v30, v30, v32
	v_add_f32_e32 v32, v31, v30
	ds_load_2addr_stride64_b32 v[30:31], v41 offset0:20 offset1:22
	s_wait_dscnt 0x2
	v_add_f32_e32 v26, v26, v32
	s_delay_alu instid0(VALU_DEP_1) | instskip(SKIP_1) | instid1(VALU_DEP_1)
	v_add_f32_e32 v26, v27, v26
	s_wait_dscnt 0x1
	v_add_f32_e32 v28, v28, v26
	ds_load_2addr_stride64_b32 v[26:27], v41 offset0:24 offset1:26
	v_add_f32_e32 v28, v29, v28
	s_wait_dscnt 0x1
	s_delay_alu instid0(VALU_DEP_1) | instskip(SKIP_3) | instid1(VALU_DEP_1)
	v_add_f32_e32 v30, v30, v28
	ds_load_2addr_stride64_b32 v[28:29], v41 offset0:28 offset1:30
	v_add_f32_e32 v30, v31, v30
	s_wait_dscnt 0x1
	v_add_f32_e32 v26, v26, v30
                                        ; implicit-def: $vgpr30
	s_delay_alu instid0(VALU_DEP_1) | instskip(SKIP_1) | instid1(VALU_DEP_1)
	v_add_f32_e32 v26, v27, v26
	s_wait_dscnt 0x0
	v_add_f32_e32 v26, v28, v26
	s_delay_alu instid0(VALU_DEP_1)
	v_add_f32_e32 v26, v29, v26
	ds_store_b32 v41, v26
	s_and_saveexec_b32 s46, s6
	s_cbranch_execz .LBB511_53
; %bb.50:                               ;   in Loop: Header=BB511_4 Depth=1
	v_mul_f32_e32 v30, v42, v26
	s_cmp_eq_f32 s45, 0
	s_cbranch_scc1 .LBB511_52
; %bb.51:                               ;   in Loop: Header=BB511_4 Depth=1
	v_lshlrev_b64_e32 v[26:27], 2, v[4:5]
	s_delay_alu instid0(VALU_DEP_1) | instskip(SKIP_1) | instid1(VALU_DEP_2)
	v_add_co_u32 v26, vcc_lo, v43, v26
	s_wait_alu 0xfffd
	v_add_co_ci_u32_e64 v27, null, v44, v27, vcc_lo
	flat_load_b32 v26, v[26:27]
	s_wait_loadcnt_dscnt 0x0
	v_fmac_f32_e32 v30, s45, v26
.LBB511_52:                             ;   in Loop: Header=BB511_4 Depth=1
	s_or_b32 s47, s8, exec_lo
.LBB511_53:                             ;   in Loop: Header=BB511_4 Depth=1
	s_or_b32 exec_lo, exec_lo, s46
	s_delay_alu instid0(SALU_CYCLE_1)
	s_and_not1_b32 s8, s8, exec_lo
	s_and_b32 s45, s47, exec_lo
	s_wait_alu 0xfffe
	s_or_b32 s8, s8, s45
.LBB511_54:                             ;   in Loop: Header=BB511_4 Depth=1
	s_wait_alu 0xfffe
	s_or_b32 exec_lo, exec_lo, s7
	v_dual_mov_b32 v27, v5 :: v_dual_mov_b32 v26, v4
	s_and_saveexec_b32 s7, s8
	s_cbranch_execz .LBB511_2
.LBB511_55:                             ;   in Loop: Header=BB511_4 Depth=1
	s_delay_alu instid0(VALU_DEP_1) | instskip(NEXT) | instid1(VALU_DEP_1)
	v_lshlrev_b64_e32 v[26:27], 2, v[26:27]
	v_add_co_u32 v26, vcc_lo, v43, v26
	s_wait_alu 0xfffd
	s_delay_alu instid0(VALU_DEP_2)
	v_add_co_ci_u32_e64 v27, null, v44, v27, vcc_lo
	flat_store_b32 v[26:27], v30
	s_branch .LBB511_2
.LBB511_56:
	s_endpgm
	.section	.rodata,"a",@progbits
	.p2align	6, 0x0
	.amdhsa_kernel _ZL20rocblas_gemvn_kernelILi32ELi16ElPKDF16_PKfKPfEviiT3_lPKT2_lT1_lS9_lSA_lS6_lPT4_lSA_li
		.amdhsa_group_segment_fixed_size 8192
		.amdhsa_private_segment_fixed_size 0
		.amdhsa_kernarg_size 400
		.amdhsa_user_sgpr_count 2
		.amdhsa_user_sgpr_dispatch_ptr 0
		.amdhsa_user_sgpr_queue_ptr 0
		.amdhsa_user_sgpr_kernarg_segment_ptr 1
		.amdhsa_user_sgpr_dispatch_id 0
		.amdhsa_user_sgpr_private_segment_size 0
		.amdhsa_wavefront_size32 1
		.amdhsa_uses_dynamic_stack 0
		.amdhsa_enable_private_segment 0
		.amdhsa_system_sgpr_workgroup_id_x 1
		.amdhsa_system_sgpr_workgroup_id_y 0
		.amdhsa_system_sgpr_workgroup_id_z 1
		.amdhsa_system_sgpr_workgroup_info 0
		.amdhsa_system_vgpr_workitem_id 1
		.amdhsa_next_free_vgpr 78
		.amdhsa_next_free_sgpr 51
		.amdhsa_reserve_vcc 1
		.amdhsa_float_round_mode_32 0
		.amdhsa_float_round_mode_16_64 0
		.amdhsa_float_denorm_mode_32 3
		.amdhsa_float_denorm_mode_16_64 3
		.amdhsa_fp16_overflow 0
		.amdhsa_workgroup_processor_mode 1
		.amdhsa_memory_ordered 1
		.amdhsa_forward_progress 1
		.amdhsa_inst_pref_size 30
		.amdhsa_round_robin_scheduling 0
		.amdhsa_exception_fp_ieee_invalid_op 0
		.amdhsa_exception_fp_denorm_src 0
		.amdhsa_exception_fp_ieee_div_zero 0
		.amdhsa_exception_fp_ieee_overflow 0
		.amdhsa_exception_fp_ieee_underflow 0
		.amdhsa_exception_fp_ieee_inexact 0
		.amdhsa_exception_int_div_zero 0
	.end_amdhsa_kernel
	.section	.text._ZL20rocblas_gemvn_kernelILi32ELi16ElPKDF16_PKfKPfEviiT3_lPKT2_lT1_lS9_lSA_lS6_lPT4_lSA_li,"axG",@progbits,_ZL20rocblas_gemvn_kernelILi32ELi16ElPKDF16_PKfKPfEviiT3_lPKT2_lT1_lS9_lSA_lS6_lPT4_lSA_li,comdat
.Lfunc_end511:
	.size	_ZL20rocblas_gemvn_kernelILi32ELi16ElPKDF16_PKfKPfEviiT3_lPKT2_lT1_lS9_lSA_lS6_lPT4_lSA_li, .Lfunc_end511-_ZL20rocblas_gemvn_kernelILi32ELi16ElPKDF16_PKfKPfEviiT3_lPKT2_lT1_lS9_lSA_lS6_lPT4_lSA_li
                                        ; -- End function
	.set _ZL20rocblas_gemvn_kernelILi32ELi16ElPKDF16_PKfKPfEviiT3_lPKT2_lT1_lS9_lSA_lS6_lPT4_lSA_li.num_vgpr, 78
	.set _ZL20rocblas_gemvn_kernelILi32ELi16ElPKDF16_PKfKPfEviiT3_lPKT2_lT1_lS9_lSA_lS6_lPT4_lSA_li.num_agpr, 0
	.set _ZL20rocblas_gemvn_kernelILi32ELi16ElPKDF16_PKfKPfEviiT3_lPKT2_lT1_lS9_lSA_lS6_lPT4_lSA_li.numbered_sgpr, 51
	.set _ZL20rocblas_gemvn_kernelILi32ELi16ElPKDF16_PKfKPfEviiT3_lPKT2_lT1_lS9_lSA_lS6_lPT4_lSA_li.num_named_barrier, 0
	.set _ZL20rocblas_gemvn_kernelILi32ELi16ElPKDF16_PKfKPfEviiT3_lPKT2_lT1_lS9_lSA_lS6_lPT4_lSA_li.private_seg_size, 0
	.set _ZL20rocblas_gemvn_kernelILi32ELi16ElPKDF16_PKfKPfEviiT3_lPKT2_lT1_lS9_lSA_lS6_lPT4_lSA_li.uses_vcc, 1
	.set _ZL20rocblas_gemvn_kernelILi32ELi16ElPKDF16_PKfKPfEviiT3_lPKT2_lT1_lS9_lSA_lS6_lPT4_lSA_li.uses_flat_scratch, 1
	.set _ZL20rocblas_gemvn_kernelILi32ELi16ElPKDF16_PKfKPfEviiT3_lPKT2_lT1_lS9_lSA_lS6_lPT4_lSA_li.has_dyn_sized_stack, 0
	.set _ZL20rocblas_gemvn_kernelILi32ELi16ElPKDF16_PKfKPfEviiT3_lPKT2_lT1_lS9_lSA_lS6_lPT4_lSA_li.has_recursion, 0
	.set _ZL20rocblas_gemvn_kernelILi32ELi16ElPKDF16_PKfKPfEviiT3_lPKT2_lT1_lS9_lSA_lS6_lPT4_lSA_li.has_indirect_call, 0
	.section	.AMDGPU.csdata,"",@progbits
; Kernel info:
; codeLenInByte = 3828
; TotalNumSgprs: 53
; NumVgprs: 78
; ScratchSize: 0
; MemoryBound: 0
; FloatMode: 240
; IeeeMode: 1
; LDSByteSize: 8192 bytes/workgroup (compile time only)
; SGPRBlocks: 0
; VGPRBlocks: 9
; NumSGPRsForWavesPerEU: 53
; NumVGPRsForWavesPerEU: 78
; Occupancy: 16
; WaveLimiterHint : 1
; COMPUTE_PGM_RSRC2:SCRATCH_EN: 0
; COMPUTE_PGM_RSRC2:USER_SGPR: 2
; COMPUTE_PGM_RSRC2:TRAP_HANDLER: 0
; COMPUTE_PGM_RSRC2:TGID_X_EN: 1
; COMPUTE_PGM_RSRC2:TGID_Y_EN: 0
; COMPUTE_PGM_RSRC2:TGID_Z_EN: 1
; COMPUTE_PGM_RSRC2:TIDIG_COMP_CNT: 1
	.section	.text._ZL20rocblas_gemvn_kernelILi32ELi16EiPKDF16_fKPfEviiT3_lPKT2_lT1_lS7_lS8_lS4_lPT4_lS8_li,"axG",@progbits,_ZL20rocblas_gemvn_kernelILi32ELi16EiPKDF16_fKPfEviiT3_lPKT2_lT1_lS7_lS8_lS4_lPT4_lS8_li,comdat
	.globl	_ZL20rocblas_gemvn_kernelILi32ELi16EiPKDF16_fKPfEviiT3_lPKT2_lT1_lS7_lS8_lS4_lPT4_lS8_li ; -- Begin function _ZL20rocblas_gemvn_kernelILi32ELi16EiPKDF16_fKPfEviiT3_lPKT2_lT1_lS7_lS8_lS4_lPT4_lS8_li
	.p2align	8
	.type	_ZL20rocblas_gemvn_kernelILi32ELi16EiPKDF16_fKPfEviiT3_lPKT2_lT1_lS7_lS8_lS4_lPT4_lS8_li,@function
_ZL20rocblas_gemvn_kernelILi32ELi16EiPKDF16_fKPfEviiT3_lPKT2_lT1_lS7_lS8_lS4_lPT4_lS8_li: ; @_ZL20rocblas_gemvn_kernelILi32ELi16EiPKDF16_fKPfEviiT3_lPKT2_lT1_lS7_lS8_lS4_lPT4_lS8_li
; %bb.0:
	s_clause 0x1
	s_load_b64 s[2:3], s[0:1], 0x9c
	s_load_b32 s23, s[0:1], 0x88
	s_lshr_b32 s24, ttmp7, 16
	s_wait_kmcnt 0x0
	s_lshr_b32 s4, s2, 16
	s_and_b32 s2, s2, 0xffff
	s_and_b32 s3, s3, 0xffff
	s_mul_i32 s2, s4, s2
	s_delay_alu instid0(SALU_CYCLE_1) | instskip(NEXT) | instid1(SALU_CYCLE_1)
	s_mul_i32 s2, s2, s3
	s_cmp_lg_u32 s2, 0x200
	s_cselect_b32 s2, -1, 0
	s_cmp_ge_u32 s24, s23
	s_cselect_b32 s3, -1, 0
	s_delay_alu instid0(SALU_CYCLE_1) | instskip(NEXT) | instid1(SALU_CYCLE_1)
	s_or_b32 s2, s2, s3
	s_and_b32 vcc_lo, exec_lo, s2
	s_cbranch_vccnz .LBB512_59
; %bb.1:
	s_clause 0x7
	s_load_b32 s4, s[0:1], 0x78
	s_load_b96 s[20:22], s[0:1], 0x0
	s_load_b32 s27, s[0:1], 0x58
	s_load_b32 s28, s[0:1], 0x28
	s_load_b128 s[8:11], s[0:1], 0x38
	s_load_b32 s26, s[0:1], 0x48
	s_load_b128 s[12:15], s[0:1], 0x68
	s_load_b128 s[16:19], s[0:1], 0x18
	v_and_b32_e32 v9, 0x3ff, v0
	v_bfe_u32 v8, v0, 10, 10
	v_mov_b32_e32 v1, 0
	s_mov_b32 s25, 0
	s_delay_alu instid0(VALU_DEP_3) | instskip(NEXT) | instid1(VALU_DEP_3)
	v_lshlrev_b32_e32 v0, 2, v9
	v_lshl_add_u32 v2, v8, 5, v9
	v_lshlrev_b32_e32 v25, 2, v8
	s_delay_alu instid0(VALU_DEP_3)
	v_lshl_add_u32 v26, v8, 9, v0
	v_lshl_add_u32 v27, v8, 7, v0
	s_wait_kmcnt 0x0
	s_ashr_i32 s5, s4, 31
	s_cmp_eq_f32 s22, 0
	s_mov_b32 s2, s20
	v_cmp_gt_u32_e64 s0, 0x80, v2
	v_mul_lo_u32 v10, s28, v25
	s_cselect_b32 s29, -1, 0
	s_cmp_neq_f32 s27, 1.0
	v_or_b32_e32 v12, 3, v25
	v_mul_lo_u32 v13, v8, s26
	s_cselect_b32 s1, -1, 0
	s_cmp_neq_f32 s22, 0
	s_delay_alu instid0(VALU_DEP_2)
	v_mul_lo_u32 v32, s26, v12
	s_cselect_b32 s6, -1, 0
	s_lshl_b32 s30, ttmp9, 7
	s_ashr_i32 s3, s20, 31
	v_add_nc_u32_e32 v0, s30, v2
	v_or_b32_e32 v4, s30, v2
	v_add_nc_u32_e32 v29, s30, v9
	s_or_b32 s31, s6, s1
	s_cmp_neq_f32 s27, 0
	v_cmp_gt_i64_e32 vcc_lo, s[2:3], v[0:1]
	v_mad_co_u64_u32 v[2:3], null, s4, v0, 0
	v_cmp_gt_i32_e64 s2, s20, v4
	v_mul_lo_u32 v4, s4, v4
	v_add_nc_u32_e32 v6, 64, v29
	v_add_nc_u32_e32 v11, 0x60, v29
	;; [unrolled: 1-line block ×3, first 2 shown]
	s_cselect_b32 s33, -1, 0
	s_ashr_i32 s3, s21, 31
	v_cmp_gt_i32_e64 s4, s20, v6
	s_wait_alu 0xfffe
	s_lshr_b32 s3, s3, 26
	v_mad_co_u64_u32 v[6:7], null, s5, v0, v[3:4]
	v_cmp_gt_i32_e64 s5, s20, v11
	v_mul_lo_u32 v11, v8, s28
	v_add3_u32 v0, v10, s28, v9
	v_or_b32_e32 v10, 2, v25
	s_wait_alu 0xfffe
	s_add_co_i32 s34, s21, s3
	v_cmp_gt_i32_e64 s3, s20, v5
	v_ashrrev_i32_e32 v5, 31, v4
	v_mov_b32_e32 v3, v6
	v_mad_co_u64_u32 v[6:7], null, s28, v10, v[9:10]
	v_mad_co_u64_u32 v[7:8], null, s28, v12, v[9:10]
	s_and_not1_b32 s34, s34, 63
	v_lshl_add_u32 v30, v11, 2, v9
	v_mad_co_u64_u32 v[8:9], null, s26, v25, s[26:27]
	v_mul_lo_u32 v31, s26, v10
	s_sub_co_i32 s7, s21, s34
	v_lshlrev_b64_e32 v[9:10], 2, v[2:3]
	v_lshlrev_b64_e32 v[11:12], 2, v[4:5]
	v_cndmask_b32_e64 v28, 0, 1, s6
	v_cmp_gt_i32_e64 s1, s20, v29
	v_cmp_gt_i32_e64 s6, s34, v25
	v_lshlrev_b32_e32 v33, 2, v13
	s_cmp_gt_i32 s7, 0
	s_cselect_b32 s20, -1, 0
	s_and_b32 s35, s0, vcc_lo
	s_lshl_b32 s36, s28, 6
	s_lshl_b32 s37, s26, 6
	s_lshl_b64 s[18:19], s[18:19], 1
	s_lshl_b64 s[10:11], s[10:11], 1
	;; [unrolled: 1-line block ×3, first 2 shown]
	s_branch .LBB512_4
.LBB512_2:                              ;   in Loop: Header=BB512_4 Depth=1
	s_wait_alu 0xfffe
	s_or_b32 exec_lo, exec_lo, s7
.LBB512_3:                              ;   in Loop: Header=BB512_4 Depth=1
	s_add_co_i32 s24, s24, 0x10000
	s_delay_alu instid0(SALU_CYCLE_1)
	s_cmp_lt_u32 s24, s23
	s_cbranch_scc0 .LBB512_59
.LBB512_4:                              ; =>This Loop Header: Depth=1
                                        ;     Child Loop BB512_27 Depth 2
	s_and_not1_b32 vcc_lo, exec_lo, s31
	s_wait_alu 0xfffe
	s_cbranch_vccnz .LBB512_3
; %bb.5:                                ;   in Loop: Header=BB512_4 Depth=1
	s_and_not1_b32 vcc_lo, exec_lo, s29
	s_wait_alu 0xfffe
	s_cbranch_vccnz .LBB512_7
; %bb.6:                                ;   in Loop: Header=BB512_4 Depth=1
	s_mov_b32 s7, 0
	s_branch .LBB512_8
.LBB512_7:                              ;   in Loop: Header=BB512_4 Depth=1
	s_mov_b32 s7, -1
.LBB512_8:                              ;   in Loop: Header=BB512_4 Depth=1
	v_mov_b32_e32 v15, 0
	v_dual_mov_b32 v16, 0 :: v_dual_mov_b32 v13, 0
	v_mov_b32_e32 v14, 0
	s_wait_alu 0xfffe
	s_and_not1_b32 vcc_lo, exec_lo, s7
	s_wait_alu 0xfffe
	s_cbranch_vccnz .LBB512_10
; %bb.9:                                ;   in Loop: Header=BB512_4 Depth=1
	s_lshl_b64 s[38:39], s[24:25], 3
	s_delay_alu instid0(SALU_CYCLE_1)
	s_add_nc_u64 s[38:39], s[16:17], s[38:39]
	global_load_b64 v[13:14], v1, s[38:39]
	s_wait_loadcnt 0x0
	v_add_co_u32 v13, vcc_lo, v13, s18
	s_wait_alu 0xfffd
	v_add_co_ci_u32_e64 v14, null, s19, v14, vcc_lo
.LBB512_10:                             ;   in Loop: Header=BB512_4 Depth=1
	v_cmp_ne_u32_e32 vcc_lo, 1, v28
	s_cbranch_vccnz .LBB512_12
; %bb.11:                               ;   in Loop: Header=BB512_4 Depth=1
	s_lshl_b64 s[38:39], s[24:25], 3
	s_delay_alu instid0(SALU_CYCLE_1)
	s_add_nc_u64 s[38:39], s[8:9], s[38:39]
	global_load_b64 v[15:16], v1, s[38:39]
	s_wait_loadcnt 0x0
	v_add_co_u32 v15, vcc_lo, v15, s10
	s_wait_alu 0xfffd
	v_add_co_ci_u32_e64 v16, null, s11, v16, vcc_lo
.LBB512_12:                             ;   in Loop: Header=BB512_4 Depth=1
	s_lshl_b64 s[38:39], s[24:25], 3
	s_delay_alu instid0(SALU_CYCLE_1)
	s_add_nc_u64 s[38:39], s[12:13], s[38:39]
	global_load_b64 v[17:18], v1, s[38:39]
	s_wait_loadcnt 0x0
	v_add_co_u32 v34, vcc_lo, v17, s14
	s_wait_alu 0xfffd
	v_add_co_ci_u32_e64 v35, null, s15, v18, vcc_lo
	s_and_not1_b32 vcc_lo, exec_lo, s29
	s_wait_alu 0xfffe
	s_cbranch_vccnz .LBB512_16
; %bb.13:                               ;   in Loop: Header=BB512_4 Depth=1
	s_mov_b32 s7, 0
	s_mov_b32 s38, 0
                                        ; implicit-def: $vgpr17
	s_and_saveexec_b32 s39, s35
	s_cbranch_execz .LBB512_17
; %bb.14:                               ;   in Loop: Header=BB512_4 Depth=1
	s_and_not1_b32 vcc_lo, exec_lo, s33
	s_wait_alu 0xfffe
	s_cbranch_vccnz .LBB512_19
; %bb.15:                               ;   in Loop: Header=BB512_4 Depth=1
	v_add_co_u32 v17, vcc_lo, v34, v9
	s_wait_alu 0xfffd
	v_add_co_ci_u32_e64 v18, null, v35, v10, vcc_lo
	flat_load_b32 v17, v[17:18]
	s_wait_loadcnt_dscnt 0x0
	v_mul_f32_e32 v17, s27, v17
	s_branch .LBB512_20
.LBB512_16:                             ;   in Loop: Header=BB512_4 Depth=1
	s_mov_b32 s38, 0
                                        ; implicit-def: $vgpr17
	s_cbranch_execz .LBB512_18
	s_branch .LBB512_21
.LBB512_17:                             ;   in Loop: Header=BB512_4 Depth=1
	s_or_b32 exec_lo, exec_lo, s39
	s_wait_alu 0xfffe
	s_and_b32 vcc_lo, exec_lo, s7
	s_wait_alu 0xfffe
	s_cbranch_vccnz .LBB512_21
.LBB512_18:                             ;   in Loop: Header=BB512_4 Depth=1
	v_dual_mov_b32 v14, v3 :: v_dual_mov_b32 v13, v2
	s_and_saveexec_b32 s7, s38
	s_cbranch_execz .LBB512_2
	s_branch .LBB512_58
.LBB512_19:                             ;   in Loop: Header=BB512_4 Depth=1
	v_mov_b32_e32 v17, 0
.LBB512_20:                             ;   in Loop: Header=BB512_4 Depth=1
	s_mov_b32 s38, exec_lo
	s_or_b32 exec_lo, exec_lo, s39
	s_delay_alu instid0(SALU_CYCLE_1)
	s_and_b32 vcc_lo, exec_lo, s7
	s_wait_alu 0xfffe
	s_cbranch_vccz .LBB512_18
.LBB512_21:                             ;   in Loop: Header=BB512_4 Depth=1
	v_dual_mov_b32 v36, 0 :: v_dual_mov_b32 v37, 0
	v_dual_mov_b32 v40, v25 :: v_dual_mov_b32 v39, 0
	v_mov_b32_e32 v38, 0
	s_and_saveexec_b32 s7, s6
	s_cbranch_execz .LBB512_33
; %bb.22:                               ;   in Loop: Header=BB512_4 Depth=1
	v_dual_mov_b32 v36, 0 :: v_dual_mov_b32 v41, v30
	v_dual_mov_b32 v42, v7 :: v_dual_mov_b32 v43, v6
	;; [unrolled: 1-line block ×4, first 2 shown]
	v_mov_b32_e32 v38, 0
	s_mov_b32 s39, 0
	s_mov_b32 s40, 0
	s_branch .LBB512_27
.LBB512_23:                             ;   in Loop: Header=BB512_27 Depth=2
	s_or_b32 exec_lo, exec_lo, s44
	s_wait_loadcnt_dscnt 0x303
	v_fma_mix_f32 v17, v57, v61, v38 op_sel_hi:[0,1,0]
	s_wait_loadcnt_dscnt 0x202
	s_delay_alu instid0(VALU_DEP_1) | instskip(SKIP_1) | instid1(VALU_DEP_1)
	v_fma_mix_f32 v17, v58, v62, v17 op_sel_hi:[0,1,0]
	s_wait_loadcnt_dscnt 0x101
	v_fma_mix_f32 v17, v59, v63, v17 op_sel_hi:[0,1,0]
	s_wait_loadcnt_dscnt 0x0
	s_delay_alu instid0(VALU_DEP_1)
	v_fma_mix_f32 v38, v60, v64, v17 op_sel_hi:[0,1,0]
.LBB512_24:                             ;   in Loop: Header=BB512_27 Depth=2
	s_or_b32 exec_lo, exec_lo, s43
	s_wait_loadcnt_dscnt 0x303
	v_fma_mix_f32 v17, v57, v53, v37 op_sel_hi:[0,1,0]
	s_wait_loadcnt_dscnt 0x202
	s_delay_alu instid0(VALU_DEP_1) | instskip(SKIP_1) | instid1(VALU_DEP_1)
	v_fma_mix_f32 v17, v58, v54, v17 op_sel_hi:[0,1,0]
	s_wait_loadcnt_dscnt 0x101
	v_fma_mix_f32 v17, v59, v55, v17 op_sel_hi:[0,1,0]
	s_wait_loadcnt_dscnt 0x0
	s_delay_alu instid0(VALU_DEP_1)
	v_fma_mix_f32 v37, v60, v56, v17 op_sel_hi:[0,1,0]
.LBB512_25:                             ;   in Loop: Header=BB512_27 Depth=2
	s_or_b32 exec_lo, exec_lo, s42
	s_wait_loadcnt_dscnt 0x303
	v_fma_mix_f32 v17, v45, v49, v36 op_sel_hi:[1,1,0]
	s_wait_loadcnt_dscnt 0x202
	s_delay_alu instid0(VALU_DEP_1) | instskip(SKIP_1) | instid1(VALU_DEP_1)
	v_fma_mix_f32 v17, v46, v50, v17 op_sel_hi:[1,1,0]
	s_wait_loadcnt_dscnt 0x101
	v_fma_mix_f32 v17, v47, v51, v17 op_sel_hi:[1,1,0]
	s_wait_loadcnt_dscnt 0x0
	s_delay_alu instid0(VALU_DEP_1)
	v_fma_mix_f32 v36, v48, v52, v17 op_sel_hi:[1,1,0]
.LBB512_26:                             ;   in Loop: Header=BB512_27 Depth=2
	s_wait_alu 0xfffe
	s_or_b32 exec_lo, exec_lo, s41
	v_add_nc_u32_e32 v40, 64, v40
	v_add_nc_u32_e32 v44, s36, v44
	;; [unrolled: 1-line block ×5, first 2 shown]
	v_cmp_le_i32_e32 vcc_lo, s34, v40
	s_add_co_i32 s40, s40, s37
	s_or_b32 s39, vcc_lo, s39
	s_delay_alu instid0(SALU_CYCLE_1)
	s_and_not1_b32 exec_lo, exec_lo, s39
	s_cbranch_execz .LBB512_32
.LBB512_27:                             ;   Parent Loop BB512_4 Depth=1
                                        ; =>  This Inner Loop Header: Depth=2
	s_and_saveexec_b32 s41, s1
	s_cbranch_execz .LBB512_26
; %bb.28:                               ;   in Loop: Header=BB512_27 Depth=2
	s_wait_alu 0xfffe
	v_add_nc_u32_e32 v17, s40, v33
	v_add_nc_u32_e32 v19, s40, v8
	;; [unrolled: 1-line block ×5, first 2 shown]
	v_ashrrev_i32_e32 v18, 31, v17
	v_ashrrev_i32_e32 v20, 31, v19
	;; [unrolled: 1-line block ×5, first 2 shown]
	v_lshlrev_b64_e32 v[17:18], 1, v[17:18]
	v_lshlrev_b64_e32 v[19:20], 1, v[19:20]
	;; [unrolled: 1-line block ×3, first 2 shown]
	s_delay_alu instid0(VALU_DEP_3) | instskip(SKIP_1) | instid1(VALU_DEP_4)
	v_add_co_u32 v47, vcc_lo, v15, v17
	s_wait_alu 0xfffd
	v_add_co_ci_u32_e64 v48, null, v16, v18, vcc_lo
	s_delay_alu instid0(VALU_DEP_4)
	v_add_co_u32 v49, vcc_lo, v15, v19
	v_add_nc_u32_e32 v19, s30, v44
	s_wait_alu 0xfffd
	v_add_co_ci_u32_e64 v50, null, v16, v20, vcc_lo
	v_lshlrev_b64_e32 v[17:18], 1, v[23:24]
	v_add_co_u32 v51, vcc_lo, v15, v21
	v_add_nc_u32_e32 v23, s30, v43
	s_wait_alu 0xfffd
	v_add_co_ci_u32_e64 v52, null, v16, v22, vcc_lo
	v_lshlrev_b64_e32 v[21:22], 1, v[45:46]
	v_add_nc_u32_e32 v45, s30, v42
	v_ashrrev_i32_e32 v20, 31, v19
	v_ashrrev_i32_e32 v24, 31, v23
	v_add_co_u32 v53, vcc_lo, v15, v17
	s_delay_alu instid0(VALU_DEP_4)
	v_ashrrev_i32_e32 v46, 31, v45
	s_wait_alu 0xfffd
	v_add_co_ci_u32_e64 v54, null, v16, v18, vcc_lo
	v_lshlrev_b64_e32 v[19:20], 1, v[19:20]
	v_add_co_u32 v17, vcc_lo, v13, v21
	s_wait_alu 0xfffd
	v_add_co_ci_u32_e64 v18, null, v14, v22, vcc_lo
	v_lshlrev_b64_e32 v[21:22], 1, v[23:24]
	v_lshlrev_b64_e32 v[23:24], 1, v[45:46]
	v_add_co_u32 v19, vcc_lo, v13, v19
	s_wait_alu 0xfffd
	v_add_co_ci_u32_e64 v20, null, v14, v20, vcc_lo
	s_delay_alu instid0(VALU_DEP_4)
	v_add_co_u32 v21, vcc_lo, v13, v21
	s_wait_alu 0xfffd
	v_add_co_ci_u32_e64 v22, null, v14, v22, vcc_lo
	v_add_co_u32 v23, vcc_lo, v13, v23
	s_wait_alu 0xfffd
	v_add_co_ci_u32_e64 v24, null, v14, v24, vcc_lo
	s_clause 0x3
	flat_load_u16 v45, v[47:48]
	flat_load_u16 v46, v[49:50]
	;; [unrolled: 1-line block ×4, first 2 shown]
	s_clause 0x3
	flat_load_u16 v49, v[17:18]
	flat_load_u16 v50, v[19:20]
	;; [unrolled: 1-line block ×4, first 2 shown]
	s_and_saveexec_b32 s42, s3
	s_cbranch_execz .LBB512_25
; %bb.29:                               ;   in Loop: Header=BB512_27 Depth=2
	s_clause 0x3
	flat_load_u16 v53, v[17:18] offset:64
	flat_load_u16 v54, v[19:20] offset:64
	;; [unrolled: 1-line block ×4, first 2 shown]
	s_wait_loadcnt_dscnt 0xb0b
	v_cvt_f32_f16_e32 v57, v45
	s_wait_loadcnt_dscnt 0xa0a
	v_cvt_f32_f16_e32 v58, v46
	;; [unrolled: 2-line block ×4, first 2 shown]
	s_and_saveexec_b32 s43, s4
	s_cbranch_execz .LBB512_24
; %bb.30:                               ;   in Loop: Header=BB512_27 Depth=2
	s_clause 0x3
	flat_load_u16 v61, v[17:18] offset:128
	flat_load_u16 v62, v[19:20] offset:128
	;; [unrolled: 1-line block ×4, first 2 shown]
	s_and_saveexec_b32 s44, s5
	s_cbranch_execz .LBB512_23
; %bb.31:                               ;   in Loop: Header=BB512_27 Depth=2
	s_clause 0x3
	flat_load_u16 v17, v[17:18] offset:192
	flat_load_u16 v18, v[19:20] offset:192
	;; [unrolled: 1-line block ×4, first 2 shown]
	s_wait_loadcnt_dscnt 0x303
	v_fma_mix_f32 v17, v57, v17, v39 op_sel_hi:[0,1,0]
	s_wait_loadcnt_dscnt 0x202
	s_delay_alu instid0(VALU_DEP_1) | instskip(SKIP_1) | instid1(VALU_DEP_1)
	v_fma_mix_f32 v17, v58, v18, v17 op_sel_hi:[0,1,0]
	s_wait_loadcnt_dscnt 0x101
	v_fma_mix_f32 v17, v59, v19, v17 op_sel_hi:[0,1,0]
	s_wait_loadcnt_dscnt 0x0
	s_delay_alu instid0(VALU_DEP_1)
	v_fma_mix_f32 v39, v60, v20, v17 op_sel_hi:[0,1,0]
	s_branch .LBB512_23
.LBB512_32:                             ;   in Loop: Header=BB512_4 Depth=1
	s_or_b32 exec_lo, exec_lo, s39
.LBB512_33:                             ;   in Loop: Header=BB512_4 Depth=1
	s_wait_alu 0xfffe
	s_or_b32 exec_lo, exec_lo, s7
	s_delay_alu instid0(SALU_CYCLE_1)
	s_and_not1_b32 vcc_lo, exec_lo, s20
	s_wait_alu 0xfffe
	s_cbranch_vccnz .LBB512_51
; %bb.34:                               ;   in Loop: Header=BB512_4 Depth=1
	v_cmp_gt_i32_e32 vcc_lo, s21, v40
	v_dual_mov_b32 v21, 0 :: v_dual_mov_b32 v22, 0
	v_or_b32_e32 v17, 1, v40
	v_dual_mov_b32 v23, 0 :: v_dual_mov_b32 v24, 0
	s_and_saveexec_b32 s39, vcc_lo
	s_cbranch_execz .LBB512_42
; %bb.35:                               ;   in Loop: Header=BB512_4 Depth=1
	v_mul_lo_u32 v18, v40, s26
	v_dual_mov_b32 v23, 0 :: v_dual_mov_b32 v22, 0
	v_mov_b32_e32 v21, 0
	s_mov_b32 s40, exec_lo
	s_delay_alu instid0(VALU_DEP_3) | instskip(NEXT) | instid1(VALU_DEP_1)
	v_ashrrev_i32_e32 v19, 31, v18
	v_lshlrev_b64_e32 v[18:19], 1, v[18:19]
	s_delay_alu instid0(VALU_DEP_1) | instskip(SKIP_1) | instid1(VALU_DEP_2)
	v_add_co_u32 v18, s7, v15, v18
	s_wait_alu 0xf1ff
	v_add_co_ci_u32_e64 v19, null, v16, v19, s7
	flat_load_u16 v18, v[18:19]
	v_cmpx_gt_i32_e64 s21, v17
	s_cbranch_execz .LBB512_41
; %bb.36:                               ;   in Loop: Header=BB512_4 Depth=1
	v_mul_lo_u32 v19, v17, s26
	v_dual_mov_b32 v22, 0 :: v_dual_mov_b32 v21, 0
	s_mov_b32 s41, exec_lo
	s_delay_alu instid0(VALU_DEP_2) | instskip(NEXT) | instid1(VALU_DEP_1)
	v_ashrrev_i32_e32 v20, 31, v19
	v_lshlrev_b64_e32 v[19:20], 1, v[19:20]
	s_delay_alu instid0(VALU_DEP_1) | instskip(SKIP_1) | instid1(VALU_DEP_2)
	v_add_co_u32 v19, s7, v15, v19
	s_wait_alu 0xf1ff
	v_add_co_ci_u32_e64 v20, null, v16, v20, s7
	flat_load_u16 v19, v[19:20]
	v_or_b32_e32 v20, 2, v40
	s_delay_alu instid0(VALU_DEP_1)
	v_cmpx_gt_i32_e64 s21, v20
	s_cbranch_execz .LBB512_40
; %bb.37:                               ;   in Loop: Header=BB512_4 Depth=1
	v_mul_lo_u32 v20, v20, s26
	v_or_b32_e32 v22, 3, v40
	s_mov_b32 s42, exec_lo
	s_delay_alu instid0(VALU_DEP_2) | instskip(NEXT) | instid1(VALU_DEP_1)
	v_ashrrev_i32_e32 v21, 31, v20
	v_lshlrev_b64_e32 v[20:21], 1, v[20:21]
	s_delay_alu instid0(VALU_DEP_1) | instskip(SKIP_1) | instid1(VALU_DEP_2)
	v_add_co_u32 v20, s7, v15, v20
	s_wait_alu 0xf1ff
	v_add_co_ci_u32_e64 v21, null, v16, v21, s7
	flat_load_u16 v20, v[20:21]
	v_mov_b32_e32 v21, 0
	v_cmpx_gt_i32_e64 s21, v22
	s_cbranch_execz .LBB512_39
; %bb.38:                               ;   in Loop: Header=BB512_4 Depth=1
	v_mul_lo_u32 v21, v22, s26
	s_delay_alu instid0(VALU_DEP_1) | instskip(NEXT) | instid1(VALU_DEP_1)
	v_ashrrev_i32_e32 v22, 31, v21
	v_lshlrev_b64_e32 v[21:22], 1, v[21:22]
	s_delay_alu instid0(VALU_DEP_1) | instskip(SKIP_1) | instid1(VALU_DEP_2)
	v_add_co_u32 v15, s7, v15, v21
	s_wait_alu 0xf1ff
	v_add_co_ci_u32_e64 v16, null, v16, v22, s7
	flat_load_u16 v15, v[15:16]
	s_wait_loadcnt_dscnt 0x0
	v_cvt_f32_f16_e32 v21, v15
.LBB512_39:                             ;   in Loop: Header=BB512_4 Depth=1
	s_or_b32 exec_lo, exec_lo, s42
	s_wait_loadcnt_dscnt 0x0
	v_cvt_f32_f16_e32 v22, v20
.LBB512_40:                             ;   in Loop: Header=BB512_4 Depth=1
	s_wait_alu 0xfffe
	s_or_b32 exec_lo, exec_lo, s41
	s_wait_loadcnt_dscnt 0x0
	v_cvt_f32_f16_e32 v23, v19
.LBB512_41:                             ;   in Loop: Header=BB512_4 Depth=1
	s_wait_alu 0xfffe
	s_or_b32 exec_lo, exec_lo, s40
	s_wait_loadcnt_dscnt 0x0
	v_cvt_f32_f16_e32 v24, v18
.LBB512_42:                             ;   in Loop: Header=BB512_4 Depth=1
	s_or_b32 exec_lo, exec_lo, s39
	s_and_saveexec_b32 s7, s1
	s_cbranch_execz .LBB512_50
; %bb.43:                               ;   in Loop: Header=BB512_4 Depth=1
	v_mul_lo_u32 v16, v40, s28
	v_or_b32_e32 v15, 2, v40
	v_mul_lo_u32 v19, v17, s28
	v_or_b32_e32 v18, 3, v40
	s_delay_alu instid0(VALU_DEP_3) | instskip(NEXT) | instid1(VALU_DEP_2)
	v_mul_lo_u32 v20, v15, s28
	v_mul_lo_u32 v40, v18, s28
	v_cndmask_b32_e32 v16, 0, v16, vcc_lo
	v_cmp_gt_i32_e32 vcc_lo, s21, v17
	s_wait_alu 0xfffd
	v_cndmask_b32_e32 v17, 0, v19, vcc_lo
	v_cmp_gt_i32_e32 vcc_lo, s21, v15
	v_add_nc_u32_e32 v15, v16, v29
	s_delay_alu instid0(VALU_DEP_3)
	v_add_nc_u32_e32 v17, v17, v29
	s_wait_alu 0xfffd
	v_cndmask_b32_e32 v19, 0, v20, vcc_lo
	v_cmp_gt_i32_e32 vcc_lo, s21, v18
	v_ashrrev_i32_e32 v16, 31, v15
	s_wait_alu 0xfffd
	v_cndmask_b32_e32 v18, 0, v40, vcc_lo
	s_delay_alu instid0(VALU_DEP_2) | instskip(NEXT) | instid1(VALU_DEP_2)
	v_lshlrev_b64_e32 v[15:16], 1, v[15:16]
	v_add_nc_u32_e32 v40, v18, v29
	v_add_nc_u32_e32 v19, v19, v29
	v_ashrrev_i32_e32 v18, 31, v17
	s_delay_alu instid0(VALU_DEP_4) | instskip(NEXT) | instid1(VALU_DEP_4)
	v_add_co_u32 v15, vcc_lo, v13, v15
	v_ashrrev_i32_e32 v41, 31, v40
	s_delay_alu instid0(VALU_DEP_4) | instskip(NEXT) | instid1(VALU_DEP_4)
	v_ashrrev_i32_e32 v20, 31, v19
	v_lshlrev_b64_e32 v[17:18], 1, v[17:18]
	s_wait_alu 0xfffd
	v_add_co_ci_u32_e64 v16, null, v14, v16, vcc_lo
	v_lshlrev_b64_e32 v[40:41], 1, v[40:41]
	v_lshlrev_b64_e32 v[19:20], 1, v[19:20]
	s_delay_alu instid0(VALU_DEP_4) | instskip(SKIP_2) | instid1(VALU_DEP_3)
	v_add_co_u32 v17, vcc_lo, v13, v17
	s_wait_alu 0xfffd
	v_add_co_ci_u32_e64 v18, null, v14, v18, vcc_lo
	v_add_co_u32 v19, vcc_lo, v13, v19
	s_wait_alu 0xfffd
	v_add_co_ci_u32_e64 v20, null, v14, v20, vcc_lo
	;; [unrolled: 3-line block ×3, first 2 shown]
	s_clause 0x3
	flat_load_u16 v40, v[15:16]
	flat_load_u16 v41, v[17:18]
	;; [unrolled: 1-line block ×4, first 2 shown]
	s_and_saveexec_b32 s39, s3
	s_cbranch_execz .LBB512_49
; %bb.44:                               ;   in Loop: Header=BB512_4 Depth=1
	s_clause 0x3
	flat_load_u16 v44, v[15:16] offset:64
	flat_load_u16 v45, v[17:18] offset:64
	flat_load_u16 v46, v[19:20] offset:64
	flat_load_u16 v47, v[13:14] offset:64
	s_and_saveexec_b32 s40, s4
	s_cbranch_execz .LBB512_48
; %bb.45:                               ;   in Loop: Header=BB512_4 Depth=1
	s_clause 0x3
	flat_load_u16 v48, v[15:16] offset:128
	flat_load_u16 v49, v[17:18] offset:128
	flat_load_u16 v50, v[19:20] offset:128
	flat_load_u16 v51, v[13:14] offset:128
	s_and_saveexec_b32 s41, s5
	s_cbranch_execz .LBB512_47
; %bb.46:                               ;   in Loop: Header=BB512_4 Depth=1
	s_clause 0x3
	flat_load_u16 v15, v[15:16] offset:192
	flat_load_u16 v16, v[17:18] offset:192
	flat_load_u16 v17, v[19:20] offset:192
	flat_load_u16 v13, v[13:14] offset:192
	s_wait_loadcnt_dscnt 0x303
	v_fma_mix_f32 v14, v24, v15, v39 op_sel_hi:[0,1,0]
	s_wait_loadcnt_dscnt 0x202
	s_delay_alu instid0(VALU_DEP_1) | instskip(SKIP_1) | instid1(VALU_DEP_1)
	v_fma_mix_f32 v14, v23, v16, v14 op_sel_hi:[0,1,0]
	s_wait_loadcnt_dscnt 0x101
	v_fma_mix_f32 v14, v22, v17, v14 op_sel_hi:[0,1,0]
	s_wait_loadcnt_dscnt 0x0
	s_delay_alu instid0(VALU_DEP_1)
	v_fma_mix_f32 v39, v21, v13, v14 op_sel_hi:[0,1,0]
.LBB512_47:                             ;   in Loop: Header=BB512_4 Depth=1
	s_wait_alu 0xfffe
	s_or_b32 exec_lo, exec_lo, s41
	s_wait_loadcnt_dscnt 0x303
	v_fma_mix_f32 v13, v24, v48, v38 op_sel_hi:[0,1,0]
	s_wait_loadcnt_dscnt 0x202
	s_delay_alu instid0(VALU_DEP_1) | instskip(SKIP_1) | instid1(VALU_DEP_1)
	v_fma_mix_f32 v13, v23, v49, v13 op_sel_hi:[0,1,0]
	s_wait_loadcnt_dscnt 0x101
	v_fma_mix_f32 v13, v22, v50, v13 op_sel_hi:[0,1,0]
	s_wait_loadcnt_dscnt 0x0
	s_delay_alu instid0(VALU_DEP_1)
	v_fma_mix_f32 v38, v21, v51, v13 op_sel_hi:[0,1,0]
.LBB512_48:                             ;   in Loop: Header=BB512_4 Depth=1
	s_wait_alu 0xfffe
	s_or_b32 exec_lo, exec_lo, s40
	s_wait_loadcnt_dscnt 0x303
	v_fma_mix_f32 v13, v24, v44, v37 op_sel_hi:[0,1,0]
	s_wait_loadcnt_dscnt 0x202
	s_delay_alu instid0(VALU_DEP_1) | instskip(SKIP_1) | instid1(VALU_DEP_1)
	v_fma_mix_f32 v13, v23, v45, v13 op_sel_hi:[0,1,0]
	s_wait_loadcnt_dscnt 0x101
	v_fma_mix_f32 v13, v22, v46, v13 op_sel_hi:[0,1,0]
	s_wait_loadcnt_dscnt 0x0
	s_delay_alu instid0(VALU_DEP_1)
	v_fma_mix_f32 v37, v21, v47, v13 op_sel_hi:[0,1,0]
.LBB512_49:                             ;   in Loop: Header=BB512_4 Depth=1
	s_or_b32 exec_lo, exec_lo, s39
	s_wait_loadcnt_dscnt 0x303
	v_fma_mix_f32 v13, v24, v40, v36 op_sel_hi:[0,1,0]
	s_wait_loadcnt_dscnt 0x202
	s_delay_alu instid0(VALU_DEP_1) | instskip(SKIP_1) | instid1(VALU_DEP_1)
	v_fma_mix_f32 v13, v23, v41, v13 op_sel_hi:[0,1,0]
	s_wait_loadcnt_dscnt 0x101
	v_fma_mix_f32 v13, v22, v42, v13 op_sel_hi:[0,1,0]
	s_wait_loadcnt_dscnt 0x0
	s_delay_alu instid0(VALU_DEP_1)
	v_fma_mix_f32 v36, v21, v43, v13 op_sel_hi:[0,1,0]
.LBB512_50:                             ;   in Loop: Header=BB512_4 Depth=1
	s_wait_alu 0xfffe
	s_or_b32 exec_lo, exec_lo, s7
.LBB512_51:                             ;   in Loop: Header=BB512_4 Depth=1
	ds_store_2addr_b32 v26, v36, v37 offset1:32
	ds_store_2addr_b32 v26, v38, v39 offset0:64 offset1:96
	s_wait_dscnt 0x0
	s_barrier_signal -1
	s_barrier_wait -1
	global_inv scope:SCOPE_SE
                                        ; implicit-def: $vgpr17
	s_and_saveexec_b32 s7, s0
	s_cbranch_execz .LBB512_57
; %bb.52:                               ;   in Loop: Header=BB512_4 Depth=1
	ds_load_2addr_stride64_b32 v[13:14], v27 offset1:2
	ds_load_2addr_stride64_b32 v[15:16], v27 offset0:4 offset1:6
	ds_load_2addr_stride64_b32 v[17:18], v27 offset0:8 offset1:10
	s_mov_b32 s40, s38
	s_wait_dscnt 0x2
	v_add_f32_e32 v19, v13, v14
	ds_load_2addr_stride64_b32 v[13:14], v27 offset0:12 offset1:14
	s_wait_dscnt 0x2
	v_add_f32_e32 v15, v15, v19
	s_delay_alu instid0(VALU_DEP_1) | instskip(SKIP_3) | instid1(VALU_DEP_1)
	v_add_f32_e32 v19, v16, v15
	ds_load_2addr_stride64_b32 v[15:16], v27 offset0:16 offset1:18
	s_wait_dscnt 0x2
	v_add_f32_e32 v17, v17, v19
	v_add_f32_e32 v19, v18, v17
	ds_load_2addr_stride64_b32 v[17:18], v27 offset0:20 offset1:22
	s_wait_dscnt 0x2
	v_add_f32_e32 v13, v13, v19
	s_delay_alu instid0(VALU_DEP_1) | instskip(SKIP_1) | instid1(VALU_DEP_1)
	v_add_f32_e32 v13, v14, v13
	s_wait_dscnt 0x1
	v_add_f32_e32 v15, v15, v13
	ds_load_2addr_stride64_b32 v[13:14], v27 offset0:24 offset1:26
	v_add_f32_e32 v15, v16, v15
	s_wait_dscnt 0x1
	s_delay_alu instid0(VALU_DEP_1) | instskip(SKIP_3) | instid1(VALU_DEP_1)
	v_add_f32_e32 v17, v17, v15
	ds_load_2addr_stride64_b32 v[15:16], v27 offset0:28 offset1:30
	v_add_f32_e32 v17, v18, v17
	s_wait_dscnt 0x1
	v_add_f32_e32 v13, v13, v17
                                        ; implicit-def: $vgpr17
	s_delay_alu instid0(VALU_DEP_1) | instskip(SKIP_1) | instid1(VALU_DEP_1)
	v_add_f32_e32 v13, v14, v13
	s_wait_dscnt 0x0
	v_add_f32_e32 v13, v15, v13
	s_delay_alu instid0(VALU_DEP_1)
	v_add_f32_e32 v13, v16, v13
	ds_store_b32 v27, v13
	s_and_saveexec_b32 s39, s2
	s_cbranch_execz .LBB512_56
; %bb.53:                               ;   in Loop: Header=BB512_4 Depth=1
	v_mul_f32_e32 v17, s22, v13
	s_and_not1_b32 vcc_lo, exec_lo, s33
	s_wait_alu 0xfffe
	s_cbranch_vccnz .LBB512_55
; %bb.54:                               ;   in Loop: Header=BB512_4 Depth=1
	v_add_co_u32 v13, vcc_lo, v34, v11
	s_wait_alu 0xfffd
	v_add_co_ci_u32_e64 v14, null, v35, v12, vcc_lo
	flat_load_b32 v13, v[13:14]
	s_wait_loadcnt_dscnt 0x0
	v_fmac_f32_e32 v17, s27, v13
.LBB512_55:                             ;   in Loop: Header=BB512_4 Depth=1
	s_or_b32 s40, s38, exec_lo
.LBB512_56:                             ;   in Loop: Header=BB512_4 Depth=1
	s_or_b32 exec_lo, exec_lo, s39
	s_delay_alu instid0(SALU_CYCLE_1) | instskip(SKIP_2) | instid1(SALU_CYCLE_1)
	s_and_not1_b32 s38, s38, exec_lo
	s_wait_alu 0xfffe
	s_and_b32 s39, s40, exec_lo
	s_or_b32 s38, s38, s39
.LBB512_57:                             ;   in Loop: Header=BB512_4 Depth=1
	s_wait_alu 0xfffe
	s_or_b32 exec_lo, exec_lo, s7
	v_dual_mov_b32 v14, v5 :: v_dual_mov_b32 v13, v4
	s_and_saveexec_b32 s7, s38
	s_cbranch_execz .LBB512_2
.LBB512_58:                             ;   in Loop: Header=BB512_4 Depth=1
	s_delay_alu instid0(VALU_DEP_1) | instskip(NEXT) | instid1(VALU_DEP_1)
	v_lshlrev_b64_e32 v[13:14], 2, v[13:14]
	v_add_co_u32 v13, vcc_lo, v34, v13
	s_wait_alu 0xfffd
	s_delay_alu instid0(VALU_DEP_2)
	v_add_co_ci_u32_e64 v14, null, v35, v14, vcc_lo
	flat_store_b32 v[13:14], v17
	s_branch .LBB512_2
.LBB512_59:
	s_endpgm
	.section	.rodata,"a",@progbits
	.p2align	6, 0x0
	.amdhsa_kernel _ZL20rocblas_gemvn_kernelILi32ELi16EiPKDF16_fKPfEviiT3_lPKT2_lT1_lS7_lS8_lS4_lPT4_lS8_li
		.amdhsa_group_segment_fixed_size 8192
		.amdhsa_private_segment_fixed_size 0
		.amdhsa_kernarg_size 400
		.amdhsa_user_sgpr_count 2
		.amdhsa_user_sgpr_dispatch_ptr 0
		.amdhsa_user_sgpr_queue_ptr 0
		.amdhsa_user_sgpr_kernarg_segment_ptr 1
		.amdhsa_user_sgpr_dispatch_id 0
		.amdhsa_user_sgpr_private_segment_size 0
		.amdhsa_wavefront_size32 1
		.amdhsa_uses_dynamic_stack 0
		.amdhsa_enable_private_segment 0
		.amdhsa_system_sgpr_workgroup_id_x 1
		.amdhsa_system_sgpr_workgroup_id_y 0
		.amdhsa_system_sgpr_workgroup_id_z 1
		.amdhsa_system_sgpr_workgroup_info 0
		.amdhsa_system_vgpr_workitem_id 1
		.amdhsa_next_free_vgpr 65
		.amdhsa_next_free_sgpr 45
		.amdhsa_reserve_vcc 1
		.amdhsa_float_round_mode_32 0
		.amdhsa_float_round_mode_16_64 0
		.amdhsa_float_denorm_mode_32 3
		.amdhsa_float_denorm_mode_16_64 3
		.amdhsa_fp16_overflow 0
		.amdhsa_workgroup_processor_mode 1
		.amdhsa_memory_ordered 1
		.amdhsa_forward_progress 1
		.amdhsa_inst_pref_size 28
		.amdhsa_round_robin_scheduling 0
		.amdhsa_exception_fp_ieee_invalid_op 0
		.amdhsa_exception_fp_denorm_src 0
		.amdhsa_exception_fp_ieee_div_zero 0
		.amdhsa_exception_fp_ieee_overflow 0
		.amdhsa_exception_fp_ieee_underflow 0
		.amdhsa_exception_fp_ieee_inexact 0
		.amdhsa_exception_int_div_zero 0
	.end_amdhsa_kernel
	.section	.text._ZL20rocblas_gemvn_kernelILi32ELi16EiPKDF16_fKPfEviiT3_lPKT2_lT1_lS7_lS8_lS4_lPT4_lS8_li,"axG",@progbits,_ZL20rocblas_gemvn_kernelILi32ELi16EiPKDF16_fKPfEviiT3_lPKT2_lT1_lS7_lS8_lS4_lPT4_lS8_li,comdat
.Lfunc_end512:
	.size	_ZL20rocblas_gemvn_kernelILi32ELi16EiPKDF16_fKPfEviiT3_lPKT2_lT1_lS7_lS8_lS4_lPT4_lS8_li, .Lfunc_end512-_ZL20rocblas_gemvn_kernelILi32ELi16EiPKDF16_fKPfEviiT3_lPKT2_lT1_lS7_lS8_lS4_lPT4_lS8_li
                                        ; -- End function
	.set _ZL20rocblas_gemvn_kernelILi32ELi16EiPKDF16_fKPfEviiT3_lPKT2_lT1_lS7_lS8_lS4_lPT4_lS8_li.num_vgpr, 65
	.set _ZL20rocblas_gemvn_kernelILi32ELi16EiPKDF16_fKPfEviiT3_lPKT2_lT1_lS7_lS8_lS4_lPT4_lS8_li.num_agpr, 0
	.set _ZL20rocblas_gemvn_kernelILi32ELi16EiPKDF16_fKPfEviiT3_lPKT2_lT1_lS7_lS8_lS4_lPT4_lS8_li.numbered_sgpr, 45
	.set _ZL20rocblas_gemvn_kernelILi32ELi16EiPKDF16_fKPfEviiT3_lPKT2_lT1_lS7_lS8_lS4_lPT4_lS8_li.num_named_barrier, 0
	.set _ZL20rocblas_gemvn_kernelILi32ELi16EiPKDF16_fKPfEviiT3_lPKT2_lT1_lS7_lS8_lS4_lPT4_lS8_li.private_seg_size, 0
	.set _ZL20rocblas_gemvn_kernelILi32ELi16EiPKDF16_fKPfEviiT3_lPKT2_lT1_lS7_lS8_lS4_lPT4_lS8_li.uses_vcc, 1
	.set _ZL20rocblas_gemvn_kernelILi32ELi16EiPKDF16_fKPfEviiT3_lPKT2_lT1_lS7_lS8_lS4_lPT4_lS8_li.uses_flat_scratch, 1
	.set _ZL20rocblas_gemvn_kernelILi32ELi16EiPKDF16_fKPfEviiT3_lPKT2_lT1_lS7_lS8_lS4_lPT4_lS8_li.has_dyn_sized_stack, 0
	.set _ZL20rocblas_gemvn_kernelILi32ELi16EiPKDF16_fKPfEviiT3_lPKT2_lT1_lS7_lS8_lS4_lPT4_lS8_li.has_recursion, 0
	.set _ZL20rocblas_gemvn_kernelILi32ELi16EiPKDF16_fKPfEviiT3_lPKT2_lT1_lS7_lS8_lS4_lPT4_lS8_li.has_indirect_call, 0
	.section	.AMDGPU.csdata,"",@progbits
; Kernel info:
; codeLenInByte = 3516
; TotalNumSgprs: 47
; NumVgprs: 65
; ScratchSize: 0
; MemoryBound: 0
; FloatMode: 240
; IeeeMode: 1
; LDSByteSize: 8192 bytes/workgroup (compile time only)
; SGPRBlocks: 0
; VGPRBlocks: 8
; NumSGPRsForWavesPerEU: 47
; NumVGPRsForWavesPerEU: 65
; Occupancy: 16
; WaveLimiterHint : 1
; COMPUTE_PGM_RSRC2:SCRATCH_EN: 0
; COMPUTE_PGM_RSRC2:USER_SGPR: 2
; COMPUTE_PGM_RSRC2:TRAP_HANDLER: 0
; COMPUTE_PGM_RSRC2:TGID_X_EN: 1
; COMPUTE_PGM_RSRC2:TGID_Y_EN: 0
; COMPUTE_PGM_RSRC2:TGID_Z_EN: 1
; COMPUTE_PGM_RSRC2:TIDIG_COMP_CNT: 1
	.section	.text._ZL20rocblas_gemvn_kernelILi32ELi16ElPKDF16_fKPfEviiT3_lPKT2_lT1_lS7_lS8_lS4_lPT4_lS8_li,"axG",@progbits,_ZL20rocblas_gemvn_kernelILi32ELi16ElPKDF16_fKPfEviiT3_lPKT2_lT1_lS7_lS8_lS4_lPT4_lS8_li,comdat
	.globl	_ZL20rocblas_gemvn_kernelILi32ELi16ElPKDF16_fKPfEviiT3_lPKT2_lT1_lS7_lS8_lS4_lPT4_lS8_li ; -- Begin function _ZL20rocblas_gemvn_kernelILi32ELi16ElPKDF16_fKPfEviiT3_lPKT2_lT1_lS7_lS8_lS4_lPT4_lS8_li
	.p2align	8
	.type	_ZL20rocblas_gemvn_kernelILi32ELi16ElPKDF16_fKPfEviiT3_lPKT2_lT1_lS7_lS8_lS4_lPT4_lS8_li,@function
_ZL20rocblas_gemvn_kernelILi32ELi16ElPKDF16_fKPfEviiT3_lPKT2_lT1_lS7_lS8_lS4_lPT4_lS8_li: ; @_ZL20rocblas_gemvn_kernelILi32ELi16ElPKDF16_fKPfEviiT3_lPKT2_lT1_lS7_lS8_lS4_lPT4_lS8_li
; %bb.0:
	s_clause 0x1
	s_load_b64 s[2:3], s[0:1], 0x9c
	s_load_b32 s23, s[0:1], 0x88
	s_lshr_b32 s24, ttmp7, 16
	s_wait_kmcnt 0x0
	s_lshr_b32 s4, s2, 16
	s_and_b32 s2, s2, 0xffff
	s_and_b32 s3, s3, 0xffff
	s_mul_i32 s2, s4, s2
	s_delay_alu instid0(SALU_CYCLE_1) | instskip(NEXT) | instid1(SALU_CYCLE_1)
	s_mul_i32 s2, s2, s3
	s_cmp_lg_u32 s2, 0x200
	s_cselect_b32 s2, -1, 0
	s_cmp_ge_u32 s24, s23
	s_cselect_b32 s3, -1, 0
	s_delay_alu instid0(SALU_CYCLE_1) | instskip(NEXT) | instid1(SALU_CYCLE_1)
	s_or_b32 s2, s2, s3
	s_and_b32 vcc_lo, exec_lo, s2
	s_cbranch_vccnz .LBB513_59
; %bb.1:
	s_clause 0x7
	s_load_b96 s[20:22], s[0:1], 0x0
	s_load_b32 s33, s[0:1], 0x58
	s_load_b64 s[26:27], s[0:1], 0x48
	s_load_b128 s[8:11], s[0:1], 0x18
	s_load_b64 s[28:29], s[0:1], 0x28
	s_load_b128 s[12:15], s[0:1], 0x38
	;; [unrolled: 2-line block ×3, first 2 shown]
	v_dual_mov_b32 v1, 0 :: v_dual_and_b32 v2, 0x3ff, v0
	v_bfe_u32 v26, v0, 10, 10
	s_mov_b32 s25, 0
	s_delay_alu instid0(VALU_DEP_2) | instskip(NEXT) | instid1(VALU_DEP_2)
	v_lshlrev_b32_e32 v16, 2, v2
	v_lshl_add_u32 v3, v26, 5, v2
	v_lshlrev_b32_e32 v40, 2, v26
	s_delay_alu instid0(VALU_DEP_2)
	v_cmp_gt_u32_e64 s0, 0x80, v3
	s_wait_kmcnt 0x0
	s_cmp_eq_f32 s22, 0
	v_mad_co_u64_u32 v[6:7], null, s26, v26, 0
	s_mov_b32 s2, s20
	s_cselect_b32 s36, -1, 0
	s_cmp_neq_f32 s33, 1.0
	v_or_b32_e32 v17, 3, v40
	s_cselect_b32 s1, -1, 0
	s_cmp_neq_f32 s22, 0
	s_delay_alu instid0(VALU_DEP_1)
	v_mad_co_u64_u32 v[12:13], null, s26, v17, 0
	s_cselect_b32 s4, -1, 0
	s_lshl_b32 s30, ttmp9, 7
	s_ashr_i32 s3, s20, 31
	v_add_nc_u32_e32 v0, s30, v3
	v_add_nc_u32_e32 v8, s30, v2
	s_or_b32 s37, s4, s1
	s_cmp_neq_f32 s33, 0
	v_or_b32_e32 v18, s30, v3
	v_mad_co_u64_u32 v[2:3], null, s6, v0, 0
	v_add_nc_u32_e32 v4, 32, v8
	v_cmp_gt_i64_e32 vcc_lo, s[2:3], v[0:1]
	s_cselect_b32 s38, -1, 0
	s_ashr_i32 s2, s21, 31
	v_add_nc_u32_e32 v5, 64, v8
	s_wait_alu 0xfffe
	s_lshr_b32 s2, s2, 26
	v_add_nc_u32_e32 v10, 0x60, v8
	s_wait_alu 0xfffe
	s_add_co_i32 s39, s21, s2
	v_cmp_gt_i32_e64 s2, s20, v4
	v_mad_co_u64_u32 v[3:4], null, s7, v0, v[3:4]
	v_mov_b32_e32 v0, v7
	v_cndmask_b32_e64 v42, 0, 1, s4
	v_cmp_gt_i32_e64 s4, s20, v10
	v_mad_co_u64_u32 v[10:11], null, s28, v17, 0
	s_delay_alu instid0(VALU_DEP_4)
	v_mad_co_u64_u32 v[14:15], null, s27, v26, v[0:1]
	s_and_not1_b32 s39, s39, 63
	v_mul_lo_u32 v19, s7, v18
	v_cmp_gt_i32_e64 s3, s20, v5
	s_sub_co_i32 s5, s21, s39
	v_mad_co_u64_u32 v[4:5], null, s6, v18, 0
	v_mov_b32_e32 v7, v14
	v_mad_co_u64_u32 v[14:15], null, s29, v17, v[11:12]
	s_wait_alu 0xfffe
	s_cmp_gt_i32 s5, 0
	v_lshl_add_u32 v41, v26, 9, v16
	s_cselect_b32 s40, -1, 0
	s_ashr_i32 s7, s30, 31
	v_lshl_add_u32 v0, v26, 7, v16
	s_wait_alu 0xfffe
	s_mul_i32 s7, s6, s7
	v_mov_b32_e32 v11, v14
	v_or_b32_e32 v29, 2, v40
	v_mad_co_u64_u32 v[15:16], null, s27, v17, v[13:14]
	v_cmp_gt_i32_e64 s6, s20, v18
	s_wait_alu 0xfffe
	v_add3_u32 v5, v5, s7, v19
	v_mad_co_u64_u32 v[16:17], null, s28, v26, 0
	v_mad_co_u64_u32 v[18:19], null, s28, v29, 0
	v_mov_b32_e32 v13, v15
	v_mad_co_u64_u32 v[20:21], null, s26, v29, 0
	v_mad_co_u64_u32 v[22:23], null, s26, v40, s[26:27]
	s_delay_alu instid0(VALU_DEP_4) | instskip(SKIP_3) | instid1(VALU_DEP_4)
	v_dual_mov_b32 v14, v17 :: v_dual_mov_b32 v15, v19
	v_mad_co_u64_u32 v[24:25], null, s28, v40, s[28:29]
	v_ashrrev_i32_e32 v9, 31, v8
	v_cmp_gt_i32_e64 s1, s20, v8
	v_mad_co_u64_u32 v[26:27], null, s29, v26, v[14:15]
	v_mad_co_u64_u32 v[27:28], null, s29, v29, v[15:16]
	v_dual_mov_b32 v14, v21 :: v_dual_mov_b32 v15, v23
	v_mov_b32_e32 v17, v25
	v_lshlrev_b64_e32 v[6:7], 3, v[6:7]
	v_lshlrev_b64_e32 v[8:9], 1, v[8:9]
	;; [unrolled: 1-line block ×3, first 2 shown]
	v_mov_b32_e32 v19, v27
	v_mad_co_u64_u32 v[28:29], null, s27, v29, v[14:15]
	v_mad_co_u64_u32 v[14:15], null, s27, v40, v[15:16]
	;; [unrolled: 1-line block ×3, first 2 shown]
	v_mov_b32_e32 v17, v26
	v_lshlrev_b64_e32 v[12:13], 1, v[12:13]
	v_mov_b32_e32 v21, v28
	v_cmp_gt_i32_e64 s5, s39, v40
	v_mov_b32_e32 v23, v14
	v_lshlrev_b64_e32 v[14:15], 3, v[16:17]
	v_mov_b32_e32 v25, v29
	v_lshlrev_b64_e32 v[16:17], 1, v[18:19]
	v_lshlrev_b64_e32 v[18:19], 1, v[20:21]
	;; [unrolled: 1-line block ×3, first 2 shown]
	s_and_b32 s20, s0, vcc_lo
	v_lshlrev_b64_e32 v[22:23], 1, v[24:25]
	v_lshlrev_b64_e32 v[24:25], 2, v[2:3]
	s_lshl_b64 s[30:31], s[26:27], 7
	s_lshl_b64 s[34:35], s[28:29], 7
	;; [unrolled: 1-line block ×5, first 2 shown]
	s_branch .LBB513_4
.LBB513_2:                              ;   in Loop: Header=BB513_4 Depth=1
	s_wait_alu 0xfffe
	s_or_b32 exec_lo, exec_lo, s7
.LBB513_3:                              ;   in Loop: Header=BB513_4 Depth=1
	s_add_co_i32 s24, s24, 0x10000
	s_delay_alu instid0(SALU_CYCLE_1)
	s_cmp_lt_u32 s24, s23
	s_cbranch_scc0 .LBB513_59
.LBB513_4:                              ; =>This Loop Header: Depth=1
                                        ;     Child Loop BB513_27 Depth 2
	s_and_not1_b32 vcc_lo, exec_lo, s37
	s_wait_alu 0xfffe
	s_cbranch_vccnz .LBB513_3
; %bb.5:                                ;   in Loop: Header=BB513_4 Depth=1
	s_and_not1_b32 vcc_lo, exec_lo, s36
	s_wait_alu 0xfffe
	s_cbranch_vccnz .LBB513_7
; %bb.6:                                ;   in Loop: Header=BB513_4 Depth=1
	s_mov_b32 s7, 0
	s_branch .LBB513_8
.LBB513_7:                              ;   in Loop: Header=BB513_4 Depth=1
	s_mov_b32 s7, -1
.LBB513_8:                              ;   in Loop: Header=BB513_4 Depth=1
	v_mov_b32_e32 v28, 0
	v_dual_mov_b32 v29, 0 :: v_dual_mov_b32 v26, 0
	v_mov_b32_e32 v27, 0
	s_wait_alu 0xfffe
	s_and_not1_b32 vcc_lo, exec_lo, s7
	s_wait_alu 0xfffe
	s_cbranch_vccnz .LBB513_10
; %bb.9:                                ;   in Loop: Header=BB513_4 Depth=1
	s_lshl_b64 s[42:43], s[24:25], 3
	s_delay_alu instid0(SALU_CYCLE_1)
	s_add_nc_u64 s[42:43], s[8:9], s[42:43]
	global_load_b64 v[26:27], v1, s[42:43]
	s_wait_loadcnt 0x0
	v_add_co_u32 v26, vcc_lo, v26, s10
	s_wait_alu 0xfffd
	v_add_co_ci_u32_e64 v27, null, s11, v27, vcc_lo
.LBB513_10:                             ;   in Loop: Header=BB513_4 Depth=1
	v_cmp_ne_u32_e32 vcc_lo, 1, v42
	s_cbranch_vccnz .LBB513_12
; %bb.11:                               ;   in Loop: Header=BB513_4 Depth=1
	s_lshl_b64 s[42:43], s[24:25], 3
	s_delay_alu instid0(SALU_CYCLE_1)
	s_add_nc_u64 s[42:43], s[12:13], s[42:43]
	global_load_b64 v[28:29], v1, s[42:43]
	s_wait_loadcnt 0x0
	v_add_co_u32 v28, vcc_lo, v28, s14
	s_wait_alu 0xfffd
	v_add_co_ci_u32_e64 v29, null, s15, v29, vcc_lo
.LBB513_12:                             ;   in Loop: Header=BB513_4 Depth=1
	s_lshl_b64 s[42:43], s[24:25], 3
	s_delay_alu instid0(SALU_CYCLE_1)
	s_add_nc_u64 s[42:43], s[16:17], s[42:43]
	global_load_b64 v[30:31], v1, s[42:43]
	s_wait_loadcnt 0x0
	v_add_co_u32 v43, vcc_lo, v30, s18
	s_wait_alu 0xfffd
	v_add_co_ci_u32_e64 v44, null, s19, v31, vcc_lo
	s_and_not1_b32 vcc_lo, exec_lo, s36
	s_wait_alu 0xfffe
	s_cbranch_vccnz .LBB513_16
; %bb.13:                               ;   in Loop: Header=BB513_4 Depth=1
	s_mov_b32 s7, 0
	s_mov_b32 s41, 0
                                        ; implicit-def: $vgpr30
	s_and_saveexec_b32 s42, s20
	s_cbranch_execz .LBB513_17
; %bb.14:                               ;   in Loop: Header=BB513_4 Depth=1
	s_and_not1_b32 vcc_lo, exec_lo, s38
	s_wait_alu 0xfffe
	s_cbranch_vccnz .LBB513_19
; %bb.15:                               ;   in Loop: Header=BB513_4 Depth=1
	v_add_co_u32 v30, vcc_lo, v43, v24
	s_wait_alu 0xfffd
	v_add_co_ci_u32_e64 v31, null, v44, v25, vcc_lo
	flat_load_b32 v30, v[30:31]
	s_wait_loadcnt_dscnt 0x0
	v_mul_f32_e32 v30, s33, v30
	s_branch .LBB513_20
.LBB513_16:                             ;   in Loop: Header=BB513_4 Depth=1
	s_mov_b32 s41, 0
                                        ; implicit-def: $vgpr30
	s_cbranch_execz .LBB513_18
	s_branch .LBB513_21
.LBB513_17:                             ;   in Loop: Header=BB513_4 Depth=1
	s_or_b32 exec_lo, exec_lo, s42
	s_wait_alu 0xfffe
	s_and_b32 vcc_lo, exec_lo, s7
	s_wait_alu 0xfffe
	s_cbranch_vccnz .LBB513_21
.LBB513_18:                             ;   in Loop: Header=BB513_4 Depth=1
	v_dual_mov_b32 v27, v3 :: v_dual_mov_b32 v26, v2
	s_and_saveexec_b32 s7, s41
	s_cbranch_execz .LBB513_2
	s_branch .LBB513_58
.LBB513_19:                             ;   in Loop: Header=BB513_4 Depth=1
	v_mov_b32_e32 v30, 0
.LBB513_20:                             ;   in Loop: Header=BB513_4 Depth=1
	s_mov_b32 s41, exec_lo
	s_or_b32 exec_lo, exec_lo, s42
	s_delay_alu instid0(SALU_CYCLE_1)
	s_and_b32 vcc_lo, exec_lo, s7
	s_wait_alu 0xfffe
	s_cbranch_vccz .LBB513_18
.LBB513_21:                             ;   in Loop: Header=BB513_4 Depth=1
	v_dual_mov_b32 v45, 0 :: v_dual_mov_b32 v46, 0
	v_dual_mov_b32 v49, v40 :: v_dual_mov_b32 v48, 0
	v_mov_b32_e32 v47, 0
	s_and_saveexec_b32 s42, s5
	s_cbranch_execz .LBB513_33
; %bb.22:                               ;   in Loop: Header=BB513_4 Depth=1
	v_add_co_u32 v50, vcc_lo, v26, v10
	s_wait_alu 0xfffd
	v_add_co_ci_u32_e64 v51, null, v27, v11, vcc_lo
	v_add_co_u32 v52, vcc_lo, v26, v14
	s_wait_alu 0xfffd
	v_add_co_ci_u32_e64 v53, null, v27, v15, vcc_lo
	;; [unrolled: 3-line block ×3, first 2 shown]
	v_add_co_u32 v56, vcc_lo, v26, v22
	v_dual_mov_b32 v31, v29 :: v_dual_mov_b32 v46, 0
	s_wait_alu 0xfffd
	v_add_co_ci_u32_e64 v57, null, v27, v23, vcc_lo
	v_dual_mov_b32 v45, 0 :: v_dual_mov_b32 v30, v28
	v_dual_mov_b32 v49, v40 :: v_dual_mov_b32 v48, 0
	v_mov_b32_e32 v47, 0
	s_mov_b32 s43, 0
	s_branch .LBB513_27
.LBB513_23:                             ;   in Loop: Header=BB513_27 Depth=2
	s_or_b32 exec_lo, exec_lo, s46
	s_wait_loadcnt_dscnt 0x303
	v_fma_mix_f32 v32, v70, v74, v47 op_sel_hi:[0,1,0]
	s_wait_loadcnt_dscnt 0x202
	s_delay_alu instid0(VALU_DEP_1) | instskip(SKIP_1) | instid1(VALU_DEP_1)
	v_fma_mix_f32 v32, v71, v75, v32 op_sel_hi:[0,1,0]
	s_wait_loadcnt_dscnt 0x101
	v_fma_mix_f32 v32, v72, v76, v32 op_sel_hi:[0,1,0]
	s_wait_loadcnt_dscnt 0x0
	s_delay_alu instid0(VALU_DEP_1)
	v_fma_mix_f32 v47, v73, v77, v32 op_sel_hi:[0,1,0]
.LBB513_24:                             ;   in Loop: Header=BB513_27 Depth=2
	s_or_b32 exec_lo, exec_lo, s45
	s_wait_loadcnt_dscnt 0x303
	v_fma_mix_f32 v32, v70, v66, v46 op_sel_hi:[0,1,0]
	s_wait_loadcnt_dscnt 0x202
	s_delay_alu instid0(VALU_DEP_1) | instskip(SKIP_1) | instid1(VALU_DEP_1)
	v_fma_mix_f32 v32, v71, v67, v32 op_sel_hi:[0,1,0]
	s_wait_loadcnt_dscnt 0x101
	v_fma_mix_f32 v32, v72, v68, v32 op_sel_hi:[0,1,0]
	s_wait_loadcnt_dscnt 0x0
	s_delay_alu instid0(VALU_DEP_1)
	v_fma_mix_f32 v46, v73, v69, v32 op_sel_hi:[0,1,0]
.LBB513_25:                             ;   in Loop: Header=BB513_27 Depth=2
	s_or_b32 exec_lo, exec_lo, s44
	s_wait_loadcnt_dscnt 0x303
	v_fma_mix_f32 v32, v58, v62, v45 op_sel_hi:[1,1,0]
	s_wait_loadcnt_dscnt 0x202
	s_delay_alu instid0(VALU_DEP_1) | instskip(SKIP_1) | instid1(VALU_DEP_1)
	v_fma_mix_f32 v32, v59, v63, v32 op_sel_hi:[1,1,0]
	s_wait_loadcnt_dscnt 0x101
	v_fma_mix_f32 v32, v60, v64, v32 op_sel_hi:[1,1,0]
	s_wait_loadcnt_dscnt 0x0
	s_delay_alu instid0(VALU_DEP_1)
	v_fma_mix_f32 v45, v61, v65, v32 op_sel_hi:[1,1,0]
.LBB513_26:                             ;   in Loop: Header=BB513_27 Depth=2
	s_wait_alu 0xfffe
	s_or_b32 exec_lo, exec_lo, s7
	v_add_co_u32 v30, vcc_lo, v30, s30
	s_wait_alu 0xfffd
	v_add_co_ci_u32_e64 v31, null, s31, v31, vcc_lo
	v_add_co_u32 v50, vcc_lo, v50, s34
	v_add_nc_u32_e32 v49, 64, v49
	s_wait_alu 0xfffd
	v_add_co_ci_u32_e64 v51, null, s35, v51, vcc_lo
	v_add_co_u32 v52, vcc_lo, v52, s34
	s_wait_alu 0xfffd
	v_add_co_ci_u32_e64 v53, null, s35, v53, vcc_lo
	v_add_co_u32 v54, vcc_lo, v54, s34
	s_wait_alu 0xfffd
	v_add_co_ci_u32_e64 v55, null, s35, v55, vcc_lo
	v_cmp_le_i32_e32 vcc_lo, s39, v49
	v_add_co_u32 v56, s7, v56, s34
	s_wait_alu 0xf1ff
	v_add_co_ci_u32_e64 v57, null, s35, v57, s7
	s_or_b32 s43, vcc_lo, s43
	s_delay_alu instid0(SALU_CYCLE_1)
	s_and_not1_b32 exec_lo, exec_lo, s43
	s_cbranch_execz .LBB513_32
.LBB513_27:                             ;   Parent Loop BB513_4 Depth=1
                                        ; =>  This Inner Loop Header: Depth=2
	s_and_saveexec_b32 s7, s1
	s_cbranch_execz .LBB513_26
; %bb.28:                               ;   in Loop: Header=BB513_27 Depth=2
	v_add_co_u32 v58, vcc_lo, v30, v6
	s_wait_alu 0xfffd
	v_add_co_ci_u32_e64 v59, null, v31, v7, vcc_lo
	v_add_co_u32 v60, vcc_lo, v30, v20
	s_wait_alu 0xfffd
	v_add_co_ci_u32_e64 v61, null, v31, v21, vcc_lo
	;; [unrolled: 3-line block ×8, first 2 shown]
	s_clause 0x3
	flat_load_u16 v58, v[58:59]
	flat_load_u16 v59, v[60:61]
	flat_load_u16 v60, v[62:63]
	flat_load_u16 v61, v[64:65]
	flat_load_u16 v62, v[32:33]
	flat_load_u16 v63, v[34:35]
	flat_load_u16 v64, v[36:37]
	flat_load_u16 v65, v[38:39]
	s_and_saveexec_b32 s44, s2
	s_cbranch_execz .LBB513_25
; %bb.29:                               ;   in Loop: Header=BB513_27 Depth=2
	flat_load_u16 v66, v[32:33] offset:64
	flat_load_u16 v67, v[34:35] offset:64
	;; [unrolled: 1-line block ×4, first 2 shown]
	s_wait_loadcnt_dscnt 0xb0b
	v_cvt_f32_f16_e32 v70, v58
	s_wait_loadcnt_dscnt 0xa0a
	v_cvt_f32_f16_e32 v71, v59
	;; [unrolled: 2-line block ×4, first 2 shown]
	s_and_saveexec_b32 s45, s3
	s_cbranch_execz .LBB513_24
; %bb.30:                               ;   in Loop: Header=BB513_27 Depth=2
	flat_load_u16 v74, v[32:33] offset:128
	flat_load_u16 v75, v[34:35] offset:128
	flat_load_u16 v76, v[36:37] offset:128
	flat_load_u16 v77, v[38:39] offset:128
	s_and_saveexec_b32 s46, s4
	s_cbranch_execz .LBB513_23
; %bb.31:                               ;   in Loop: Header=BB513_27 Depth=2
	flat_load_u16 v32, v[32:33] offset:192
	flat_load_u16 v33, v[34:35] offset:192
	;; [unrolled: 1-line block ×4, first 2 shown]
	s_wait_loadcnt_dscnt 0x303
	v_fma_mix_f32 v32, v70, v32, v48 op_sel_hi:[0,1,0]
	s_wait_loadcnt_dscnt 0x202
	s_delay_alu instid0(VALU_DEP_1) | instskip(SKIP_1) | instid1(VALU_DEP_1)
	v_fma_mix_f32 v32, v71, v33, v32 op_sel_hi:[0,1,0]
	s_wait_loadcnt_dscnt 0x101
	v_fma_mix_f32 v32, v72, v34, v32 op_sel_hi:[0,1,0]
	s_wait_loadcnt_dscnt 0x0
	s_delay_alu instid0(VALU_DEP_1)
	v_fma_mix_f32 v48, v73, v35, v32 op_sel_hi:[0,1,0]
	s_branch .LBB513_23
.LBB513_32:                             ;   in Loop: Header=BB513_4 Depth=1
	s_or_b32 exec_lo, exec_lo, s43
.LBB513_33:                             ;   in Loop: Header=BB513_4 Depth=1
	s_delay_alu instid0(SALU_CYCLE_1) | instskip(NEXT) | instid1(SALU_CYCLE_1)
	s_or_b32 exec_lo, exec_lo, s42
	s_and_not1_b32 vcc_lo, exec_lo, s40
	s_wait_alu 0xfffe
	s_cbranch_vccnz .LBB513_51
; %bb.34:                               ;   in Loop: Header=BB513_4 Depth=1
	v_cmp_gt_i32_e32 vcc_lo, s21, v49
	v_dual_mov_b32 v34, 0 :: v_dual_mov_b32 v35, 0
	v_or_b32_e32 v30, 1, v49
	v_dual_mov_b32 v36, 0 :: v_dual_mov_b32 v37, 0
	s_and_saveexec_b32 s42, vcc_lo
	s_cbranch_execz .LBB513_42
; %bb.35:                               ;   in Loop: Header=BB513_4 Depth=1
	v_mad_co_u64_u32 v[31:32], null, s26, v49, 0
	v_dual_mov_b32 v36, 0 :: v_dual_mov_b32 v35, 0
	v_mov_b32_e32 v34, 0
	s_mov_b32 s43, exec_lo
	s_delay_alu instid0(VALU_DEP_3) | instskip(NEXT) | instid1(VALU_DEP_1)
	v_mad_co_u64_u32 v[32:33], null, s27, v49, v[32:33]
	v_lshlrev_b64_e32 v[31:32], 1, v[31:32]
	s_delay_alu instid0(VALU_DEP_1) | instskip(SKIP_1) | instid1(VALU_DEP_2)
	v_add_co_u32 v31, s7, v28, v31
	s_wait_alu 0xf1ff
	v_add_co_ci_u32_e64 v32, null, v29, v32, s7
	flat_load_u16 v31, v[31:32]
	v_cmpx_gt_i32_e64 s21, v30
	s_cbranch_execz .LBB513_41
; %bb.36:                               ;   in Loop: Header=BB513_4 Depth=1
	v_mad_co_u64_u32 v[32:33], null, s26, v30, 0
	v_mov_b32_e32 v35, 0
	s_mov_b32 s44, exec_lo
	s_delay_alu instid0(VALU_DEP_2) | instskip(SKIP_1) | instid1(VALU_DEP_2)
	v_mad_co_u64_u32 v[33:34], null, s27, v30, v[33:34]
	v_mov_b32_e32 v34, 0
	v_lshlrev_b64_e32 v[32:33], 1, v[32:33]
	s_delay_alu instid0(VALU_DEP_1) | instskip(SKIP_1) | instid1(VALU_DEP_2)
	v_add_co_u32 v32, s7, v28, v32
	s_wait_alu 0xf1ff
	v_add_co_ci_u32_e64 v33, null, v29, v33, s7
	flat_load_u16 v32, v[32:33]
	v_or_b32_e32 v33, 2, v49
	s_delay_alu instid0(VALU_DEP_1)
	v_cmpx_gt_i32_e64 s21, v33
	s_cbranch_execz .LBB513_40
; %bb.37:                               ;   in Loop: Header=BB513_4 Depth=1
	v_mad_co_u64_u32 v[34:35], null, s26, v33, 0
	s_mov_b32 s45, exec_lo
	v_mad_co_u64_u32 v[35:36], null, s27, v33, v[35:36]
	s_delay_alu instid0(VALU_DEP_1) | instskip(SKIP_1) | instid1(VALU_DEP_2)
	v_lshlrev_b64_e32 v[33:34], 1, v[34:35]
	v_or_b32_e32 v35, 3, v49
	v_add_co_u32 v33, s7, v28, v33
	s_wait_alu 0xf1ff
	s_delay_alu instid0(VALU_DEP_3)
	v_add_co_ci_u32_e64 v34, null, v29, v34, s7
	flat_load_u16 v33, v[33:34]
	v_mov_b32_e32 v34, 0
	v_cmpx_gt_i32_e64 s21, v35
	s_cbranch_execz .LBB513_39
; %bb.38:                               ;   in Loop: Header=BB513_4 Depth=1
	v_mad_co_u64_u32 v[36:37], null, s26, v35, 0
	s_delay_alu instid0(VALU_DEP_1) | instskip(NEXT) | instid1(VALU_DEP_1)
	v_mov_b32_e32 v34, v37
	v_mad_co_u64_u32 v[34:35], null, s27, v35, v[34:35]
	s_delay_alu instid0(VALU_DEP_1) | instskip(NEXT) | instid1(VALU_DEP_1)
	v_mov_b32_e32 v37, v34
	v_lshlrev_b64_e32 v[34:35], 1, v[36:37]
	s_delay_alu instid0(VALU_DEP_1) | instskip(SKIP_1) | instid1(VALU_DEP_2)
	v_add_co_u32 v28, s7, v28, v34
	s_wait_alu 0xf1ff
	v_add_co_ci_u32_e64 v29, null, v29, v35, s7
	flat_load_u16 v28, v[28:29]
	s_wait_loadcnt_dscnt 0x0
	v_cvt_f32_f16_e32 v34, v28
.LBB513_39:                             ;   in Loop: Header=BB513_4 Depth=1
	s_or_b32 exec_lo, exec_lo, s45
	s_wait_loadcnt_dscnt 0x0
	v_cvt_f32_f16_e32 v35, v33
.LBB513_40:                             ;   in Loop: Header=BB513_4 Depth=1
	s_or_b32 exec_lo, exec_lo, s44
	s_wait_loadcnt_dscnt 0x0
	v_cvt_f32_f16_e32 v36, v32
.LBB513_41:                             ;   in Loop: Header=BB513_4 Depth=1
	s_or_b32 exec_lo, exec_lo, s43
	s_wait_loadcnt_dscnt 0x0
	v_cvt_f32_f16_e32 v37, v31
.LBB513_42:                             ;   in Loop: Header=BB513_4 Depth=1
	s_or_b32 exec_lo, exec_lo, s42
	s_and_saveexec_b32 s42, s1
	s_cbranch_execz .LBB513_50
; %bb.43:                               ;   in Loop: Header=BB513_4 Depth=1
	v_mad_co_u64_u32 v[28:29], null, s28, v49, 0
	v_or_b32_e32 v52, 2, v49
	v_mad_co_u64_u32 v[31:32], null, s28, v30, 0
	v_or_b32_e32 v53, 3, v49
	v_cmp_gt_i32_e64 s7, s21, v30
	s_delay_alu instid0(VALU_DEP_4) | instskip(SKIP_3) | instid1(VALU_DEP_4)
	v_mad_co_u64_u32 v[38:39], null, s28, v52, 0
	v_mad_co_u64_u32 v[49:50], null, s29, v49, v[29:30]
	;; [unrolled: 1-line block ×4, first 2 shown]
	v_mov_b32_e32 v30, v39
	s_delay_alu instid0(VALU_DEP_4)
	v_dual_cndmask_b32 v50, 0, v28 :: v_dual_cndmask_b32 v51, 0, v49
	s_wait_alu 0xf1ff
	v_cndmask_b32_e64 v28, 0, v31, s7
	v_cndmask_b32_e64 v29, 0, v29, s7
	v_mad_co_u64_u32 v[30:31], null, s29, v52, v[30:31]
	v_mov_b32_e32 v31, v33
	v_lshlrev_b64_e32 v[49:50], 1, v[50:51]
	v_cmp_gt_i32_e32 vcc_lo, s21, v52
	v_lshlrev_b64_e32 v[51:52], 1, v[28:29]
	s_wait_alu 0xfffd
	v_cndmask_b32_e32 v39, 0, v30, vcc_lo
	s_delay_alu instid0(VALU_DEP_4)
	v_add_co_u32 v28, s7, v26, v49
	s_wait_alu 0xf1ff
	v_add_co_ci_u32_e64 v29, null, v27, v50, s7
	v_mad_co_u64_u32 v[30:31], null, s29, v53, v[31:32]
	v_cndmask_b32_e32 v38, 0, v38, vcc_lo
	v_add_co_u32 v28, vcc_lo, v28, v8
	s_wait_alu 0xfffd
	v_add_co_ci_u32_e64 v29, null, v29, v9, vcc_lo
	v_cmp_gt_i32_e32 vcc_lo, s21, v53
	v_add_co_u32 v31, s7, v26, v51
	s_wait_alu 0xf1ff
	v_add_co_ci_u32_e64 v49, null, v27, v52, s7
	s_wait_alu 0xfffd
	v_dual_cndmask_b32 v32, 0, v32 :: v_dual_cndmask_b32 v33, 0, v30
	v_lshlrev_b64_e32 v[38:39], 1, v[38:39]
	v_add_co_u32 v30, vcc_lo, v31, v8
	s_wait_alu 0xfffd
	v_add_co_ci_u32_e64 v31, null, v49, v9, vcc_lo
	v_lshlrev_b64_e32 v[32:33], 1, v[32:33]
	s_delay_alu instid0(VALU_DEP_4) | instskip(SKIP_2) | instid1(VALU_DEP_3)
	v_add_co_u32 v38, vcc_lo, v26, v38
	s_wait_alu 0xfffd
	v_add_co_ci_u32_e64 v39, null, v27, v39, vcc_lo
	v_add_co_u32 v32, vcc_lo, v26, v32
	s_wait_alu 0xfffd
	v_add_co_ci_u32_e64 v33, null, v27, v33, vcc_lo
	v_add_co_u32 v26, vcc_lo, v38, v8
	s_wait_alu 0xfffd
	v_add_co_ci_u32_e64 v27, null, v39, v9, vcc_lo
	v_add_co_u32 v32, vcc_lo, v32, v8
	s_wait_alu 0xfffd
	v_add_co_ci_u32_e64 v33, null, v33, v9, vcc_lo
	s_clause 0x3
	flat_load_u16 v38, v[28:29]
	flat_load_u16 v39, v[30:31]
	;; [unrolled: 1-line block ×4, first 2 shown]
	s_and_saveexec_b32 s7, s2
	s_cbranch_execz .LBB513_49
; %bb.44:                               ;   in Loop: Header=BB513_4 Depth=1
	s_clause 0x3
	flat_load_u16 v51, v[28:29] offset:64
	flat_load_u16 v52, v[30:31] offset:64
	flat_load_u16 v53, v[26:27] offset:64
	flat_load_u16 v54, v[32:33] offset:64
	s_and_saveexec_b32 s43, s3
	s_cbranch_execz .LBB513_48
; %bb.45:                               ;   in Loop: Header=BB513_4 Depth=1
	s_clause 0x3
	flat_load_u16 v55, v[28:29] offset:128
	flat_load_u16 v56, v[30:31] offset:128
	flat_load_u16 v57, v[26:27] offset:128
	flat_load_u16 v58, v[32:33] offset:128
	;; [unrolled: 8-line block ×3, first 2 shown]
	s_wait_loadcnt_dscnt 0x303
	v_fma_mix_f32 v28, v37, v28, v48 op_sel_hi:[0,1,0]
	s_wait_loadcnt_dscnt 0x202
	s_delay_alu instid0(VALU_DEP_1) | instskip(SKIP_1) | instid1(VALU_DEP_1)
	v_fma_mix_f32 v28, v36, v29, v28 op_sel_hi:[0,1,0]
	s_wait_loadcnt_dscnt 0x101
	v_fma_mix_f32 v26, v35, v26, v28 op_sel_hi:[0,1,0]
	s_wait_loadcnt_dscnt 0x0
	s_delay_alu instid0(VALU_DEP_1)
	v_fma_mix_f32 v48, v34, v27, v26 op_sel_hi:[0,1,0]
.LBB513_47:                             ;   in Loop: Header=BB513_4 Depth=1
	s_or_b32 exec_lo, exec_lo, s44
	s_wait_loadcnt_dscnt 0x303
	v_fma_mix_f32 v26, v37, v55, v47 op_sel_hi:[0,1,0]
	s_wait_loadcnt_dscnt 0x202
	s_delay_alu instid0(VALU_DEP_1) | instskip(SKIP_1) | instid1(VALU_DEP_1)
	v_fma_mix_f32 v26, v36, v56, v26 op_sel_hi:[0,1,0]
	s_wait_loadcnt_dscnt 0x101
	v_fma_mix_f32 v26, v35, v57, v26 op_sel_hi:[0,1,0]
	s_wait_loadcnt_dscnt 0x0
	s_delay_alu instid0(VALU_DEP_1)
	v_fma_mix_f32 v47, v34, v58, v26 op_sel_hi:[0,1,0]
.LBB513_48:                             ;   in Loop: Header=BB513_4 Depth=1
	s_or_b32 exec_lo, exec_lo, s43
	s_wait_loadcnt_dscnt 0x303
	v_fma_mix_f32 v26, v37, v51, v46 op_sel_hi:[0,1,0]
	s_wait_loadcnt_dscnt 0x202
	s_delay_alu instid0(VALU_DEP_1) | instskip(SKIP_1) | instid1(VALU_DEP_1)
	v_fma_mix_f32 v26, v36, v52, v26 op_sel_hi:[0,1,0]
	s_wait_loadcnt_dscnt 0x101
	v_fma_mix_f32 v26, v35, v53, v26 op_sel_hi:[0,1,0]
	s_wait_loadcnt_dscnt 0x0
	s_delay_alu instid0(VALU_DEP_1)
	v_fma_mix_f32 v46, v34, v54, v26 op_sel_hi:[0,1,0]
.LBB513_49:                             ;   in Loop: Header=BB513_4 Depth=1
	s_wait_alu 0xfffe
	s_or_b32 exec_lo, exec_lo, s7
	s_wait_loadcnt_dscnt 0x303
	v_fma_mix_f32 v26, v37, v38, v45 op_sel_hi:[0,1,0]
	s_wait_loadcnt_dscnt 0x202
	s_delay_alu instid0(VALU_DEP_1) | instskip(SKIP_1) | instid1(VALU_DEP_1)
	v_fma_mix_f32 v26, v36, v39, v26 op_sel_hi:[0,1,0]
	s_wait_loadcnt_dscnt 0x101
	v_fma_mix_f32 v26, v35, v49, v26 op_sel_hi:[0,1,0]
	s_wait_loadcnt_dscnt 0x0
	s_delay_alu instid0(VALU_DEP_1)
	v_fma_mix_f32 v45, v34, v50, v26 op_sel_hi:[0,1,0]
.LBB513_50:                             ;   in Loop: Header=BB513_4 Depth=1
	s_or_b32 exec_lo, exec_lo, s42
.LBB513_51:                             ;   in Loop: Header=BB513_4 Depth=1
	ds_store_2addr_b32 v41, v45, v46 offset1:32
	ds_store_2addr_b32 v41, v47, v48 offset0:64 offset1:96
	s_wait_dscnt 0x0
	s_barrier_signal -1
	s_barrier_wait -1
	global_inv scope:SCOPE_SE
                                        ; implicit-def: $vgpr30
	s_and_saveexec_b32 s7, s0
	s_cbranch_execz .LBB513_57
; %bb.52:                               ;   in Loop: Header=BB513_4 Depth=1
	ds_load_2addr_stride64_b32 v[26:27], v0 offset1:2
	ds_load_2addr_stride64_b32 v[28:29], v0 offset0:4 offset1:6
	ds_load_2addr_stride64_b32 v[30:31], v0 offset0:8 offset1:10
	s_mov_b32 s43, s41
	s_wait_dscnt 0x2
	v_add_f32_e32 v32, v26, v27
	ds_load_2addr_stride64_b32 v[26:27], v0 offset0:12 offset1:14
	s_wait_dscnt 0x2
	v_add_f32_e32 v28, v28, v32
	s_delay_alu instid0(VALU_DEP_1) | instskip(SKIP_3) | instid1(VALU_DEP_1)
	v_add_f32_e32 v32, v29, v28
	ds_load_2addr_stride64_b32 v[28:29], v0 offset0:16 offset1:18
	s_wait_dscnt 0x2
	v_add_f32_e32 v30, v30, v32
	v_add_f32_e32 v32, v31, v30
	ds_load_2addr_stride64_b32 v[30:31], v0 offset0:20 offset1:22
	s_wait_dscnt 0x2
	v_add_f32_e32 v26, v26, v32
	s_delay_alu instid0(VALU_DEP_1) | instskip(SKIP_1) | instid1(VALU_DEP_1)
	v_add_f32_e32 v26, v27, v26
	s_wait_dscnt 0x1
	v_add_f32_e32 v28, v28, v26
	ds_load_2addr_stride64_b32 v[26:27], v0 offset0:24 offset1:26
	v_add_f32_e32 v28, v29, v28
	s_wait_dscnt 0x1
	s_delay_alu instid0(VALU_DEP_1) | instskip(SKIP_3) | instid1(VALU_DEP_1)
	v_add_f32_e32 v30, v30, v28
	ds_load_2addr_stride64_b32 v[28:29], v0 offset0:28 offset1:30
	v_add_f32_e32 v30, v31, v30
	s_wait_dscnt 0x1
	v_add_f32_e32 v26, v26, v30
                                        ; implicit-def: $vgpr30
	s_delay_alu instid0(VALU_DEP_1) | instskip(SKIP_1) | instid1(VALU_DEP_1)
	v_add_f32_e32 v26, v27, v26
	s_wait_dscnt 0x0
	v_add_f32_e32 v26, v28, v26
	s_delay_alu instid0(VALU_DEP_1)
	v_add_f32_e32 v26, v29, v26
	ds_store_b32 v0, v26
	s_and_saveexec_b32 s42, s6
	s_cbranch_execz .LBB513_56
; %bb.53:                               ;   in Loop: Header=BB513_4 Depth=1
	v_mul_f32_e32 v30, s22, v26
	s_and_not1_b32 vcc_lo, exec_lo, s38
	s_wait_alu 0xfffe
	s_cbranch_vccnz .LBB513_55
; %bb.54:                               ;   in Loop: Header=BB513_4 Depth=1
	v_lshlrev_b64_e32 v[26:27], 2, v[4:5]
	s_delay_alu instid0(VALU_DEP_1) | instskip(SKIP_1) | instid1(VALU_DEP_2)
	v_add_co_u32 v26, vcc_lo, v43, v26
	s_wait_alu 0xfffd
	v_add_co_ci_u32_e64 v27, null, v44, v27, vcc_lo
	flat_load_b32 v26, v[26:27]
	s_wait_loadcnt_dscnt 0x0
	v_fmac_f32_e32 v30, s33, v26
.LBB513_55:                             ;   in Loop: Header=BB513_4 Depth=1
	s_or_b32 s43, s41, exec_lo
.LBB513_56:                             ;   in Loop: Header=BB513_4 Depth=1
	s_or_b32 exec_lo, exec_lo, s42
	s_delay_alu instid0(SALU_CYCLE_1) | instskip(SKIP_1) | instid1(SALU_CYCLE_1)
	s_and_not1_b32 s41, s41, exec_lo
	s_and_b32 s42, s43, exec_lo
	s_or_b32 s41, s41, s42
.LBB513_57:                             ;   in Loop: Header=BB513_4 Depth=1
	s_wait_alu 0xfffe
	s_or_b32 exec_lo, exec_lo, s7
	v_dual_mov_b32 v27, v5 :: v_dual_mov_b32 v26, v4
	s_and_saveexec_b32 s7, s41
	s_cbranch_execz .LBB513_2
.LBB513_58:                             ;   in Loop: Header=BB513_4 Depth=1
	s_delay_alu instid0(VALU_DEP_1) | instskip(NEXT) | instid1(VALU_DEP_1)
	v_lshlrev_b64_e32 v[26:27], 2, v[26:27]
	v_add_co_u32 v26, vcc_lo, v43, v26
	s_wait_alu 0xfffd
	s_delay_alu instid0(VALU_DEP_2)
	v_add_co_ci_u32_e64 v27, null, v44, v27, vcc_lo
	flat_store_b32 v[26:27], v30
	s_branch .LBB513_2
.LBB513_59:
	s_endpgm
	.section	.rodata,"a",@progbits
	.p2align	6, 0x0
	.amdhsa_kernel _ZL20rocblas_gemvn_kernelILi32ELi16ElPKDF16_fKPfEviiT3_lPKT2_lT1_lS7_lS8_lS4_lPT4_lS8_li
		.amdhsa_group_segment_fixed_size 8192
		.amdhsa_private_segment_fixed_size 0
		.amdhsa_kernarg_size 400
		.amdhsa_user_sgpr_count 2
		.amdhsa_user_sgpr_dispatch_ptr 0
		.amdhsa_user_sgpr_queue_ptr 0
		.amdhsa_user_sgpr_kernarg_segment_ptr 1
		.amdhsa_user_sgpr_dispatch_id 0
		.amdhsa_user_sgpr_private_segment_size 0
		.amdhsa_wavefront_size32 1
		.amdhsa_uses_dynamic_stack 0
		.amdhsa_enable_private_segment 0
		.amdhsa_system_sgpr_workgroup_id_x 1
		.amdhsa_system_sgpr_workgroup_id_y 0
		.amdhsa_system_sgpr_workgroup_id_z 1
		.amdhsa_system_sgpr_workgroup_info 0
		.amdhsa_system_vgpr_workitem_id 1
		.amdhsa_next_free_vgpr 78
		.amdhsa_next_free_sgpr 47
		.amdhsa_reserve_vcc 1
		.amdhsa_float_round_mode_32 0
		.amdhsa_float_round_mode_16_64 0
		.amdhsa_float_denorm_mode_32 3
		.amdhsa_float_denorm_mode_16_64 3
		.amdhsa_fp16_overflow 0
		.amdhsa_workgroup_processor_mode 1
		.amdhsa_memory_ordered 1
		.amdhsa_forward_progress 1
		.amdhsa_inst_pref_size 30
		.amdhsa_round_robin_scheduling 0
		.amdhsa_exception_fp_ieee_invalid_op 0
		.amdhsa_exception_fp_denorm_src 0
		.amdhsa_exception_fp_ieee_div_zero 0
		.amdhsa_exception_fp_ieee_overflow 0
		.amdhsa_exception_fp_ieee_underflow 0
		.amdhsa_exception_fp_ieee_inexact 0
		.amdhsa_exception_int_div_zero 0
	.end_amdhsa_kernel
	.section	.text._ZL20rocblas_gemvn_kernelILi32ELi16ElPKDF16_fKPfEviiT3_lPKT2_lT1_lS7_lS8_lS4_lPT4_lS8_li,"axG",@progbits,_ZL20rocblas_gemvn_kernelILi32ELi16ElPKDF16_fKPfEviiT3_lPKT2_lT1_lS7_lS8_lS4_lPT4_lS8_li,comdat
.Lfunc_end513:
	.size	_ZL20rocblas_gemvn_kernelILi32ELi16ElPKDF16_fKPfEviiT3_lPKT2_lT1_lS7_lS8_lS4_lPT4_lS8_li, .Lfunc_end513-_ZL20rocblas_gemvn_kernelILi32ELi16ElPKDF16_fKPfEviiT3_lPKT2_lT1_lS7_lS8_lS4_lPT4_lS8_li
                                        ; -- End function
	.set _ZL20rocblas_gemvn_kernelILi32ELi16ElPKDF16_fKPfEviiT3_lPKT2_lT1_lS7_lS8_lS4_lPT4_lS8_li.num_vgpr, 78
	.set _ZL20rocblas_gemvn_kernelILi32ELi16ElPKDF16_fKPfEviiT3_lPKT2_lT1_lS7_lS8_lS4_lPT4_lS8_li.num_agpr, 0
	.set _ZL20rocblas_gemvn_kernelILi32ELi16ElPKDF16_fKPfEviiT3_lPKT2_lT1_lS7_lS8_lS4_lPT4_lS8_li.numbered_sgpr, 47
	.set _ZL20rocblas_gemvn_kernelILi32ELi16ElPKDF16_fKPfEviiT3_lPKT2_lT1_lS7_lS8_lS4_lPT4_lS8_li.num_named_barrier, 0
	.set _ZL20rocblas_gemvn_kernelILi32ELi16ElPKDF16_fKPfEviiT3_lPKT2_lT1_lS7_lS8_lS4_lPT4_lS8_li.private_seg_size, 0
	.set _ZL20rocblas_gemvn_kernelILi32ELi16ElPKDF16_fKPfEviiT3_lPKT2_lT1_lS7_lS8_lS4_lPT4_lS8_li.uses_vcc, 1
	.set _ZL20rocblas_gemvn_kernelILi32ELi16ElPKDF16_fKPfEviiT3_lPKT2_lT1_lS7_lS8_lS4_lPT4_lS8_li.uses_flat_scratch, 1
	.set _ZL20rocblas_gemvn_kernelILi32ELi16ElPKDF16_fKPfEviiT3_lPKT2_lT1_lS7_lS8_lS4_lPT4_lS8_li.has_dyn_sized_stack, 0
	.set _ZL20rocblas_gemvn_kernelILi32ELi16ElPKDF16_fKPfEviiT3_lPKT2_lT1_lS7_lS8_lS4_lPT4_lS8_li.has_recursion, 0
	.set _ZL20rocblas_gemvn_kernelILi32ELi16ElPKDF16_fKPfEviiT3_lPKT2_lT1_lS7_lS8_lS4_lPT4_lS8_li.has_indirect_call, 0
	.section	.AMDGPU.csdata,"",@progbits
; Kernel info:
; codeLenInByte = 3820
; TotalNumSgprs: 49
; NumVgprs: 78
; ScratchSize: 0
; MemoryBound: 0
; FloatMode: 240
; IeeeMode: 1
; LDSByteSize: 8192 bytes/workgroup (compile time only)
; SGPRBlocks: 0
; VGPRBlocks: 9
; NumSGPRsForWavesPerEU: 49
; NumVGPRsForWavesPerEU: 78
; Occupancy: 16
; WaveLimiterHint : 1
; COMPUTE_PGM_RSRC2:SCRATCH_EN: 0
; COMPUTE_PGM_RSRC2:USER_SGPR: 2
; COMPUTE_PGM_RSRC2:TRAP_HANDLER: 0
; COMPUTE_PGM_RSRC2:TGID_X_EN: 1
; COMPUTE_PGM_RSRC2:TGID_Y_EN: 0
; COMPUTE_PGM_RSRC2:TGID_Z_EN: 1
; COMPUTE_PGM_RSRC2:TIDIG_COMP_CNT: 1
	.section	.text._ZL20rocblas_gemvn_kernelILi64ELi16EiPKDF16_PKfKPfEviiT3_lPKT2_lT1_lS9_lSA_lS6_lPT4_lSA_li,"axG",@progbits,_ZL20rocblas_gemvn_kernelILi64ELi16EiPKDF16_PKfKPfEviiT3_lPKT2_lT1_lS9_lSA_lS6_lPT4_lSA_li,comdat
	.globl	_ZL20rocblas_gemvn_kernelILi64ELi16EiPKDF16_PKfKPfEviiT3_lPKT2_lT1_lS9_lSA_lS6_lPT4_lSA_li ; -- Begin function _ZL20rocblas_gemvn_kernelILi64ELi16EiPKDF16_PKfKPfEviiT3_lPKT2_lT1_lS9_lSA_lS6_lPT4_lSA_li
	.p2align	8
	.type	_ZL20rocblas_gemvn_kernelILi64ELi16EiPKDF16_PKfKPfEviiT3_lPKT2_lT1_lS9_lSA_lS6_lPT4_lSA_li,@function
_ZL20rocblas_gemvn_kernelILi64ELi16EiPKDF16_PKfKPfEviiT3_lPKT2_lT1_lS9_lSA_lS6_lPT4_lSA_li: ; @_ZL20rocblas_gemvn_kernelILi64ELi16EiPKDF16_PKfKPfEviiT3_lPKT2_lT1_lS9_lSA_lS6_lPT4_lSA_li
; %bb.0:
	s_clause 0x1
	s_load_b64 s[2:3], s[0:1], 0x9c
	s_load_b32 s33, s[0:1], 0x88
	s_lshr_b32 s10, ttmp7, 16
	s_wait_kmcnt 0x0
	s_lshr_b32 s4, s2, 16
	s_and_b32 s2, s2, 0xffff
	s_and_b32 s3, s3, 0xffff
	s_mul_i32 s2, s4, s2
	s_delay_alu instid0(SALU_CYCLE_1) | instskip(NEXT) | instid1(SALU_CYCLE_1)
	s_mul_i32 s2, s2, s3
	s_cmp_lg_u32 s2, 0x400
	s_cselect_b32 s2, -1, 0
	s_cmp_ge_u32 s10, s33
	s_cselect_b32 s3, -1, 0
	s_delay_alu instid0(SALU_CYCLE_1) | instskip(NEXT) | instid1(SALU_CYCLE_1)
	s_or_b32 s2, s2, s3
	s_and_b32 vcc_lo, exec_lo, s2
	s_cbranch_vccnz .LBB514_56
; %bb.1:
	s_clause 0x2
	s_load_b32 s6, s[0:1], 0x78
	s_load_b64 s[8:9], s[0:1], 0x0
	s_load_b256 s[12:19], s[0:1], 0x8
	v_and_b32_e32 v9, 0x3ff, v0
	v_bfe_u32 v8, v0, 10, 10
	s_clause 0x3
	s_load_b32 s35, s[0:1], 0x28
	s_load_b128 s[28:31], s[0:1], 0x38
	s_load_b32 s34, s[0:1], 0x48
	s_load_b256 s[20:27], s[0:1], 0x58
	s_lshl_b32 s36, ttmp9, 8
	v_mov_b32_e32 v1, 0
	v_add_nc_u32_e32 v23, s36, v9
	v_lshl_add_u32 v5, v8, 6, v9
	v_lshlrev_b32_e32 v24, 2, v8
	v_lshlrev_b32_e32 v6, 2, v9
	s_mov_b32 s11, 0
	v_add_nc_u32_e32 v7, 0x80, v23
	v_add_nc_u32_e32 v0, s36, v5
	v_add_nc_u32_e32 v4, 64, v23
	v_or_b32_e32 v11, s36, v5
	v_add_nc_u32_e32 v10, 0xc0, v23
	v_or_b32_e32 v12, 3, v24
	v_lshl_add_u32 v25, v8, 8, v6
	s_wait_kmcnt 0x0
	v_mad_co_u64_u32 v[2:3], null, s6, v0, 0
	s_ashr_i32 s3, s6, 31
	v_cmp_gt_i32_e64 s2, s8, v7
	v_mul_lo_u32 v7, s35, v24
	s_ashr_i32 s7, s9, 31
	v_cmp_gt_i32_e64 s1, s8, v4
	s_wait_alu 0xfffe
	s_lshr_b32 s7, s7, 26
	v_mad_co_u64_u32 v[3:4], null, s3, v0, v[3:4]
	v_mul_lo_u32 v4, s6, v11
	v_cmp_gt_i32_e64 s6, s8, v11
	v_mul_lo_u32 v11, v8, s35
	v_cmp_gt_i32_e64 s3, s8, v10
	v_or_b32_e32 v10, 2, v24
	s_wait_alu 0xfffe
	s_add_co_i32 s37, s9, s7
	v_mul_lo_u32 v13, v8, s34
	s_ashr_i32 s5, s8, 31
	s_mov_b32 s4, s8
	s_wait_alu 0xfffe
	s_and_not1_b32 s37, s37, 63
	v_cmp_gt_i64_e32 vcc_lo, s[4:5], v[0:1]
	v_lshl_add_u32 v0, v8, 10, v6
	v_add3_u32 v26, v7, s35, v9
	v_mad_co_u64_u32 v[6:7], null, s35, v10, v[9:10]
	s_wait_alu 0xfffe
	s_sub_co_i32 s5, s9, s37
	v_mad_co_u64_u32 v[7:8], null, s35, v12, v[9:10]
	v_lshl_add_u32 v27, v11, 2, v9
	v_mad_co_u64_u32 v[8:9], null, s34, v24, s[34:35]
	v_mul_lo_u32 v28, s34, v10
	v_mul_lo_u32 v29, s34, v12
	s_wait_alu 0xfffe
	s_cmp_gt_i32 s5, 0
	v_cmp_gt_u32_e64 s5, 0x100, v5
	v_lshlrev_b64_e32 v[9:10], 2, v[2:3]
	v_cmp_gt_i32_e64 s0, s8, v23
	v_cmp_gt_i32_e64 s4, s37, v24
	v_ashrrev_i32_e32 v5, 31, v4
	v_lshlrev_b32_e32 v30, 2, v13
	s_cselect_b32 s38, -1, 0
	s_and_b32 s39, s5, vcc_lo
	s_lshl_b32 s40, s35, 6
	s_lshl_b32 s41, s34, 6
	s_lshl_b64 s[18:19], s[18:19], 1
	s_lshl_b64 s[30:31], s[30:31], 1
	;; [unrolled: 1-line block ×3, first 2 shown]
	s_branch .LBB514_4
.LBB514_2:                              ;   in Loop: Header=BB514_4 Depth=1
	s_wait_alu 0xfffe
	s_or_b32 exec_lo, exec_lo, s7
.LBB514_3:                              ;   in Loop: Header=BB514_4 Depth=1
	s_add_co_i32 s10, s10, 0x10000
	s_delay_alu instid0(SALU_CYCLE_1)
	s_cmp_lt_u32 s10, s33
	s_cbranch_scc0 .LBB514_56
.LBB514_4:                              ; =>This Loop Header: Depth=1
                                        ;     Child Loop BB514_24 Depth 2
	s_mul_u64 s[42:43], s[14:15], s[10:11]
	s_mul_u64 s[44:45], s[22:23], s[10:11]
	s_wait_alu 0xfffe
	s_lshl_b64 s[42:43], s[42:43], 2
	s_lshl_b64 s[44:45], s[44:45], 2
	s_wait_alu 0xfffe
	s_add_nc_u64 s[42:43], s[12:13], s[42:43]
	s_add_nc_u64 s[44:45], s[20:21], s[44:45]
	s_clause 0x1
	global_load_b32 v31, v1, s[42:43]
	global_load_b32 v11, v1, s[44:45]
	s_wait_loadcnt 0x1
	v_cmp_eq_f32_e64 s7, 0, v31
	s_wait_loadcnt 0x0
	v_cmp_eq_f32_e32 vcc_lo, 1.0, v11
	v_readfirstlane_b32 s42, v11
	s_and_b32 s8, s7, vcc_lo
	s_wait_alu 0xfffe
	s_and_b32 vcc_lo, exec_lo, s8
	s_wait_alu 0xfffe
	s_cbranch_vccnz .LBB514_3
; %bb.5:                                ;   in Loop: Header=BB514_4 Depth=1
	v_mov_b32_e32 v13, 0
	v_dual_mov_b32 v14, 0 :: v_dual_mov_b32 v11, 0
	v_cmp_neq_f32_e64 s8, 0, v31
	v_mov_b32_e32 v12, 0
	s_and_b32 vcc_lo, exec_lo, s7
	s_wait_alu 0xfffe
	s_cbranch_vccnz .LBB514_7
; %bb.6:                                ;   in Loop: Header=BB514_4 Depth=1
	s_lshl_b64 s[44:45], s[10:11], 3
	s_wait_alu 0xfffe
	s_add_nc_u64 s[44:45], s[16:17], s[44:45]
	global_load_b64 v[11:12], v1, s[44:45]
	s_wait_loadcnt 0x0
	v_add_co_u32 v11, vcc_lo, v11, s18
	s_wait_alu 0xfffd
	v_add_co_ci_u32_e64 v12, null, s19, v12, vcc_lo
.LBB514_7:                              ;   in Loop: Header=BB514_4 Depth=1
	s_and_not1_b32 vcc_lo, exec_lo, s8
	s_wait_alu 0xfffe
	s_cbranch_vccnz .LBB514_9
; %bb.8:                                ;   in Loop: Header=BB514_4 Depth=1
	s_lshl_b64 s[44:45], s[10:11], 3
	s_wait_alu 0xfffe
	s_add_nc_u64 s[44:45], s[28:29], s[44:45]
	global_load_b64 v[13:14], v1, s[44:45]
	s_wait_loadcnt 0x0
	v_add_co_u32 v13, vcc_lo, v13, s30
	s_wait_alu 0xfffd
	v_add_co_ci_u32_e64 v14, null, s31, v14, vcc_lo
.LBB514_9:                              ;   in Loop: Header=BB514_4 Depth=1
	s_lshl_b64 s[44:45], s[10:11], 3
	s_wait_alu 0xfffe
	s_add_nc_u64 s[44:45], s[24:25], s[44:45]
	global_load_b64 v[15:16], v1, s[44:45]
	s_wait_loadcnt 0x0
	v_add_co_u32 v32, vcc_lo, v15, s26
	s_wait_alu 0xfffd
	v_add_co_ci_u32_e64 v33, null, s27, v16, vcc_lo
	s_and_not1_b32 vcc_lo, exec_lo, s7
	s_wait_alu 0xfffe
	s_cbranch_vccnz .LBB514_13
; %bb.10:                               ;   in Loop: Header=BB514_4 Depth=1
	s_mov_b32 s7, 0
	s_mov_b32 s8, 0
                                        ; implicit-def: $vgpr15
	s_and_saveexec_b32 s43, s39
	s_cbranch_execz .LBB514_14
; %bb.11:                               ;   in Loop: Header=BB514_4 Depth=1
	s_cmp_eq_f32 s42, 0
	s_cbranch_scc1 .LBB514_16
; %bb.12:                               ;   in Loop: Header=BB514_4 Depth=1
	v_add_co_u32 v15, vcc_lo, v32, v9
	s_wait_alu 0xfffd
	v_add_co_ci_u32_e64 v16, null, v33, v10, vcc_lo
	flat_load_b32 v15, v[15:16]
	s_wait_loadcnt_dscnt 0x0
	v_mul_f32_e32 v15, s42, v15
	s_branch .LBB514_17
.LBB514_13:                             ;   in Loop: Header=BB514_4 Depth=1
	s_mov_b32 s8, 0
                                        ; implicit-def: $vgpr15
	s_cbranch_execz .LBB514_15
	s_branch .LBB514_18
.LBB514_14:                             ;   in Loop: Header=BB514_4 Depth=1
	s_wait_alu 0xfffe
	s_or_b32 exec_lo, exec_lo, s43
	s_delay_alu instid0(SALU_CYCLE_1)
	s_and_b32 vcc_lo, exec_lo, s7
	s_wait_alu 0xfffe
	s_cbranch_vccnz .LBB514_18
.LBB514_15:                             ;   in Loop: Header=BB514_4 Depth=1
	v_dual_mov_b32 v12, v3 :: v_dual_mov_b32 v11, v2
	s_wait_alu 0xfffe
	s_and_saveexec_b32 s7, s8
	s_cbranch_execz .LBB514_2
	s_branch .LBB514_55
.LBB514_16:                             ;   in Loop: Header=BB514_4 Depth=1
	v_mov_b32_e32 v15, 0
.LBB514_17:                             ;   in Loop: Header=BB514_4 Depth=1
	s_mov_b32 s8, exec_lo
	s_wait_alu 0xfffe
	s_or_b32 exec_lo, exec_lo, s43
	s_delay_alu instid0(SALU_CYCLE_1)
	s_and_b32 vcc_lo, exec_lo, s7
	s_wait_alu 0xfffe
	s_cbranch_vccz .LBB514_15
.LBB514_18:                             ;   in Loop: Header=BB514_4 Depth=1
	v_dual_mov_b32 v34, 0 :: v_dual_mov_b32 v35, 0
	v_dual_mov_b32 v38, v24 :: v_dual_mov_b32 v37, 0
	v_mov_b32_e32 v36, 0
	s_and_saveexec_b32 s7, s4
	s_cbranch_execz .LBB514_30
; %bb.19:                               ;   in Loop: Header=BB514_4 Depth=1
	v_dual_mov_b32 v34, 0 :: v_dual_mov_b32 v39, v27
	v_dual_mov_b32 v40, v7 :: v_dual_mov_b32 v41, v6
	;; [unrolled: 1-line block ×4, first 2 shown]
	v_mov_b32_e32 v36, 0
	s_mov_b32 s43, 0
	s_mov_b32 s44, 0
	s_branch .LBB514_24
.LBB514_20:                             ;   in Loop: Header=BB514_24 Depth=2
	s_or_b32 exec_lo, exec_lo, s48
	s_wait_loadcnt_dscnt 0x303
	v_fma_mix_f32 v15, v55, v59, v36 op_sel_hi:[0,1,0]
	s_wait_loadcnt_dscnt 0x202
	s_delay_alu instid0(VALU_DEP_1) | instskip(SKIP_1) | instid1(VALU_DEP_1)
	v_fma_mix_f32 v15, v56, v60, v15 op_sel_hi:[0,1,0]
	s_wait_loadcnt_dscnt 0x101
	v_fma_mix_f32 v15, v57, v61, v15 op_sel_hi:[0,1,0]
	s_wait_loadcnt_dscnt 0x0
	s_delay_alu instid0(VALU_DEP_1)
	v_fma_mix_f32 v36, v58, v62, v15 op_sel_hi:[0,1,0]
.LBB514_21:                             ;   in Loop: Header=BB514_24 Depth=2
	s_or_b32 exec_lo, exec_lo, s47
	s_wait_loadcnt_dscnt 0x303
	v_fma_mix_f32 v15, v55, v51, v35 op_sel_hi:[0,1,0]
	s_wait_loadcnt_dscnt 0x202
	s_delay_alu instid0(VALU_DEP_1) | instskip(SKIP_1) | instid1(VALU_DEP_1)
	v_fma_mix_f32 v15, v56, v52, v15 op_sel_hi:[0,1,0]
	s_wait_loadcnt_dscnt 0x101
	v_fma_mix_f32 v15, v57, v53, v15 op_sel_hi:[0,1,0]
	s_wait_loadcnt_dscnt 0x0
	s_delay_alu instid0(VALU_DEP_1)
	v_fma_mix_f32 v35, v58, v54, v15 op_sel_hi:[0,1,0]
.LBB514_22:                             ;   in Loop: Header=BB514_24 Depth=2
	s_or_b32 exec_lo, exec_lo, s46
	s_wait_loadcnt_dscnt 0x303
	v_fma_mix_f32 v15, v43, v47, v34 op_sel_hi:[1,1,0]
	s_wait_loadcnt_dscnt 0x202
	s_delay_alu instid0(VALU_DEP_1) | instskip(SKIP_1) | instid1(VALU_DEP_1)
	v_fma_mix_f32 v15, v44, v48, v15 op_sel_hi:[1,1,0]
	s_wait_loadcnt_dscnt 0x101
	v_fma_mix_f32 v15, v45, v49, v15 op_sel_hi:[1,1,0]
	s_wait_loadcnt_dscnt 0x0
	s_delay_alu instid0(VALU_DEP_1)
	v_fma_mix_f32 v34, v46, v50, v15 op_sel_hi:[1,1,0]
.LBB514_23:                             ;   in Loop: Header=BB514_24 Depth=2
	s_wait_alu 0xfffe
	s_or_b32 exec_lo, exec_lo, s45
	v_add_nc_u32_e32 v38, 64, v38
	v_add_nc_u32_e32 v42, s40, v42
	;; [unrolled: 1-line block ×5, first 2 shown]
	v_cmp_le_i32_e32 vcc_lo, s37, v38
	s_add_co_i32 s44, s44, s41
	s_or_b32 s43, vcc_lo, s43
	s_wait_alu 0xfffe
	s_and_not1_b32 exec_lo, exec_lo, s43
	s_cbranch_execz .LBB514_29
.LBB514_24:                             ;   Parent Loop BB514_4 Depth=1
                                        ; =>  This Inner Loop Header: Depth=2
	s_and_saveexec_b32 s45, s0
	s_cbranch_execz .LBB514_23
; %bb.25:                               ;   in Loop: Header=BB514_24 Depth=2
	s_wait_alu 0xfffe
	v_add_nc_u32_e32 v15, s44, v30
	v_add_nc_u32_e32 v17, s44, v8
	v_add_nc_u32_e32 v19, s44, v28
	v_add_nc_u32_e32 v21, s44, v29
	v_add_nc_u32_e32 v43, s36, v39
	v_ashrrev_i32_e32 v16, 31, v15
	v_ashrrev_i32_e32 v18, 31, v17
	;; [unrolled: 1-line block ×5, first 2 shown]
	v_lshlrev_b64_e32 v[15:16], 1, v[15:16]
	v_lshlrev_b64_e32 v[17:18], 1, v[17:18]
	;; [unrolled: 1-line block ×3, first 2 shown]
	s_delay_alu instid0(VALU_DEP_3) | instskip(SKIP_1) | instid1(VALU_DEP_4)
	v_add_co_u32 v45, vcc_lo, v13, v15
	s_wait_alu 0xfffd
	v_add_co_ci_u32_e64 v46, null, v14, v16, vcc_lo
	s_delay_alu instid0(VALU_DEP_4)
	v_add_co_u32 v47, vcc_lo, v13, v17
	v_add_nc_u32_e32 v17, s36, v42
	s_wait_alu 0xfffd
	v_add_co_ci_u32_e64 v48, null, v14, v18, vcc_lo
	v_lshlrev_b64_e32 v[15:16], 1, v[21:22]
	v_add_co_u32 v49, vcc_lo, v13, v19
	v_add_nc_u32_e32 v21, s36, v41
	s_wait_alu 0xfffd
	v_add_co_ci_u32_e64 v50, null, v14, v20, vcc_lo
	v_lshlrev_b64_e32 v[19:20], 1, v[43:44]
	v_add_nc_u32_e32 v43, s36, v40
	v_ashrrev_i32_e32 v18, 31, v17
	v_ashrrev_i32_e32 v22, 31, v21
	v_add_co_u32 v51, vcc_lo, v13, v15
	s_delay_alu instid0(VALU_DEP_4)
	v_ashrrev_i32_e32 v44, 31, v43
	s_wait_alu 0xfffd
	v_add_co_ci_u32_e64 v52, null, v14, v16, vcc_lo
	v_lshlrev_b64_e32 v[17:18], 1, v[17:18]
	v_add_co_u32 v15, vcc_lo, v11, v19
	s_wait_alu 0xfffd
	v_add_co_ci_u32_e64 v16, null, v12, v20, vcc_lo
	v_lshlrev_b64_e32 v[19:20], 1, v[21:22]
	v_lshlrev_b64_e32 v[21:22], 1, v[43:44]
	v_add_co_u32 v17, vcc_lo, v11, v17
	s_wait_alu 0xfffd
	v_add_co_ci_u32_e64 v18, null, v12, v18, vcc_lo
	s_delay_alu instid0(VALU_DEP_4)
	v_add_co_u32 v19, vcc_lo, v11, v19
	s_wait_alu 0xfffd
	v_add_co_ci_u32_e64 v20, null, v12, v20, vcc_lo
	v_add_co_u32 v21, vcc_lo, v11, v21
	s_wait_alu 0xfffd
	v_add_co_ci_u32_e64 v22, null, v12, v22, vcc_lo
	s_clause 0x3
	flat_load_u16 v43, v[45:46]
	flat_load_u16 v44, v[47:48]
	;; [unrolled: 1-line block ×4, first 2 shown]
	s_clause 0x3
	flat_load_u16 v47, v[15:16]
	flat_load_u16 v48, v[17:18]
	flat_load_u16 v49, v[19:20]
	flat_load_u16 v50, v[21:22]
	s_and_saveexec_b32 s46, s1
	s_cbranch_execz .LBB514_22
; %bb.26:                               ;   in Loop: Header=BB514_24 Depth=2
	s_clause 0x3
	flat_load_u16 v51, v[15:16] offset:128
	flat_load_u16 v52, v[17:18] offset:128
	flat_load_u16 v53, v[19:20] offset:128
	flat_load_u16 v54, v[21:22] offset:128
	s_wait_loadcnt_dscnt 0xb0b
	v_cvt_f32_f16_e32 v55, v43
	s_wait_loadcnt_dscnt 0xa0a
	v_cvt_f32_f16_e32 v56, v44
	;; [unrolled: 2-line block ×4, first 2 shown]
	s_and_saveexec_b32 s47, s2
	s_cbranch_execz .LBB514_21
; %bb.27:                               ;   in Loop: Header=BB514_24 Depth=2
	s_clause 0x3
	flat_load_u16 v59, v[15:16] offset:256
	flat_load_u16 v60, v[17:18] offset:256
	flat_load_u16 v61, v[19:20] offset:256
	flat_load_u16 v62, v[21:22] offset:256
	s_and_saveexec_b32 s48, s3
	s_cbranch_execz .LBB514_20
; %bb.28:                               ;   in Loop: Header=BB514_24 Depth=2
	s_clause 0x3
	flat_load_u16 v15, v[15:16] offset:384
	flat_load_u16 v16, v[17:18] offset:384
	;; [unrolled: 1-line block ×4, first 2 shown]
	s_wait_loadcnt_dscnt 0x303
	v_fma_mix_f32 v15, v55, v15, v37 op_sel_hi:[0,1,0]
	s_wait_loadcnt_dscnt 0x202
	s_delay_alu instid0(VALU_DEP_1) | instskip(SKIP_1) | instid1(VALU_DEP_1)
	v_fma_mix_f32 v15, v56, v16, v15 op_sel_hi:[0,1,0]
	s_wait_loadcnt_dscnt 0x101
	v_fma_mix_f32 v15, v57, v17, v15 op_sel_hi:[0,1,0]
	s_wait_loadcnt_dscnt 0x0
	s_delay_alu instid0(VALU_DEP_1)
	v_fma_mix_f32 v37, v58, v18, v15 op_sel_hi:[0,1,0]
	s_branch .LBB514_20
.LBB514_29:                             ;   in Loop: Header=BB514_4 Depth=1
	s_or_b32 exec_lo, exec_lo, s43
.LBB514_30:                             ;   in Loop: Header=BB514_4 Depth=1
	s_wait_alu 0xfffe
	s_or_b32 exec_lo, exec_lo, s7
	s_delay_alu instid0(SALU_CYCLE_1)
	s_and_not1_b32 vcc_lo, exec_lo, s38
	s_wait_alu 0xfffe
	s_cbranch_vccnz .LBB514_48
; %bb.31:                               ;   in Loop: Header=BB514_4 Depth=1
	v_cmp_gt_i32_e32 vcc_lo, s9, v38
	v_dual_mov_b32 v19, 0 :: v_dual_mov_b32 v20, 0
	v_or_b32_e32 v15, 1, v38
	v_dual_mov_b32 v21, 0 :: v_dual_mov_b32 v22, 0
	s_and_saveexec_b32 s43, vcc_lo
	s_cbranch_execz .LBB514_39
; %bb.32:                               ;   in Loop: Header=BB514_4 Depth=1
	v_mul_lo_u32 v16, v38, s34
	v_dual_mov_b32 v21, 0 :: v_dual_mov_b32 v20, 0
	v_mov_b32_e32 v19, 0
	s_mov_b32 s44, exec_lo
	s_delay_alu instid0(VALU_DEP_3) | instskip(NEXT) | instid1(VALU_DEP_1)
	v_ashrrev_i32_e32 v17, 31, v16
	v_lshlrev_b64_e32 v[16:17], 1, v[16:17]
	s_delay_alu instid0(VALU_DEP_1) | instskip(SKIP_1) | instid1(VALU_DEP_2)
	v_add_co_u32 v16, s7, v13, v16
	s_wait_alu 0xf1ff
	v_add_co_ci_u32_e64 v17, null, v14, v17, s7
	flat_load_u16 v16, v[16:17]
	v_cmpx_gt_i32_e64 s9, v15
	s_cbranch_execz .LBB514_38
; %bb.33:                               ;   in Loop: Header=BB514_4 Depth=1
	v_mul_lo_u32 v17, v15, s34
	v_dual_mov_b32 v20, 0 :: v_dual_mov_b32 v19, 0
	s_mov_b32 s45, exec_lo
	s_delay_alu instid0(VALU_DEP_2) | instskip(NEXT) | instid1(VALU_DEP_1)
	v_ashrrev_i32_e32 v18, 31, v17
	v_lshlrev_b64_e32 v[17:18], 1, v[17:18]
	s_delay_alu instid0(VALU_DEP_1) | instskip(SKIP_1) | instid1(VALU_DEP_2)
	v_add_co_u32 v17, s7, v13, v17
	s_wait_alu 0xf1ff
	v_add_co_ci_u32_e64 v18, null, v14, v18, s7
	flat_load_u16 v17, v[17:18]
	v_or_b32_e32 v18, 2, v38
	s_delay_alu instid0(VALU_DEP_1)
	v_cmpx_gt_i32_e64 s9, v18
	s_cbranch_execz .LBB514_37
; %bb.34:                               ;   in Loop: Header=BB514_4 Depth=1
	v_mul_lo_u32 v18, v18, s34
	v_or_b32_e32 v20, 3, v38
	s_mov_b32 s46, exec_lo
	s_delay_alu instid0(VALU_DEP_2) | instskip(NEXT) | instid1(VALU_DEP_1)
	v_ashrrev_i32_e32 v19, 31, v18
	v_lshlrev_b64_e32 v[18:19], 1, v[18:19]
	s_delay_alu instid0(VALU_DEP_1) | instskip(SKIP_1) | instid1(VALU_DEP_2)
	v_add_co_u32 v18, s7, v13, v18
	s_wait_alu 0xf1ff
	v_add_co_ci_u32_e64 v19, null, v14, v19, s7
	flat_load_u16 v18, v[18:19]
	v_mov_b32_e32 v19, 0
	v_cmpx_gt_i32_e64 s9, v20
	s_cbranch_execz .LBB514_36
; %bb.35:                               ;   in Loop: Header=BB514_4 Depth=1
	v_mul_lo_u32 v19, v20, s34
	s_delay_alu instid0(VALU_DEP_1) | instskip(NEXT) | instid1(VALU_DEP_1)
	v_ashrrev_i32_e32 v20, 31, v19
	v_lshlrev_b64_e32 v[19:20], 1, v[19:20]
	s_delay_alu instid0(VALU_DEP_1) | instskip(SKIP_1) | instid1(VALU_DEP_2)
	v_add_co_u32 v13, s7, v13, v19
	s_wait_alu 0xf1ff
	v_add_co_ci_u32_e64 v14, null, v14, v20, s7
	flat_load_u16 v13, v[13:14]
	s_wait_loadcnt_dscnt 0x0
	v_cvt_f32_f16_e32 v19, v13
.LBB514_36:                             ;   in Loop: Header=BB514_4 Depth=1
	s_or_b32 exec_lo, exec_lo, s46
	s_wait_loadcnt_dscnt 0x0
	v_cvt_f32_f16_e32 v20, v18
.LBB514_37:                             ;   in Loop: Header=BB514_4 Depth=1
	s_wait_alu 0xfffe
	s_or_b32 exec_lo, exec_lo, s45
	s_wait_loadcnt_dscnt 0x0
	v_cvt_f32_f16_e32 v21, v17
.LBB514_38:                             ;   in Loop: Header=BB514_4 Depth=1
	s_wait_alu 0xfffe
	s_or_b32 exec_lo, exec_lo, s44
	s_wait_loadcnt_dscnt 0x0
	v_cvt_f32_f16_e32 v22, v16
.LBB514_39:                             ;   in Loop: Header=BB514_4 Depth=1
	s_wait_alu 0xfffe
	s_or_b32 exec_lo, exec_lo, s43
	s_and_saveexec_b32 s7, s0
	s_cbranch_execz .LBB514_47
; %bb.40:                               ;   in Loop: Header=BB514_4 Depth=1
	v_mul_lo_u32 v14, v38, s35
	v_or_b32_e32 v13, 2, v38
	v_mul_lo_u32 v17, v15, s35
	v_or_b32_e32 v16, 3, v38
	s_delay_alu instid0(VALU_DEP_3) | instskip(NEXT) | instid1(VALU_DEP_2)
	v_mul_lo_u32 v18, v13, s35
	v_mul_lo_u32 v38, v16, s35
	v_cndmask_b32_e32 v14, 0, v14, vcc_lo
	v_cmp_gt_i32_e32 vcc_lo, s9, v15
	s_wait_alu 0xfffd
	v_cndmask_b32_e32 v15, 0, v17, vcc_lo
	v_cmp_gt_i32_e32 vcc_lo, s9, v13
	v_add_nc_u32_e32 v13, v14, v23
	s_delay_alu instid0(VALU_DEP_3)
	v_add_nc_u32_e32 v15, v15, v23
	s_wait_alu 0xfffd
	v_cndmask_b32_e32 v17, 0, v18, vcc_lo
	v_cmp_gt_i32_e32 vcc_lo, s9, v16
	v_ashrrev_i32_e32 v14, 31, v13
	s_wait_alu 0xfffd
	v_cndmask_b32_e32 v16, 0, v38, vcc_lo
	s_delay_alu instid0(VALU_DEP_2) | instskip(NEXT) | instid1(VALU_DEP_2)
	v_lshlrev_b64_e32 v[13:14], 1, v[13:14]
	v_add_nc_u32_e32 v38, v16, v23
	v_add_nc_u32_e32 v17, v17, v23
	v_ashrrev_i32_e32 v16, 31, v15
	s_delay_alu instid0(VALU_DEP_4) | instskip(NEXT) | instid1(VALU_DEP_4)
	v_add_co_u32 v13, vcc_lo, v11, v13
	v_ashrrev_i32_e32 v39, 31, v38
	s_delay_alu instid0(VALU_DEP_4) | instskip(NEXT) | instid1(VALU_DEP_4)
	v_ashrrev_i32_e32 v18, 31, v17
	v_lshlrev_b64_e32 v[15:16], 1, v[15:16]
	s_wait_alu 0xfffd
	v_add_co_ci_u32_e64 v14, null, v12, v14, vcc_lo
	v_lshlrev_b64_e32 v[38:39], 1, v[38:39]
	v_lshlrev_b64_e32 v[17:18], 1, v[17:18]
	s_delay_alu instid0(VALU_DEP_4) | instskip(SKIP_2) | instid1(VALU_DEP_3)
	v_add_co_u32 v15, vcc_lo, v11, v15
	s_wait_alu 0xfffd
	v_add_co_ci_u32_e64 v16, null, v12, v16, vcc_lo
	v_add_co_u32 v17, vcc_lo, v11, v17
	s_wait_alu 0xfffd
	v_add_co_ci_u32_e64 v18, null, v12, v18, vcc_lo
	;; [unrolled: 3-line block ×3, first 2 shown]
	s_clause 0x3
	flat_load_u16 v38, v[13:14]
	flat_load_u16 v39, v[15:16]
	;; [unrolled: 1-line block ×4, first 2 shown]
	s_and_saveexec_b32 s43, s1
	s_cbranch_execz .LBB514_46
; %bb.41:                               ;   in Loop: Header=BB514_4 Depth=1
	s_clause 0x3
	flat_load_u16 v42, v[13:14] offset:128
	flat_load_u16 v43, v[15:16] offset:128
	flat_load_u16 v44, v[17:18] offset:128
	flat_load_u16 v45, v[11:12] offset:128
	s_and_saveexec_b32 s44, s2
	s_cbranch_execz .LBB514_45
; %bb.42:                               ;   in Loop: Header=BB514_4 Depth=1
	s_clause 0x3
	flat_load_u16 v46, v[13:14] offset:256
	flat_load_u16 v47, v[15:16] offset:256
	flat_load_u16 v48, v[17:18] offset:256
	flat_load_u16 v49, v[11:12] offset:256
	;; [unrolled: 8-line block ×3, first 2 shown]
	s_wait_loadcnt_dscnt 0x303
	v_fma_mix_f32 v12, v22, v13, v37 op_sel_hi:[0,1,0]
	s_wait_loadcnt_dscnt 0x202
	s_delay_alu instid0(VALU_DEP_1) | instskip(SKIP_1) | instid1(VALU_DEP_1)
	v_fma_mix_f32 v12, v21, v14, v12 op_sel_hi:[0,1,0]
	s_wait_loadcnt_dscnt 0x101
	v_fma_mix_f32 v12, v20, v15, v12 op_sel_hi:[0,1,0]
	s_wait_loadcnt_dscnt 0x0
	s_delay_alu instid0(VALU_DEP_1)
	v_fma_mix_f32 v37, v19, v11, v12 op_sel_hi:[0,1,0]
.LBB514_44:                             ;   in Loop: Header=BB514_4 Depth=1
	s_wait_alu 0xfffe
	s_or_b32 exec_lo, exec_lo, s45
	s_wait_loadcnt_dscnt 0x303
	v_fma_mix_f32 v11, v22, v46, v36 op_sel_hi:[0,1,0]
	s_wait_loadcnt_dscnt 0x202
	s_delay_alu instid0(VALU_DEP_1) | instskip(SKIP_1) | instid1(VALU_DEP_1)
	v_fma_mix_f32 v11, v21, v47, v11 op_sel_hi:[0,1,0]
	s_wait_loadcnt_dscnt 0x101
	v_fma_mix_f32 v11, v20, v48, v11 op_sel_hi:[0,1,0]
	s_wait_loadcnt_dscnt 0x0
	s_delay_alu instid0(VALU_DEP_1)
	v_fma_mix_f32 v36, v19, v49, v11 op_sel_hi:[0,1,0]
.LBB514_45:                             ;   in Loop: Header=BB514_4 Depth=1
	s_wait_alu 0xfffe
	s_or_b32 exec_lo, exec_lo, s44
	s_wait_loadcnt_dscnt 0x303
	v_fma_mix_f32 v11, v22, v42, v35 op_sel_hi:[0,1,0]
	s_wait_loadcnt_dscnt 0x202
	s_delay_alu instid0(VALU_DEP_1) | instskip(SKIP_1) | instid1(VALU_DEP_1)
	v_fma_mix_f32 v11, v21, v43, v11 op_sel_hi:[0,1,0]
	s_wait_loadcnt_dscnt 0x101
	v_fma_mix_f32 v11, v20, v44, v11 op_sel_hi:[0,1,0]
	s_wait_loadcnt_dscnt 0x0
	s_delay_alu instid0(VALU_DEP_1)
	v_fma_mix_f32 v35, v19, v45, v11 op_sel_hi:[0,1,0]
.LBB514_46:                             ;   in Loop: Header=BB514_4 Depth=1
	s_wait_alu 0xfffe
	s_or_b32 exec_lo, exec_lo, s43
	s_wait_loadcnt_dscnt 0x303
	v_fma_mix_f32 v11, v22, v38, v34 op_sel_hi:[0,1,0]
	s_wait_loadcnt_dscnt 0x202
	s_delay_alu instid0(VALU_DEP_1) | instskip(SKIP_1) | instid1(VALU_DEP_1)
	v_fma_mix_f32 v11, v21, v39, v11 op_sel_hi:[0,1,0]
	s_wait_loadcnt_dscnt 0x101
	v_fma_mix_f32 v11, v20, v40, v11 op_sel_hi:[0,1,0]
	s_wait_loadcnt_dscnt 0x0
	s_delay_alu instid0(VALU_DEP_1)
	v_fma_mix_f32 v34, v19, v41, v11 op_sel_hi:[0,1,0]
.LBB514_47:                             ;   in Loop: Header=BB514_4 Depth=1
	s_wait_alu 0xfffe
	s_or_b32 exec_lo, exec_lo, s7
.LBB514_48:                             ;   in Loop: Header=BB514_4 Depth=1
	ds_store_2addr_stride64_b32 v0, v34, v35 offset1:1
	ds_store_2addr_stride64_b32 v0, v36, v37 offset0:2 offset1:3
	s_wait_dscnt 0x0
	s_barrier_signal -1
	s_barrier_wait -1
	global_inv scope:SCOPE_SE
                                        ; implicit-def: $vgpr15
	s_and_saveexec_b32 s7, s5
	s_cbranch_execz .LBB514_54
; %bb.49:                               ;   in Loop: Header=BB514_4 Depth=1
	ds_load_2addr_stride64_b32 v[11:12], v25 offset1:4
	ds_load_2addr_stride64_b32 v[13:14], v25 offset0:8 offset1:12
	ds_load_2addr_stride64_b32 v[15:16], v25 offset0:16 offset1:20
	s_mov_b32 s44, s8
	s_wait_dscnt 0x2
	v_add_f32_e32 v17, v11, v12
	ds_load_2addr_stride64_b32 v[11:12], v25 offset0:24 offset1:28
	s_wait_dscnt 0x2
	v_add_f32_e32 v13, v13, v17
	s_delay_alu instid0(VALU_DEP_1) | instskip(SKIP_3) | instid1(VALU_DEP_1)
	v_add_f32_e32 v17, v14, v13
	ds_load_2addr_stride64_b32 v[13:14], v25 offset0:32 offset1:36
	s_wait_dscnt 0x2
	v_add_f32_e32 v15, v15, v17
	v_add_f32_e32 v17, v16, v15
	ds_load_2addr_stride64_b32 v[15:16], v25 offset0:40 offset1:44
	s_wait_dscnt 0x2
	v_add_f32_e32 v11, v11, v17
	s_delay_alu instid0(VALU_DEP_1) | instskip(SKIP_1) | instid1(VALU_DEP_1)
	v_add_f32_e32 v11, v12, v11
	s_wait_dscnt 0x1
	v_add_f32_e32 v13, v13, v11
	ds_load_2addr_stride64_b32 v[11:12], v25 offset0:48 offset1:52
	v_add_f32_e32 v13, v14, v13
	s_wait_dscnt 0x1
	s_delay_alu instid0(VALU_DEP_1) | instskip(SKIP_3) | instid1(VALU_DEP_1)
	v_add_f32_e32 v15, v15, v13
	ds_load_2addr_stride64_b32 v[13:14], v25 offset0:56 offset1:60
	v_add_f32_e32 v15, v16, v15
	s_wait_dscnt 0x1
	v_add_f32_e32 v11, v11, v15
                                        ; implicit-def: $vgpr15
	s_delay_alu instid0(VALU_DEP_1) | instskip(SKIP_1) | instid1(VALU_DEP_1)
	v_add_f32_e32 v11, v12, v11
	s_wait_dscnt 0x0
	v_add_f32_e32 v11, v13, v11
	s_delay_alu instid0(VALU_DEP_1)
	v_add_f32_e32 v11, v14, v11
	ds_store_b32 v25, v11
	s_and_saveexec_b32 s43, s6
	s_cbranch_execz .LBB514_53
; %bb.50:                               ;   in Loop: Header=BB514_4 Depth=1
	v_mul_f32_e32 v15, v31, v11
	s_cmp_eq_f32 s42, 0
	s_cbranch_scc1 .LBB514_52
; %bb.51:                               ;   in Loop: Header=BB514_4 Depth=1
	v_lshlrev_b64_e32 v[11:12], 2, v[4:5]
	s_delay_alu instid0(VALU_DEP_1) | instskip(SKIP_1) | instid1(VALU_DEP_2)
	v_add_co_u32 v11, vcc_lo, v32, v11
	s_wait_alu 0xfffd
	v_add_co_ci_u32_e64 v12, null, v33, v12, vcc_lo
	flat_load_b32 v11, v[11:12]
	s_wait_loadcnt_dscnt 0x0
	v_fmac_f32_e32 v15, s42, v11
.LBB514_52:                             ;   in Loop: Header=BB514_4 Depth=1
	s_or_b32 s44, s8, exec_lo
.LBB514_53:                             ;   in Loop: Header=BB514_4 Depth=1
	s_wait_alu 0xfffe
	s_or_b32 exec_lo, exec_lo, s43
	s_delay_alu instid0(SALU_CYCLE_1)
	s_and_not1_b32 s8, s8, exec_lo
	s_and_b32 s42, s44, exec_lo
	s_wait_alu 0xfffe
	s_or_b32 s8, s8, s42
.LBB514_54:                             ;   in Loop: Header=BB514_4 Depth=1
	s_wait_alu 0xfffe
	s_or_b32 exec_lo, exec_lo, s7
	v_dual_mov_b32 v12, v5 :: v_dual_mov_b32 v11, v4
	s_and_saveexec_b32 s7, s8
	s_cbranch_execz .LBB514_2
.LBB514_55:                             ;   in Loop: Header=BB514_4 Depth=1
	s_delay_alu instid0(VALU_DEP_1) | instskip(NEXT) | instid1(VALU_DEP_1)
	v_lshlrev_b64_e32 v[11:12], 2, v[11:12]
	v_add_co_u32 v11, vcc_lo, v32, v11
	s_wait_alu 0xfffd
	s_delay_alu instid0(VALU_DEP_2)
	v_add_co_ci_u32_e64 v12, null, v33, v12, vcc_lo
	flat_store_b32 v[11:12], v15
	s_branch .LBB514_2
.LBB514_56:
	s_endpgm
	.section	.rodata,"a",@progbits
	.p2align	6, 0x0
	.amdhsa_kernel _ZL20rocblas_gemvn_kernelILi64ELi16EiPKDF16_PKfKPfEviiT3_lPKT2_lT1_lS9_lSA_lS6_lPT4_lSA_li
		.amdhsa_group_segment_fixed_size 16384
		.amdhsa_private_segment_fixed_size 0
		.amdhsa_kernarg_size 400
		.amdhsa_user_sgpr_count 2
		.amdhsa_user_sgpr_dispatch_ptr 0
		.amdhsa_user_sgpr_queue_ptr 0
		.amdhsa_user_sgpr_kernarg_segment_ptr 1
		.amdhsa_user_sgpr_dispatch_id 0
		.amdhsa_user_sgpr_private_segment_size 0
		.amdhsa_wavefront_size32 1
		.amdhsa_uses_dynamic_stack 0
		.amdhsa_enable_private_segment 0
		.amdhsa_system_sgpr_workgroup_id_x 1
		.amdhsa_system_sgpr_workgroup_id_y 0
		.amdhsa_system_sgpr_workgroup_id_z 1
		.amdhsa_system_sgpr_workgroup_info 0
		.amdhsa_system_vgpr_workitem_id 1
		.amdhsa_next_free_vgpr 63
		.amdhsa_next_free_sgpr 49
		.amdhsa_reserve_vcc 1
		.amdhsa_float_round_mode_32 0
		.amdhsa_float_round_mode_16_64 0
		.amdhsa_float_denorm_mode_32 3
		.amdhsa_float_denorm_mode_16_64 3
		.amdhsa_fp16_overflow 0
		.amdhsa_workgroup_processor_mode 1
		.amdhsa_memory_ordered 1
		.amdhsa_forward_progress 1
		.amdhsa_inst_pref_size 28
		.amdhsa_round_robin_scheduling 0
		.amdhsa_exception_fp_ieee_invalid_op 0
		.amdhsa_exception_fp_denorm_src 0
		.amdhsa_exception_fp_ieee_div_zero 0
		.amdhsa_exception_fp_ieee_overflow 0
		.amdhsa_exception_fp_ieee_underflow 0
		.amdhsa_exception_fp_ieee_inexact 0
		.amdhsa_exception_int_div_zero 0
	.end_amdhsa_kernel
	.section	.text._ZL20rocblas_gemvn_kernelILi64ELi16EiPKDF16_PKfKPfEviiT3_lPKT2_lT1_lS9_lSA_lS6_lPT4_lSA_li,"axG",@progbits,_ZL20rocblas_gemvn_kernelILi64ELi16EiPKDF16_PKfKPfEviiT3_lPKT2_lT1_lS9_lSA_lS6_lPT4_lSA_li,comdat
.Lfunc_end514:
	.size	_ZL20rocblas_gemvn_kernelILi64ELi16EiPKDF16_PKfKPfEviiT3_lPKT2_lT1_lS9_lSA_lS6_lPT4_lSA_li, .Lfunc_end514-_ZL20rocblas_gemvn_kernelILi64ELi16EiPKDF16_PKfKPfEviiT3_lPKT2_lT1_lS9_lSA_lS6_lPT4_lSA_li
                                        ; -- End function
	.set _ZL20rocblas_gemvn_kernelILi64ELi16EiPKDF16_PKfKPfEviiT3_lPKT2_lT1_lS9_lSA_lS6_lPT4_lSA_li.num_vgpr, 63
	.set _ZL20rocblas_gemvn_kernelILi64ELi16EiPKDF16_PKfKPfEviiT3_lPKT2_lT1_lS9_lSA_lS6_lPT4_lSA_li.num_agpr, 0
	.set _ZL20rocblas_gemvn_kernelILi64ELi16EiPKDF16_PKfKPfEviiT3_lPKT2_lT1_lS9_lSA_lS6_lPT4_lSA_li.numbered_sgpr, 49
	.set _ZL20rocblas_gemvn_kernelILi64ELi16EiPKDF16_PKfKPfEviiT3_lPKT2_lT1_lS9_lSA_lS6_lPT4_lSA_li.num_named_barrier, 0
	.set _ZL20rocblas_gemvn_kernelILi64ELi16EiPKDF16_PKfKPfEviiT3_lPKT2_lT1_lS9_lSA_lS6_lPT4_lSA_li.private_seg_size, 0
	.set _ZL20rocblas_gemvn_kernelILi64ELi16EiPKDF16_PKfKPfEviiT3_lPKT2_lT1_lS9_lSA_lS6_lPT4_lSA_li.uses_vcc, 1
	.set _ZL20rocblas_gemvn_kernelILi64ELi16EiPKDF16_PKfKPfEviiT3_lPKT2_lT1_lS9_lSA_lS6_lPT4_lSA_li.uses_flat_scratch, 1
	.set _ZL20rocblas_gemvn_kernelILi64ELi16EiPKDF16_PKfKPfEviiT3_lPKT2_lT1_lS9_lSA_lS6_lPT4_lSA_li.has_dyn_sized_stack, 0
	.set _ZL20rocblas_gemvn_kernelILi64ELi16EiPKDF16_PKfKPfEviiT3_lPKT2_lT1_lS9_lSA_lS6_lPT4_lSA_li.has_recursion, 0
	.set _ZL20rocblas_gemvn_kernelILi64ELi16EiPKDF16_PKfKPfEviiT3_lPKT2_lT1_lS9_lSA_lS6_lPT4_lSA_li.has_indirect_call, 0
	.section	.AMDGPU.csdata,"",@progbits
; Kernel info:
; codeLenInByte = 3564
; TotalNumSgprs: 51
; NumVgprs: 63
; ScratchSize: 0
; MemoryBound: 0
; FloatMode: 240
; IeeeMode: 1
; LDSByteSize: 16384 bytes/workgroup (compile time only)
; SGPRBlocks: 0
; VGPRBlocks: 7
; NumSGPRsForWavesPerEU: 51
; NumVGPRsForWavesPerEU: 63
; Occupancy: 16
; WaveLimiterHint : 1
; COMPUTE_PGM_RSRC2:SCRATCH_EN: 0
; COMPUTE_PGM_RSRC2:USER_SGPR: 2
; COMPUTE_PGM_RSRC2:TRAP_HANDLER: 0
; COMPUTE_PGM_RSRC2:TGID_X_EN: 1
; COMPUTE_PGM_RSRC2:TGID_Y_EN: 0
; COMPUTE_PGM_RSRC2:TGID_Z_EN: 1
; COMPUTE_PGM_RSRC2:TIDIG_COMP_CNT: 1
	.section	.text._ZL20rocblas_gemvn_kernelILi64ELi16ElPKDF16_PKfKPfEviiT3_lPKT2_lT1_lS9_lSA_lS6_lPT4_lSA_li,"axG",@progbits,_ZL20rocblas_gemvn_kernelILi64ELi16ElPKDF16_PKfKPfEviiT3_lPKT2_lT1_lS9_lSA_lS6_lPT4_lSA_li,comdat
	.globl	_ZL20rocblas_gemvn_kernelILi64ELi16ElPKDF16_PKfKPfEviiT3_lPKT2_lT1_lS9_lSA_lS6_lPT4_lSA_li ; -- Begin function _ZL20rocblas_gemvn_kernelILi64ELi16ElPKDF16_PKfKPfEviiT3_lPKT2_lT1_lS9_lSA_lS6_lPT4_lSA_li
	.p2align	8
	.type	_ZL20rocblas_gemvn_kernelILi64ELi16ElPKDF16_PKfKPfEviiT3_lPKT2_lT1_lS9_lSA_lS6_lPT4_lSA_li,@function
_ZL20rocblas_gemvn_kernelILi64ELi16ElPKDF16_PKfKPfEviiT3_lPKT2_lT1_lS9_lSA_lS6_lPT4_lSA_li: ; @_ZL20rocblas_gemvn_kernelILi64ELi16ElPKDF16_PKfKPfEviiT3_lPKT2_lT1_lS9_lSA_lS6_lPT4_lSA_li
; %bb.0:
	s_clause 0x1
	s_load_b64 s[2:3], s[0:1], 0x9c
	s_load_b32 s33, s[0:1], 0x88
	s_lshr_b32 s10, ttmp7, 16
	s_wait_kmcnt 0x0
	s_lshr_b32 s4, s2, 16
	s_and_b32 s2, s2, 0xffff
	s_and_b32 s3, s3, 0xffff
	s_mul_i32 s2, s4, s2
	s_delay_alu instid0(SALU_CYCLE_1) | instskip(NEXT) | instid1(SALU_CYCLE_1)
	s_mul_i32 s2, s2, s3
	s_cmp_lg_u32 s2, 0x400
	s_cselect_b32 s2, -1, 0
	s_cmp_ge_u32 s10, s33
	s_cselect_b32 s3, -1, 0
	s_delay_alu instid0(SALU_CYCLE_1) | instskip(NEXT) | instid1(SALU_CYCLE_1)
	s_or_b32 s2, s2, s3
	s_and_b32 vcc_lo, exec_lo, s2
	s_cbranch_vccnz .LBB515_56
; %bb.1:
	s_clause 0x6
	s_load_b64 s[38:39], s[0:1], 0x78
	s_load_b64 s[8:9], s[0:1], 0x0
	s_load_b256 s[12:19], s[0:1], 0x8
	s_load_b64 s[34:35], s[0:1], 0x28
	s_load_b128 s[28:31], s[0:1], 0x38
	s_load_b64 s[36:37], s[0:1], 0x48
	s_load_b256 s[20:27], s[0:1], 0x58
	v_dual_mov_b32 v1, 0 :: v_dual_and_b32 v2, 0x3ff, v0
	s_lshl_b32 s6, ttmp9, 8
	v_bfe_u32 v26, v0, 10, 10
	s_mov_b32 s11, 0
	s_delay_alu instid0(VALU_DEP_2) | instskip(SKIP_1) | instid1(VALU_DEP_3)
	v_add_nc_u32_e32 v8, s6, v2
	v_lshlrev_b32_e32 v16, 2, v2
	v_lshlrev_b32_e32 v40, 2, v26
	v_lshl_add_u32 v5, v26, 6, v2
	s_delay_alu instid0(VALU_DEP_4)
	v_add_nc_u32_e32 v6, 0x80, v8
	v_add_nc_u32_e32 v7, 0xc0, v8
	v_lshl_add_u32 v41, v26, 8, v16
	v_or_b32_e32 v19, 3, v40
	v_add_nc_u32_e32 v0, s6, v5
	v_or_b32_e32 v17, s6, v5
	s_wait_kmcnt 0x0
	s_ashr_i32 s3, s9, 31
	v_cmp_gt_i32_e64 s2, s8, v6
	s_lshr_b32 s3, s3, 26
	v_mad_co_u64_u32 v[10:11], null, s34, v19, 0
	s_add_co_i32 s42, s9, s3
	v_cmp_gt_i32_e64 s3, s8, v7
	v_mad_co_u64_u32 v[6:7], null, s36, v26, 0
	v_mad_co_u64_u32 v[12:13], null, s36, v19, 0
	;; [unrolled: 1-line block ×3, first 2 shown]
	s_ashr_i32 s5, s8, 31
	s_mov_b32 s4, s8
	v_mad_co_u64_u32 v[14:15], null, s37, v26, v[7:8]
	s_and_not1_b32 s42, s42, 63
	v_cmp_gt_i64_e32 vcc_lo, s[4:5], v[0:1]
	s_sub_co_i32 s5, s9, s42
	v_mul_lo_u32 v18, s39, v17
	s_wait_alu 0xfffe
	s_cmp_gt_i32 s5, 0
	v_cmp_gt_u32_e64 s5, 0x100, v5
	v_mov_b32_e32 v7, v14
	v_mad_co_u64_u32 v[14:15], null, s35, v19, v[11:12]
	s_cselect_b32 s43, -1, 0
	s_ashr_i32 s7, s6, 31
	v_cmp_gt_i32_e64 s6, s8, v17
	s_wait_alu 0xfffe
	s_mul_i32 s7, s38, s7
	v_ashrrev_i32_e32 v9, 31, v8
	v_cmp_gt_i32_e64 s0, s8, v8
	v_mov_b32_e32 v11, v14
	v_mad_co_u64_u32 v[22:23], null, s36, v40, s[36:37]
	v_add_nc_u32_e32 v4, 64, v8
	v_or_b32_e32 v29, 2, v40
	v_mad_co_u64_u32 v[24:25], null, s34, v40, s[34:35]
	v_lshlrev_b64_e32 v[6:7], 3, v[6:7]
	s_delay_alu instid0(VALU_DEP_4)
	v_cmp_gt_i32_e64 s1, s8, v4
	v_mad_co_u64_u32 v[3:4], null, s39, v0, v[3:4]
	v_mad_co_u64_u32 v[4:5], null, s38, v17, 0
	v_lshl_add_u32 v0, v26, 10, v16
	v_mad_co_u64_u32 v[15:16], null, s37, v19, v[13:14]
	v_mad_co_u64_u32 v[16:17], null, s34, v26, 0
	;; [unrolled: 1-line block ×3, first 2 shown]
	s_wait_alu 0xfffe
	v_add3_u32 v5, v5, s7, v18
	v_mad_co_u64_u32 v[18:19], null, s34, v29, 0
	s_delay_alu instid0(VALU_DEP_4) | instskip(SKIP_3) | instid1(VALU_DEP_4)
	v_dual_mov_b32 v13, v15 :: v_dual_mov_b32 v14, v17
	v_mov_b32_e32 v17, v25
	v_lshlrev_b64_e32 v[8:9], 1, v[8:9]
	v_lshlrev_b64_e32 v[10:11], 1, v[10:11]
	;; [unrolled: 1-line block ×3, first 2 shown]
	v_mov_b32_e32 v15, v19
	v_cmp_gt_i32_e64 s4, s42, v40
	s_and_b32 s44, s5, vcc_lo
	s_lshl_b64 s[38:39], s[36:37], 7
	s_lshl_b64 s[40:41], s[34:35], 7
	v_mad_co_u64_u32 v[26:27], null, s35, v26, v[14:15]
	v_mov_b32_e32 v14, v21
	v_mad_co_u64_u32 v[27:28], null, s35, v29, v[15:16]
	v_mov_b32_e32 v15, v23
	s_lshl_b64 s[18:19], s[18:19], 1
	s_lshl_b64 s[30:31], s[30:31], 1
	;; [unrolled: 1-line block ×3, first 2 shown]
	s_delay_alu instid0(VALU_DEP_1)
	v_mad_co_u64_u32 v[28:29], null, s37, v29, v[14:15]
	v_mad_co_u64_u32 v[14:15], null, s37, v40, v[15:16]
	;; [unrolled: 1-line block ×3, first 2 shown]
	v_mov_b32_e32 v17, v26
	v_mov_b32_e32 v19, v27
	;; [unrolled: 1-line block ×4, first 2 shown]
	s_delay_alu instid0(VALU_DEP_4) | instskip(SKIP_4) | instid1(VALU_DEP_4)
	v_lshlrev_b64_e32 v[14:15], 3, v[16:17]
	v_mov_b32_e32 v25, v29
	v_lshlrev_b64_e32 v[16:17], 1, v[18:19]
	v_lshlrev_b64_e32 v[18:19], 1, v[20:21]
	;; [unrolled: 1-line block ×5, first 2 shown]
	s_branch .LBB515_4
.LBB515_2:                              ;   in Loop: Header=BB515_4 Depth=1
	s_wait_alu 0xfffe
	s_or_b32 exec_lo, exec_lo, s7
.LBB515_3:                              ;   in Loop: Header=BB515_4 Depth=1
	s_add_co_i32 s10, s10, 0x10000
	s_delay_alu instid0(SALU_CYCLE_1)
	s_cmp_lt_u32 s10, s33
	s_cbranch_scc0 .LBB515_56
.LBB515_4:                              ; =>This Loop Header: Depth=1
                                        ;     Child Loop BB515_24 Depth 2
	s_mul_u64 s[46:47], s[14:15], s[10:11]
	s_mul_u64 s[48:49], s[22:23], s[10:11]
	s_lshl_b64 s[46:47], s[46:47], 2
	s_lshl_b64 s[48:49], s[48:49], 2
	s_add_nc_u64 s[46:47], s[12:13], s[46:47]
	s_add_nc_u64 s[48:49], s[20:21], s[48:49]
	s_clause 0x1
	global_load_b32 v42, v1, s[46:47]
	global_load_b32 v26, v1, s[48:49]
	s_wait_loadcnt 0x1
	v_cmp_eq_f32_e64 s7, 0, v42
	s_wait_loadcnt 0x0
	v_cmp_eq_f32_e32 vcc_lo, 1.0, v26
	v_readfirstlane_b32 s45, v26
	s_and_b32 s8, s7, vcc_lo
	s_wait_alu 0xfffe
	s_and_b32 vcc_lo, exec_lo, s8
	s_wait_alu 0xfffe
	s_cbranch_vccnz .LBB515_3
; %bb.5:                                ;   in Loop: Header=BB515_4 Depth=1
	v_mov_b32_e32 v28, 0
	v_dual_mov_b32 v29, 0 :: v_dual_mov_b32 v26, 0
	v_cmp_neq_f32_e64 s8, 0, v42
	v_mov_b32_e32 v27, 0
	s_and_b32 vcc_lo, exec_lo, s7
	s_wait_alu 0xfffe
	s_cbranch_vccnz .LBB515_7
; %bb.6:                                ;   in Loop: Header=BB515_4 Depth=1
	s_lshl_b64 s[46:47], s[10:11], 3
	s_delay_alu instid0(SALU_CYCLE_1)
	s_add_nc_u64 s[46:47], s[16:17], s[46:47]
	global_load_b64 v[26:27], v1, s[46:47]
	s_wait_loadcnt 0x0
	v_add_co_u32 v26, vcc_lo, v26, s18
	s_wait_alu 0xfffd
	v_add_co_ci_u32_e64 v27, null, s19, v27, vcc_lo
.LBB515_7:                              ;   in Loop: Header=BB515_4 Depth=1
	s_and_not1_b32 vcc_lo, exec_lo, s8
	s_wait_alu 0xfffe
	s_cbranch_vccnz .LBB515_9
; %bb.8:                                ;   in Loop: Header=BB515_4 Depth=1
	s_lshl_b64 s[46:47], s[10:11], 3
	s_delay_alu instid0(SALU_CYCLE_1)
	s_add_nc_u64 s[46:47], s[28:29], s[46:47]
	global_load_b64 v[28:29], v1, s[46:47]
	s_wait_loadcnt 0x0
	v_add_co_u32 v28, vcc_lo, v28, s30
	s_wait_alu 0xfffd
	v_add_co_ci_u32_e64 v29, null, s31, v29, vcc_lo
.LBB515_9:                              ;   in Loop: Header=BB515_4 Depth=1
	s_lshl_b64 s[46:47], s[10:11], 3
	s_delay_alu instid0(SALU_CYCLE_1)
	s_add_nc_u64 s[46:47], s[24:25], s[46:47]
	global_load_b64 v[30:31], v1, s[46:47]
	s_wait_loadcnt 0x0
	v_add_co_u32 v43, vcc_lo, v30, s26
	s_wait_alu 0xfffd
	v_add_co_ci_u32_e64 v44, null, s27, v31, vcc_lo
	s_and_not1_b32 vcc_lo, exec_lo, s7
	s_wait_alu 0xfffe
	s_cbranch_vccnz .LBB515_13
; %bb.10:                               ;   in Loop: Header=BB515_4 Depth=1
	s_mov_b32 s7, 0
	s_mov_b32 s8, 0
                                        ; implicit-def: $vgpr30
	s_and_saveexec_b32 s46, s44
	s_cbranch_execz .LBB515_14
; %bb.11:                               ;   in Loop: Header=BB515_4 Depth=1
	s_cmp_eq_f32 s45, 0
	s_cbranch_scc1 .LBB515_16
; %bb.12:                               ;   in Loop: Header=BB515_4 Depth=1
	v_add_co_u32 v30, vcc_lo, v43, v24
	s_wait_alu 0xfffd
	v_add_co_ci_u32_e64 v31, null, v44, v25, vcc_lo
	flat_load_b32 v30, v[30:31]
	s_wait_loadcnt_dscnt 0x0
	v_mul_f32_e32 v30, s45, v30
	s_branch .LBB515_17
.LBB515_13:                             ;   in Loop: Header=BB515_4 Depth=1
	s_mov_b32 s8, 0
                                        ; implicit-def: $vgpr30
	s_cbranch_execz .LBB515_15
	s_branch .LBB515_18
.LBB515_14:                             ;   in Loop: Header=BB515_4 Depth=1
	s_or_b32 exec_lo, exec_lo, s46
	s_wait_alu 0xfffe
	s_and_b32 vcc_lo, exec_lo, s7
	s_wait_alu 0xfffe
	s_cbranch_vccnz .LBB515_18
.LBB515_15:                             ;   in Loop: Header=BB515_4 Depth=1
	v_dual_mov_b32 v27, v3 :: v_dual_mov_b32 v26, v2
	s_wait_alu 0xfffe
	s_and_saveexec_b32 s7, s8
	s_cbranch_execz .LBB515_2
	s_branch .LBB515_55
.LBB515_16:                             ;   in Loop: Header=BB515_4 Depth=1
	v_mov_b32_e32 v30, 0
.LBB515_17:                             ;   in Loop: Header=BB515_4 Depth=1
	s_mov_b32 s8, exec_lo
	s_or_b32 exec_lo, exec_lo, s46
	s_wait_alu 0xfffe
	s_and_b32 vcc_lo, exec_lo, s7
	s_wait_alu 0xfffe
	s_cbranch_vccz .LBB515_15
.LBB515_18:                             ;   in Loop: Header=BB515_4 Depth=1
	v_dual_mov_b32 v45, 0 :: v_dual_mov_b32 v46, 0
	v_dual_mov_b32 v49, v40 :: v_dual_mov_b32 v48, 0
	v_mov_b32_e32 v47, 0
	s_and_saveexec_b32 s46, s4
	s_cbranch_execz .LBB515_30
; %bb.19:                               ;   in Loop: Header=BB515_4 Depth=1
	v_add_co_u32 v50, vcc_lo, v26, v10
	s_wait_alu 0xfffd
	v_add_co_ci_u32_e64 v51, null, v27, v11, vcc_lo
	v_add_co_u32 v52, vcc_lo, v26, v14
	s_wait_alu 0xfffd
	v_add_co_ci_u32_e64 v53, null, v27, v15, vcc_lo
	;; [unrolled: 3-line block ×3, first 2 shown]
	v_add_co_u32 v56, vcc_lo, v26, v22
	v_dual_mov_b32 v31, v29 :: v_dual_mov_b32 v46, 0
	s_wait_alu 0xfffd
	v_add_co_ci_u32_e64 v57, null, v27, v23, vcc_lo
	v_dual_mov_b32 v45, 0 :: v_dual_mov_b32 v30, v28
	v_dual_mov_b32 v49, v40 :: v_dual_mov_b32 v48, 0
	v_mov_b32_e32 v47, 0
	s_mov_b32 s47, 0
	s_branch .LBB515_24
.LBB515_20:                             ;   in Loop: Header=BB515_24 Depth=2
	s_or_b32 exec_lo, exec_lo, s50
	s_wait_loadcnt_dscnt 0x303
	v_fma_mix_f32 v32, v70, v74, v47 op_sel_hi:[0,1,0]
	s_wait_loadcnt_dscnt 0x202
	s_delay_alu instid0(VALU_DEP_1) | instskip(SKIP_1) | instid1(VALU_DEP_1)
	v_fma_mix_f32 v32, v71, v75, v32 op_sel_hi:[0,1,0]
	s_wait_loadcnt_dscnt 0x101
	v_fma_mix_f32 v32, v72, v76, v32 op_sel_hi:[0,1,0]
	s_wait_loadcnt_dscnt 0x0
	s_delay_alu instid0(VALU_DEP_1)
	v_fma_mix_f32 v47, v73, v77, v32 op_sel_hi:[0,1,0]
.LBB515_21:                             ;   in Loop: Header=BB515_24 Depth=2
	s_or_b32 exec_lo, exec_lo, s49
	s_wait_loadcnt_dscnt 0x303
	v_fma_mix_f32 v32, v70, v66, v46 op_sel_hi:[0,1,0]
	s_wait_loadcnt_dscnt 0x202
	s_delay_alu instid0(VALU_DEP_1) | instskip(SKIP_1) | instid1(VALU_DEP_1)
	v_fma_mix_f32 v32, v71, v67, v32 op_sel_hi:[0,1,0]
	s_wait_loadcnt_dscnt 0x101
	v_fma_mix_f32 v32, v72, v68, v32 op_sel_hi:[0,1,0]
	s_wait_loadcnt_dscnt 0x0
	s_delay_alu instid0(VALU_DEP_1)
	v_fma_mix_f32 v46, v73, v69, v32 op_sel_hi:[0,1,0]
.LBB515_22:                             ;   in Loop: Header=BB515_24 Depth=2
	s_or_b32 exec_lo, exec_lo, s48
	s_wait_loadcnt_dscnt 0x303
	v_fma_mix_f32 v32, v58, v62, v45 op_sel_hi:[1,1,0]
	s_wait_loadcnt_dscnt 0x202
	s_delay_alu instid0(VALU_DEP_1) | instskip(SKIP_1) | instid1(VALU_DEP_1)
	v_fma_mix_f32 v32, v59, v63, v32 op_sel_hi:[1,1,0]
	s_wait_loadcnt_dscnt 0x101
	v_fma_mix_f32 v32, v60, v64, v32 op_sel_hi:[1,1,0]
	s_wait_loadcnt_dscnt 0x0
	s_delay_alu instid0(VALU_DEP_1)
	v_fma_mix_f32 v45, v61, v65, v32 op_sel_hi:[1,1,0]
.LBB515_23:                             ;   in Loop: Header=BB515_24 Depth=2
	s_wait_alu 0xfffe
	s_or_b32 exec_lo, exec_lo, s7
	v_add_co_u32 v30, vcc_lo, v30, s38
	s_wait_alu 0xfffd
	v_add_co_ci_u32_e64 v31, null, s39, v31, vcc_lo
	v_add_co_u32 v50, vcc_lo, v50, s40
	v_add_nc_u32_e32 v49, 64, v49
	s_wait_alu 0xfffd
	v_add_co_ci_u32_e64 v51, null, s41, v51, vcc_lo
	v_add_co_u32 v52, vcc_lo, v52, s40
	s_wait_alu 0xfffd
	v_add_co_ci_u32_e64 v53, null, s41, v53, vcc_lo
	v_add_co_u32 v54, vcc_lo, v54, s40
	s_wait_alu 0xfffd
	v_add_co_ci_u32_e64 v55, null, s41, v55, vcc_lo
	v_cmp_le_i32_e32 vcc_lo, s42, v49
	v_add_co_u32 v56, s7, v56, s40
	s_wait_alu 0xf1ff
	v_add_co_ci_u32_e64 v57, null, s41, v57, s7
	s_or_b32 s47, vcc_lo, s47
	s_delay_alu instid0(SALU_CYCLE_1)
	s_and_not1_b32 exec_lo, exec_lo, s47
	s_cbranch_execz .LBB515_29
.LBB515_24:                             ;   Parent Loop BB515_4 Depth=1
                                        ; =>  This Inner Loop Header: Depth=2
	s_and_saveexec_b32 s7, s0
	s_cbranch_execz .LBB515_23
; %bb.25:                               ;   in Loop: Header=BB515_24 Depth=2
	v_add_co_u32 v58, vcc_lo, v30, v6
	s_wait_alu 0xfffd
	v_add_co_ci_u32_e64 v59, null, v31, v7, vcc_lo
	v_add_co_u32 v60, vcc_lo, v30, v20
	s_wait_alu 0xfffd
	v_add_co_ci_u32_e64 v61, null, v31, v21, vcc_lo
	;; [unrolled: 3-line block ×8, first 2 shown]
	s_clause 0x3
	flat_load_u16 v58, v[58:59]
	flat_load_u16 v59, v[60:61]
	;; [unrolled: 1-line block ×8, first 2 shown]
	s_and_saveexec_b32 s48, s1
	s_cbranch_execz .LBB515_22
; %bb.26:                               ;   in Loop: Header=BB515_24 Depth=2
	flat_load_u16 v66, v[32:33] offset:128
	flat_load_u16 v67, v[34:35] offset:128
	;; [unrolled: 1-line block ×4, first 2 shown]
	s_wait_loadcnt_dscnt 0xb0b
	v_cvt_f32_f16_e32 v70, v58
	s_wait_loadcnt_dscnt 0xa0a
	v_cvt_f32_f16_e32 v71, v59
	;; [unrolled: 2-line block ×4, first 2 shown]
	s_and_saveexec_b32 s49, s2
	s_cbranch_execz .LBB515_21
; %bb.27:                               ;   in Loop: Header=BB515_24 Depth=2
	flat_load_u16 v74, v[32:33] offset:256
	flat_load_u16 v75, v[34:35] offset:256
	;; [unrolled: 1-line block ×4, first 2 shown]
	s_and_saveexec_b32 s50, s3
	s_cbranch_execz .LBB515_20
; %bb.28:                               ;   in Loop: Header=BB515_24 Depth=2
	flat_load_u16 v32, v[32:33] offset:384
	flat_load_u16 v33, v[34:35] offset:384
	;; [unrolled: 1-line block ×4, first 2 shown]
	s_wait_loadcnt_dscnt 0x303
	v_fma_mix_f32 v32, v70, v32, v48 op_sel_hi:[0,1,0]
	s_wait_loadcnt_dscnt 0x202
	s_delay_alu instid0(VALU_DEP_1) | instskip(SKIP_1) | instid1(VALU_DEP_1)
	v_fma_mix_f32 v32, v71, v33, v32 op_sel_hi:[0,1,0]
	s_wait_loadcnt_dscnt 0x101
	v_fma_mix_f32 v32, v72, v34, v32 op_sel_hi:[0,1,0]
	s_wait_loadcnt_dscnt 0x0
	s_delay_alu instid0(VALU_DEP_1)
	v_fma_mix_f32 v48, v73, v35, v32 op_sel_hi:[0,1,0]
	s_branch .LBB515_20
.LBB515_29:                             ;   in Loop: Header=BB515_4 Depth=1
	s_or_b32 exec_lo, exec_lo, s47
.LBB515_30:                             ;   in Loop: Header=BB515_4 Depth=1
	s_delay_alu instid0(SALU_CYCLE_1) | instskip(NEXT) | instid1(SALU_CYCLE_1)
	s_or_b32 exec_lo, exec_lo, s46
	s_and_not1_b32 vcc_lo, exec_lo, s43
	s_wait_alu 0xfffe
	s_cbranch_vccnz .LBB515_48
; %bb.31:                               ;   in Loop: Header=BB515_4 Depth=1
	v_cmp_gt_i32_e32 vcc_lo, s9, v49
	v_dual_mov_b32 v34, 0 :: v_dual_mov_b32 v35, 0
	v_or_b32_e32 v30, 1, v49
	v_dual_mov_b32 v36, 0 :: v_dual_mov_b32 v37, 0
	s_and_saveexec_b32 s46, vcc_lo
	s_cbranch_execz .LBB515_39
; %bb.32:                               ;   in Loop: Header=BB515_4 Depth=1
	v_mad_co_u64_u32 v[31:32], null, s36, v49, 0
	v_dual_mov_b32 v36, 0 :: v_dual_mov_b32 v35, 0
	v_mov_b32_e32 v34, 0
	s_mov_b32 s47, exec_lo
	s_delay_alu instid0(VALU_DEP_3) | instskip(NEXT) | instid1(VALU_DEP_1)
	v_mad_co_u64_u32 v[32:33], null, s37, v49, v[32:33]
	v_lshlrev_b64_e32 v[31:32], 1, v[31:32]
	s_delay_alu instid0(VALU_DEP_1) | instskip(SKIP_1) | instid1(VALU_DEP_2)
	v_add_co_u32 v31, s7, v28, v31
	s_wait_alu 0xf1ff
	v_add_co_ci_u32_e64 v32, null, v29, v32, s7
	flat_load_u16 v31, v[31:32]
	v_cmpx_gt_i32_e64 s9, v30
	s_cbranch_execz .LBB515_38
; %bb.33:                               ;   in Loop: Header=BB515_4 Depth=1
	v_mad_co_u64_u32 v[32:33], null, s36, v30, 0
	v_mov_b32_e32 v35, 0
	s_mov_b32 s48, exec_lo
	s_delay_alu instid0(VALU_DEP_2) | instskip(SKIP_1) | instid1(VALU_DEP_2)
	v_mad_co_u64_u32 v[33:34], null, s37, v30, v[33:34]
	v_mov_b32_e32 v34, 0
	v_lshlrev_b64_e32 v[32:33], 1, v[32:33]
	s_delay_alu instid0(VALU_DEP_1) | instskip(SKIP_1) | instid1(VALU_DEP_2)
	v_add_co_u32 v32, s7, v28, v32
	s_wait_alu 0xf1ff
	v_add_co_ci_u32_e64 v33, null, v29, v33, s7
	flat_load_u16 v32, v[32:33]
	v_or_b32_e32 v33, 2, v49
	s_delay_alu instid0(VALU_DEP_1)
	v_cmpx_gt_i32_e64 s9, v33
	s_cbranch_execz .LBB515_37
; %bb.34:                               ;   in Loop: Header=BB515_4 Depth=1
	v_mad_co_u64_u32 v[34:35], null, s36, v33, 0
	s_mov_b32 s49, exec_lo
	v_mad_co_u64_u32 v[35:36], null, s37, v33, v[35:36]
	s_delay_alu instid0(VALU_DEP_1) | instskip(SKIP_1) | instid1(VALU_DEP_2)
	v_lshlrev_b64_e32 v[33:34], 1, v[34:35]
	v_or_b32_e32 v35, 3, v49
	v_add_co_u32 v33, s7, v28, v33
	s_wait_alu 0xf1ff
	s_delay_alu instid0(VALU_DEP_3)
	v_add_co_ci_u32_e64 v34, null, v29, v34, s7
	flat_load_u16 v33, v[33:34]
	v_mov_b32_e32 v34, 0
	v_cmpx_gt_i32_e64 s9, v35
	s_cbranch_execz .LBB515_36
; %bb.35:                               ;   in Loop: Header=BB515_4 Depth=1
	v_mad_co_u64_u32 v[36:37], null, s36, v35, 0
	s_delay_alu instid0(VALU_DEP_1) | instskip(NEXT) | instid1(VALU_DEP_1)
	v_mov_b32_e32 v34, v37
	v_mad_co_u64_u32 v[34:35], null, s37, v35, v[34:35]
	s_delay_alu instid0(VALU_DEP_1) | instskip(NEXT) | instid1(VALU_DEP_1)
	v_mov_b32_e32 v37, v34
	v_lshlrev_b64_e32 v[34:35], 1, v[36:37]
	s_delay_alu instid0(VALU_DEP_1) | instskip(SKIP_1) | instid1(VALU_DEP_2)
	v_add_co_u32 v28, s7, v28, v34
	s_wait_alu 0xf1ff
	v_add_co_ci_u32_e64 v29, null, v29, v35, s7
	flat_load_u16 v28, v[28:29]
	s_wait_loadcnt_dscnt 0x0
	v_cvt_f32_f16_e32 v34, v28
.LBB515_36:                             ;   in Loop: Header=BB515_4 Depth=1
	s_or_b32 exec_lo, exec_lo, s49
	s_wait_loadcnt_dscnt 0x0
	v_cvt_f32_f16_e32 v35, v33
.LBB515_37:                             ;   in Loop: Header=BB515_4 Depth=1
	s_or_b32 exec_lo, exec_lo, s48
	s_wait_loadcnt_dscnt 0x0
	v_cvt_f32_f16_e32 v36, v32
.LBB515_38:                             ;   in Loop: Header=BB515_4 Depth=1
	s_or_b32 exec_lo, exec_lo, s47
	s_wait_loadcnt_dscnt 0x0
	v_cvt_f32_f16_e32 v37, v31
.LBB515_39:                             ;   in Loop: Header=BB515_4 Depth=1
	s_or_b32 exec_lo, exec_lo, s46
	s_and_saveexec_b32 s46, s0
	s_cbranch_execz .LBB515_47
; %bb.40:                               ;   in Loop: Header=BB515_4 Depth=1
	v_mad_co_u64_u32 v[28:29], null, s34, v49, 0
	v_or_b32_e32 v52, 2, v49
	v_mad_co_u64_u32 v[31:32], null, s34, v30, 0
	v_or_b32_e32 v53, 3, v49
	v_cmp_gt_i32_e64 s7, s9, v30
	s_delay_alu instid0(VALU_DEP_4) | instskip(SKIP_3) | instid1(VALU_DEP_4)
	v_mad_co_u64_u32 v[38:39], null, s34, v52, 0
	v_mad_co_u64_u32 v[49:50], null, s35, v49, v[29:30]
	;; [unrolled: 1-line block ×4, first 2 shown]
	v_mov_b32_e32 v30, v39
	s_delay_alu instid0(VALU_DEP_4)
	v_dual_cndmask_b32 v50, 0, v28 :: v_dual_cndmask_b32 v51, 0, v49
	s_wait_alu 0xf1ff
	v_cndmask_b32_e64 v28, 0, v31, s7
	v_cndmask_b32_e64 v29, 0, v29, s7
	v_mad_co_u64_u32 v[30:31], null, s35, v52, v[30:31]
	v_mov_b32_e32 v31, v33
	v_lshlrev_b64_e32 v[49:50], 1, v[50:51]
	v_cmp_gt_i32_e32 vcc_lo, s9, v52
	v_lshlrev_b64_e32 v[51:52], 1, v[28:29]
	s_wait_alu 0xfffd
	v_cndmask_b32_e32 v39, 0, v30, vcc_lo
	s_delay_alu instid0(VALU_DEP_4)
	v_add_co_u32 v28, s7, v26, v49
	s_wait_alu 0xf1ff
	v_add_co_ci_u32_e64 v29, null, v27, v50, s7
	v_mad_co_u64_u32 v[30:31], null, s35, v53, v[31:32]
	v_cndmask_b32_e32 v38, 0, v38, vcc_lo
	v_add_co_u32 v28, vcc_lo, v28, v8
	s_wait_alu 0xfffd
	v_add_co_ci_u32_e64 v29, null, v29, v9, vcc_lo
	v_cmp_gt_i32_e32 vcc_lo, s9, v53
	v_add_co_u32 v31, s7, v26, v51
	s_wait_alu 0xf1ff
	v_add_co_ci_u32_e64 v49, null, v27, v52, s7
	s_wait_alu 0xfffd
	v_dual_cndmask_b32 v32, 0, v32 :: v_dual_cndmask_b32 v33, 0, v30
	v_lshlrev_b64_e32 v[38:39], 1, v[38:39]
	v_add_co_u32 v30, vcc_lo, v31, v8
	s_wait_alu 0xfffd
	v_add_co_ci_u32_e64 v31, null, v49, v9, vcc_lo
	v_lshlrev_b64_e32 v[32:33], 1, v[32:33]
	s_delay_alu instid0(VALU_DEP_4) | instskip(SKIP_2) | instid1(VALU_DEP_3)
	v_add_co_u32 v38, vcc_lo, v26, v38
	s_wait_alu 0xfffd
	v_add_co_ci_u32_e64 v39, null, v27, v39, vcc_lo
	v_add_co_u32 v32, vcc_lo, v26, v32
	s_wait_alu 0xfffd
	v_add_co_ci_u32_e64 v33, null, v27, v33, vcc_lo
	;; [unrolled: 3-line block ×4, first 2 shown]
	s_clause 0x3
	flat_load_u16 v38, v[28:29]
	flat_load_u16 v39, v[30:31]
	;; [unrolled: 1-line block ×4, first 2 shown]
	s_and_saveexec_b32 s7, s1
	s_cbranch_execz .LBB515_46
; %bb.41:                               ;   in Loop: Header=BB515_4 Depth=1
	s_clause 0x3
	flat_load_u16 v51, v[28:29] offset:128
	flat_load_u16 v52, v[30:31] offset:128
	flat_load_u16 v53, v[26:27] offset:128
	flat_load_u16 v54, v[32:33] offset:128
	s_and_saveexec_b32 s47, s2
	s_cbranch_execz .LBB515_45
; %bb.42:                               ;   in Loop: Header=BB515_4 Depth=1
	s_clause 0x3
	flat_load_u16 v55, v[28:29] offset:256
	flat_load_u16 v56, v[30:31] offset:256
	flat_load_u16 v57, v[26:27] offset:256
	flat_load_u16 v58, v[32:33] offset:256
	;; [unrolled: 8-line block ×3, first 2 shown]
	s_wait_loadcnt_dscnt 0x303
	v_fma_mix_f32 v28, v37, v28, v48 op_sel_hi:[0,1,0]
	s_wait_loadcnt_dscnt 0x202
	s_delay_alu instid0(VALU_DEP_1) | instskip(SKIP_1) | instid1(VALU_DEP_1)
	v_fma_mix_f32 v28, v36, v29, v28 op_sel_hi:[0,1,0]
	s_wait_loadcnt_dscnt 0x101
	v_fma_mix_f32 v26, v35, v26, v28 op_sel_hi:[0,1,0]
	s_wait_loadcnt_dscnt 0x0
	s_delay_alu instid0(VALU_DEP_1)
	v_fma_mix_f32 v48, v34, v27, v26 op_sel_hi:[0,1,0]
.LBB515_44:                             ;   in Loop: Header=BB515_4 Depth=1
	s_or_b32 exec_lo, exec_lo, s48
	s_wait_loadcnt_dscnt 0x303
	v_fma_mix_f32 v26, v37, v55, v47 op_sel_hi:[0,1,0]
	s_wait_loadcnt_dscnt 0x202
	s_delay_alu instid0(VALU_DEP_1) | instskip(SKIP_1) | instid1(VALU_DEP_1)
	v_fma_mix_f32 v26, v36, v56, v26 op_sel_hi:[0,1,0]
	s_wait_loadcnt_dscnt 0x101
	v_fma_mix_f32 v26, v35, v57, v26 op_sel_hi:[0,1,0]
	s_wait_loadcnt_dscnt 0x0
	s_delay_alu instid0(VALU_DEP_1)
	v_fma_mix_f32 v47, v34, v58, v26 op_sel_hi:[0,1,0]
.LBB515_45:                             ;   in Loop: Header=BB515_4 Depth=1
	s_or_b32 exec_lo, exec_lo, s47
	s_wait_loadcnt_dscnt 0x303
	v_fma_mix_f32 v26, v37, v51, v46 op_sel_hi:[0,1,0]
	s_wait_loadcnt_dscnt 0x202
	s_delay_alu instid0(VALU_DEP_1) | instskip(SKIP_1) | instid1(VALU_DEP_1)
	v_fma_mix_f32 v26, v36, v52, v26 op_sel_hi:[0,1,0]
	s_wait_loadcnt_dscnt 0x101
	v_fma_mix_f32 v26, v35, v53, v26 op_sel_hi:[0,1,0]
	s_wait_loadcnt_dscnt 0x0
	s_delay_alu instid0(VALU_DEP_1)
	v_fma_mix_f32 v46, v34, v54, v26 op_sel_hi:[0,1,0]
.LBB515_46:                             ;   in Loop: Header=BB515_4 Depth=1
	s_wait_alu 0xfffe
	s_or_b32 exec_lo, exec_lo, s7
	s_wait_loadcnt_dscnt 0x303
	v_fma_mix_f32 v26, v37, v38, v45 op_sel_hi:[0,1,0]
	s_wait_loadcnt_dscnt 0x202
	s_delay_alu instid0(VALU_DEP_1) | instskip(SKIP_1) | instid1(VALU_DEP_1)
	v_fma_mix_f32 v26, v36, v39, v26 op_sel_hi:[0,1,0]
	s_wait_loadcnt_dscnt 0x101
	v_fma_mix_f32 v26, v35, v49, v26 op_sel_hi:[0,1,0]
	s_wait_loadcnt_dscnt 0x0
	s_delay_alu instid0(VALU_DEP_1)
	v_fma_mix_f32 v45, v34, v50, v26 op_sel_hi:[0,1,0]
.LBB515_47:                             ;   in Loop: Header=BB515_4 Depth=1
	s_or_b32 exec_lo, exec_lo, s46
.LBB515_48:                             ;   in Loop: Header=BB515_4 Depth=1
	ds_store_2addr_stride64_b32 v0, v45, v46 offset1:1
	ds_store_2addr_stride64_b32 v0, v47, v48 offset0:2 offset1:3
	s_wait_dscnt 0x0
	s_barrier_signal -1
	s_barrier_wait -1
	global_inv scope:SCOPE_SE
                                        ; implicit-def: $vgpr30
	s_and_saveexec_b32 s7, s5
	s_cbranch_execz .LBB515_54
; %bb.49:                               ;   in Loop: Header=BB515_4 Depth=1
	ds_load_2addr_stride64_b32 v[26:27], v41 offset1:4
	ds_load_2addr_stride64_b32 v[28:29], v41 offset0:8 offset1:12
	ds_load_2addr_stride64_b32 v[30:31], v41 offset0:16 offset1:20
	s_mov_b32 s47, s8
	s_wait_dscnt 0x2
	v_add_f32_e32 v32, v26, v27
	ds_load_2addr_stride64_b32 v[26:27], v41 offset0:24 offset1:28
	s_wait_dscnt 0x2
	v_add_f32_e32 v28, v28, v32
	s_delay_alu instid0(VALU_DEP_1) | instskip(SKIP_3) | instid1(VALU_DEP_1)
	v_add_f32_e32 v32, v29, v28
	ds_load_2addr_stride64_b32 v[28:29], v41 offset0:32 offset1:36
	s_wait_dscnt 0x2
	v_add_f32_e32 v30, v30, v32
	v_add_f32_e32 v32, v31, v30
	ds_load_2addr_stride64_b32 v[30:31], v41 offset0:40 offset1:44
	s_wait_dscnt 0x2
	v_add_f32_e32 v26, v26, v32
	s_delay_alu instid0(VALU_DEP_1) | instskip(SKIP_1) | instid1(VALU_DEP_1)
	v_add_f32_e32 v26, v27, v26
	s_wait_dscnt 0x1
	v_add_f32_e32 v28, v28, v26
	ds_load_2addr_stride64_b32 v[26:27], v41 offset0:48 offset1:52
	v_add_f32_e32 v28, v29, v28
	s_wait_dscnt 0x1
	s_delay_alu instid0(VALU_DEP_1) | instskip(SKIP_3) | instid1(VALU_DEP_1)
	v_add_f32_e32 v30, v30, v28
	ds_load_2addr_stride64_b32 v[28:29], v41 offset0:56 offset1:60
	v_add_f32_e32 v30, v31, v30
	s_wait_dscnt 0x1
	v_add_f32_e32 v26, v26, v30
                                        ; implicit-def: $vgpr30
	s_delay_alu instid0(VALU_DEP_1) | instskip(SKIP_1) | instid1(VALU_DEP_1)
	v_add_f32_e32 v26, v27, v26
	s_wait_dscnt 0x0
	v_add_f32_e32 v26, v28, v26
	s_delay_alu instid0(VALU_DEP_1)
	v_add_f32_e32 v26, v29, v26
	ds_store_b32 v41, v26
	s_and_saveexec_b32 s46, s6
	s_cbranch_execz .LBB515_53
; %bb.50:                               ;   in Loop: Header=BB515_4 Depth=1
	v_mul_f32_e32 v30, v42, v26
	s_cmp_eq_f32 s45, 0
	s_cbranch_scc1 .LBB515_52
; %bb.51:                               ;   in Loop: Header=BB515_4 Depth=1
	v_lshlrev_b64_e32 v[26:27], 2, v[4:5]
	s_delay_alu instid0(VALU_DEP_1) | instskip(SKIP_1) | instid1(VALU_DEP_2)
	v_add_co_u32 v26, vcc_lo, v43, v26
	s_wait_alu 0xfffd
	v_add_co_ci_u32_e64 v27, null, v44, v27, vcc_lo
	flat_load_b32 v26, v[26:27]
	s_wait_loadcnt_dscnt 0x0
	v_fmac_f32_e32 v30, s45, v26
.LBB515_52:                             ;   in Loop: Header=BB515_4 Depth=1
	s_or_b32 s47, s8, exec_lo
.LBB515_53:                             ;   in Loop: Header=BB515_4 Depth=1
	s_or_b32 exec_lo, exec_lo, s46
	s_delay_alu instid0(SALU_CYCLE_1)
	s_and_not1_b32 s8, s8, exec_lo
	s_and_b32 s45, s47, exec_lo
	s_wait_alu 0xfffe
	s_or_b32 s8, s8, s45
.LBB515_54:                             ;   in Loop: Header=BB515_4 Depth=1
	s_wait_alu 0xfffe
	s_or_b32 exec_lo, exec_lo, s7
	v_dual_mov_b32 v27, v5 :: v_dual_mov_b32 v26, v4
	s_and_saveexec_b32 s7, s8
	s_cbranch_execz .LBB515_2
.LBB515_55:                             ;   in Loop: Header=BB515_4 Depth=1
	s_delay_alu instid0(VALU_DEP_1) | instskip(NEXT) | instid1(VALU_DEP_1)
	v_lshlrev_b64_e32 v[26:27], 2, v[26:27]
	v_add_co_u32 v26, vcc_lo, v43, v26
	s_wait_alu 0xfffd
	s_delay_alu instid0(VALU_DEP_2)
	v_add_co_ci_u32_e64 v27, null, v44, v27, vcc_lo
	flat_store_b32 v[26:27], v30
	s_branch .LBB515_2
.LBB515_56:
	s_endpgm
	.section	.rodata,"a",@progbits
	.p2align	6, 0x0
	.amdhsa_kernel _ZL20rocblas_gemvn_kernelILi64ELi16ElPKDF16_PKfKPfEviiT3_lPKT2_lT1_lS9_lSA_lS6_lPT4_lSA_li
		.amdhsa_group_segment_fixed_size 16384
		.amdhsa_private_segment_fixed_size 0
		.amdhsa_kernarg_size 400
		.amdhsa_user_sgpr_count 2
		.amdhsa_user_sgpr_dispatch_ptr 0
		.amdhsa_user_sgpr_queue_ptr 0
		.amdhsa_user_sgpr_kernarg_segment_ptr 1
		.amdhsa_user_sgpr_dispatch_id 0
		.amdhsa_user_sgpr_private_segment_size 0
		.amdhsa_wavefront_size32 1
		.amdhsa_uses_dynamic_stack 0
		.amdhsa_enable_private_segment 0
		.amdhsa_system_sgpr_workgroup_id_x 1
		.amdhsa_system_sgpr_workgroup_id_y 0
		.amdhsa_system_sgpr_workgroup_id_z 1
		.amdhsa_system_sgpr_workgroup_info 0
		.amdhsa_system_vgpr_workitem_id 1
		.amdhsa_next_free_vgpr 78
		.amdhsa_next_free_sgpr 51
		.amdhsa_reserve_vcc 1
		.amdhsa_float_round_mode_32 0
		.amdhsa_float_round_mode_16_64 0
		.amdhsa_float_denorm_mode_32 3
		.amdhsa_float_denorm_mode_16_64 3
		.amdhsa_fp16_overflow 0
		.amdhsa_workgroup_processor_mode 1
		.amdhsa_memory_ordered 1
		.amdhsa_forward_progress 1
		.amdhsa_inst_pref_size 30
		.amdhsa_round_robin_scheduling 0
		.amdhsa_exception_fp_ieee_invalid_op 0
		.amdhsa_exception_fp_denorm_src 0
		.amdhsa_exception_fp_ieee_div_zero 0
		.amdhsa_exception_fp_ieee_overflow 0
		.amdhsa_exception_fp_ieee_underflow 0
		.amdhsa_exception_fp_ieee_inexact 0
		.amdhsa_exception_int_div_zero 0
	.end_amdhsa_kernel
	.section	.text._ZL20rocblas_gemvn_kernelILi64ELi16ElPKDF16_PKfKPfEviiT3_lPKT2_lT1_lS9_lSA_lS6_lPT4_lSA_li,"axG",@progbits,_ZL20rocblas_gemvn_kernelILi64ELi16ElPKDF16_PKfKPfEviiT3_lPKT2_lT1_lS9_lSA_lS6_lPT4_lSA_li,comdat
.Lfunc_end515:
	.size	_ZL20rocblas_gemvn_kernelILi64ELi16ElPKDF16_PKfKPfEviiT3_lPKT2_lT1_lS9_lSA_lS6_lPT4_lSA_li, .Lfunc_end515-_ZL20rocblas_gemvn_kernelILi64ELi16ElPKDF16_PKfKPfEviiT3_lPKT2_lT1_lS9_lSA_lS6_lPT4_lSA_li
                                        ; -- End function
	.set _ZL20rocblas_gemvn_kernelILi64ELi16ElPKDF16_PKfKPfEviiT3_lPKT2_lT1_lS9_lSA_lS6_lPT4_lSA_li.num_vgpr, 78
	.set _ZL20rocblas_gemvn_kernelILi64ELi16ElPKDF16_PKfKPfEviiT3_lPKT2_lT1_lS9_lSA_lS6_lPT4_lSA_li.num_agpr, 0
	.set _ZL20rocblas_gemvn_kernelILi64ELi16ElPKDF16_PKfKPfEviiT3_lPKT2_lT1_lS9_lSA_lS6_lPT4_lSA_li.numbered_sgpr, 51
	.set _ZL20rocblas_gemvn_kernelILi64ELi16ElPKDF16_PKfKPfEviiT3_lPKT2_lT1_lS9_lSA_lS6_lPT4_lSA_li.num_named_barrier, 0
	.set _ZL20rocblas_gemvn_kernelILi64ELi16ElPKDF16_PKfKPfEviiT3_lPKT2_lT1_lS9_lSA_lS6_lPT4_lSA_li.private_seg_size, 0
	.set _ZL20rocblas_gemvn_kernelILi64ELi16ElPKDF16_PKfKPfEviiT3_lPKT2_lT1_lS9_lSA_lS6_lPT4_lSA_li.uses_vcc, 1
	.set _ZL20rocblas_gemvn_kernelILi64ELi16ElPKDF16_PKfKPfEviiT3_lPKT2_lT1_lS9_lSA_lS6_lPT4_lSA_li.uses_flat_scratch, 1
	.set _ZL20rocblas_gemvn_kernelILi64ELi16ElPKDF16_PKfKPfEviiT3_lPKT2_lT1_lS9_lSA_lS6_lPT4_lSA_li.has_dyn_sized_stack, 0
	.set _ZL20rocblas_gemvn_kernelILi64ELi16ElPKDF16_PKfKPfEviiT3_lPKT2_lT1_lS9_lSA_lS6_lPT4_lSA_li.has_recursion, 0
	.set _ZL20rocblas_gemvn_kernelILi64ELi16ElPKDF16_PKfKPfEviiT3_lPKT2_lT1_lS9_lSA_lS6_lPT4_lSA_li.has_indirect_call, 0
	.section	.AMDGPU.csdata,"",@progbits
; Kernel info:
; codeLenInByte = 3832
; TotalNumSgprs: 53
; NumVgprs: 78
; ScratchSize: 0
; MemoryBound: 0
; FloatMode: 240
; IeeeMode: 1
; LDSByteSize: 16384 bytes/workgroup (compile time only)
; SGPRBlocks: 0
; VGPRBlocks: 9
; NumSGPRsForWavesPerEU: 53
; NumVGPRsForWavesPerEU: 78
; Occupancy: 16
; WaveLimiterHint : 1
; COMPUTE_PGM_RSRC2:SCRATCH_EN: 0
; COMPUTE_PGM_RSRC2:USER_SGPR: 2
; COMPUTE_PGM_RSRC2:TRAP_HANDLER: 0
; COMPUTE_PGM_RSRC2:TGID_X_EN: 1
; COMPUTE_PGM_RSRC2:TGID_Y_EN: 0
; COMPUTE_PGM_RSRC2:TGID_Z_EN: 1
; COMPUTE_PGM_RSRC2:TIDIG_COMP_CNT: 1
	.section	.text._ZL20rocblas_gemvn_kernelILi64ELi16EiPKDF16_fKPfEviiT3_lPKT2_lT1_lS7_lS8_lS4_lPT4_lS8_li,"axG",@progbits,_ZL20rocblas_gemvn_kernelILi64ELi16EiPKDF16_fKPfEviiT3_lPKT2_lT1_lS7_lS8_lS4_lPT4_lS8_li,comdat
	.globl	_ZL20rocblas_gemvn_kernelILi64ELi16EiPKDF16_fKPfEviiT3_lPKT2_lT1_lS7_lS8_lS4_lPT4_lS8_li ; -- Begin function _ZL20rocblas_gemvn_kernelILi64ELi16EiPKDF16_fKPfEviiT3_lPKT2_lT1_lS7_lS8_lS4_lPT4_lS8_li
	.p2align	8
	.type	_ZL20rocblas_gemvn_kernelILi64ELi16EiPKDF16_fKPfEviiT3_lPKT2_lT1_lS7_lS8_lS4_lPT4_lS8_li,@function
_ZL20rocblas_gemvn_kernelILi64ELi16EiPKDF16_fKPfEviiT3_lPKT2_lT1_lS7_lS8_lS4_lPT4_lS8_li: ; @_ZL20rocblas_gemvn_kernelILi64ELi16EiPKDF16_fKPfEviiT3_lPKT2_lT1_lS7_lS8_lS4_lPT4_lS8_li
; %bb.0:
	s_clause 0x1
	s_load_b64 s[2:3], s[0:1], 0x9c
	s_load_b32 s23, s[0:1], 0x88
	s_lshr_b32 s24, ttmp7, 16
	s_wait_kmcnt 0x0
	s_lshr_b32 s4, s2, 16
	s_and_b32 s2, s2, 0xffff
	s_and_b32 s3, s3, 0xffff
	s_mul_i32 s2, s4, s2
	s_delay_alu instid0(SALU_CYCLE_1) | instskip(NEXT) | instid1(SALU_CYCLE_1)
	s_mul_i32 s2, s2, s3
	s_cmp_lg_u32 s2, 0x400
	s_cselect_b32 s2, -1, 0
	s_cmp_ge_u32 s24, s23
	s_cselect_b32 s3, -1, 0
	s_delay_alu instid0(SALU_CYCLE_1) | instskip(NEXT) | instid1(SALU_CYCLE_1)
	s_or_b32 s2, s2, s3
	s_and_b32 vcc_lo, exec_lo, s2
	s_cbranch_vccnz .LBB516_59
; %bb.1:
	s_clause 0x7
	s_load_b32 s4, s[0:1], 0x78
	s_load_b96 s[20:22], s[0:1], 0x0
	s_load_b32 s27, s[0:1], 0x58
	s_load_b32 s28, s[0:1], 0x28
	s_load_b128 s[8:11], s[0:1], 0x38
	s_load_b32 s26, s[0:1], 0x48
	s_load_b128 s[12:15], s[0:1], 0x68
	s_load_b128 s[16:19], s[0:1], 0x18
	v_and_b32_e32 v9, 0x3ff, v0
	v_bfe_u32 v8, v0, 10, 10
	v_mov_b32_e32 v1, 0
	s_mov_b32 s25, 0
	s_delay_alu instid0(VALU_DEP_3) | instskip(NEXT) | instid1(VALU_DEP_3)
	v_lshlrev_b32_e32 v0, 2, v9
	v_lshl_add_u32 v2, v8, 6, v9
	v_lshlrev_b32_e32 v23, 2, v8
	s_delay_alu instid0(VALU_DEP_3)
	v_lshl_add_u32 v24, v8, 10, v0
	v_lshl_add_u32 v25, v8, 8, v0
	s_wait_kmcnt 0x0
	s_ashr_i32 s5, s4, 31
	s_cmp_eq_f32 s22, 0
	s_mov_b32 s2, s20
	v_cmp_gt_u32_e64 s0, 0x100, v2
	v_mul_lo_u32 v10, s28, v23
	s_cselect_b32 s29, -1, 0
	s_cmp_neq_f32 s27, 1.0
	v_or_b32_e32 v12, 3, v23
	v_mul_lo_u32 v13, v8, s26
	s_cselect_b32 s1, -1, 0
	s_cmp_neq_f32 s22, 0
	s_delay_alu instid0(VALU_DEP_2)
	v_mul_lo_u32 v30, s26, v12
	s_cselect_b32 s6, -1, 0
	s_lshl_b32 s30, ttmp9, 8
	s_ashr_i32 s3, s20, 31
	v_add_nc_u32_e32 v0, s30, v2
	v_or_b32_e32 v4, s30, v2
	v_add_nc_u32_e32 v27, s30, v9
	s_or_b32 s31, s6, s1
	s_cmp_neq_f32 s27, 0
	v_cmp_gt_i64_e32 vcc_lo, s[2:3], v[0:1]
	v_mad_co_u64_u32 v[2:3], null, s4, v0, 0
	v_cmp_gt_i32_e64 s2, s20, v4
	v_mul_lo_u32 v4, s4, v4
	v_add_nc_u32_e32 v6, 0x80, v27
	v_add_nc_u32_e32 v11, 0xc0, v27
	s_cselect_b32 s33, -1, 0
	s_ashr_i32 s3, s21, 31
	v_add_nc_u32_e32 v5, 64, v27
	v_cmp_gt_i32_e64 s4, s20, v6
	s_wait_alu 0xfffe
	s_lshr_b32 s3, s3, 26
	v_mad_co_u64_u32 v[6:7], null, s5, v0, v[3:4]
	v_cmp_gt_i32_e64 s5, s20, v11
	v_mul_lo_u32 v11, v8, s28
	v_add3_u32 v0, v10, s28, v9
	v_or_b32_e32 v10, 2, v23
	s_wait_alu 0xfffe
	s_add_co_i32 s34, s21, s3
	v_cndmask_b32_e64 v26, 0, 1, s6
	v_mov_b32_e32 v3, v6
	s_and_not1_b32 s34, s34, 63
	v_mad_co_u64_u32 v[6:7], null, s28, v10, v[9:10]
	v_mad_co_u64_u32 v[7:8], null, s28, v12, v[9:10]
	v_lshl_add_u32 v28, v11, 2, v9
	v_mad_co_u64_u32 v[8:9], null, s26, v23, s[26:27]
	v_mul_lo_u32 v29, s26, v10
	s_sub_co_i32 s7, s21, s34
	v_lshlrev_b64_e32 v[9:10], 2, v[2:3]
	v_cmp_gt_i32_e64 s1, s20, v27
	v_cmp_gt_i32_e64 s3, s20, v5
	;; [unrolled: 1-line block ×3, first 2 shown]
	v_ashrrev_i32_e32 v5, 31, v4
	v_lshlrev_b32_e32 v31, 2, v13
	s_wait_alu 0xfffe
	s_cmp_gt_i32 s7, 0
	s_cselect_b32 s20, -1, 0
	s_and_b32 s35, s0, vcc_lo
	s_lshl_b32 s36, s28, 6
	s_lshl_b32 s37, s26, 6
	s_lshl_b64 s[18:19], s[18:19], 1
	s_lshl_b64 s[10:11], s[10:11], 1
	;; [unrolled: 1-line block ×3, first 2 shown]
	s_branch .LBB516_4
.LBB516_2:                              ;   in Loop: Header=BB516_4 Depth=1
	s_wait_alu 0xfffe
	s_or_b32 exec_lo, exec_lo, s7
.LBB516_3:                              ;   in Loop: Header=BB516_4 Depth=1
	s_add_co_i32 s24, s24, 0x10000
	s_delay_alu instid0(SALU_CYCLE_1)
	s_cmp_lt_u32 s24, s23
	s_cbranch_scc0 .LBB516_59
.LBB516_4:                              ; =>This Loop Header: Depth=1
                                        ;     Child Loop BB516_27 Depth 2
	s_and_not1_b32 vcc_lo, exec_lo, s31
	s_wait_alu 0xfffe
	s_cbranch_vccnz .LBB516_3
; %bb.5:                                ;   in Loop: Header=BB516_4 Depth=1
	s_and_not1_b32 vcc_lo, exec_lo, s29
	s_wait_alu 0xfffe
	s_cbranch_vccnz .LBB516_7
; %bb.6:                                ;   in Loop: Header=BB516_4 Depth=1
	s_mov_b32 s7, 0
	s_branch .LBB516_8
.LBB516_7:                              ;   in Loop: Header=BB516_4 Depth=1
	s_mov_b32 s7, -1
.LBB516_8:                              ;   in Loop: Header=BB516_4 Depth=1
	v_mov_b32_e32 v13, 0
	v_dual_mov_b32 v14, 0 :: v_dual_mov_b32 v11, 0
	v_mov_b32_e32 v12, 0
	s_wait_alu 0xfffe
	s_and_not1_b32 vcc_lo, exec_lo, s7
	s_wait_alu 0xfffe
	s_cbranch_vccnz .LBB516_10
; %bb.9:                                ;   in Loop: Header=BB516_4 Depth=1
	s_lshl_b64 s[38:39], s[24:25], 3
	s_delay_alu instid0(SALU_CYCLE_1)
	s_add_nc_u64 s[38:39], s[16:17], s[38:39]
	global_load_b64 v[11:12], v1, s[38:39]
	s_wait_loadcnt 0x0
	v_add_co_u32 v11, vcc_lo, v11, s18
	s_wait_alu 0xfffd
	v_add_co_ci_u32_e64 v12, null, s19, v12, vcc_lo
.LBB516_10:                             ;   in Loop: Header=BB516_4 Depth=1
	v_cmp_ne_u32_e32 vcc_lo, 1, v26
	s_cbranch_vccnz .LBB516_12
; %bb.11:                               ;   in Loop: Header=BB516_4 Depth=1
	s_lshl_b64 s[38:39], s[24:25], 3
	s_delay_alu instid0(SALU_CYCLE_1)
	s_add_nc_u64 s[38:39], s[8:9], s[38:39]
	global_load_b64 v[13:14], v1, s[38:39]
	s_wait_loadcnt 0x0
	v_add_co_u32 v13, vcc_lo, v13, s10
	s_wait_alu 0xfffd
	v_add_co_ci_u32_e64 v14, null, s11, v14, vcc_lo
.LBB516_12:                             ;   in Loop: Header=BB516_4 Depth=1
	s_lshl_b64 s[38:39], s[24:25], 3
	s_delay_alu instid0(SALU_CYCLE_1)
	s_add_nc_u64 s[38:39], s[12:13], s[38:39]
	global_load_b64 v[15:16], v1, s[38:39]
	s_wait_loadcnt 0x0
	v_add_co_u32 v32, vcc_lo, v15, s14
	s_wait_alu 0xfffd
	v_add_co_ci_u32_e64 v33, null, s15, v16, vcc_lo
	s_and_not1_b32 vcc_lo, exec_lo, s29
	s_wait_alu 0xfffe
	s_cbranch_vccnz .LBB516_16
; %bb.13:                               ;   in Loop: Header=BB516_4 Depth=1
	s_mov_b32 s7, 0
	s_mov_b32 s38, 0
                                        ; implicit-def: $vgpr15
	s_and_saveexec_b32 s39, s35
	s_cbranch_execz .LBB516_17
; %bb.14:                               ;   in Loop: Header=BB516_4 Depth=1
	s_and_not1_b32 vcc_lo, exec_lo, s33
	s_wait_alu 0xfffe
	s_cbranch_vccnz .LBB516_19
; %bb.15:                               ;   in Loop: Header=BB516_4 Depth=1
	v_add_co_u32 v15, vcc_lo, v32, v9
	s_wait_alu 0xfffd
	v_add_co_ci_u32_e64 v16, null, v33, v10, vcc_lo
	flat_load_b32 v15, v[15:16]
	s_wait_loadcnt_dscnt 0x0
	v_mul_f32_e32 v15, s27, v15
	s_branch .LBB516_20
.LBB516_16:                             ;   in Loop: Header=BB516_4 Depth=1
	s_mov_b32 s38, 0
                                        ; implicit-def: $vgpr15
	s_cbranch_execz .LBB516_18
	s_branch .LBB516_21
.LBB516_17:                             ;   in Loop: Header=BB516_4 Depth=1
	s_or_b32 exec_lo, exec_lo, s39
	s_wait_alu 0xfffe
	s_and_b32 vcc_lo, exec_lo, s7
	s_wait_alu 0xfffe
	s_cbranch_vccnz .LBB516_21
.LBB516_18:                             ;   in Loop: Header=BB516_4 Depth=1
	v_dual_mov_b32 v12, v3 :: v_dual_mov_b32 v11, v2
	s_and_saveexec_b32 s7, s38
	s_cbranch_execz .LBB516_2
	s_branch .LBB516_58
.LBB516_19:                             ;   in Loop: Header=BB516_4 Depth=1
	v_mov_b32_e32 v15, 0
.LBB516_20:                             ;   in Loop: Header=BB516_4 Depth=1
	s_mov_b32 s38, exec_lo
	s_or_b32 exec_lo, exec_lo, s39
	s_delay_alu instid0(SALU_CYCLE_1)
	s_and_b32 vcc_lo, exec_lo, s7
	s_wait_alu 0xfffe
	s_cbranch_vccz .LBB516_18
.LBB516_21:                             ;   in Loop: Header=BB516_4 Depth=1
	v_dual_mov_b32 v34, 0 :: v_dual_mov_b32 v35, 0
	v_dual_mov_b32 v38, v23 :: v_dual_mov_b32 v37, 0
	v_mov_b32_e32 v36, 0
	s_and_saveexec_b32 s7, s6
	s_cbranch_execz .LBB516_33
; %bb.22:                               ;   in Loop: Header=BB516_4 Depth=1
	v_dual_mov_b32 v34, 0 :: v_dual_mov_b32 v39, v28
	v_dual_mov_b32 v40, v7 :: v_dual_mov_b32 v41, v6
	;; [unrolled: 1-line block ×4, first 2 shown]
	v_mov_b32_e32 v36, 0
	s_mov_b32 s39, 0
	s_mov_b32 s40, 0
	s_branch .LBB516_27
.LBB516_23:                             ;   in Loop: Header=BB516_27 Depth=2
	s_or_b32 exec_lo, exec_lo, s44
	s_wait_loadcnt_dscnt 0x303
	v_fma_mix_f32 v15, v55, v59, v36 op_sel_hi:[0,1,0]
	s_wait_loadcnt_dscnt 0x202
	s_delay_alu instid0(VALU_DEP_1) | instskip(SKIP_1) | instid1(VALU_DEP_1)
	v_fma_mix_f32 v15, v56, v60, v15 op_sel_hi:[0,1,0]
	s_wait_loadcnt_dscnt 0x101
	v_fma_mix_f32 v15, v57, v61, v15 op_sel_hi:[0,1,0]
	s_wait_loadcnt_dscnt 0x0
	s_delay_alu instid0(VALU_DEP_1)
	v_fma_mix_f32 v36, v58, v62, v15 op_sel_hi:[0,1,0]
.LBB516_24:                             ;   in Loop: Header=BB516_27 Depth=2
	s_or_b32 exec_lo, exec_lo, s43
	s_wait_loadcnt_dscnt 0x303
	v_fma_mix_f32 v15, v55, v51, v35 op_sel_hi:[0,1,0]
	s_wait_loadcnt_dscnt 0x202
	s_delay_alu instid0(VALU_DEP_1) | instskip(SKIP_1) | instid1(VALU_DEP_1)
	v_fma_mix_f32 v15, v56, v52, v15 op_sel_hi:[0,1,0]
	s_wait_loadcnt_dscnt 0x101
	v_fma_mix_f32 v15, v57, v53, v15 op_sel_hi:[0,1,0]
	s_wait_loadcnt_dscnt 0x0
	s_delay_alu instid0(VALU_DEP_1)
	v_fma_mix_f32 v35, v58, v54, v15 op_sel_hi:[0,1,0]
.LBB516_25:                             ;   in Loop: Header=BB516_27 Depth=2
	s_or_b32 exec_lo, exec_lo, s42
	s_wait_loadcnt_dscnt 0x303
	v_fma_mix_f32 v15, v43, v47, v34 op_sel_hi:[1,1,0]
	s_wait_loadcnt_dscnt 0x202
	s_delay_alu instid0(VALU_DEP_1) | instskip(SKIP_1) | instid1(VALU_DEP_1)
	v_fma_mix_f32 v15, v44, v48, v15 op_sel_hi:[1,1,0]
	s_wait_loadcnt_dscnt 0x101
	v_fma_mix_f32 v15, v45, v49, v15 op_sel_hi:[1,1,0]
	s_wait_loadcnt_dscnt 0x0
	s_delay_alu instid0(VALU_DEP_1)
	v_fma_mix_f32 v34, v46, v50, v15 op_sel_hi:[1,1,0]
.LBB516_26:                             ;   in Loop: Header=BB516_27 Depth=2
	s_wait_alu 0xfffe
	s_or_b32 exec_lo, exec_lo, s41
	v_add_nc_u32_e32 v38, 64, v38
	v_add_nc_u32_e32 v42, s36, v42
	;; [unrolled: 1-line block ×5, first 2 shown]
	v_cmp_le_i32_e32 vcc_lo, s34, v38
	s_add_co_i32 s40, s40, s37
	s_or_b32 s39, vcc_lo, s39
	s_delay_alu instid0(SALU_CYCLE_1)
	s_and_not1_b32 exec_lo, exec_lo, s39
	s_cbranch_execz .LBB516_32
.LBB516_27:                             ;   Parent Loop BB516_4 Depth=1
                                        ; =>  This Inner Loop Header: Depth=2
	s_and_saveexec_b32 s41, s1
	s_cbranch_execz .LBB516_26
; %bb.28:                               ;   in Loop: Header=BB516_27 Depth=2
	s_wait_alu 0xfffe
	v_add_nc_u32_e32 v15, s40, v31
	v_add_nc_u32_e32 v17, s40, v8
	v_add_nc_u32_e32 v19, s40, v29
	v_add_nc_u32_e32 v21, s40, v30
	v_add_nc_u32_e32 v43, s30, v39
	v_ashrrev_i32_e32 v16, 31, v15
	v_ashrrev_i32_e32 v18, 31, v17
	v_ashrrev_i32_e32 v20, 31, v19
	v_ashrrev_i32_e32 v22, 31, v21
	v_ashrrev_i32_e32 v44, 31, v43
	v_lshlrev_b64_e32 v[15:16], 1, v[15:16]
	v_lshlrev_b64_e32 v[17:18], 1, v[17:18]
	;; [unrolled: 1-line block ×3, first 2 shown]
	s_delay_alu instid0(VALU_DEP_3) | instskip(SKIP_1) | instid1(VALU_DEP_4)
	v_add_co_u32 v45, vcc_lo, v13, v15
	s_wait_alu 0xfffd
	v_add_co_ci_u32_e64 v46, null, v14, v16, vcc_lo
	s_delay_alu instid0(VALU_DEP_4)
	v_add_co_u32 v47, vcc_lo, v13, v17
	v_add_nc_u32_e32 v17, s30, v42
	s_wait_alu 0xfffd
	v_add_co_ci_u32_e64 v48, null, v14, v18, vcc_lo
	v_lshlrev_b64_e32 v[15:16], 1, v[21:22]
	v_add_co_u32 v49, vcc_lo, v13, v19
	v_add_nc_u32_e32 v21, s30, v41
	s_wait_alu 0xfffd
	v_add_co_ci_u32_e64 v50, null, v14, v20, vcc_lo
	v_lshlrev_b64_e32 v[19:20], 1, v[43:44]
	v_add_nc_u32_e32 v43, s30, v40
	v_ashrrev_i32_e32 v18, 31, v17
	v_ashrrev_i32_e32 v22, 31, v21
	v_add_co_u32 v51, vcc_lo, v13, v15
	s_delay_alu instid0(VALU_DEP_4)
	v_ashrrev_i32_e32 v44, 31, v43
	s_wait_alu 0xfffd
	v_add_co_ci_u32_e64 v52, null, v14, v16, vcc_lo
	v_lshlrev_b64_e32 v[17:18], 1, v[17:18]
	v_add_co_u32 v15, vcc_lo, v11, v19
	s_wait_alu 0xfffd
	v_add_co_ci_u32_e64 v16, null, v12, v20, vcc_lo
	v_lshlrev_b64_e32 v[19:20], 1, v[21:22]
	v_lshlrev_b64_e32 v[21:22], 1, v[43:44]
	v_add_co_u32 v17, vcc_lo, v11, v17
	s_wait_alu 0xfffd
	v_add_co_ci_u32_e64 v18, null, v12, v18, vcc_lo
	s_delay_alu instid0(VALU_DEP_4)
	v_add_co_u32 v19, vcc_lo, v11, v19
	s_wait_alu 0xfffd
	v_add_co_ci_u32_e64 v20, null, v12, v20, vcc_lo
	v_add_co_u32 v21, vcc_lo, v11, v21
	s_wait_alu 0xfffd
	v_add_co_ci_u32_e64 v22, null, v12, v22, vcc_lo
	s_clause 0x3
	flat_load_u16 v43, v[45:46]
	flat_load_u16 v44, v[47:48]
	;; [unrolled: 1-line block ×4, first 2 shown]
	s_clause 0x3
	flat_load_u16 v47, v[15:16]
	flat_load_u16 v48, v[17:18]
	;; [unrolled: 1-line block ×4, first 2 shown]
	s_and_saveexec_b32 s42, s3
	s_cbranch_execz .LBB516_25
; %bb.29:                               ;   in Loop: Header=BB516_27 Depth=2
	s_clause 0x3
	flat_load_u16 v51, v[15:16] offset:128
	flat_load_u16 v52, v[17:18] offset:128
	flat_load_u16 v53, v[19:20] offset:128
	flat_load_u16 v54, v[21:22] offset:128
	s_wait_loadcnt_dscnt 0xb0b
	v_cvt_f32_f16_e32 v55, v43
	s_wait_loadcnt_dscnt 0xa0a
	v_cvt_f32_f16_e32 v56, v44
	;; [unrolled: 2-line block ×4, first 2 shown]
	s_and_saveexec_b32 s43, s4
	s_cbranch_execz .LBB516_24
; %bb.30:                               ;   in Loop: Header=BB516_27 Depth=2
	s_clause 0x3
	flat_load_u16 v59, v[15:16] offset:256
	flat_load_u16 v60, v[17:18] offset:256
	;; [unrolled: 1-line block ×4, first 2 shown]
	s_and_saveexec_b32 s44, s5
	s_cbranch_execz .LBB516_23
; %bb.31:                               ;   in Loop: Header=BB516_27 Depth=2
	s_clause 0x3
	flat_load_u16 v15, v[15:16] offset:384
	flat_load_u16 v16, v[17:18] offset:384
	flat_load_u16 v17, v[19:20] offset:384
	flat_load_u16 v18, v[21:22] offset:384
	s_wait_loadcnt_dscnt 0x303
	v_fma_mix_f32 v15, v55, v15, v37 op_sel_hi:[0,1,0]
	s_wait_loadcnt_dscnt 0x202
	s_delay_alu instid0(VALU_DEP_1) | instskip(SKIP_1) | instid1(VALU_DEP_1)
	v_fma_mix_f32 v15, v56, v16, v15 op_sel_hi:[0,1,0]
	s_wait_loadcnt_dscnt 0x101
	v_fma_mix_f32 v15, v57, v17, v15 op_sel_hi:[0,1,0]
	s_wait_loadcnt_dscnt 0x0
	s_delay_alu instid0(VALU_DEP_1)
	v_fma_mix_f32 v37, v58, v18, v15 op_sel_hi:[0,1,0]
	s_branch .LBB516_23
.LBB516_32:                             ;   in Loop: Header=BB516_4 Depth=1
	s_or_b32 exec_lo, exec_lo, s39
.LBB516_33:                             ;   in Loop: Header=BB516_4 Depth=1
	s_wait_alu 0xfffe
	s_or_b32 exec_lo, exec_lo, s7
	s_delay_alu instid0(SALU_CYCLE_1)
	s_and_not1_b32 vcc_lo, exec_lo, s20
	s_wait_alu 0xfffe
	s_cbranch_vccnz .LBB516_51
; %bb.34:                               ;   in Loop: Header=BB516_4 Depth=1
	v_cmp_gt_i32_e32 vcc_lo, s21, v38
	v_dual_mov_b32 v19, 0 :: v_dual_mov_b32 v20, 0
	v_or_b32_e32 v15, 1, v38
	v_dual_mov_b32 v21, 0 :: v_dual_mov_b32 v22, 0
	s_and_saveexec_b32 s39, vcc_lo
	s_cbranch_execz .LBB516_42
; %bb.35:                               ;   in Loop: Header=BB516_4 Depth=1
	v_mul_lo_u32 v16, v38, s26
	v_dual_mov_b32 v21, 0 :: v_dual_mov_b32 v20, 0
	v_mov_b32_e32 v19, 0
	s_mov_b32 s40, exec_lo
	s_delay_alu instid0(VALU_DEP_3) | instskip(NEXT) | instid1(VALU_DEP_1)
	v_ashrrev_i32_e32 v17, 31, v16
	v_lshlrev_b64_e32 v[16:17], 1, v[16:17]
	s_delay_alu instid0(VALU_DEP_1) | instskip(SKIP_1) | instid1(VALU_DEP_2)
	v_add_co_u32 v16, s7, v13, v16
	s_wait_alu 0xf1ff
	v_add_co_ci_u32_e64 v17, null, v14, v17, s7
	flat_load_u16 v16, v[16:17]
	v_cmpx_gt_i32_e64 s21, v15
	s_cbranch_execz .LBB516_41
; %bb.36:                               ;   in Loop: Header=BB516_4 Depth=1
	v_mul_lo_u32 v17, v15, s26
	v_dual_mov_b32 v20, 0 :: v_dual_mov_b32 v19, 0
	s_mov_b32 s41, exec_lo
	s_delay_alu instid0(VALU_DEP_2) | instskip(NEXT) | instid1(VALU_DEP_1)
	v_ashrrev_i32_e32 v18, 31, v17
	v_lshlrev_b64_e32 v[17:18], 1, v[17:18]
	s_delay_alu instid0(VALU_DEP_1) | instskip(SKIP_1) | instid1(VALU_DEP_2)
	v_add_co_u32 v17, s7, v13, v17
	s_wait_alu 0xf1ff
	v_add_co_ci_u32_e64 v18, null, v14, v18, s7
	flat_load_u16 v17, v[17:18]
	v_or_b32_e32 v18, 2, v38
	s_delay_alu instid0(VALU_DEP_1)
	v_cmpx_gt_i32_e64 s21, v18
	s_cbranch_execz .LBB516_40
; %bb.37:                               ;   in Loop: Header=BB516_4 Depth=1
	v_mul_lo_u32 v18, v18, s26
	v_or_b32_e32 v20, 3, v38
	s_mov_b32 s42, exec_lo
	s_delay_alu instid0(VALU_DEP_2) | instskip(NEXT) | instid1(VALU_DEP_1)
	v_ashrrev_i32_e32 v19, 31, v18
	v_lshlrev_b64_e32 v[18:19], 1, v[18:19]
	s_delay_alu instid0(VALU_DEP_1) | instskip(SKIP_1) | instid1(VALU_DEP_2)
	v_add_co_u32 v18, s7, v13, v18
	s_wait_alu 0xf1ff
	v_add_co_ci_u32_e64 v19, null, v14, v19, s7
	flat_load_u16 v18, v[18:19]
	v_mov_b32_e32 v19, 0
	v_cmpx_gt_i32_e64 s21, v20
	s_cbranch_execz .LBB516_39
; %bb.38:                               ;   in Loop: Header=BB516_4 Depth=1
	v_mul_lo_u32 v19, v20, s26
	s_delay_alu instid0(VALU_DEP_1) | instskip(NEXT) | instid1(VALU_DEP_1)
	v_ashrrev_i32_e32 v20, 31, v19
	v_lshlrev_b64_e32 v[19:20], 1, v[19:20]
	s_delay_alu instid0(VALU_DEP_1) | instskip(SKIP_1) | instid1(VALU_DEP_2)
	v_add_co_u32 v13, s7, v13, v19
	s_wait_alu 0xf1ff
	v_add_co_ci_u32_e64 v14, null, v14, v20, s7
	flat_load_u16 v13, v[13:14]
	s_wait_loadcnt_dscnt 0x0
	v_cvt_f32_f16_e32 v19, v13
.LBB516_39:                             ;   in Loop: Header=BB516_4 Depth=1
	s_or_b32 exec_lo, exec_lo, s42
	s_wait_loadcnt_dscnt 0x0
	v_cvt_f32_f16_e32 v20, v18
.LBB516_40:                             ;   in Loop: Header=BB516_4 Depth=1
	s_wait_alu 0xfffe
	s_or_b32 exec_lo, exec_lo, s41
	s_wait_loadcnt_dscnt 0x0
	v_cvt_f32_f16_e32 v21, v17
.LBB516_41:                             ;   in Loop: Header=BB516_4 Depth=1
	s_wait_alu 0xfffe
	s_or_b32 exec_lo, exec_lo, s40
	s_wait_loadcnt_dscnt 0x0
	v_cvt_f32_f16_e32 v22, v16
.LBB516_42:                             ;   in Loop: Header=BB516_4 Depth=1
	s_or_b32 exec_lo, exec_lo, s39
	s_and_saveexec_b32 s7, s1
	s_cbranch_execz .LBB516_50
; %bb.43:                               ;   in Loop: Header=BB516_4 Depth=1
	v_mul_lo_u32 v14, v38, s28
	v_or_b32_e32 v13, 2, v38
	v_mul_lo_u32 v17, v15, s28
	v_or_b32_e32 v16, 3, v38
	s_delay_alu instid0(VALU_DEP_3) | instskip(NEXT) | instid1(VALU_DEP_2)
	v_mul_lo_u32 v18, v13, s28
	v_mul_lo_u32 v38, v16, s28
	v_cndmask_b32_e32 v14, 0, v14, vcc_lo
	v_cmp_gt_i32_e32 vcc_lo, s21, v15
	s_wait_alu 0xfffd
	v_cndmask_b32_e32 v15, 0, v17, vcc_lo
	v_cmp_gt_i32_e32 vcc_lo, s21, v13
	v_add_nc_u32_e32 v13, v14, v27
	s_delay_alu instid0(VALU_DEP_3)
	v_add_nc_u32_e32 v15, v15, v27
	s_wait_alu 0xfffd
	v_cndmask_b32_e32 v17, 0, v18, vcc_lo
	v_cmp_gt_i32_e32 vcc_lo, s21, v16
	v_ashrrev_i32_e32 v14, 31, v13
	s_wait_alu 0xfffd
	v_cndmask_b32_e32 v16, 0, v38, vcc_lo
	s_delay_alu instid0(VALU_DEP_2) | instskip(NEXT) | instid1(VALU_DEP_2)
	v_lshlrev_b64_e32 v[13:14], 1, v[13:14]
	v_add_nc_u32_e32 v38, v16, v27
	v_add_nc_u32_e32 v17, v17, v27
	v_ashrrev_i32_e32 v16, 31, v15
	s_delay_alu instid0(VALU_DEP_4) | instskip(NEXT) | instid1(VALU_DEP_4)
	v_add_co_u32 v13, vcc_lo, v11, v13
	v_ashrrev_i32_e32 v39, 31, v38
	s_delay_alu instid0(VALU_DEP_4) | instskip(NEXT) | instid1(VALU_DEP_4)
	v_ashrrev_i32_e32 v18, 31, v17
	v_lshlrev_b64_e32 v[15:16], 1, v[15:16]
	s_wait_alu 0xfffd
	v_add_co_ci_u32_e64 v14, null, v12, v14, vcc_lo
	v_lshlrev_b64_e32 v[38:39], 1, v[38:39]
	v_lshlrev_b64_e32 v[17:18], 1, v[17:18]
	s_delay_alu instid0(VALU_DEP_4) | instskip(SKIP_2) | instid1(VALU_DEP_3)
	v_add_co_u32 v15, vcc_lo, v11, v15
	s_wait_alu 0xfffd
	v_add_co_ci_u32_e64 v16, null, v12, v16, vcc_lo
	v_add_co_u32 v17, vcc_lo, v11, v17
	s_wait_alu 0xfffd
	v_add_co_ci_u32_e64 v18, null, v12, v18, vcc_lo
	;; [unrolled: 3-line block ×3, first 2 shown]
	s_clause 0x3
	flat_load_u16 v38, v[13:14]
	flat_load_u16 v39, v[15:16]
	;; [unrolled: 1-line block ×4, first 2 shown]
	s_and_saveexec_b32 s39, s3
	s_cbranch_execz .LBB516_49
; %bb.44:                               ;   in Loop: Header=BB516_4 Depth=1
	s_clause 0x3
	flat_load_u16 v42, v[13:14] offset:128
	flat_load_u16 v43, v[15:16] offset:128
	flat_load_u16 v44, v[17:18] offset:128
	flat_load_u16 v45, v[11:12] offset:128
	s_and_saveexec_b32 s40, s4
	s_cbranch_execz .LBB516_48
; %bb.45:                               ;   in Loop: Header=BB516_4 Depth=1
	s_clause 0x3
	flat_load_u16 v46, v[13:14] offset:256
	flat_load_u16 v47, v[15:16] offset:256
	flat_load_u16 v48, v[17:18] offset:256
	flat_load_u16 v49, v[11:12] offset:256
	;; [unrolled: 8-line block ×3, first 2 shown]
	s_wait_loadcnt_dscnt 0x303
	v_fma_mix_f32 v12, v22, v13, v37 op_sel_hi:[0,1,0]
	s_wait_loadcnt_dscnt 0x202
	s_delay_alu instid0(VALU_DEP_1) | instskip(SKIP_1) | instid1(VALU_DEP_1)
	v_fma_mix_f32 v12, v21, v14, v12 op_sel_hi:[0,1,0]
	s_wait_loadcnt_dscnt 0x101
	v_fma_mix_f32 v12, v20, v15, v12 op_sel_hi:[0,1,0]
	s_wait_loadcnt_dscnt 0x0
	s_delay_alu instid0(VALU_DEP_1)
	v_fma_mix_f32 v37, v19, v11, v12 op_sel_hi:[0,1,0]
.LBB516_47:                             ;   in Loop: Header=BB516_4 Depth=1
	s_wait_alu 0xfffe
	s_or_b32 exec_lo, exec_lo, s41
	s_wait_loadcnt_dscnt 0x303
	v_fma_mix_f32 v11, v22, v46, v36 op_sel_hi:[0,1,0]
	s_wait_loadcnt_dscnt 0x202
	s_delay_alu instid0(VALU_DEP_1) | instskip(SKIP_1) | instid1(VALU_DEP_1)
	v_fma_mix_f32 v11, v21, v47, v11 op_sel_hi:[0,1,0]
	s_wait_loadcnt_dscnt 0x101
	v_fma_mix_f32 v11, v20, v48, v11 op_sel_hi:[0,1,0]
	s_wait_loadcnt_dscnt 0x0
	s_delay_alu instid0(VALU_DEP_1)
	v_fma_mix_f32 v36, v19, v49, v11 op_sel_hi:[0,1,0]
.LBB516_48:                             ;   in Loop: Header=BB516_4 Depth=1
	s_wait_alu 0xfffe
	s_or_b32 exec_lo, exec_lo, s40
	s_wait_loadcnt_dscnt 0x303
	v_fma_mix_f32 v11, v22, v42, v35 op_sel_hi:[0,1,0]
	s_wait_loadcnt_dscnt 0x202
	s_delay_alu instid0(VALU_DEP_1) | instskip(SKIP_1) | instid1(VALU_DEP_1)
	v_fma_mix_f32 v11, v21, v43, v11 op_sel_hi:[0,1,0]
	s_wait_loadcnt_dscnt 0x101
	v_fma_mix_f32 v11, v20, v44, v11 op_sel_hi:[0,1,0]
	s_wait_loadcnt_dscnt 0x0
	s_delay_alu instid0(VALU_DEP_1)
	v_fma_mix_f32 v35, v19, v45, v11 op_sel_hi:[0,1,0]
.LBB516_49:                             ;   in Loop: Header=BB516_4 Depth=1
	s_or_b32 exec_lo, exec_lo, s39
	s_wait_loadcnt_dscnt 0x303
	v_fma_mix_f32 v11, v22, v38, v34 op_sel_hi:[0,1,0]
	s_wait_loadcnt_dscnt 0x202
	s_delay_alu instid0(VALU_DEP_1) | instskip(SKIP_1) | instid1(VALU_DEP_1)
	v_fma_mix_f32 v11, v21, v39, v11 op_sel_hi:[0,1,0]
	s_wait_loadcnt_dscnt 0x101
	v_fma_mix_f32 v11, v20, v40, v11 op_sel_hi:[0,1,0]
	s_wait_loadcnt_dscnt 0x0
	s_delay_alu instid0(VALU_DEP_1)
	v_fma_mix_f32 v34, v19, v41, v11 op_sel_hi:[0,1,0]
.LBB516_50:                             ;   in Loop: Header=BB516_4 Depth=1
	s_wait_alu 0xfffe
	s_or_b32 exec_lo, exec_lo, s7
.LBB516_51:                             ;   in Loop: Header=BB516_4 Depth=1
	ds_store_2addr_stride64_b32 v24, v34, v35 offset1:1
	ds_store_2addr_stride64_b32 v24, v36, v37 offset0:2 offset1:3
	s_wait_dscnt 0x0
	s_barrier_signal -1
	s_barrier_wait -1
	global_inv scope:SCOPE_SE
                                        ; implicit-def: $vgpr15
	s_and_saveexec_b32 s7, s0
	s_cbranch_execz .LBB516_57
; %bb.52:                               ;   in Loop: Header=BB516_4 Depth=1
	ds_load_2addr_stride64_b32 v[11:12], v25 offset1:4
	ds_load_2addr_stride64_b32 v[13:14], v25 offset0:8 offset1:12
	ds_load_2addr_stride64_b32 v[15:16], v25 offset0:16 offset1:20
	s_mov_b32 s40, s38
	s_wait_dscnt 0x2
	v_add_f32_e32 v17, v11, v12
	ds_load_2addr_stride64_b32 v[11:12], v25 offset0:24 offset1:28
	s_wait_dscnt 0x2
	v_add_f32_e32 v13, v13, v17
	s_delay_alu instid0(VALU_DEP_1) | instskip(SKIP_3) | instid1(VALU_DEP_1)
	v_add_f32_e32 v17, v14, v13
	ds_load_2addr_stride64_b32 v[13:14], v25 offset0:32 offset1:36
	s_wait_dscnt 0x2
	v_add_f32_e32 v15, v15, v17
	v_add_f32_e32 v17, v16, v15
	ds_load_2addr_stride64_b32 v[15:16], v25 offset0:40 offset1:44
	s_wait_dscnt 0x2
	v_add_f32_e32 v11, v11, v17
	s_delay_alu instid0(VALU_DEP_1) | instskip(SKIP_1) | instid1(VALU_DEP_1)
	v_add_f32_e32 v11, v12, v11
	s_wait_dscnt 0x1
	v_add_f32_e32 v13, v13, v11
	ds_load_2addr_stride64_b32 v[11:12], v25 offset0:48 offset1:52
	v_add_f32_e32 v13, v14, v13
	s_wait_dscnt 0x1
	s_delay_alu instid0(VALU_DEP_1) | instskip(SKIP_3) | instid1(VALU_DEP_1)
	v_add_f32_e32 v15, v15, v13
	ds_load_2addr_stride64_b32 v[13:14], v25 offset0:56 offset1:60
	v_add_f32_e32 v15, v16, v15
	s_wait_dscnt 0x1
	v_add_f32_e32 v11, v11, v15
                                        ; implicit-def: $vgpr15
	s_delay_alu instid0(VALU_DEP_1) | instskip(SKIP_1) | instid1(VALU_DEP_1)
	v_add_f32_e32 v11, v12, v11
	s_wait_dscnt 0x0
	v_add_f32_e32 v11, v13, v11
	s_delay_alu instid0(VALU_DEP_1)
	v_add_f32_e32 v11, v14, v11
	ds_store_b32 v25, v11
	s_and_saveexec_b32 s39, s2
	s_cbranch_execz .LBB516_56
; %bb.53:                               ;   in Loop: Header=BB516_4 Depth=1
	v_mul_f32_e32 v15, s22, v11
	s_and_not1_b32 vcc_lo, exec_lo, s33
	s_wait_alu 0xfffe
	s_cbranch_vccnz .LBB516_55
; %bb.54:                               ;   in Loop: Header=BB516_4 Depth=1
	v_lshlrev_b64_e32 v[11:12], 2, v[4:5]
	s_delay_alu instid0(VALU_DEP_1) | instskip(SKIP_1) | instid1(VALU_DEP_2)
	v_add_co_u32 v11, vcc_lo, v32, v11
	s_wait_alu 0xfffd
	v_add_co_ci_u32_e64 v12, null, v33, v12, vcc_lo
	flat_load_b32 v11, v[11:12]
	s_wait_loadcnt_dscnt 0x0
	v_fmac_f32_e32 v15, s27, v11
.LBB516_55:                             ;   in Loop: Header=BB516_4 Depth=1
	s_or_b32 s40, s38, exec_lo
.LBB516_56:                             ;   in Loop: Header=BB516_4 Depth=1
	s_or_b32 exec_lo, exec_lo, s39
	s_delay_alu instid0(SALU_CYCLE_1) | instskip(SKIP_2) | instid1(SALU_CYCLE_1)
	s_and_not1_b32 s38, s38, exec_lo
	s_wait_alu 0xfffe
	s_and_b32 s39, s40, exec_lo
	s_or_b32 s38, s38, s39
.LBB516_57:                             ;   in Loop: Header=BB516_4 Depth=1
	s_wait_alu 0xfffe
	s_or_b32 exec_lo, exec_lo, s7
	v_dual_mov_b32 v12, v5 :: v_dual_mov_b32 v11, v4
	s_and_saveexec_b32 s7, s38
	s_cbranch_execz .LBB516_2
.LBB516_58:                             ;   in Loop: Header=BB516_4 Depth=1
	s_delay_alu instid0(VALU_DEP_1) | instskip(NEXT) | instid1(VALU_DEP_1)
	v_lshlrev_b64_e32 v[11:12], 2, v[11:12]
	v_add_co_u32 v11, vcc_lo, v32, v11
	s_wait_alu 0xfffd
	s_delay_alu instid0(VALU_DEP_2)
	v_add_co_ci_u32_e64 v12, null, v33, v12, vcc_lo
	flat_store_b32 v[11:12], v15
	s_branch .LBB516_2
.LBB516_59:
	s_endpgm
	.section	.rodata,"a",@progbits
	.p2align	6, 0x0
	.amdhsa_kernel _ZL20rocblas_gemvn_kernelILi64ELi16EiPKDF16_fKPfEviiT3_lPKT2_lT1_lS7_lS8_lS4_lPT4_lS8_li
		.amdhsa_group_segment_fixed_size 16384
		.amdhsa_private_segment_fixed_size 0
		.amdhsa_kernarg_size 400
		.amdhsa_user_sgpr_count 2
		.amdhsa_user_sgpr_dispatch_ptr 0
		.amdhsa_user_sgpr_queue_ptr 0
		.amdhsa_user_sgpr_kernarg_segment_ptr 1
		.amdhsa_user_sgpr_dispatch_id 0
		.amdhsa_user_sgpr_private_segment_size 0
		.amdhsa_wavefront_size32 1
		.amdhsa_uses_dynamic_stack 0
		.amdhsa_enable_private_segment 0
		.amdhsa_system_sgpr_workgroup_id_x 1
		.amdhsa_system_sgpr_workgroup_id_y 0
		.amdhsa_system_sgpr_workgroup_id_z 1
		.amdhsa_system_sgpr_workgroup_info 0
		.amdhsa_system_vgpr_workitem_id 1
		.amdhsa_next_free_vgpr 63
		.amdhsa_next_free_sgpr 45
		.amdhsa_reserve_vcc 1
		.amdhsa_float_round_mode_32 0
		.amdhsa_float_round_mode_16_64 0
		.amdhsa_float_denorm_mode_32 3
		.amdhsa_float_denorm_mode_16_64 3
		.amdhsa_fp16_overflow 0
		.amdhsa_workgroup_processor_mode 1
		.amdhsa_memory_ordered 1
		.amdhsa_forward_progress 1
		.amdhsa_inst_pref_size 28
		.amdhsa_round_robin_scheduling 0
		.amdhsa_exception_fp_ieee_invalid_op 0
		.amdhsa_exception_fp_denorm_src 0
		.amdhsa_exception_fp_ieee_div_zero 0
		.amdhsa_exception_fp_ieee_overflow 0
		.amdhsa_exception_fp_ieee_underflow 0
		.amdhsa_exception_fp_ieee_inexact 0
		.amdhsa_exception_int_div_zero 0
	.end_amdhsa_kernel
	.section	.text._ZL20rocblas_gemvn_kernelILi64ELi16EiPKDF16_fKPfEviiT3_lPKT2_lT1_lS7_lS8_lS4_lPT4_lS8_li,"axG",@progbits,_ZL20rocblas_gemvn_kernelILi64ELi16EiPKDF16_fKPfEviiT3_lPKT2_lT1_lS7_lS8_lS4_lPT4_lS8_li,comdat
.Lfunc_end516:
	.size	_ZL20rocblas_gemvn_kernelILi64ELi16EiPKDF16_fKPfEviiT3_lPKT2_lT1_lS7_lS8_lS4_lPT4_lS8_li, .Lfunc_end516-_ZL20rocblas_gemvn_kernelILi64ELi16EiPKDF16_fKPfEviiT3_lPKT2_lT1_lS7_lS8_lS4_lPT4_lS8_li
                                        ; -- End function
	.set _ZL20rocblas_gemvn_kernelILi64ELi16EiPKDF16_fKPfEviiT3_lPKT2_lT1_lS7_lS8_lS4_lPT4_lS8_li.num_vgpr, 63
	.set _ZL20rocblas_gemvn_kernelILi64ELi16EiPKDF16_fKPfEviiT3_lPKT2_lT1_lS7_lS8_lS4_lPT4_lS8_li.num_agpr, 0
	.set _ZL20rocblas_gemvn_kernelILi64ELi16EiPKDF16_fKPfEviiT3_lPKT2_lT1_lS7_lS8_lS4_lPT4_lS8_li.numbered_sgpr, 45
	.set _ZL20rocblas_gemvn_kernelILi64ELi16EiPKDF16_fKPfEviiT3_lPKT2_lT1_lS7_lS8_lS4_lPT4_lS8_li.num_named_barrier, 0
	.set _ZL20rocblas_gemvn_kernelILi64ELi16EiPKDF16_fKPfEviiT3_lPKT2_lT1_lS7_lS8_lS4_lPT4_lS8_li.private_seg_size, 0
	.set _ZL20rocblas_gemvn_kernelILi64ELi16EiPKDF16_fKPfEviiT3_lPKT2_lT1_lS7_lS8_lS4_lPT4_lS8_li.uses_vcc, 1
	.set _ZL20rocblas_gemvn_kernelILi64ELi16EiPKDF16_fKPfEviiT3_lPKT2_lT1_lS7_lS8_lS4_lPT4_lS8_li.uses_flat_scratch, 1
	.set _ZL20rocblas_gemvn_kernelILi64ELi16EiPKDF16_fKPfEviiT3_lPKT2_lT1_lS7_lS8_lS4_lPT4_lS8_li.has_dyn_sized_stack, 0
	.set _ZL20rocblas_gemvn_kernelILi64ELi16EiPKDF16_fKPfEviiT3_lPKT2_lT1_lS7_lS8_lS4_lPT4_lS8_li.has_recursion, 0
	.set _ZL20rocblas_gemvn_kernelILi64ELi16EiPKDF16_fKPfEviiT3_lPKT2_lT1_lS7_lS8_lS4_lPT4_lS8_li.has_indirect_call, 0
	.section	.AMDGPU.csdata,"",@progbits
; Kernel info:
; codeLenInByte = 3528
; TotalNumSgprs: 47
; NumVgprs: 63
; ScratchSize: 0
; MemoryBound: 0
; FloatMode: 240
; IeeeMode: 1
; LDSByteSize: 16384 bytes/workgroup (compile time only)
; SGPRBlocks: 0
; VGPRBlocks: 7
; NumSGPRsForWavesPerEU: 47
; NumVGPRsForWavesPerEU: 63
; Occupancy: 16
; WaveLimiterHint : 1
; COMPUTE_PGM_RSRC2:SCRATCH_EN: 0
; COMPUTE_PGM_RSRC2:USER_SGPR: 2
; COMPUTE_PGM_RSRC2:TRAP_HANDLER: 0
; COMPUTE_PGM_RSRC2:TGID_X_EN: 1
; COMPUTE_PGM_RSRC2:TGID_Y_EN: 0
; COMPUTE_PGM_RSRC2:TGID_Z_EN: 1
; COMPUTE_PGM_RSRC2:TIDIG_COMP_CNT: 1
	.section	.text._ZL20rocblas_gemvn_kernelILi64ELi16ElPKDF16_fKPfEviiT3_lPKT2_lT1_lS7_lS8_lS4_lPT4_lS8_li,"axG",@progbits,_ZL20rocblas_gemvn_kernelILi64ELi16ElPKDF16_fKPfEviiT3_lPKT2_lT1_lS7_lS8_lS4_lPT4_lS8_li,comdat
	.globl	_ZL20rocblas_gemvn_kernelILi64ELi16ElPKDF16_fKPfEviiT3_lPKT2_lT1_lS7_lS8_lS4_lPT4_lS8_li ; -- Begin function _ZL20rocblas_gemvn_kernelILi64ELi16ElPKDF16_fKPfEviiT3_lPKT2_lT1_lS7_lS8_lS4_lPT4_lS8_li
	.p2align	8
	.type	_ZL20rocblas_gemvn_kernelILi64ELi16ElPKDF16_fKPfEviiT3_lPKT2_lT1_lS7_lS8_lS4_lPT4_lS8_li,@function
_ZL20rocblas_gemvn_kernelILi64ELi16ElPKDF16_fKPfEviiT3_lPKT2_lT1_lS7_lS8_lS4_lPT4_lS8_li: ; @_ZL20rocblas_gemvn_kernelILi64ELi16ElPKDF16_fKPfEviiT3_lPKT2_lT1_lS7_lS8_lS4_lPT4_lS8_li
; %bb.0:
	s_clause 0x1
	s_load_b64 s[2:3], s[0:1], 0x9c
	s_load_b32 s23, s[0:1], 0x88
	s_lshr_b32 s24, ttmp7, 16
	s_wait_kmcnt 0x0
	s_lshr_b32 s4, s2, 16
	s_and_b32 s2, s2, 0xffff
	s_and_b32 s3, s3, 0xffff
	s_mul_i32 s2, s4, s2
	s_delay_alu instid0(SALU_CYCLE_1) | instskip(NEXT) | instid1(SALU_CYCLE_1)
	s_mul_i32 s2, s2, s3
	s_cmp_lg_u32 s2, 0x400
	s_cselect_b32 s2, -1, 0
	s_cmp_ge_u32 s24, s23
	s_cselect_b32 s3, -1, 0
	s_delay_alu instid0(SALU_CYCLE_1) | instskip(NEXT) | instid1(SALU_CYCLE_1)
	s_or_b32 s2, s2, s3
	s_and_b32 vcc_lo, exec_lo, s2
	s_cbranch_vccnz .LBB517_59
; %bb.1:
	s_clause 0x7
	s_load_b96 s[20:22], s[0:1], 0x0
	s_load_b32 s33, s[0:1], 0x58
	s_load_b64 s[26:27], s[0:1], 0x48
	s_load_b128 s[8:11], s[0:1], 0x18
	s_load_b64 s[28:29], s[0:1], 0x28
	s_load_b128 s[12:15], s[0:1], 0x38
	;; [unrolled: 2-line block ×3, first 2 shown]
	v_dual_mov_b32 v1, 0 :: v_dual_and_b32 v2, 0x3ff, v0
	v_bfe_u32 v26, v0, 10, 10
	s_mov_b32 s25, 0
	s_delay_alu instid0(VALU_DEP_2) | instskip(NEXT) | instid1(VALU_DEP_2)
	v_lshlrev_b32_e32 v16, 2, v2
	v_lshl_add_u32 v3, v26, 6, v2
	v_lshlrev_b32_e32 v40, 2, v26
	s_delay_alu instid0(VALU_DEP_2)
	v_cmp_gt_u32_e64 s0, 0x100, v3
	s_wait_kmcnt 0x0
	s_cmp_eq_f32 s22, 0
	v_mad_co_u64_u32 v[6:7], null, s26, v26, 0
	s_mov_b32 s2, s20
	s_cselect_b32 s36, -1, 0
	s_cmp_neq_f32 s33, 1.0
	v_or_b32_e32 v17, 3, v40
	s_cselect_b32 s1, -1, 0
	s_cmp_neq_f32 s22, 0
	s_delay_alu instid0(VALU_DEP_1)
	v_mad_co_u64_u32 v[12:13], null, s26, v17, 0
	s_cselect_b32 s4, -1, 0
	s_lshl_b32 s30, ttmp9, 8
	s_ashr_i32 s3, s20, 31
	v_add_nc_u32_e32 v0, s30, v3
	v_add_nc_u32_e32 v8, s30, v2
	s_or_b32 s37, s4, s1
	s_cmp_neq_f32 s33, 0
	v_or_b32_e32 v18, s30, v3
	v_mad_co_u64_u32 v[2:3], null, s6, v0, 0
	v_add_nc_u32_e32 v4, 64, v8
	v_cmp_gt_i64_e32 vcc_lo, s[2:3], v[0:1]
	s_cselect_b32 s38, -1, 0
	s_ashr_i32 s2, s21, 31
	v_add_nc_u32_e32 v5, 0x80, v8
	s_wait_alu 0xfffe
	s_lshr_b32 s2, s2, 26
	v_add_nc_u32_e32 v10, 0xc0, v8
	s_wait_alu 0xfffe
	s_add_co_i32 s39, s21, s2
	v_cmp_gt_i32_e64 s2, s20, v4
	v_mad_co_u64_u32 v[3:4], null, s7, v0, v[3:4]
	v_mov_b32_e32 v0, v7
	v_cndmask_b32_e64 v42, 0, 1, s4
	v_cmp_gt_i32_e64 s4, s20, v10
	v_mad_co_u64_u32 v[10:11], null, s28, v17, 0
	s_delay_alu instid0(VALU_DEP_4)
	v_mad_co_u64_u32 v[14:15], null, s27, v26, v[0:1]
	s_and_not1_b32 s39, s39, 63
	v_mul_lo_u32 v19, s7, v18
	v_cmp_gt_i32_e64 s3, s20, v5
	s_sub_co_i32 s5, s21, s39
	v_mad_co_u64_u32 v[4:5], null, s6, v18, 0
	v_mov_b32_e32 v7, v14
	v_mad_co_u64_u32 v[14:15], null, s29, v17, v[11:12]
	s_wait_alu 0xfffe
	s_cmp_gt_i32 s5, 0
	v_lshl_add_u32 v41, v26, 10, v16
	s_cselect_b32 s40, -1, 0
	s_ashr_i32 s7, s30, 31
	v_lshl_add_u32 v0, v26, 8, v16
	s_wait_alu 0xfffe
	s_mul_i32 s7, s6, s7
	v_mov_b32_e32 v11, v14
	v_or_b32_e32 v29, 2, v40
	v_mad_co_u64_u32 v[15:16], null, s27, v17, v[13:14]
	v_cmp_gt_i32_e64 s6, s20, v18
	s_wait_alu 0xfffe
	v_add3_u32 v5, v5, s7, v19
	v_mad_co_u64_u32 v[16:17], null, s28, v26, 0
	v_mad_co_u64_u32 v[18:19], null, s28, v29, 0
	v_mov_b32_e32 v13, v15
	v_mad_co_u64_u32 v[20:21], null, s26, v29, 0
	v_mad_co_u64_u32 v[22:23], null, s26, v40, s[26:27]
	s_delay_alu instid0(VALU_DEP_4) | instskip(SKIP_3) | instid1(VALU_DEP_4)
	v_dual_mov_b32 v14, v17 :: v_dual_mov_b32 v15, v19
	v_mad_co_u64_u32 v[24:25], null, s28, v40, s[28:29]
	v_ashrrev_i32_e32 v9, 31, v8
	v_cmp_gt_i32_e64 s1, s20, v8
	v_mad_co_u64_u32 v[26:27], null, s29, v26, v[14:15]
	v_mad_co_u64_u32 v[27:28], null, s29, v29, v[15:16]
	v_dual_mov_b32 v14, v21 :: v_dual_mov_b32 v15, v23
	v_mov_b32_e32 v17, v25
	v_lshlrev_b64_e32 v[6:7], 3, v[6:7]
	v_lshlrev_b64_e32 v[8:9], 1, v[8:9]
	;; [unrolled: 1-line block ×3, first 2 shown]
	v_mov_b32_e32 v19, v27
	v_mad_co_u64_u32 v[28:29], null, s27, v29, v[14:15]
	v_mad_co_u64_u32 v[14:15], null, s27, v40, v[15:16]
	;; [unrolled: 1-line block ×3, first 2 shown]
	v_mov_b32_e32 v17, v26
	v_lshlrev_b64_e32 v[12:13], 1, v[12:13]
	v_mov_b32_e32 v21, v28
	v_cmp_gt_i32_e64 s5, s39, v40
	v_mov_b32_e32 v23, v14
	v_lshlrev_b64_e32 v[14:15], 3, v[16:17]
	v_mov_b32_e32 v25, v29
	v_lshlrev_b64_e32 v[16:17], 1, v[18:19]
	v_lshlrev_b64_e32 v[18:19], 1, v[20:21]
	;; [unrolled: 1-line block ×3, first 2 shown]
	s_and_b32 s20, s0, vcc_lo
	v_lshlrev_b64_e32 v[22:23], 1, v[24:25]
	v_lshlrev_b64_e32 v[24:25], 2, v[2:3]
	s_lshl_b64 s[30:31], s[26:27], 7
	s_lshl_b64 s[34:35], s[28:29], 7
	;; [unrolled: 1-line block ×5, first 2 shown]
	s_branch .LBB517_4
.LBB517_2:                              ;   in Loop: Header=BB517_4 Depth=1
	s_wait_alu 0xfffe
	s_or_b32 exec_lo, exec_lo, s7
.LBB517_3:                              ;   in Loop: Header=BB517_4 Depth=1
	s_add_co_i32 s24, s24, 0x10000
	s_delay_alu instid0(SALU_CYCLE_1)
	s_cmp_lt_u32 s24, s23
	s_cbranch_scc0 .LBB517_59
.LBB517_4:                              ; =>This Loop Header: Depth=1
                                        ;     Child Loop BB517_27 Depth 2
	s_and_not1_b32 vcc_lo, exec_lo, s37
	s_wait_alu 0xfffe
	s_cbranch_vccnz .LBB517_3
; %bb.5:                                ;   in Loop: Header=BB517_4 Depth=1
	s_and_not1_b32 vcc_lo, exec_lo, s36
	s_wait_alu 0xfffe
	s_cbranch_vccnz .LBB517_7
; %bb.6:                                ;   in Loop: Header=BB517_4 Depth=1
	s_mov_b32 s7, 0
	s_branch .LBB517_8
.LBB517_7:                              ;   in Loop: Header=BB517_4 Depth=1
	s_mov_b32 s7, -1
.LBB517_8:                              ;   in Loop: Header=BB517_4 Depth=1
	v_mov_b32_e32 v28, 0
	v_dual_mov_b32 v29, 0 :: v_dual_mov_b32 v26, 0
	v_mov_b32_e32 v27, 0
	s_wait_alu 0xfffe
	s_and_not1_b32 vcc_lo, exec_lo, s7
	s_wait_alu 0xfffe
	s_cbranch_vccnz .LBB517_10
; %bb.9:                                ;   in Loop: Header=BB517_4 Depth=1
	s_lshl_b64 s[42:43], s[24:25], 3
	s_delay_alu instid0(SALU_CYCLE_1)
	s_add_nc_u64 s[42:43], s[8:9], s[42:43]
	global_load_b64 v[26:27], v1, s[42:43]
	s_wait_loadcnt 0x0
	v_add_co_u32 v26, vcc_lo, v26, s10
	s_wait_alu 0xfffd
	v_add_co_ci_u32_e64 v27, null, s11, v27, vcc_lo
.LBB517_10:                             ;   in Loop: Header=BB517_4 Depth=1
	v_cmp_ne_u32_e32 vcc_lo, 1, v42
	s_cbranch_vccnz .LBB517_12
; %bb.11:                               ;   in Loop: Header=BB517_4 Depth=1
	s_lshl_b64 s[42:43], s[24:25], 3
	s_delay_alu instid0(SALU_CYCLE_1)
	s_add_nc_u64 s[42:43], s[12:13], s[42:43]
	global_load_b64 v[28:29], v1, s[42:43]
	s_wait_loadcnt 0x0
	v_add_co_u32 v28, vcc_lo, v28, s14
	s_wait_alu 0xfffd
	v_add_co_ci_u32_e64 v29, null, s15, v29, vcc_lo
.LBB517_12:                             ;   in Loop: Header=BB517_4 Depth=1
	s_lshl_b64 s[42:43], s[24:25], 3
	s_delay_alu instid0(SALU_CYCLE_1)
	s_add_nc_u64 s[42:43], s[16:17], s[42:43]
	global_load_b64 v[30:31], v1, s[42:43]
	s_wait_loadcnt 0x0
	v_add_co_u32 v43, vcc_lo, v30, s18
	s_wait_alu 0xfffd
	v_add_co_ci_u32_e64 v44, null, s19, v31, vcc_lo
	s_and_not1_b32 vcc_lo, exec_lo, s36
	s_wait_alu 0xfffe
	s_cbranch_vccnz .LBB517_16
; %bb.13:                               ;   in Loop: Header=BB517_4 Depth=1
	s_mov_b32 s7, 0
	s_mov_b32 s41, 0
                                        ; implicit-def: $vgpr30
	s_and_saveexec_b32 s42, s20
	s_cbranch_execz .LBB517_17
; %bb.14:                               ;   in Loop: Header=BB517_4 Depth=1
	s_and_not1_b32 vcc_lo, exec_lo, s38
	s_wait_alu 0xfffe
	s_cbranch_vccnz .LBB517_19
; %bb.15:                               ;   in Loop: Header=BB517_4 Depth=1
	v_add_co_u32 v30, vcc_lo, v43, v24
	s_wait_alu 0xfffd
	v_add_co_ci_u32_e64 v31, null, v44, v25, vcc_lo
	flat_load_b32 v30, v[30:31]
	s_wait_loadcnt_dscnt 0x0
	v_mul_f32_e32 v30, s33, v30
	s_branch .LBB517_20
.LBB517_16:                             ;   in Loop: Header=BB517_4 Depth=1
	s_mov_b32 s41, 0
                                        ; implicit-def: $vgpr30
	s_cbranch_execz .LBB517_18
	s_branch .LBB517_21
.LBB517_17:                             ;   in Loop: Header=BB517_4 Depth=1
	s_or_b32 exec_lo, exec_lo, s42
	s_wait_alu 0xfffe
	s_and_b32 vcc_lo, exec_lo, s7
	s_wait_alu 0xfffe
	s_cbranch_vccnz .LBB517_21
.LBB517_18:                             ;   in Loop: Header=BB517_4 Depth=1
	v_dual_mov_b32 v27, v3 :: v_dual_mov_b32 v26, v2
	s_and_saveexec_b32 s7, s41
	s_cbranch_execz .LBB517_2
	s_branch .LBB517_58
.LBB517_19:                             ;   in Loop: Header=BB517_4 Depth=1
	v_mov_b32_e32 v30, 0
.LBB517_20:                             ;   in Loop: Header=BB517_4 Depth=1
	s_mov_b32 s41, exec_lo
	s_or_b32 exec_lo, exec_lo, s42
	s_delay_alu instid0(SALU_CYCLE_1)
	s_and_b32 vcc_lo, exec_lo, s7
	s_wait_alu 0xfffe
	s_cbranch_vccz .LBB517_18
.LBB517_21:                             ;   in Loop: Header=BB517_4 Depth=1
	v_dual_mov_b32 v45, 0 :: v_dual_mov_b32 v46, 0
	v_dual_mov_b32 v49, v40 :: v_dual_mov_b32 v48, 0
	v_mov_b32_e32 v47, 0
	s_and_saveexec_b32 s42, s5
	s_cbranch_execz .LBB517_33
; %bb.22:                               ;   in Loop: Header=BB517_4 Depth=1
	v_add_co_u32 v50, vcc_lo, v26, v10
	s_wait_alu 0xfffd
	v_add_co_ci_u32_e64 v51, null, v27, v11, vcc_lo
	v_add_co_u32 v52, vcc_lo, v26, v14
	s_wait_alu 0xfffd
	v_add_co_ci_u32_e64 v53, null, v27, v15, vcc_lo
	;; [unrolled: 3-line block ×3, first 2 shown]
	v_add_co_u32 v56, vcc_lo, v26, v22
	v_dual_mov_b32 v31, v29 :: v_dual_mov_b32 v46, 0
	s_wait_alu 0xfffd
	v_add_co_ci_u32_e64 v57, null, v27, v23, vcc_lo
	v_dual_mov_b32 v45, 0 :: v_dual_mov_b32 v30, v28
	v_dual_mov_b32 v49, v40 :: v_dual_mov_b32 v48, 0
	v_mov_b32_e32 v47, 0
	s_mov_b32 s43, 0
	s_branch .LBB517_27
.LBB517_23:                             ;   in Loop: Header=BB517_27 Depth=2
	s_or_b32 exec_lo, exec_lo, s46
	s_wait_loadcnt_dscnt 0x303
	v_fma_mix_f32 v32, v70, v74, v47 op_sel_hi:[0,1,0]
	s_wait_loadcnt_dscnt 0x202
	s_delay_alu instid0(VALU_DEP_1) | instskip(SKIP_1) | instid1(VALU_DEP_1)
	v_fma_mix_f32 v32, v71, v75, v32 op_sel_hi:[0,1,0]
	s_wait_loadcnt_dscnt 0x101
	v_fma_mix_f32 v32, v72, v76, v32 op_sel_hi:[0,1,0]
	s_wait_loadcnt_dscnt 0x0
	s_delay_alu instid0(VALU_DEP_1)
	v_fma_mix_f32 v47, v73, v77, v32 op_sel_hi:[0,1,0]
.LBB517_24:                             ;   in Loop: Header=BB517_27 Depth=2
	s_or_b32 exec_lo, exec_lo, s45
	s_wait_loadcnt_dscnt 0x303
	v_fma_mix_f32 v32, v70, v66, v46 op_sel_hi:[0,1,0]
	s_wait_loadcnt_dscnt 0x202
	s_delay_alu instid0(VALU_DEP_1) | instskip(SKIP_1) | instid1(VALU_DEP_1)
	v_fma_mix_f32 v32, v71, v67, v32 op_sel_hi:[0,1,0]
	s_wait_loadcnt_dscnt 0x101
	v_fma_mix_f32 v32, v72, v68, v32 op_sel_hi:[0,1,0]
	s_wait_loadcnt_dscnt 0x0
	s_delay_alu instid0(VALU_DEP_1)
	v_fma_mix_f32 v46, v73, v69, v32 op_sel_hi:[0,1,0]
.LBB517_25:                             ;   in Loop: Header=BB517_27 Depth=2
	s_or_b32 exec_lo, exec_lo, s44
	s_wait_loadcnt_dscnt 0x303
	v_fma_mix_f32 v32, v58, v62, v45 op_sel_hi:[1,1,0]
	s_wait_loadcnt_dscnt 0x202
	s_delay_alu instid0(VALU_DEP_1) | instskip(SKIP_1) | instid1(VALU_DEP_1)
	v_fma_mix_f32 v32, v59, v63, v32 op_sel_hi:[1,1,0]
	s_wait_loadcnt_dscnt 0x101
	v_fma_mix_f32 v32, v60, v64, v32 op_sel_hi:[1,1,0]
	s_wait_loadcnt_dscnt 0x0
	s_delay_alu instid0(VALU_DEP_1)
	v_fma_mix_f32 v45, v61, v65, v32 op_sel_hi:[1,1,0]
.LBB517_26:                             ;   in Loop: Header=BB517_27 Depth=2
	s_wait_alu 0xfffe
	s_or_b32 exec_lo, exec_lo, s7
	v_add_co_u32 v30, vcc_lo, v30, s30
	s_wait_alu 0xfffd
	v_add_co_ci_u32_e64 v31, null, s31, v31, vcc_lo
	v_add_co_u32 v50, vcc_lo, v50, s34
	v_add_nc_u32_e32 v49, 64, v49
	s_wait_alu 0xfffd
	v_add_co_ci_u32_e64 v51, null, s35, v51, vcc_lo
	v_add_co_u32 v52, vcc_lo, v52, s34
	s_wait_alu 0xfffd
	v_add_co_ci_u32_e64 v53, null, s35, v53, vcc_lo
	v_add_co_u32 v54, vcc_lo, v54, s34
	s_wait_alu 0xfffd
	v_add_co_ci_u32_e64 v55, null, s35, v55, vcc_lo
	v_cmp_le_i32_e32 vcc_lo, s39, v49
	v_add_co_u32 v56, s7, v56, s34
	s_wait_alu 0xf1ff
	v_add_co_ci_u32_e64 v57, null, s35, v57, s7
	s_or_b32 s43, vcc_lo, s43
	s_delay_alu instid0(SALU_CYCLE_1)
	s_and_not1_b32 exec_lo, exec_lo, s43
	s_cbranch_execz .LBB517_32
.LBB517_27:                             ;   Parent Loop BB517_4 Depth=1
                                        ; =>  This Inner Loop Header: Depth=2
	s_and_saveexec_b32 s7, s1
	s_cbranch_execz .LBB517_26
; %bb.28:                               ;   in Loop: Header=BB517_27 Depth=2
	v_add_co_u32 v58, vcc_lo, v30, v6
	s_wait_alu 0xfffd
	v_add_co_ci_u32_e64 v59, null, v31, v7, vcc_lo
	v_add_co_u32 v60, vcc_lo, v30, v20
	s_wait_alu 0xfffd
	v_add_co_ci_u32_e64 v61, null, v31, v21, vcc_lo
	;; [unrolled: 3-line block ×8, first 2 shown]
	s_clause 0x3
	flat_load_u16 v58, v[58:59]
	flat_load_u16 v59, v[60:61]
	;; [unrolled: 1-line block ×8, first 2 shown]
	s_and_saveexec_b32 s44, s2
	s_cbranch_execz .LBB517_25
; %bb.29:                               ;   in Loop: Header=BB517_27 Depth=2
	flat_load_u16 v66, v[32:33] offset:128
	flat_load_u16 v67, v[34:35] offset:128
	;; [unrolled: 1-line block ×4, first 2 shown]
	s_wait_loadcnt_dscnt 0xb0b
	v_cvt_f32_f16_e32 v70, v58
	s_wait_loadcnt_dscnt 0xa0a
	v_cvt_f32_f16_e32 v71, v59
	s_wait_loadcnt_dscnt 0x909
	v_cvt_f32_f16_e32 v72, v60
	s_wait_loadcnt_dscnt 0x808
	v_cvt_f32_f16_e32 v73, v61
	s_and_saveexec_b32 s45, s3
	s_cbranch_execz .LBB517_24
; %bb.30:                               ;   in Loop: Header=BB517_27 Depth=2
	flat_load_u16 v74, v[32:33] offset:256
	flat_load_u16 v75, v[34:35] offset:256
	flat_load_u16 v76, v[36:37] offset:256
	flat_load_u16 v77, v[38:39] offset:256
	s_and_saveexec_b32 s46, s4
	s_cbranch_execz .LBB517_23
; %bb.31:                               ;   in Loop: Header=BB517_27 Depth=2
	flat_load_u16 v32, v[32:33] offset:384
	flat_load_u16 v33, v[34:35] offset:384
	;; [unrolled: 1-line block ×4, first 2 shown]
	s_wait_loadcnt_dscnt 0x303
	v_fma_mix_f32 v32, v70, v32, v48 op_sel_hi:[0,1,0]
	s_wait_loadcnt_dscnt 0x202
	s_delay_alu instid0(VALU_DEP_1) | instskip(SKIP_1) | instid1(VALU_DEP_1)
	v_fma_mix_f32 v32, v71, v33, v32 op_sel_hi:[0,1,0]
	s_wait_loadcnt_dscnt 0x101
	v_fma_mix_f32 v32, v72, v34, v32 op_sel_hi:[0,1,0]
	s_wait_loadcnt_dscnt 0x0
	s_delay_alu instid0(VALU_DEP_1)
	v_fma_mix_f32 v48, v73, v35, v32 op_sel_hi:[0,1,0]
	s_branch .LBB517_23
.LBB517_32:                             ;   in Loop: Header=BB517_4 Depth=1
	s_or_b32 exec_lo, exec_lo, s43
.LBB517_33:                             ;   in Loop: Header=BB517_4 Depth=1
	s_delay_alu instid0(SALU_CYCLE_1) | instskip(NEXT) | instid1(SALU_CYCLE_1)
	s_or_b32 exec_lo, exec_lo, s42
	s_and_not1_b32 vcc_lo, exec_lo, s40
	s_wait_alu 0xfffe
	s_cbranch_vccnz .LBB517_51
; %bb.34:                               ;   in Loop: Header=BB517_4 Depth=1
	v_cmp_gt_i32_e32 vcc_lo, s21, v49
	v_dual_mov_b32 v34, 0 :: v_dual_mov_b32 v35, 0
	v_or_b32_e32 v30, 1, v49
	v_dual_mov_b32 v36, 0 :: v_dual_mov_b32 v37, 0
	s_and_saveexec_b32 s42, vcc_lo
	s_cbranch_execz .LBB517_42
; %bb.35:                               ;   in Loop: Header=BB517_4 Depth=1
	v_mad_co_u64_u32 v[31:32], null, s26, v49, 0
	v_dual_mov_b32 v36, 0 :: v_dual_mov_b32 v35, 0
	v_mov_b32_e32 v34, 0
	s_mov_b32 s43, exec_lo
	s_delay_alu instid0(VALU_DEP_3) | instskip(NEXT) | instid1(VALU_DEP_1)
	v_mad_co_u64_u32 v[32:33], null, s27, v49, v[32:33]
	v_lshlrev_b64_e32 v[31:32], 1, v[31:32]
	s_delay_alu instid0(VALU_DEP_1) | instskip(SKIP_1) | instid1(VALU_DEP_2)
	v_add_co_u32 v31, s7, v28, v31
	s_wait_alu 0xf1ff
	v_add_co_ci_u32_e64 v32, null, v29, v32, s7
	flat_load_u16 v31, v[31:32]
	v_cmpx_gt_i32_e64 s21, v30
	s_cbranch_execz .LBB517_41
; %bb.36:                               ;   in Loop: Header=BB517_4 Depth=1
	v_mad_co_u64_u32 v[32:33], null, s26, v30, 0
	v_mov_b32_e32 v35, 0
	s_mov_b32 s44, exec_lo
	s_delay_alu instid0(VALU_DEP_2) | instskip(SKIP_1) | instid1(VALU_DEP_2)
	v_mad_co_u64_u32 v[33:34], null, s27, v30, v[33:34]
	v_mov_b32_e32 v34, 0
	v_lshlrev_b64_e32 v[32:33], 1, v[32:33]
	s_delay_alu instid0(VALU_DEP_1) | instskip(SKIP_1) | instid1(VALU_DEP_2)
	v_add_co_u32 v32, s7, v28, v32
	s_wait_alu 0xf1ff
	v_add_co_ci_u32_e64 v33, null, v29, v33, s7
	flat_load_u16 v32, v[32:33]
	v_or_b32_e32 v33, 2, v49
	s_delay_alu instid0(VALU_DEP_1)
	v_cmpx_gt_i32_e64 s21, v33
	s_cbranch_execz .LBB517_40
; %bb.37:                               ;   in Loop: Header=BB517_4 Depth=1
	v_mad_co_u64_u32 v[34:35], null, s26, v33, 0
	s_mov_b32 s45, exec_lo
	v_mad_co_u64_u32 v[35:36], null, s27, v33, v[35:36]
	s_delay_alu instid0(VALU_DEP_1) | instskip(SKIP_1) | instid1(VALU_DEP_2)
	v_lshlrev_b64_e32 v[33:34], 1, v[34:35]
	v_or_b32_e32 v35, 3, v49
	v_add_co_u32 v33, s7, v28, v33
	s_wait_alu 0xf1ff
	s_delay_alu instid0(VALU_DEP_3)
	v_add_co_ci_u32_e64 v34, null, v29, v34, s7
	flat_load_u16 v33, v[33:34]
	v_mov_b32_e32 v34, 0
	v_cmpx_gt_i32_e64 s21, v35
	s_cbranch_execz .LBB517_39
; %bb.38:                               ;   in Loop: Header=BB517_4 Depth=1
	v_mad_co_u64_u32 v[36:37], null, s26, v35, 0
	s_delay_alu instid0(VALU_DEP_1) | instskip(NEXT) | instid1(VALU_DEP_1)
	v_mov_b32_e32 v34, v37
	v_mad_co_u64_u32 v[34:35], null, s27, v35, v[34:35]
	s_delay_alu instid0(VALU_DEP_1) | instskip(NEXT) | instid1(VALU_DEP_1)
	v_mov_b32_e32 v37, v34
	v_lshlrev_b64_e32 v[34:35], 1, v[36:37]
	s_delay_alu instid0(VALU_DEP_1) | instskip(SKIP_1) | instid1(VALU_DEP_2)
	v_add_co_u32 v28, s7, v28, v34
	s_wait_alu 0xf1ff
	v_add_co_ci_u32_e64 v29, null, v29, v35, s7
	flat_load_u16 v28, v[28:29]
	s_wait_loadcnt_dscnt 0x0
	v_cvt_f32_f16_e32 v34, v28
.LBB517_39:                             ;   in Loop: Header=BB517_4 Depth=1
	s_or_b32 exec_lo, exec_lo, s45
	s_wait_loadcnt_dscnt 0x0
	v_cvt_f32_f16_e32 v35, v33
.LBB517_40:                             ;   in Loop: Header=BB517_4 Depth=1
	s_or_b32 exec_lo, exec_lo, s44
	s_wait_loadcnt_dscnt 0x0
	v_cvt_f32_f16_e32 v36, v32
.LBB517_41:                             ;   in Loop: Header=BB517_4 Depth=1
	s_or_b32 exec_lo, exec_lo, s43
	s_wait_loadcnt_dscnt 0x0
	v_cvt_f32_f16_e32 v37, v31
.LBB517_42:                             ;   in Loop: Header=BB517_4 Depth=1
	s_or_b32 exec_lo, exec_lo, s42
	s_and_saveexec_b32 s42, s1
	s_cbranch_execz .LBB517_50
; %bb.43:                               ;   in Loop: Header=BB517_4 Depth=1
	v_mad_co_u64_u32 v[28:29], null, s28, v49, 0
	v_or_b32_e32 v52, 2, v49
	v_mad_co_u64_u32 v[31:32], null, s28, v30, 0
	v_or_b32_e32 v53, 3, v49
	v_cmp_gt_i32_e64 s7, s21, v30
	s_delay_alu instid0(VALU_DEP_4) | instskip(SKIP_3) | instid1(VALU_DEP_4)
	v_mad_co_u64_u32 v[38:39], null, s28, v52, 0
	v_mad_co_u64_u32 v[49:50], null, s29, v49, v[29:30]
	;; [unrolled: 1-line block ×4, first 2 shown]
	v_mov_b32_e32 v30, v39
	s_delay_alu instid0(VALU_DEP_4)
	v_dual_cndmask_b32 v50, 0, v28 :: v_dual_cndmask_b32 v51, 0, v49
	s_wait_alu 0xf1ff
	v_cndmask_b32_e64 v28, 0, v31, s7
	v_cndmask_b32_e64 v29, 0, v29, s7
	v_mad_co_u64_u32 v[30:31], null, s29, v52, v[30:31]
	v_mov_b32_e32 v31, v33
	v_lshlrev_b64_e32 v[49:50], 1, v[50:51]
	v_cmp_gt_i32_e32 vcc_lo, s21, v52
	v_lshlrev_b64_e32 v[51:52], 1, v[28:29]
	s_wait_alu 0xfffd
	v_cndmask_b32_e32 v39, 0, v30, vcc_lo
	s_delay_alu instid0(VALU_DEP_4)
	v_add_co_u32 v28, s7, v26, v49
	s_wait_alu 0xf1ff
	v_add_co_ci_u32_e64 v29, null, v27, v50, s7
	v_mad_co_u64_u32 v[30:31], null, s29, v53, v[31:32]
	v_cndmask_b32_e32 v38, 0, v38, vcc_lo
	v_add_co_u32 v28, vcc_lo, v28, v8
	s_wait_alu 0xfffd
	v_add_co_ci_u32_e64 v29, null, v29, v9, vcc_lo
	v_cmp_gt_i32_e32 vcc_lo, s21, v53
	v_add_co_u32 v31, s7, v26, v51
	s_wait_alu 0xf1ff
	v_add_co_ci_u32_e64 v49, null, v27, v52, s7
	s_wait_alu 0xfffd
	v_dual_cndmask_b32 v32, 0, v32 :: v_dual_cndmask_b32 v33, 0, v30
	v_lshlrev_b64_e32 v[38:39], 1, v[38:39]
	v_add_co_u32 v30, vcc_lo, v31, v8
	s_wait_alu 0xfffd
	v_add_co_ci_u32_e64 v31, null, v49, v9, vcc_lo
	v_lshlrev_b64_e32 v[32:33], 1, v[32:33]
	s_delay_alu instid0(VALU_DEP_4) | instskip(SKIP_2) | instid1(VALU_DEP_3)
	v_add_co_u32 v38, vcc_lo, v26, v38
	s_wait_alu 0xfffd
	v_add_co_ci_u32_e64 v39, null, v27, v39, vcc_lo
	v_add_co_u32 v32, vcc_lo, v26, v32
	s_wait_alu 0xfffd
	v_add_co_ci_u32_e64 v33, null, v27, v33, vcc_lo
	;; [unrolled: 3-line block ×4, first 2 shown]
	s_clause 0x3
	flat_load_u16 v38, v[28:29]
	flat_load_u16 v39, v[30:31]
	;; [unrolled: 1-line block ×4, first 2 shown]
	s_and_saveexec_b32 s7, s2
	s_cbranch_execz .LBB517_49
; %bb.44:                               ;   in Loop: Header=BB517_4 Depth=1
	s_clause 0x3
	flat_load_u16 v51, v[28:29] offset:128
	flat_load_u16 v52, v[30:31] offset:128
	flat_load_u16 v53, v[26:27] offset:128
	flat_load_u16 v54, v[32:33] offset:128
	s_and_saveexec_b32 s43, s3
	s_cbranch_execz .LBB517_48
; %bb.45:                               ;   in Loop: Header=BB517_4 Depth=1
	s_clause 0x3
	flat_load_u16 v55, v[28:29] offset:256
	flat_load_u16 v56, v[30:31] offset:256
	flat_load_u16 v57, v[26:27] offset:256
	flat_load_u16 v58, v[32:33] offset:256
	;; [unrolled: 8-line block ×3, first 2 shown]
	s_wait_loadcnt_dscnt 0x303
	v_fma_mix_f32 v28, v37, v28, v48 op_sel_hi:[0,1,0]
	s_wait_loadcnt_dscnt 0x202
	s_delay_alu instid0(VALU_DEP_1) | instskip(SKIP_1) | instid1(VALU_DEP_1)
	v_fma_mix_f32 v28, v36, v29, v28 op_sel_hi:[0,1,0]
	s_wait_loadcnt_dscnt 0x101
	v_fma_mix_f32 v26, v35, v26, v28 op_sel_hi:[0,1,0]
	s_wait_loadcnt_dscnt 0x0
	s_delay_alu instid0(VALU_DEP_1)
	v_fma_mix_f32 v48, v34, v27, v26 op_sel_hi:[0,1,0]
.LBB517_47:                             ;   in Loop: Header=BB517_4 Depth=1
	s_or_b32 exec_lo, exec_lo, s44
	s_wait_loadcnt_dscnt 0x303
	v_fma_mix_f32 v26, v37, v55, v47 op_sel_hi:[0,1,0]
	s_wait_loadcnt_dscnt 0x202
	s_delay_alu instid0(VALU_DEP_1) | instskip(SKIP_1) | instid1(VALU_DEP_1)
	v_fma_mix_f32 v26, v36, v56, v26 op_sel_hi:[0,1,0]
	s_wait_loadcnt_dscnt 0x101
	v_fma_mix_f32 v26, v35, v57, v26 op_sel_hi:[0,1,0]
	s_wait_loadcnt_dscnt 0x0
	s_delay_alu instid0(VALU_DEP_1)
	v_fma_mix_f32 v47, v34, v58, v26 op_sel_hi:[0,1,0]
.LBB517_48:                             ;   in Loop: Header=BB517_4 Depth=1
	s_or_b32 exec_lo, exec_lo, s43
	s_wait_loadcnt_dscnt 0x303
	v_fma_mix_f32 v26, v37, v51, v46 op_sel_hi:[0,1,0]
	s_wait_loadcnt_dscnt 0x202
	s_delay_alu instid0(VALU_DEP_1) | instskip(SKIP_1) | instid1(VALU_DEP_1)
	v_fma_mix_f32 v26, v36, v52, v26 op_sel_hi:[0,1,0]
	s_wait_loadcnt_dscnt 0x101
	v_fma_mix_f32 v26, v35, v53, v26 op_sel_hi:[0,1,0]
	s_wait_loadcnt_dscnt 0x0
	s_delay_alu instid0(VALU_DEP_1)
	v_fma_mix_f32 v46, v34, v54, v26 op_sel_hi:[0,1,0]
.LBB517_49:                             ;   in Loop: Header=BB517_4 Depth=1
	s_wait_alu 0xfffe
	s_or_b32 exec_lo, exec_lo, s7
	s_wait_loadcnt_dscnt 0x303
	v_fma_mix_f32 v26, v37, v38, v45 op_sel_hi:[0,1,0]
	s_wait_loadcnt_dscnt 0x202
	s_delay_alu instid0(VALU_DEP_1) | instskip(SKIP_1) | instid1(VALU_DEP_1)
	v_fma_mix_f32 v26, v36, v39, v26 op_sel_hi:[0,1,0]
	s_wait_loadcnt_dscnt 0x101
	v_fma_mix_f32 v26, v35, v49, v26 op_sel_hi:[0,1,0]
	s_wait_loadcnt_dscnt 0x0
	s_delay_alu instid0(VALU_DEP_1)
	v_fma_mix_f32 v45, v34, v50, v26 op_sel_hi:[0,1,0]
.LBB517_50:                             ;   in Loop: Header=BB517_4 Depth=1
	s_or_b32 exec_lo, exec_lo, s42
.LBB517_51:                             ;   in Loop: Header=BB517_4 Depth=1
	ds_store_2addr_stride64_b32 v41, v45, v46 offset1:1
	ds_store_2addr_stride64_b32 v41, v47, v48 offset0:2 offset1:3
	s_wait_dscnt 0x0
	s_barrier_signal -1
	s_barrier_wait -1
	global_inv scope:SCOPE_SE
                                        ; implicit-def: $vgpr30
	s_and_saveexec_b32 s7, s0
	s_cbranch_execz .LBB517_57
; %bb.52:                               ;   in Loop: Header=BB517_4 Depth=1
	ds_load_2addr_stride64_b32 v[26:27], v0 offset1:4
	ds_load_2addr_stride64_b32 v[28:29], v0 offset0:8 offset1:12
	ds_load_2addr_stride64_b32 v[30:31], v0 offset0:16 offset1:20
	s_mov_b32 s43, s41
	s_wait_dscnt 0x2
	v_add_f32_e32 v32, v26, v27
	ds_load_2addr_stride64_b32 v[26:27], v0 offset0:24 offset1:28
	s_wait_dscnt 0x2
	v_add_f32_e32 v28, v28, v32
	s_delay_alu instid0(VALU_DEP_1) | instskip(SKIP_3) | instid1(VALU_DEP_1)
	v_add_f32_e32 v32, v29, v28
	ds_load_2addr_stride64_b32 v[28:29], v0 offset0:32 offset1:36
	s_wait_dscnt 0x2
	v_add_f32_e32 v30, v30, v32
	v_add_f32_e32 v32, v31, v30
	ds_load_2addr_stride64_b32 v[30:31], v0 offset0:40 offset1:44
	s_wait_dscnt 0x2
	v_add_f32_e32 v26, v26, v32
	s_delay_alu instid0(VALU_DEP_1) | instskip(SKIP_1) | instid1(VALU_DEP_1)
	v_add_f32_e32 v26, v27, v26
	s_wait_dscnt 0x1
	v_add_f32_e32 v28, v28, v26
	ds_load_2addr_stride64_b32 v[26:27], v0 offset0:48 offset1:52
	v_add_f32_e32 v28, v29, v28
	s_wait_dscnt 0x1
	s_delay_alu instid0(VALU_DEP_1) | instskip(SKIP_3) | instid1(VALU_DEP_1)
	v_add_f32_e32 v30, v30, v28
	ds_load_2addr_stride64_b32 v[28:29], v0 offset0:56 offset1:60
	v_add_f32_e32 v30, v31, v30
	s_wait_dscnt 0x1
	v_add_f32_e32 v26, v26, v30
                                        ; implicit-def: $vgpr30
	s_delay_alu instid0(VALU_DEP_1) | instskip(SKIP_1) | instid1(VALU_DEP_1)
	v_add_f32_e32 v26, v27, v26
	s_wait_dscnt 0x0
	v_add_f32_e32 v26, v28, v26
	s_delay_alu instid0(VALU_DEP_1)
	v_add_f32_e32 v26, v29, v26
	ds_store_b32 v0, v26
	s_and_saveexec_b32 s42, s6
	s_cbranch_execz .LBB517_56
; %bb.53:                               ;   in Loop: Header=BB517_4 Depth=1
	v_mul_f32_e32 v30, s22, v26
	s_and_not1_b32 vcc_lo, exec_lo, s38
	s_wait_alu 0xfffe
	s_cbranch_vccnz .LBB517_55
; %bb.54:                               ;   in Loop: Header=BB517_4 Depth=1
	v_lshlrev_b64_e32 v[26:27], 2, v[4:5]
	s_delay_alu instid0(VALU_DEP_1) | instskip(SKIP_1) | instid1(VALU_DEP_2)
	v_add_co_u32 v26, vcc_lo, v43, v26
	s_wait_alu 0xfffd
	v_add_co_ci_u32_e64 v27, null, v44, v27, vcc_lo
	flat_load_b32 v26, v[26:27]
	s_wait_loadcnt_dscnt 0x0
	v_fmac_f32_e32 v30, s33, v26
.LBB517_55:                             ;   in Loop: Header=BB517_4 Depth=1
	s_or_b32 s43, s41, exec_lo
.LBB517_56:                             ;   in Loop: Header=BB517_4 Depth=1
	s_or_b32 exec_lo, exec_lo, s42
	s_delay_alu instid0(SALU_CYCLE_1) | instskip(SKIP_1) | instid1(SALU_CYCLE_1)
	s_and_not1_b32 s41, s41, exec_lo
	s_and_b32 s42, s43, exec_lo
	s_or_b32 s41, s41, s42
.LBB517_57:                             ;   in Loop: Header=BB517_4 Depth=1
	s_wait_alu 0xfffe
	s_or_b32 exec_lo, exec_lo, s7
	v_dual_mov_b32 v27, v5 :: v_dual_mov_b32 v26, v4
	s_and_saveexec_b32 s7, s41
	s_cbranch_execz .LBB517_2
.LBB517_58:                             ;   in Loop: Header=BB517_4 Depth=1
	s_delay_alu instid0(VALU_DEP_1) | instskip(NEXT) | instid1(VALU_DEP_1)
	v_lshlrev_b64_e32 v[26:27], 2, v[26:27]
	v_add_co_u32 v26, vcc_lo, v43, v26
	s_wait_alu 0xfffd
	s_delay_alu instid0(VALU_DEP_2)
	v_add_co_ci_u32_e64 v27, null, v44, v27, vcc_lo
	flat_store_b32 v[26:27], v30
	s_branch .LBB517_2
.LBB517_59:
	s_endpgm
	.section	.rodata,"a",@progbits
	.p2align	6, 0x0
	.amdhsa_kernel _ZL20rocblas_gemvn_kernelILi64ELi16ElPKDF16_fKPfEviiT3_lPKT2_lT1_lS7_lS8_lS4_lPT4_lS8_li
		.amdhsa_group_segment_fixed_size 16384
		.amdhsa_private_segment_fixed_size 0
		.amdhsa_kernarg_size 400
		.amdhsa_user_sgpr_count 2
		.amdhsa_user_sgpr_dispatch_ptr 0
		.amdhsa_user_sgpr_queue_ptr 0
		.amdhsa_user_sgpr_kernarg_segment_ptr 1
		.amdhsa_user_sgpr_dispatch_id 0
		.amdhsa_user_sgpr_private_segment_size 0
		.amdhsa_wavefront_size32 1
		.amdhsa_uses_dynamic_stack 0
		.amdhsa_enable_private_segment 0
		.amdhsa_system_sgpr_workgroup_id_x 1
		.amdhsa_system_sgpr_workgroup_id_y 0
		.amdhsa_system_sgpr_workgroup_id_z 1
		.amdhsa_system_sgpr_workgroup_info 0
		.amdhsa_system_vgpr_workitem_id 1
		.amdhsa_next_free_vgpr 78
		.amdhsa_next_free_sgpr 47
		.amdhsa_reserve_vcc 1
		.amdhsa_float_round_mode_32 0
		.amdhsa_float_round_mode_16_64 0
		.amdhsa_float_denorm_mode_32 3
		.amdhsa_float_denorm_mode_16_64 3
		.amdhsa_fp16_overflow 0
		.amdhsa_workgroup_processor_mode 1
		.amdhsa_memory_ordered 1
		.amdhsa_forward_progress 1
		.amdhsa_inst_pref_size 30
		.amdhsa_round_robin_scheduling 0
		.amdhsa_exception_fp_ieee_invalid_op 0
		.amdhsa_exception_fp_denorm_src 0
		.amdhsa_exception_fp_ieee_div_zero 0
		.amdhsa_exception_fp_ieee_overflow 0
		.amdhsa_exception_fp_ieee_underflow 0
		.amdhsa_exception_fp_ieee_inexact 0
		.amdhsa_exception_int_div_zero 0
	.end_amdhsa_kernel
	.section	.text._ZL20rocblas_gemvn_kernelILi64ELi16ElPKDF16_fKPfEviiT3_lPKT2_lT1_lS7_lS8_lS4_lPT4_lS8_li,"axG",@progbits,_ZL20rocblas_gemvn_kernelILi64ELi16ElPKDF16_fKPfEviiT3_lPKT2_lT1_lS7_lS8_lS4_lPT4_lS8_li,comdat
.Lfunc_end517:
	.size	_ZL20rocblas_gemvn_kernelILi64ELi16ElPKDF16_fKPfEviiT3_lPKT2_lT1_lS7_lS8_lS4_lPT4_lS8_li, .Lfunc_end517-_ZL20rocblas_gemvn_kernelILi64ELi16ElPKDF16_fKPfEviiT3_lPKT2_lT1_lS7_lS8_lS4_lPT4_lS8_li
                                        ; -- End function
	.set _ZL20rocblas_gemvn_kernelILi64ELi16ElPKDF16_fKPfEviiT3_lPKT2_lT1_lS7_lS8_lS4_lPT4_lS8_li.num_vgpr, 78
	.set _ZL20rocblas_gemvn_kernelILi64ELi16ElPKDF16_fKPfEviiT3_lPKT2_lT1_lS7_lS8_lS4_lPT4_lS8_li.num_agpr, 0
	.set _ZL20rocblas_gemvn_kernelILi64ELi16ElPKDF16_fKPfEviiT3_lPKT2_lT1_lS7_lS8_lS4_lPT4_lS8_li.numbered_sgpr, 47
	.set _ZL20rocblas_gemvn_kernelILi64ELi16ElPKDF16_fKPfEviiT3_lPKT2_lT1_lS7_lS8_lS4_lPT4_lS8_li.num_named_barrier, 0
	.set _ZL20rocblas_gemvn_kernelILi64ELi16ElPKDF16_fKPfEviiT3_lPKT2_lT1_lS7_lS8_lS4_lPT4_lS8_li.private_seg_size, 0
	.set _ZL20rocblas_gemvn_kernelILi64ELi16ElPKDF16_fKPfEviiT3_lPKT2_lT1_lS7_lS8_lS4_lPT4_lS8_li.uses_vcc, 1
	.set _ZL20rocblas_gemvn_kernelILi64ELi16ElPKDF16_fKPfEviiT3_lPKT2_lT1_lS7_lS8_lS4_lPT4_lS8_li.uses_flat_scratch, 1
	.set _ZL20rocblas_gemvn_kernelILi64ELi16ElPKDF16_fKPfEviiT3_lPKT2_lT1_lS7_lS8_lS4_lPT4_lS8_li.has_dyn_sized_stack, 0
	.set _ZL20rocblas_gemvn_kernelILi64ELi16ElPKDF16_fKPfEviiT3_lPKT2_lT1_lS7_lS8_lS4_lPT4_lS8_li.has_recursion, 0
	.set _ZL20rocblas_gemvn_kernelILi64ELi16ElPKDF16_fKPfEviiT3_lPKT2_lT1_lS7_lS8_lS4_lPT4_lS8_li.has_indirect_call, 0
	.section	.AMDGPU.csdata,"",@progbits
; Kernel info:
; codeLenInByte = 3824
; TotalNumSgprs: 49
; NumVgprs: 78
; ScratchSize: 0
; MemoryBound: 0
; FloatMode: 240
; IeeeMode: 1
; LDSByteSize: 16384 bytes/workgroup (compile time only)
; SGPRBlocks: 0
; VGPRBlocks: 9
; NumSGPRsForWavesPerEU: 49
; NumVGPRsForWavesPerEU: 78
; Occupancy: 16
; WaveLimiterHint : 1
; COMPUTE_PGM_RSRC2:SCRATCH_EN: 0
; COMPUTE_PGM_RSRC2:USER_SGPR: 2
; COMPUTE_PGM_RSRC2:TRAP_HANDLER: 0
; COMPUTE_PGM_RSRC2:TGID_X_EN: 1
; COMPUTE_PGM_RSRC2:TGID_Y_EN: 0
; COMPUTE_PGM_RSRC2:TGID_Z_EN: 1
; COMPUTE_PGM_RSRC2:TIDIG_COMP_CNT: 1
	.section	.text._ZL22rocblas_gemvtsm_kernelILb0ELi256EPKDF16_PKfKPfEviiT2_lPKT1_lilS9_lilS6_lPT3_lil,"axG",@progbits,_ZL22rocblas_gemvtsm_kernelILb0ELi256EPKDF16_PKfKPfEviiT2_lPKT1_lilS9_lilS6_lPT3_lil,comdat
	.globl	_ZL22rocblas_gemvtsm_kernelILb0ELi256EPKDF16_PKfKPfEviiT2_lPKT1_lilS9_lilS6_lPT3_lil ; -- Begin function _ZL22rocblas_gemvtsm_kernelILb0ELi256EPKDF16_PKfKPfEviiT2_lPKT1_lilS9_lilS6_lPT3_lil
	.p2align	8
	.type	_ZL22rocblas_gemvtsm_kernelILb0ELi256EPKDF16_PKfKPfEviiT2_lPKT1_lilS9_lilS6_lPT3_lil,@function
_ZL22rocblas_gemvtsm_kernelILb0ELi256EPKDF16_PKfKPfEviiT2_lPKT1_lilS9_lilS6_lPT3_lil: ; @_ZL22rocblas_gemvtsm_kernelILb0ELi256EPKDF16_PKfKPfEviiT2_lPKT1_lilS9_lilS6_lPT3_lil
; %bb.0:
	s_clause 0x1
	s_load_b256 s[12:19], s[0:1], 0x8
	s_load_b256 s[4:11], s[0:1], 0x58
	s_mov_b32 s2, ttmp9
	s_mov_b32 s3, 0
	s_wait_kmcnt 0x0
	s_mul_u64 s[14:15], s[14:15], s[2:3]
	s_mul_u64 s[6:7], s[6:7], s[2:3]
	s_lshl_b64 s[14:15], s[14:15], 2
	s_lshl_b64 s[6:7], s[6:7], 2
	s_add_nc_u64 s[12:13], s[12:13], s[14:15]
	s_add_nc_u64 s[4:5], s[4:5], s[6:7]
	s_load_b32 s21, s[12:13], 0x0
	s_load_b32 s20, s[4:5], 0x0
	s_wait_kmcnt 0x0
	s_cmp_eq_f32 s21, 0
	s_cselect_b32 s4, -1, 0
	s_cmp_eq_f32 s20, 1.0
	s_cselect_b32 s5, -1, 0
	s_delay_alu instid0(SALU_CYCLE_1) | instskip(NEXT) | instid1(SALU_CYCLE_1)
	s_and_b32 s4, s4, s5
	s_and_b32 vcc_lo, exec_lo, s4
	s_cbranch_vccnz .LBB518_38
; %bb.1:
	s_cmp_neq_f32 s21, 0
	s_mov_b64 s[12:13], 0
	s_mov_b64 s[6:7], 0
	s_cselect_b32 s4, -1, 0
	s_cmp_eq_f32 s21, 0
	s_cselect_b32 s5, -1, 0
	s_delay_alu instid0(SALU_CYCLE_1)
	s_and_b32 vcc_lo, exec_lo, s5
	s_cbranch_vccnz .LBB518_3
; %bb.2:
	s_lshl_b64 s[6:7], s[2:3], 3
	s_lshl_b64 s[14:15], s[18:19], 1
	s_add_nc_u64 s[6:7], s[16:17], s[6:7]
	s_load_b64 s[6:7], s[6:7], 0x0
	s_wait_kmcnt 0x0
	s_add_nc_u64 s[6:7], s[6:7], s[14:15]
.LBB518_3:
	s_and_not1_b32 vcc_lo, exec_lo, s4
	s_cbranch_vccnz .LBB518_5
; %bb.4:
	s_load_b128 s[12:15], s[0:1], 0x38
	s_lshl_b64 s[16:17], s[2:3], 3
	s_wait_kmcnt 0x0
	s_add_nc_u64 s[12:13], s[12:13], s[16:17]
	s_lshl_b64 s[14:15], s[14:15], 1
	s_load_b64 s[12:13], s[12:13], 0x0
	s_wait_kmcnt 0x0
	s_add_nc_u64 s[12:13], s[12:13], s[14:15]
.LBB518_5:
	s_lshl_b64 s[2:3], s[2:3], 3
	s_and_not1_b32 vcc_lo, exec_lo, s5
	s_add_nc_u64 s[8:9], s[8:9], s[2:3]
	s_clause 0x1
	s_load_b64 s[2:3], s[0:1], 0x0
	s_load_b32 s4, s[0:1], 0x78
	s_load_b64 s[8:9], s[8:9], 0x0
	s_mov_b32 s5, -1
	s_cbranch_vccnz .LBB518_20
; %bb.6:
	s_wait_kmcnt 0x0
	s_cmp_gt_i32 s3, 0
	s_cselect_b32 s16, -1, 0
	s_cmp_neq_f32 s20, 0
	v_cndmask_b32_e64 v1, 0, 1, s16
	s_delay_alu instid0(VALU_DEP_1)
	v_cmp_ne_u32_e32 vcc_lo, 1, v1
	s_cbranch_scc1 .LBB518_13
; %bb.7:
	s_and_b32 vcc_lo, exec_lo, vcc_lo
	s_cbranch_vccnz .LBB518_12
; %bb.8:
	v_mad_co_i64_i32 v[1:2], null, s4, v0, 0
	s_lshl_b64 s[14:15], s[10:11], 2
	v_mov_b32_e32 v3, 0
	s_add_nc_u64 s[14:15], s[8:9], s[14:15]
	s_ashr_i32 s5, s4, 31
	v_lshlrev_b64_e32 v[1:2], 2, v[1:2]
	s_delay_alu instid0(VALU_DEP_1) | instskip(NEXT) | instid1(VALU_DEP_1)
	v_add_co_u32 v1, vcc_lo, s14, v1
	v_add_co_ci_u32_e64 v2, null, s15, v2, vcc_lo
	s_wait_alu 0xfffe
	s_lshl_b64 s[14:15], s[4:5], 10
	s_mov_b32 s5, 0
	s_branch .LBB518_10
.LBB518_9:                              ;   in Loop: Header=BB518_10 Depth=1
	s_wait_alu 0xfffe
	s_or_b32 exec_lo, exec_lo, s17
	v_add_co_u32 v1, vcc_lo, v1, s14
	s_wait_alu 0xfffd
	v_add_co_ci_u32_e64 v2, null, s15, v2, vcc_lo
	s_addk_co_i32 s5, 0x100
	s_wait_alu 0xfffe
	s_cmp_ge_i32 s5, s3
	s_cbranch_scc1 .LBB518_12
.LBB518_10:                             ; =>This Inner Loop Header: Depth=1
	s_wait_alu 0xfffe
	v_add_nc_u32_e32 v4, s5, v0
	s_mov_b32 s17, exec_lo
	s_delay_alu instid0(VALU_DEP_1)
	v_cmpx_gt_i32_e64 s3, v4
	s_cbranch_execz .LBB518_9
; %bb.11:                               ;   in Loop: Header=BB518_10 Depth=1
	flat_store_b32 v[1:2], v3
	s_branch .LBB518_9
.LBB518_12:
	s_mov_b32 s5, 0
.LBB518_13:
	s_wait_alu 0xfffe
	s_and_not1_b32 vcc_lo, exec_lo, s5
	s_wait_alu 0xfffe
	s_cbranch_vccnz .LBB518_19
; %bb.14:
	s_and_not1_b32 vcc_lo, exec_lo, s16
	s_wait_alu 0xfffe
	s_cbranch_vccnz .LBB518_19
; %bb.15:
	v_mad_co_i64_i32 v[1:2], null, s4, v0, 0
	s_lshl_b64 s[14:15], s[10:11], 2
	s_ashr_i32 s5, s4, 31
	s_wait_alu 0xfffe
	s_add_nc_u64 s[14:15], s[8:9], s[14:15]
	v_lshlrev_b64_e32 v[1:2], 2, v[1:2]
	s_wait_alu 0xfffe
	s_delay_alu instid0(VALU_DEP_1) | instskip(SKIP_1) | instid1(VALU_DEP_2)
	v_add_co_u32 v1, vcc_lo, s14, v1
	s_wait_alu 0xfffd
	v_add_co_ci_u32_e64 v2, null, s15, v2, vcc_lo
	s_lshl_b64 s[14:15], s[4:5], 10
	s_mov_b32 s5, 0
	s_branch .LBB518_17
.LBB518_16:                             ;   in Loop: Header=BB518_17 Depth=1
	s_wait_alu 0xfffe
	s_or_b32 exec_lo, exec_lo, s16
	v_add_co_u32 v1, vcc_lo, v1, s14
	s_wait_alu 0xfffd
	v_add_co_ci_u32_e64 v2, null, s15, v2, vcc_lo
	s_addk_co_i32 s5, 0x100
	s_wait_alu 0xfffe
	s_cmp_ge_i32 s5, s3
	s_cbranch_scc1 .LBB518_19
.LBB518_17:                             ; =>This Inner Loop Header: Depth=1
	s_wait_alu 0xfffe
	v_add_nc_u32_e32 v3, s5, v0
	s_mov_b32 s16, exec_lo
	s_delay_alu instid0(VALU_DEP_1)
	v_cmpx_gt_i32_e64 s3, v3
	s_cbranch_execz .LBB518_16
; %bb.18:                               ;   in Loop: Header=BB518_17 Depth=1
	flat_load_b32 v3, v[1:2]
	s_wait_loadcnt_dscnt 0x0
	v_mul_f32_e32 v3, s20, v3
	flat_store_b32 v[1:2], v3
	s_branch .LBB518_16
.LBB518_19:
	s_mov_b32 s5, 0
.LBB518_20:
	s_wait_alu 0xfffe
	s_and_not1_b32 vcc_lo, exec_lo, s5
	s_wait_alu 0xfffe
	s_cbranch_vccnz .LBB518_38
; %bb.21:
	s_mov_b32 s5, exec_lo
	s_wait_kmcnt 0x0
	v_cmpx_gt_i32_e64 s2, v0
	s_cbranch_execz .LBB518_23
; %bb.22:
	s_load_b32 s14, s[0:1], 0x48
	s_wait_kmcnt 0x0
	v_mad_co_i64_i32 v[1:2], null, s14, v0, 0
	s_delay_alu instid0(VALU_DEP_1) | instskip(NEXT) | instid1(VALU_DEP_1)
	v_lshlrev_b64_e32 v[1:2], 1, v[1:2]
	v_add_co_u32 v1, vcc_lo, s12, v1
	s_wait_alu 0xfffd
	s_delay_alu instid0(VALU_DEP_2) | instskip(SKIP_4) | instid1(VALU_DEP_1)
	v_add_co_ci_u32_e64 v2, null, s13, v2, vcc_lo
	flat_load_u16 v1, v[1:2]
	v_lshlrev_b32_e32 v2, 2, v0
	s_wait_loadcnt_dscnt 0x0
	v_cvt_f32_f16_e32 v1, v1
	v_mul_f32_e32 v1, s21, v1
	ds_store_b32 v2, v1
.LBB518_23:
	s_wait_alu 0xfffe
	s_or_b32 exec_lo, exec_lo, s5
	s_cmp_lt_i32 s3, 1
	s_wait_storecnt_dscnt 0x0
	s_barrier_signal -1
	s_barrier_wait -1
	global_inv scope:SCOPE_SE
	s_cbranch_scc1 .LBB518_38
; %bb.24:
	s_load_b32 s16, s[0:1], 0x28
	s_lshl_b64 s[0:1], s[10:11], 2
	s_ashr_i32 s5, s4, 31
	s_add_nc_u64 s[0:1], s[8:9], s[0:1]
	s_mov_b32 s8, 0
	s_wait_kmcnt 0x0
	v_mad_co_i64_i32 v[1:2], null, s16, v0, 0
	s_ashr_i32 s17, s16, 31
	s_cmp_neq_f32 s20, 0
	s_cselect_b32 s10, -1, 0
	v_lshlrev_b64_e32 v[1:2], 1, v[1:2]
	s_cmp_gt_i32 s2, 0
	s_cselect_b32 s11, -1, 0
	s_and_b32 s12, s2, 7
	s_cmp_gt_u32 s2, 7
	s_delay_alu instid0(VALU_DEP_1)
	v_add_co_u32 v7, vcc_lo, s6, v1
	s_wait_alu 0xfffd
	v_add_co_ci_u32_e64 v8, null, s7, v2, vcc_lo
	s_cselect_b32 s13, -1, 0
	v_add_co_u32 v1, vcc_lo, v7, 14
	s_and_b32 s2, s2, 0x7ffffff8
	s_wait_alu 0xfffd
	v_add_co_ci_u32_e64 v2, null, 0, v8, vcc_lo
	s_wait_alu 0xfffe
	s_cmp_lg_u32 s12, 0
	s_cselect_b32 s14, -1, 0
	s_lshl_b64 s[6:7], s[16:17], 9
	s_branch .LBB518_27
.LBB518_25:                             ;   in Loop: Header=BB518_27 Depth=1
	v_add_co_u32 v3, vcc_lo, s0, v3
	s_wait_alu 0xfffd
	v_add_co_ci_u32_e64 v4, null, s1, v4, vcc_lo
	flat_store_b32 v[3:4], v9
.LBB518_26:                             ;   in Loop: Header=BB518_27 Depth=1
	s_wait_alu 0xfffe
	s_or_b32 exec_lo, exec_lo, s9
	v_add_co_u32 v1, vcc_lo, v1, s6
	s_wait_alu 0xfffd
	v_add_co_ci_u32_e64 v2, null, s7, v2, vcc_lo
	v_add_co_u32 v7, vcc_lo, v7, s6
	s_wait_alu 0xfffd
	v_add_co_ci_u32_e64 v8, null, s7, v8, vcc_lo
	s_addk_co_i32 s8, 0x100
	s_wait_alu 0xfffe
	s_cmp_ge_i32 s8, s3
	s_cbranch_scc1 .LBB518_38
.LBB518_27:                             ; =>This Loop Header: Depth=1
                                        ;     Child Loop BB518_33 Depth 2
                                        ;     Child Loop BB518_37 Depth 2
	v_add_nc_u32_e32 v3, s8, v0
	s_mov_b32 s9, exec_lo
	s_delay_alu instid0(VALU_DEP_1)
	v_cmpx_gt_i32_e64 s3, v3
	s_cbranch_execz .LBB518_26
; %bb.28:                               ;   in Loop: Header=BB518_27 Depth=1
	v_mad_co_u64_u32 v[4:5], null, v3, s4, 0
	s_and_not1_b32 vcc_lo, exec_lo, s10
	v_mad_co_u64_u32 v[5:6], null, v3, s5, v[5:6]
	s_delay_alu instid0(VALU_DEP_1)
	v_lshlrev_b64_e32 v[3:4], 2, v[4:5]
	s_wait_alu 0xfffe
	s_cbranch_vccnz .LBB518_30
; %bb.29:                               ;   in Loop: Header=BB518_27 Depth=1
	s_delay_alu instid0(VALU_DEP_1) | instskip(SKIP_1) | instid1(VALU_DEP_2)
	v_add_co_u32 v5, vcc_lo, s0, v3
	s_wait_alu 0xfffd
	v_add_co_ci_u32_e64 v6, null, s1, v4, vcc_lo
	flat_load_b32 v5, v[5:6]
	s_wait_loadcnt_dscnt 0x0
	v_mul_f32_e32 v9, s20, v5
	s_and_not1_b32 vcc_lo, exec_lo, s11
	s_wait_alu 0xfffe
	s_cbranch_vccz .LBB518_31
	s_branch .LBB518_25
.LBB518_30:                             ;   in Loop: Header=BB518_27 Depth=1
	v_mov_b32_e32 v9, 0
	s_and_not1_b32 vcc_lo, exec_lo, s11
	s_wait_alu 0xfffe
	s_cbranch_vccnz .LBB518_25
.LBB518_31:                             ;   in Loop: Header=BB518_27 Depth=1
	s_and_not1_b32 vcc_lo, exec_lo, s13
	s_mov_b32 s15, 0
	s_wait_alu 0xfffe
	s_cbranch_vccnz .LBB518_35
; %bb.32:                               ;   in Loop: Header=BB518_27 Depth=1
	v_dual_mov_b32 v6, v2 :: v_dual_mov_b32 v5, v1
	s_mov_b32 s16, 0
.LBB518_33:                             ;   Parent Loop BB518_27 Depth=1
                                        ; =>  This Inner Loop Header: Depth=2
	flat_load_b128 v[10:13], v[5:6] offset:-14
	v_mov_b32_e32 v18, s15
	v_add_co_u32 v5, vcc_lo, v5, 16
	s_wait_alu 0xfffd
	v_add_co_ci_u32_e64 v6, null, 0, v6, vcc_lo
	ds_load_b128 v[14:17], v18
	ds_load_b128 v[18:21], v18 offset:16
	s_wait_alu 0xfffe
	s_add_co_i32 s16, s16, 8
	s_add_co_i32 s15, s15, 32
	s_wait_alu 0xfffe
	s_cmp_eq_u32 s2, s16
	s_wait_loadcnt_dscnt 0x1
	v_fma_mix_f32 v9, v14, v10, v9 op_sel_hi:[0,1,0]
	s_delay_alu instid0(VALU_DEP_1) | instskip(NEXT) | instid1(VALU_DEP_1)
	v_fma_mix_f32 v9, v15, v10, v9 op_sel:[0,1,0] op_sel_hi:[0,1,0]
	v_fma_mix_f32 v9, v16, v11, v9 op_sel_hi:[0,1,0]
	s_delay_alu instid0(VALU_DEP_1) | instskip(SKIP_1) | instid1(VALU_DEP_1)
	v_fma_mix_f32 v9, v17, v11, v9 op_sel:[0,1,0] op_sel_hi:[0,1,0]
	s_wait_dscnt 0x0
	v_fma_mix_f32 v9, v18, v12, v9 op_sel_hi:[0,1,0]
	s_delay_alu instid0(VALU_DEP_1) | instskip(NEXT) | instid1(VALU_DEP_1)
	v_fma_mix_f32 v9, v19, v12, v9 op_sel:[0,1,0] op_sel_hi:[0,1,0]
	v_fma_mix_f32 v9, v20, v13, v9 op_sel_hi:[0,1,0]
	s_delay_alu instid0(VALU_DEP_1)
	v_fma_mix_f32 v9, v21, v13, v9 op_sel:[0,1,0] op_sel_hi:[0,1,0]
	s_cbranch_scc0 .LBB518_33
; %bb.34:                               ;   in Loop: Header=BB518_27 Depth=1
	s_mov_b32 s15, s2
.LBB518_35:                             ;   in Loop: Header=BB518_27 Depth=1
	s_and_not1_b32 vcc_lo, exec_lo, s14
	s_wait_alu 0xfffe
	s_cbranch_vccnz .LBB518_25
; %bb.36:                               ;   in Loop: Header=BB518_27 Depth=1
	s_lshl_b32 s16, s15, 1
	s_lshl_b32 s15, s15, 2
	s_wait_alu 0xfffe
	v_add_co_u32 v5, vcc_lo, v7, s16
	s_wait_alu 0xfffd
	v_add_co_ci_u32_e64 v6, null, 0, v8, vcc_lo
	s_mov_b32 s16, s12
.LBB518_37:                             ;   Parent Loop BB518_27 Depth=1
                                        ; =>  This Inner Loop Header: Depth=2
	flat_load_u16 v10, v[5:6]
	v_mov_b32_e32 v11, s15
	v_add_co_u32 v5, vcc_lo, v5, 2
	s_wait_alu 0xfffd
	v_add_co_ci_u32_e64 v6, null, 0, v6, vcc_lo
	ds_load_b32 v11, v11
	s_wait_alu 0xfffe
	s_add_co_i32 s16, s16, -1
	s_add_co_i32 s15, s15, 4
	s_wait_alu 0xfffe
	s_cmp_lg_u32 s16, 0
	s_wait_loadcnt_dscnt 0x0
	v_fma_mix_f32 v9, v11, v10, v9 op_sel_hi:[0,1,0]
	s_cbranch_scc1 .LBB518_37
	s_branch .LBB518_25
.LBB518_38:
	s_endpgm
	.section	.rodata,"a",@progbits
	.p2align	6, 0x0
	.amdhsa_kernel _ZL22rocblas_gemvtsm_kernelILb0ELi256EPKDF16_PKfKPfEviiT2_lPKT1_lilS9_lilS6_lPT3_lil
		.amdhsa_group_segment_fixed_size 256
		.amdhsa_private_segment_fixed_size 0
		.amdhsa_kernarg_size 136
		.amdhsa_user_sgpr_count 2
		.amdhsa_user_sgpr_dispatch_ptr 0
		.amdhsa_user_sgpr_queue_ptr 0
		.amdhsa_user_sgpr_kernarg_segment_ptr 1
		.amdhsa_user_sgpr_dispatch_id 0
		.amdhsa_user_sgpr_private_segment_size 0
		.amdhsa_wavefront_size32 1
		.amdhsa_uses_dynamic_stack 0
		.amdhsa_enable_private_segment 0
		.amdhsa_system_sgpr_workgroup_id_x 1
		.amdhsa_system_sgpr_workgroup_id_y 0
		.amdhsa_system_sgpr_workgroup_id_z 0
		.amdhsa_system_sgpr_workgroup_info 0
		.amdhsa_system_vgpr_workitem_id 0
		.amdhsa_next_free_vgpr 22
		.amdhsa_next_free_sgpr 22
		.amdhsa_reserve_vcc 1
		.amdhsa_float_round_mode_32 0
		.amdhsa_float_round_mode_16_64 0
		.amdhsa_float_denorm_mode_32 3
		.amdhsa_float_denorm_mode_16_64 3
		.amdhsa_fp16_overflow 0
		.amdhsa_workgroup_processor_mode 1
		.amdhsa_memory_ordered 1
		.amdhsa_forward_progress 1
		.amdhsa_inst_pref_size 13
		.amdhsa_round_robin_scheduling 0
		.amdhsa_exception_fp_ieee_invalid_op 0
		.amdhsa_exception_fp_denorm_src 0
		.amdhsa_exception_fp_ieee_div_zero 0
		.amdhsa_exception_fp_ieee_overflow 0
		.amdhsa_exception_fp_ieee_underflow 0
		.amdhsa_exception_fp_ieee_inexact 0
		.amdhsa_exception_int_div_zero 0
	.end_amdhsa_kernel
	.section	.text._ZL22rocblas_gemvtsm_kernelILb0ELi256EPKDF16_PKfKPfEviiT2_lPKT1_lilS9_lilS6_lPT3_lil,"axG",@progbits,_ZL22rocblas_gemvtsm_kernelILb0ELi256EPKDF16_PKfKPfEviiT2_lPKT1_lilS9_lilS6_lPT3_lil,comdat
.Lfunc_end518:
	.size	_ZL22rocblas_gemvtsm_kernelILb0ELi256EPKDF16_PKfKPfEviiT2_lPKT1_lilS9_lilS6_lPT3_lil, .Lfunc_end518-_ZL22rocblas_gemvtsm_kernelILb0ELi256EPKDF16_PKfKPfEviiT2_lPKT1_lilS9_lilS6_lPT3_lil
                                        ; -- End function
	.set _ZL22rocblas_gemvtsm_kernelILb0ELi256EPKDF16_PKfKPfEviiT2_lPKT1_lilS9_lilS6_lPT3_lil.num_vgpr, 22
	.set _ZL22rocblas_gemvtsm_kernelILb0ELi256EPKDF16_PKfKPfEviiT2_lPKT1_lilS9_lilS6_lPT3_lil.num_agpr, 0
	.set _ZL22rocblas_gemvtsm_kernelILb0ELi256EPKDF16_PKfKPfEviiT2_lPKT1_lilS9_lilS6_lPT3_lil.numbered_sgpr, 22
	.set _ZL22rocblas_gemvtsm_kernelILb0ELi256EPKDF16_PKfKPfEviiT2_lPKT1_lilS9_lilS6_lPT3_lil.num_named_barrier, 0
	.set _ZL22rocblas_gemvtsm_kernelILb0ELi256EPKDF16_PKfKPfEviiT2_lPKT1_lilS9_lilS6_lPT3_lil.private_seg_size, 0
	.set _ZL22rocblas_gemvtsm_kernelILb0ELi256EPKDF16_PKfKPfEviiT2_lPKT1_lilS9_lilS6_lPT3_lil.uses_vcc, 1
	.set _ZL22rocblas_gemvtsm_kernelILb0ELi256EPKDF16_PKfKPfEviiT2_lPKT1_lilS9_lilS6_lPT3_lil.uses_flat_scratch, 0
	.set _ZL22rocblas_gemvtsm_kernelILb0ELi256EPKDF16_PKfKPfEviiT2_lPKT1_lilS9_lilS6_lPT3_lil.has_dyn_sized_stack, 0
	.set _ZL22rocblas_gemvtsm_kernelILb0ELi256EPKDF16_PKfKPfEviiT2_lPKT1_lilS9_lilS6_lPT3_lil.has_recursion, 0
	.set _ZL22rocblas_gemvtsm_kernelILb0ELi256EPKDF16_PKfKPfEviiT2_lPKT1_lilS9_lilS6_lPT3_lil.has_indirect_call, 0
	.section	.AMDGPU.csdata,"",@progbits
; Kernel info:
; codeLenInByte = 1548
; TotalNumSgprs: 24
; NumVgprs: 22
; ScratchSize: 0
; MemoryBound: 0
; FloatMode: 240
; IeeeMode: 1
; LDSByteSize: 256 bytes/workgroup (compile time only)
; SGPRBlocks: 0
; VGPRBlocks: 2
; NumSGPRsForWavesPerEU: 24
; NumVGPRsForWavesPerEU: 22
; Occupancy: 16
; WaveLimiterHint : 1
; COMPUTE_PGM_RSRC2:SCRATCH_EN: 0
; COMPUTE_PGM_RSRC2:USER_SGPR: 2
; COMPUTE_PGM_RSRC2:TRAP_HANDLER: 0
; COMPUTE_PGM_RSRC2:TGID_X_EN: 1
; COMPUTE_PGM_RSRC2:TGID_Y_EN: 0
; COMPUTE_PGM_RSRC2:TGID_Z_EN: 0
; COMPUTE_PGM_RSRC2:TIDIG_COMP_CNT: 0
	.section	.text._ZL22rocblas_gemvtsm_kernelILb0ELi256EPKDF16_fKPfEviiT2_lPKT1_lilS7_lilS4_lPT3_lil,"axG",@progbits,_ZL22rocblas_gemvtsm_kernelILb0ELi256EPKDF16_fKPfEviiT2_lPKT1_lilS7_lilS4_lPT3_lil,comdat
	.globl	_ZL22rocblas_gemvtsm_kernelILb0ELi256EPKDF16_fKPfEviiT2_lPKT1_lilS7_lilS4_lPT3_lil ; -- Begin function _ZL22rocblas_gemvtsm_kernelILb0ELi256EPKDF16_fKPfEviiT2_lPKT1_lilS7_lilS4_lPT3_lil
	.p2align	8
	.type	_ZL22rocblas_gemvtsm_kernelILb0ELi256EPKDF16_fKPfEviiT2_lPKT1_lilS7_lilS4_lPT3_lil,@function
_ZL22rocblas_gemvtsm_kernelILb0ELi256EPKDF16_fKPfEviiT2_lPKT1_lilS7_lilS4_lPT3_lil: ; @_ZL22rocblas_gemvtsm_kernelILb0ELi256EPKDF16_fKPfEviiT2_lPKT1_lilS7_lilS4_lPT3_lil
; %bb.0:
	s_clause 0x1
	s_load_b96 s[8:10], s[0:1], 0x0
	s_load_b32 s11, s[0:1], 0x58
	s_mov_b32 s5, 0
	s_wait_kmcnt 0x0
	s_cmp_eq_f32 s10, 0
	s_cselect_b32 s2, -1, 0
	s_cmp_eq_f32 s11, 1.0
	s_cselect_b32 s3, -1, 0
	s_delay_alu instid0(SALU_CYCLE_1) | instskip(NEXT) | instid1(SALU_CYCLE_1)
	s_and_b32 s2, s2, s3
	s_and_b32 vcc_lo, exec_lo, s2
	s_cbranch_vccnz .LBB519_40
; %bb.1:
	s_cmp_neq_f32 s10, 0
	s_mov_b32 s4, ttmp9
	s_cselect_b32 s6, -1, 0
	s_cmp_eq_f32 s10, 0
	s_cselect_b32 s16, -1, 0
	s_and_b32 vcc_lo, exec_lo, s6
	s_cbranch_vccnz .LBB519_3
; %bb.2:
	s_mov_b32 s3, 0
	s_mov_b32 s2, ttmp9
	s_mov_b32 s7, s3
	s_mov_b64 s[14:15], 0
	s_and_not1_b32 vcc_lo, exec_lo, s7
	s_mov_b64 s[12:13], 0
	s_cbranch_vccz .LBB519_4
	s_branch .LBB519_5
.LBB519_3:
	s_mov_b64 s[2:3], s[4:5]
	s_mov_b64 s[14:15], 0
	;; [unrolled: 1-line block ×3, first 2 shown]
.LBB519_4:
	s_load_b128 s[20:23], s[0:1], 0x18
	s_lshl_b64 s[4:5], s[4:5], 3
	s_wait_kmcnt 0x0
	s_add_nc_u64 s[4:5], s[20:21], s[4:5]
	s_lshl_b64 s[12:13], s[22:23], 1
	s_load_b64 s[4:5], s[4:5], 0x0
	s_wait_kmcnt 0x0
	s_add_nc_u64 s[12:13], s[4:5], s[12:13]
.LBB519_5:
	s_and_not1_b32 vcc_lo, exec_lo, s6
	s_cbranch_vccnz .LBB519_7
; %bb.6:
	s_load_b128 s[4:7], s[0:1], 0x38
	s_lshl_b64 s[14:15], s[2:3], 3
	s_wait_kmcnt 0x0
	s_add_nc_u64 s[4:5], s[4:5], s[14:15]
	s_lshl_b64 s[6:7], s[6:7], 1
	s_load_b64 s[4:5], s[4:5], 0x0
	s_wait_kmcnt 0x0
	s_add_nc_u64 s[14:15], s[4:5], s[6:7]
.LBB519_7:
	s_load_b128 s[4:7], s[0:1], 0x68
	s_lshl_b64 s[18:19], s[2:3], 3
	s_load_b32 s2, s[0:1], 0x78
	s_and_not1_b32 vcc_lo, exec_lo, s16
	s_mov_b32 s3, -1
	s_wait_kmcnt 0x0
	s_add_nc_u64 s[4:5], s[4:5], s[18:19]
	s_load_b64 s[4:5], s[4:5], 0x0
	s_cbranch_vccnz .LBB519_22
; %bb.8:
	s_cmp_gt_i32 s9, 0
	s_cselect_b32 s18, -1, 0
	s_cmp_neq_f32 s11, 0
	v_cndmask_b32_e64 v1, 0, 1, s18
	s_delay_alu instid0(VALU_DEP_1)
	v_cmp_ne_u32_e32 vcc_lo, 1, v1
	s_cbranch_scc1 .LBB519_15
; %bb.9:
	s_and_b32 vcc_lo, exec_lo, vcc_lo
	s_cbranch_vccnz .LBB519_14
; %bb.10:
	v_mad_co_i64_i32 v[1:2], null, s2, v0, 0
	s_lshl_b64 s[16:17], s[6:7], 2
	v_mov_b32_e32 v3, 0
	s_wait_kmcnt 0x0
	s_add_nc_u64 s[16:17], s[4:5], s[16:17]
	s_ashr_i32 s3, s2, 31
	v_lshlrev_b64_e32 v[1:2], 2, v[1:2]
	s_delay_alu instid0(VALU_DEP_1) | instskip(NEXT) | instid1(VALU_DEP_1)
	v_add_co_u32 v1, vcc_lo, s16, v1
	v_add_co_ci_u32_e64 v2, null, s17, v2, vcc_lo
	s_wait_alu 0xfffe
	s_lshl_b64 s[16:17], s[2:3], 10
	s_mov_b32 s3, 0
	s_branch .LBB519_12
.LBB519_11:                             ;   in Loop: Header=BB519_12 Depth=1
	s_wait_alu 0xfffe
	s_or_b32 exec_lo, exec_lo, s19
	v_add_co_u32 v1, vcc_lo, v1, s16
	s_wait_alu 0xfffd
	v_add_co_ci_u32_e64 v2, null, s17, v2, vcc_lo
	s_addk_co_i32 s3, 0x100
	s_wait_alu 0xfffe
	s_cmp_ge_i32 s3, s9
	s_cbranch_scc1 .LBB519_14
.LBB519_12:                             ; =>This Inner Loop Header: Depth=1
	s_wait_alu 0xfffe
	v_add_nc_u32_e32 v4, s3, v0
	s_mov_b32 s19, exec_lo
	s_delay_alu instid0(VALU_DEP_1)
	v_cmpx_gt_i32_e64 s9, v4
	s_cbranch_execz .LBB519_11
; %bb.13:                               ;   in Loop: Header=BB519_12 Depth=1
	flat_store_b32 v[1:2], v3
	s_branch .LBB519_11
.LBB519_14:
	s_mov_b32 s3, 0
.LBB519_15:
	s_wait_alu 0xfffe
	s_and_not1_b32 vcc_lo, exec_lo, s3
	s_wait_alu 0xfffe
	s_cbranch_vccnz .LBB519_21
; %bb.16:
	s_and_not1_b32 vcc_lo, exec_lo, s18
	s_wait_alu 0xfffe
	s_cbranch_vccnz .LBB519_21
; %bb.17:
	v_mad_co_i64_i32 v[1:2], null, s2, v0, 0
	s_lshl_b64 s[16:17], s[6:7], 2
	s_ashr_i32 s3, s2, 31
	s_wait_kmcnt 0x0
	s_wait_alu 0xfffe
	s_add_nc_u64 s[16:17], s[4:5], s[16:17]
	v_lshlrev_b64_e32 v[1:2], 2, v[1:2]
	s_wait_alu 0xfffe
	s_delay_alu instid0(VALU_DEP_1) | instskip(SKIP_1) | instid1(VALU_DEP_2)
	v_add_co_u32 v1, vcc_lo, s16, v1
	s_wait_alu 0xfffd
	v_add_co_ci_u32_e64 v2, null, s17, v2, vcc_lo
	s_lshl_b64 s[16:17], s[2:3], 10
	s_mov_b32 s3, 0
	s_branch .LBB519_19
.LBB519_18:                             ;   in Loop: Header=BB519_19 Depth=1
	s_wait_alu 0xfffe
	s_or_b32 exec_lo, exec_lo, s18
	v_add_co_u32 v1, vcc_lo, v1, s16
	s_wait_alu 0xfffd
	v_add_co_ci_u32_e64 v2, null, s17, v2, vcc_lo
	s_addk_co_i32 s3, 0x100
	s_wait_alu 0xfffe
	s_cmp_ge_i32 s3, s9
	s_cbranch_scc1 .LBB519_21
.LBB519_19:                             ; =>This Inner Loop Header: Depth=1
	s_wait_alu 0xfffe
	v_add_nc_u32_e32 v3, s3, v0
	s_mov_b32 s18, exec_lo
	s_delay_alu instid0(VALU_DEP_1)
	v_cmpx_gt_i32_e64 s9, v3
	s_cbranch_execz .LBB519_18
; %bb.20:                               ;   in Loop: Header=BB519_19 Depth=1
	flat_load_b32 v3, v[1:2]
	s_wait_loadcnt_dscnt 0x0
	v_mul_f32_e32 v3, s11, v3
	flat_store_b32 v[1:2], v3
	s_branch .LBB519_18
.LBB519_21:
	s_mov_b32 s3, 0
.LBB519_22:
	s_wait_alu 0xfffe
	s_and_not1_b32 vcc_lo, exec_lo, s3
	s_wait_alu 0xfffe
	s_cbranch_vccnz .LBB519_40
; %bb.23:
	s_mov_b32 s3, exec_lo
	v_cmpx_gt_i32_e64 s8, v0
	s_cbranch_execz .LBB519_25
; %bb.24:
	s_load_b32 s16, s[0:1], 0x48
	s_wait_kmcnt 0x0
	v_mad_co_i64_i32 v[1:2], null, s16, v0, 0
	s_delay_alu instid0(VALU_DEP_1) | instskip(NEXT) | instid1(VALU_DEP_1)
	v_lshlrev_b64_e32 v[1:2], 1, v[1:2]
	v_add_co_u32 v1, vcc_lo, s14, v1
	s_wait_alu 0xfffd
	s_delay_alu instid0(VALU_DEP_2) | instskip(SKIP_4) | instid1(VALU_DEP_1)
	v_add_co_ci_u32_e64 v2, null, s15, v2, vcc_lo
	flat_load_u16 v1, v[1:2]
	v_lshlrev_b32_e32 v2, 2, v0
	s_wait_loadcnt_dscnt 0x0
	v_cvt_f32_f16_e32 v1, v1
	v_mul_f32_e32 v1, s10, v1
	ds_store_b32 v2, v1
.LBB519_25:
	s_wait_alu 0xfffe
	s_or_b32 exec_lo, exec_lo, s3
	s_cmp_lt_i32 s9, 1
	s_wait_storecnt_dscnt 0x0
	s_barrier_signal -1
	s_barrier_wait -1
	global_inv scope:SCOPE_SE
	s_cbranch_scc1 .LBB519_40
; %bb.26:
	s_load_b32 s16, s[0:1], 0x28
	s_lshl_b64 s[0:1], s[6:7], 2
	s_ashr_i32 s3, s2, 31
	s_wait_kmcnt 0x0
	s_add_nc_u64 s[0:1], s[4:5], s[0:1]
	v_mad_co_i64_i32 v[1:2], null, s16, v0, 0
	s_ashr_i32 s17, s16, 31
	s_cmp_neq_f32 s11, 0
	s_cselect_b32 s6, -1, 0
	v_lshlrev_b64_e32 v[1:2], 1, v[1:2]
	s_cmp_gt_i32 s8, 0
	s_cselect_b32 s7, -1, 0
	s_and_b32 s10, s8, 7
	s_cmp_gt_u32 s8, 7
	s_delay_alu instid0(VALU_DEP_1)
	v_add_co_u32 v7, vcc_lo, s12, v1
	s_wait_alu 0xfffd
	v_add_co_ci_u32_e64 v8, null, s13, v2, vcc_lo
	s_cselect_b32 s14, -1, 0
	v_add_co_u32 v1, vcc_lo, v7, 14
	s_and_b32 s8, s8, 0x7ffffff8
	s_wait_alu 0xfffd
	v_add_co_ci_u32_e64 v2, null, 0, v8, vcc_lo
	s_wait_alu 0xfffe
	s_cmp_lg_u32 s10, 0
	s_mov_b32 s13, 0
	s_cselect_b32 s12, -1, 0
	s_lshl_b64 s[4:5], s[16:17], 9
	s_branch .LBB519_29
.LBB519_27:                             ;   in Loop: Header=BB519_29 Depth=1
	v_add_co_u32 v3, vcc_lo, s0, v3
	s_wait_alu 0xfffd
	v_add_co_ci_u32_e64 v4, null, s1, v4, vcc_lo
	flat_store_b32 v[3:4], v9
.LBB519_28:                             ;   in Loop: Header=BB519_29 Depth=1
	s_wait_alu 0xfffe
	s_or_b32 exec_lo, exec_lo, s15
	v_add_co_u32 v1, vcc_lo, v1, s4
	s_wait_alu 0xfffd
	v_add_co_ci_u32_e64 v2, null, s5, v2, vcc_lo
	v_add_co_u32 v7, vcc_lo, v7, s4
	s_wait_alu 0xfffd
	v_add_co_ci_u32_e64 v8, null, s5, v8, vcc_lo
	s_addk_co_i32 s13, 0x100
	s_wait_alu 0xfffe
	s_cmp_ge_i32 s13, s9
	s_cbranch_scc1 .LBB519_40
.LBB519_29:                             ; =>This Loop Header: Depth=1
                                        ;     Child Loop BB519_35 Depth 2
                                        ;     Child Loop BB519_39 Depth 2
	s_wait_alu 0xfffe
	v_add_nc_u32_e32 v3, s13, v0
	s_mov_b32 s15, exec_lo
	s_delay_alu instid0(VALU_DEP_1)
	v_cmpx_gt_i32_e64 s9, v3
	s_cbranch_execz .LBB519_28
; %bb.30:                               ;   in Loop: Header=BB519_29 Depth=1
	v_mad_co_u64_u32 v[4:5], null, v3, s2, 0
	s_and_not1_b32 vcc_lo, exec_lo, s6
	v_mad_co_u64_u32 v[5:6], null, v3, s3, v[5:6]
	s_delay_alu instid0(VALU_DEP_1)
	v_lshlrev_b64_e32 v[3:4], 2, v[4:5]
	s_wait_alu 0xfffe
	s_cbranch_vccnz .LBB519_32
; %bb.31:                               ;   in Loop: Header=BB519_29 Depth=1
	s_delay_alu instid0(VALU_DEP_1) | instskip(SKIP_1) | instid1(VALU_DEP_2)
	v_add_co_u32 v5, vcc_lo, s0, v3
	s_wait_alu 0xfffd
	v_add_co_ci_u32_e64 v6, null, s1, v4, vcc_lo
	flat_load_b32 v5, v[5:6]
	s_wait_loadcnt_dscnt 0x0
	v_mul_f32_e32 v9, s11, v5
	s_and_not1_b32 vcc_lo, exec_lo, s7
	s_wait_alu 0xfffe
	s_cbranch_vccz .LBB519_33
	s_branch .LBB519_27
.LBB519_32:                             ;   in Loop: Header=BB519_29 Depth=1
	v_mov_b32_e32 v9, 0
	s_and_not1_b32 vcc_lo, exec_lo, s7
	s_wait_alu 0xfffe
	s_cbranch_vccnz .LBB519_27
.LBB519_33:                             ;   in Loop: Header=BB519_29 Depth=1
	s_and_not1_b32 vcc_lo, exec_lo, s14
	s_mov_b32 s16, 0
	s_wait_alu 0xfffe
	s_cbranch_vccnz .LBB519_37
; %bb.34:                               ;   in Loop: Header=BB519_29 Depth=1
	v_dual_mov_b32 v6, v2 :: v_dual_mov_b32 v5, v1
	s_mov_b32 s17, 0
.LBB519_35:                             ;   Parent Loop BB519_29 Depth=1
                                        ; =>  This Inner Loop Header: Depth=2
	flat_load_b128 v[10:13], v[5:6] offset:-14
	v_mov_b32_e32 v18, s16
	v_add_co_u32 v5, vcc_lo, v5, 16
	s_wait_alu 0xfffd
	v_add_co_ci_u32_e64 v6, null, 0, v6, vcc_lo
	ds_load_b128 v[14:17], v18
	ds_load_b128 v[18:21], v18 offset:16
	s_wait_alu 0xfffe
	s_add_co_i32 s17, s17, 8
	s_add_co_i32 s16, s16, 32
	s_wait_alu 0xfffe
	s_cmp_eq_u32 s8, s17
	s_wait_loadcnt_dscnt 0x1
	v_fma_mix_f32 v9, v14, v10, v9 op_sel_hi:[0,1,0]
	s_delay_alu instid0(VALU_DEP_1) | instskip(NEXT) | instid1(VALU_DEP_1)
	v_fma_mix_f32 v9, v15, v10, v9 op_sel:[0,1,0] op_sel_hi:[0,1,0]
	v_fma_mix_f32 v9, v16, v11, v9 op_sel_hi:[0,1,0]
	s_delay_alu instid0(VALU_DEP_1) | instskip(SKIP_1) | instid1(VALU_DEP_1)
	v_fma_mix_f32 v9, v17, v11, v9 op_sel:[0,1,0] op_sel_hi:[0,1,0]
	s_wait_dscnt 0x0
	v_fma_mix_f32 v9, v18, v12, v9 op_sel_hi:[0,1,0]
	s_delay_alu instid0(VALU_DEP_1) | instskip(NEXT) | instid1(VALU_DEP_1)
	v_fma_mix_f32 v9, v19, v12, v9 op_sel:[0,1,0] op_sel_hi:[0,1,0]
	v_fma_mix_f32 v9, v20, v13, v9 op_sel_hi:[0,1,0]
	s_delay_alu instid0(VALU_DEP_1)
	v_fma_mix_f32 v9, v21, v13, v9 op_sel:[0,1,0] op_sel_hi:[0,1,0]
	s_cbranch_scc0 .LBB519_35
; %bb.36:                               ;   in Loop: Header=BB519_29 Depth=1
	s_mov_b32 s16, s8
.LBB519_37:                             ;   in Loop: Header=BB519_29 Depth=1
	s_and_not1_b32 vcc_lo, exec_lo, s12
	s_wait_alu 0xfffe
	s_cbranch_vccnz .LBB519_27
; %bb.38:                               ;   in Loop: Header=BB519_29 Depth=1
	s_lshl_b32 s17, s16, 1
	s_lshl_b32 s16, s16, 2
	s_wait_alu 0xfffe
	v_add_co_u32 v5, vcc_lo, v7, s17
	s_wait_alu 0xfffd
	v_add_co_ci_u32_e64 v6, null, 0, v8, vcc_lo
	s_mov_b32 s17, s10
.LBB519_39:                             ;   Parent Loop BB519_29 Depth=1
                                        ; =>  This Inner Loop Header: Depth=2
	flat_load_u16 v10, v[5:6]
	v_mov_b32_e32 v11, s16
	v_add_co_u32 v5, vcc_lo, v5, 2
	s_wait_alu 0xfffd
	v_add_co_ci_u32_e64 v6, null, 0, v6, vcc_lo
	ds_load_b32 v11, v11
	s_wait_alu 0xfffe
	s_add_co_i32 s17, s17, -1
	s_add_co_i32 s16, s16, 4
	s_wait_alu 0xfffe
	s_cmp_lg_u32 s17, 0
	s_wait_loadcnt_dscnt 0x0
	v_fma_mix_f32 v9, v11, v10, v9 op_sel_hi:[0,1,0]
	s_cbranch_scc1 .LBB519_39
	s_branch .LBB519_27
.LBB519_40:
	s_endpgm
	.section	.rodata,"a",@progbits
	.p2align	6, 0x0
	.amdhsa_kernel _ZL22rocblas_gemvtsm_kernelILb0ELi256EPKDF16_fKPfEviiT2_lPKT1_lilS7_lilS4_lPT3_lil
		.amdhsa_group_segment_fixed_size 256
		.amdhsa_private_segment_fixed_size 0
		.amdhsa_kernarg_size 136
		.amdhsa_user_sgpr_count 2
		.amdhsa_user_sgpr_dispatch_ptr 0
		.amdhsa_user_sgpr_queue_ptr 0
		.amdhsa_user_sgpr_kernarg_segment_ptr 1
		.amdhsa_user_sgpr_dispatch_id 0
		.amdhsa_user_sgpr_private_segment_size 0
		.amdhsa_wavefront_size32 1
		.amdhsa_uses_dynamic_stack 0
		.amdhsa_enable_private_segment 0
		.amdhsa_system_sgpr_workgroup_id_x 1
		.amdhsa_system_sgpr_workgroup_id_y 0
		.amdhsa_system_sgpr_workgroup_id_z 0
		.amdhsa_system_sgpr_workgroup_info 0
		.amdhsa_system_vgpr_workitem_id 0
		.amdhsa_next_free_vgpr 22
		.amdhsa_next_free_sgpr 24
		.amdhsa_reserve_vcc 1
		.amdhsa_float_round_mode_32 0
		.amdhsa_float_round_mode_16_64 0
		.amdhsa_float_denorm_mode_32 3
		.amdhsa_float_denorm_mode_16_64 3
		.amdhsa_fp16_overflow 0
		.amdhsa_workgroup_processor_mode 1
		.amdhsa_memory_ordered 1
		.amdhsa_forward_progress 1
		.amdhsa_inst_pref_size 13
		.amdhsa_round_robin_scheduling 0
		.amdhsa_exception_fp_ieee_invalid_op 0
		.amdhsa_exception_fp_denorm_src 0
		.amdhsa_exception_fp_ieee_div_zero 0
		.amdhsa_exception_fp_ieee_overflow 0
		.amdhsa_exception_fp_ieee_underflow 0
		.amdhsa_exception_fp_ieee_inexact 0
		.amdhsa_exception_int_div_zero 0
	.end_amdhsa_kernel
	.section	.text._ZL22rocblas_gemvtsm_kernelILb0ELi256EPKDF16_fKPfEviiT2_lPKT1_lilS7_lilS4_lPT3_lil,"axG",@progbits,_ZL22rocblas_gemvtsm_kernelILb0ELi256EPKDF16_fKPfEviiT2_lPKT1_lilS7_lilS4_lPT3_lil,comdat
.Lfunc_end519:
	.size	_ZL22rocblas_gemvtsm_kernelILb0ELi256EPKDF16_fKPfEviiT2_lPKT1_lilS7_lilS4_lPT3_lil, .Lfunc_end519-_ZL22rocblas_gemvtsm_kernelILb0ELi256EPKDF16_fKPfEviiT2_lPKT1_lilS7_lilS4_lPT3_lil
                                        ; -- End function
	.set _ZL22rocblas_gemvtsm_kernelILb0ELi256EPKDF16_fKPfEviiT2_lPKT1_lilS7_lilS4_lPT3_lil.num_vgpr, 22
	.set _ZL22rocblas_gemvtsm_kernelILb0ELi256EPKDF16_fKPfEviiT2_lPKT1_lilS7_lilS4_lPT3_lil.num_agpr, 0
	.set _ZL22rocblas_gemvtsm_kernelILb0ELi256EPKDF16_fKPfEviiT2_lPKT1_lilS7_lilS4_lPT3_lil.numbered_sgpr, 24
	.set _ZL22rocblas_gemvtsm_kernelILb0ELi256EPKDF16_fKPfEviiT2_lPKT1_lilS7_lilS4_lPT3_lil.num_named_barrier, 0
	.set _ZL22rocblas_gemvtsm_kernelILb0ELi256EPKDF16_fKPfEviiT2_lPKT1_lilS7_lilS4_lPT3_lil.private_seg_size, 0
	.set _ZL22rocblas_gemvtsm_kernelILb0ELi256EPKDF16_fKPfEviiT2_lPKT1_lilS7_lilS4_lPT3_lil.uses_vcc, 1
	.set _ZL22rocblas_gemvtsm_kernelILb0ELi256EPKDF16_fKPfEviiT2_lPKT1_lilS7_lilS4_lPT3_lil.uses_flat_scratch, 0
	.set _ZL22rocblas_gemvtsm_kernelILb0ELi256EPKDF16_fKPfEviiT2_lPKT1_lilS7_lilS4_lPT3_lil.has_dyn_sized_stack, 0
	.set _ZL22rocblas_gemvtsm_kernelILb0ELi256EPKDF16_fKPfEviiT2_lPKT1_lilS7_lilS4_lPT3_lil.has_recursion, 0
	.set _ZL22rocblas_gemvtsm_kernelILb0ELi256EPKDF16_fKPfEviiT2_lPKT1_lilS7_lilS4_lPT3_lil.has_indirect_call, 0
	.section	.AMDGPU.csdata,"",@progbits
; Kernel info:
; codeLenInByte = 1552
; TotalNumSgprs: 26
; NumVgprs: 22
; ScratchSize: 0
; MemoryBound: 0
; FloatMode: 240
; IeeeMode: 1
; LDSByteSize: 256 bytes/workgroup (compile time only)
; SGPRBlocks: 0
; VGPRBlocks: 2
; NumSGPRsForWavesPerEU: 26
; NumVGPRsForWavesPerEU: 22
; Occupancy: 16
; WaveLimiterHint : 1
; COMPUTE_PGM_RSRC2:SCRATCH_EN: 0
; COMPUTE_PGM_RSRC2:USER_SGPR: 2
; COMPUTE_PGM_RSRC2:TRAP_HANDLER: 0
; COMPUTE_PGM_RSRC2:TGID_X_EN: 1
; COMPUTE_PGM_RSRC2:TGID_Y_EN: 0
; COMPUTE_PGM_RSRC2:TGID_Z_EN: 0
; COMPUTE_PGM_RSRC2:TIDIG_COMP_CNT: 0
	.section	.text._ZL23rocblas_gemvt_sn_reduceILi256ELi8EfPKfKPfEviT2_lPT3_lilPT1_i,"axG",@progbits,_ZL23rocblas_gemvt_sn_reduceILi256ELi8EfPKfKPfEviT2_lPT3_lilPT1_i,comdat
	.globl	_ZL23rocblas_gemvt_sn_reduceILi256ELi8EfPKfKPfEviT2_lPT3_lilPT1_i ; -- Begin function _ZL23rocblas_gemvt_sn_reduceILi256ELi8EfPKfKPfEviT2_lPT3_lilPT1_i
	.p2align	8
	.type	_ZL23rocblas_gemvt_sn_reduceILi256ELi8EfPKfKPfEviT2_lPT3_lilPT1_i,@function
_ZL23rocblas_gemvt_sn_reduceILi256ELi8EfPKfKPfEviT2_lPT3_lilPT1_i: ; @_ZL23rocblas_gemvt_sn_reduceILi256ELi8EfPKfKPfEviT2_lPT3_lilPT1_i
; %bb.0:
	s_load_b32 s7, s[0:1], 0x40
	s_lshr_b32 s16, ttmp7, 16
	s_wait_kmcnt 0x0
	s_cmp_ge_u32 s16, s7
	s_cbranch_scc1 .LBB520_21
; %bb.1:
	s_clause 0x5
	s_load_b32 s18, s[0:1], 0x0
	s_load_b32 s28, s[0:1], 0x4c
	;; [unrolled: 1-line block ×4, first 2 shown]
	s_load_b64 s[20:21], s[0:1], 0x38
	s_load_b256 s[8:15], s[0:1], 0x8
	v_mbcnt_lo_u32_b32 v4, -1, 0
	v_and_b32_e32 v3, 31, v0
	v_dual_mov_b32 v2, 0 :: v_dual_lshlrev_b32 v9, 3, v0
	v_cmp_gt_u32_e64 s0, 32, v0
	s_delay_alu instid0(VALU_DEP_4) | instskip(NEXT) | instid1(VALU_DEP_4)
	v_cmp_gt_u32_e32 vcc_lo, 24, v4
	v_lshlrev_b32_e32 v10, 2, v3
	v_cmp_eq_u32_e64 s3, 0, v3
	v_lshlrev_b32_e32 v3, 5, v0
	v_cmp_gt_u32_e64 s4, 8, v0
	v_cndmask_b32_e64 v5, 0, 8, vcc_lo
	v_cmp_gt_u32_e32 vcc_lo, 28, v4
	v_cmp_eq_u32_e64 s5, 0, v0
	v_lshl_or_b32 v11, v4, 2, 64
	s_wait_kmcnt 0x0
	s_ashr_i32 s19, s18, 31
	v_xad_u32 v1, v0, -1, s18
	s_wait_alu 0xfffd
	v_cndmask_b32_e64 v6, 0, 4, vcc_lo
	s_lshr_b32 s1, s19, 29
	v_cmp_gt_u32_e32 vcc_lo, 30, v4
	s_add_co_i32 s1, s18, s1
	s_and_b32 s6, s2, 0xffff
	s_and_b32 s29, s1, -8
	v_add_lshl_u32 v12, v5, v4, 2
	s_wait_alu 0xfffd
	v_cndmask_b32_e64 v7, 0, 2, vcc_lo
	v_cmp_ne_u32_e32 vcc_lo, 31, v4
	s_sub_co_i32 s2, s18, s29
	v_lshrrev_b32_e32 v5, 3, v0
	v_cmp_gt_u32_e64 s2, s2, v0
	v_add_co_u32 v0, s26, s20, v3
	s_wait_alu 0xfffd
	v_add_co_ci_u32_e64 v8, null, 0, v4, vcc_lo
	v_add_lshl_u32 v13, v6, v4, 2
	v_add_lshl_u32 v14, v7, v4, 2
	v_add_co_ci_u32_e64 v4, null, s21, 0, s26
	s_mov_b32 s17, 0
	v_add_co_u32 v3, vcc_lo, v0, 28
	s_and_b32 s22, ttmp7, 0xffff
	s_ashr_i32 s25, s24, 31
	s_mov_b32 s23, s17
	v_lshlrev_b64_e32 v[0:1], 2, v[1:2]
	v_cmp_gt_i32_e64 s1, s29, v9
	v_lshlrev_b32_e32 v15, 2, v8
	v_and_b32_e32 v16, 28, v5
	s_wait_alu 0xfffd
	v_add_co_ci_u32_e64 v4, null, 0, v4, vcc_lo
	s_mul_u64 s[26:27], s[24:25], s[22:23]
	s_mul_i32 s23, s16, s28
	s_lshl_b32 s30, s6, 3
	s_lshl_b64 s[24:25], s[18:19], 2
	s_add_co_i32 s23, s22, s23
	s_lshl_b32 s31, s28, 16
	s_lshl_b32 s33, s6, 5
	s_lshl_b64 s[14:15], s[14:15], 2
	s_wait_alu 0xfffe
	s_lshl_b64 s[26:27], s[26:27], 2
	s_branch .LBB520_4
.LBB520_2:                              ;   in Loop: Header=BB520_4 Depth=1
	s_wait_alu 0xfffe
	v_add_co_u32 v5, vcc_lo, v5, s26
	s_wait_alu 0xfffd
	v_add_co_ci_u32_e64 v6, null, s27, v6, vcc_lo
	s_wait_dscnt 0x0
	flat_store_b32 v[5:6], v7
.LBB520_3:                              ;   in Loop: Header=BB520_4 Depth=1
	s_wait_alu 0xfffe
	s_or_b32 exec_lo, exec_lo, s34
	s_add_co_i32 s16, s16, 0x10000
	s_add_co_i32 s23, s23, s31
	s_cmp_lt_u32 s16, s7
	s_cbranch_scc0 .LBB520_21
.LBB520_4:                              ; =>This Loop Header: Depth=1
                                        ;     Child Loop BB520_14 Depth 2
	s_mul_u64 s[34:35], s[10:11], s[16:17]
	s_lshl_b64 s[36:37], s[16:17], 3
	s_wait_alu 0xfffe
	s_lshl_b64 s[34:35], s[34:35], 2
	s_add_nc_u64 s[36:37], s[12:13], s[36:37]
	s_wait_alu 0xfffe
	s_add_nc_u64 s[34:35], s[8:9], s[34:35]
	s_clause 0x1
	global_load_b64 v[5:6], v2, s[36:37]
	global_load_b32 v17, v2, s[34:35]
	v_mov_b32_e32 v18, 0
	s_and_saveexec_b32 s34, s1
	s_cbranch_execnz .LBB520_13
; %bb.5:                                ;   in Loop: Header=BB520_4 Depth=1
	s_wait_alu 0xfffe
	s_or_b32 exec_lo, exec_lo, s34
	s_and_saveexec_b32 s6, s2
	s_cbranch_execnz .LBB520_16
.LBB520_6:                              ;   in Loop: Header=BB520_4 Depth=1
	s_wait_alu 0xfffe
	s_or_b32 exec_lo, exec_lo, s6
	s_and_saveexec_b32 s6, s0
.LBB520_7:                              ;   in Loop: Header=BB520_4 Depth=1
	ds_store_b32 v10, v2
.LBB520_8:                              ;   in Loop: Header=BB520_4 Depth=1
	s_wait_alu 0xfffe
	s_or_b32 exec_lo, exec_lo, s6
	s_wait_dscnt 0x0
	ds_bpermute_b32 v7, v11, v18
	s_wait_loadcnt_dscnt 0x0
	s_barrier_signal -1
	s_barrier_wait -1
	global_inv scope:SCOPE_SE
	v_add_f32_e32 v7, v18, v7
	ds_bpermute_b32 v8, v12, v7
	s_wait_dscnt 0x0
	v_add_f32_e32 v7, v7, v8
	ds_bpermute_b32 v8, v13, v7
	s_wait_dscnt 0x0
	;; [unrolled: 3-line block ×3, first 2 shown]
	v_add_f32_e32 v7, v7, v8
	ds_bpermute_b32 v8, v15, v7
	s_and_saveexec_b32 s6, s3
	s_cbranch_execz .LBB520_10
; %bb.9:                                ;   in Loop: Header=BB520_4 Depth=1
	s_wait_dscnt 0x0
	v_add_f32_e32 v7, v7, v8
	ds_store_b32 v16, v7
.LBB520_10:                             ;   in Loop: Header=BB520_4 Depth=1
	s_wait_alu 0xfffe
	s_or_b32 exec_lo, exec_lo, s6
	v_mov_b32_e32 v7, 0
	s_wait_loadcnt_dscnt 0x0
	s_barrier_signal -1
	s_barrier_wait -1
	global_inv scope:SCOPE_SE
	s_and_saveexec_b32 s6, s4
	s_cbranch_execnz .LBB520_17
; %bb.11:                               ;   in Loop: Header=BB520_4 Depth=1
	s_wait_alu 0xfffe
	s_or_b32 exec_lo, exec_lo, s6
	s_and_saveexec_b32 s6, s0
	s_cbranch_execnz .LBB520_18
.LBB520_12:                             ;   in Loop: Header=BB520_4 Depth=1
	s_wait_alu 0xfffe
	s_or_b32 exec_lo, exec_lo, s6
	s_and_saveexec_b32 s34, s5
	s_cbranch_execz .LBB520_3
	s_branch .LBB520_19
.LBB520_13:                             ;   in Loop: Header=BB520_4 Depth=1
	s_wait_dscnt 0x0
	v_mad_co_u64_u32 v[7:8], null, s24, s23, v[3:4]
	v_mov_b32_e32 v18, 0
	s_mov_b32 s35, 0
	s_delay_alu instid0(VALU_DEP_2) | instskip(NEXT) | instid1(VALU_DEP_1)
	v_mad_co_u64_u32 v[19:20], null, s25, s23, v[8:9]
	v_dual_mov_b32 v8, v19 :: v_dual_mov_b32 v19, v9
.LBB520_14:                             ;   Parent Loop BB520_4 Depth=1
                                        ; =>  This Inner Loop Header: Depth=2
	s_clause 0x1
	global_load_b128 v[20:23], v[7:8], off offset:-28
	global_load_b128 v[24:27], v[7:8], off offset:-12
	v_add_co_u32 v7, vcc_lo, v7, s33
	s_wait_alu 0xfffd
	v_add_co_ci_u32_e64 v8, null, 0, v8, vcc_lo
	v_add_nc_u32_e32 v19, s30, v19
	s_delay_alu instid0(VALU_DEP_1) | instskip(SKIP_4) | instid1(VALU_DEP_1)
	v_cmp_le_i32_e64 s6, s29, v19
	s_wait_alu 0xfffe
	s_or_b32 s35, s6, s35
	s_wait_loadcnt 0x1
	v_add_f32_e32 v18, v18, v20
	v_add_f32_e32 v18, v18, v21
	s_delay_alu instid0(VALU_DEP_1) | instskip(NEXT) | instid1(VALU_DEP_1)
	v_add_f32_e32 v18, v18, v22
	v_add_f32_e32 v18, v18, v23
	s_wait_loadcnt 0x0
	s_delay_alu instid0(VALU_DEP_1) | instskip(NEXT) | instid1(VALU_DEP_1)
	v_add_f32_e32 v18, v18, v24
	v_add_f32_e32 v18, v18, v25
	s_delay_alu instid0(VALU_DEP_1) | instskip(NEXT) | instid1(VALU_DEP_1)
	v_add_f32_e32 v18, v18, v26
	v_add_f32_e32 v18, v18, v27
	s_wait_alu 0xfffe
	s_and_not1_b32 exec_lo, exec_lo, s35
	s_cbranch_execnz .LBB520_14
; %bb.15:                               ;   in Loop: Header=BB520_4 Depth=1
	s_or_b32 exec_lo, exec_lo, s35
	s_delay_alu instid0(SALU_CYCLE_1)
	s_or_b32 exec_lo, exec_lo, s34
	s_and_saveexec_b32 s6, s2
	s_cbranch_execz .LBB520_6
.LBB520_16:                             ;   in Loop: Header=BB520_4 Depth=1
	s_mul_i32 s34, s28, s16
	s_mov_b32 s35, s17
	s_wait_alu 0xfffe
	s_add_co_i32 s34, s34, s22
	s_wait_alu 0xfffe
	s_mul_u64 s[34:35], s[34:35], s[18:19]
	s_wait_alu 0xfffe
	s_lshl_b64 s[34:35], s[34:35], 2
	s_wait_alu 0xfffe
	s_add_nc_u64 s[34:35], s[20:21], s[34:35]
	s_wait_dscnt 0x0
	s_wait_alu 0xfffe
	v_add_co_u32 v7, vcc_lo, s34, v0
	s_wait_alu 0xfffd
	v_add_co_ci_u32_e64 v8, null, s35, v1, vcc_lo
	global_load_b32 v7, v[7:8], off
	s_wait_loadcnt 0x0
	v_add_f32_e32 v18, v18, v7
	s_or_b32 exec_lo, exec_lo, s6
	s_and_saveexec_b32 s6, s0
	s_cbranch_execnz .LBB520_7
	s_branch .LBB520_8
.LBB520_17:                             ;   in Loop: Header=BB520_4 Depth=1
	ds_load_b32 v7, v10
	s_wait_alu 0xfffe
	s_or_b32 exec_lo, exec_lo, s6
	s_and_saveexec_b32 s6, s0
	s_cbranch_execz .LBB520_12
.LBB520_18:                             ;   in Loop: Header=BB520_4 Depth=1
	s_wait_dscnt 0x0
	ds_bpermute_b32 v8, v13, v7
	s_wait_dscnt 0x0
	v_add_f32_e32 v7, v7, v8
	ds_bpermute_b32 v8, v14, v7
	s_wait_dscnt 0x0
	v_add_f32_e32 v7, v7, v8
	;; [unrolled: 3-line block ×3, first 2 shown]
	s_wait_alu 0xfffe
	s_or_b32 exec_lo, exec_lo, s6
	s_and_saveexec_b32 s34, s5
	s_cbranch_execz .LBB520_3
.LBB520_19:                             ;   in Loop: Header=BB520_4 Depth=1
	v_cmp_eq_f32_e32 vcc_lo, 0, v17
	v_add_co_u32 v5, s6, v5, s14
	s_wait_alu 0xf1ff
	v_add_co_ci_u32_e64 v6, null, s15, v6, s6
	s_cbranch_vccnz .LBB520_2
; %bb.20:                               ;   in Loop: Header=BB520_4 Depth=1
	s_wait_alu 0xfffe
	v_add_co_u32 v18, vcc_lo, v5, s26
	s_wait_alu 0xfffd
	v_add_co_ci_u32_e64 v19, null, s27, v6, vcc_lo
	flat_load_b32 v8, v[18:19]
	s_wait_loadcnt_dscnt 0x0
	v_fmac_f32_e32 v7, v17, v8
	s_branch .LBB520_2
.LBB520_21:
	s_endpgm
	.section	.rodata,"a",@progbits
	.p2align	6, 0x0
	.amdhsa_kernel _ZL23rocblas_gemvt_sn_reduceILi256ELi8EfPKfKPfEviT2_lPT3_lilPT1_i
		.amdhsa_group_segment_fixed_size 128
		.amdhsa_private_segment_fixed_size 0
		.amdhsa_kernarg_size 328
		.amdhsa_user_sgpr_count 2
		.amdhsa_user_sgpr_dispatch_ptr 0
		.amdhsa_user_sgpr_queue_ptr 0
		.amdhsa_user_sgpr_kernarg_segment_ptr 1
		.amdhsa_user_sgpr_dispatch_id 0
		.amdhsa_user_sgpr_private_segment_size 0
		.amdhsa_wavefront_size32 1
		.amdhsa_uses_dynamic_stack 0
		.amdhsa_enable_private_segment 0
		.amdhsa_system_sgpr_workgroup_id_x 1
		.amdhsa_system_sgpr_workgroup_id_y 1
		.amdhsa_system_sgpr_workgroup_id_z 1
		.amdhsa_system_sgpr_workgroup_info 0
		.amdhsa_system_vgpr_workitem_id 0
		.amdhsa_next_free_vgpr 28
		.amdhsa_next_free_sgpr 38
		.amdhsa_reserve_vcc 1
		.amdhsa_float_round_mode_32 0
		.amdhsa_float_round_mode_16_64 0
		.amdhsa_float_denorm_mode_32 3
		.amdhsa_float_denorm_mode_16_64 3
		.amdhsa_fp16_overflow 0
		.amdhsa_workgroup_processor_mode 1
		.amdhsa_memory_ordered 1
		.amdhsa_forward_progress 1
		.amdhsa_inst_pref_size 10
		.amdhsa_round_robin_scheduling 0
		.amdhsa_exception_fp_ieee_invalid_op 0
		.amdhsa_exception_fp_denorm_src 0
		.amdhsa_exception_fp_ieee_div_zero 0
		.amdhsa_exception_fp_ieee_overflow 0
		.amdhsa_exception_fp_ieee_underflow 0
		.amdhsa_exception_fp_ieee_inexact 0
		.amdhsa_exception_int_div_zero 0
	.end_amdhsa_kernel
	.section	.text._ZL23rocblas_gemvt_sn_reduceILi256ELi8EfPKfKPfEviT2_lPT3_lilPT1_i,"axG",@progbits,_ZL23rocblas_gemvt_sn_reduceILi256ELi8EfPKfKPfEviT2_lPT3_lilPT1_i,comdat
.Lfunc_end520:
	.size	_ZL23rocblas_gemvt_sn_reduceILi256ELi8EfPKfKPfEviT2_lPT3_lilPT1_i, .Lfunc_end520-_ZL23rocblas_gemvt_sn_reduceILi256ELi8EfPKfKPfEviT2_lPT3_lilPT1_i
                                        ; -- End function
	.set _ZL23rocblas_gemvt_sn_reduceILi256ELi8EfPKfKPfEviT2_lPT3_lilPT1_i.num_vgpr, 28
	.set _ZL23rocblas_gemvt_sn_reduceILi256ELi8EfPKfKPfEviT2_lPT3_lilPT1_i.num_agpr, 0
	.set _ZL23rocblas_gemvt_sn_reduceILi256ELi8EfPKfKPfEviT2_lPT3_lilPT1_i.numbered_sgpr, 38
	.set _ZL23rocblas_gemvt_sn_reduceILi256ELi8EfPKfKPfEviT2_lPT3_lilPT1_i.num_named_barrier, 0
	.set _ZL23rocblas_gemvt_sn_reduceILi256ELi8EfPKfKPfEviT2_lPT3_lilPT1_i.private_seg_size, 0
	.set _ZL23rocblas_gemvt_sn_reduceILi256ELi8EfPKfKPfEviT2_lPT3_lilPT1_i.uses_vcc, 1
	.set _ZL23rocblas_gemvt_sn_reduceILi256ELi8EfPKfKPfEviT2_lPT3_lilPT1_i.uses_flat_scratch, 0
	.set _ZL23rocblas_gemvt_sn_reduceILi256ELi8EfPKfKPfEviT2_lPT3_lilPT1_i.has_dyn_sized_stack, 0
	.set _ZL23rocblas_gemvt_sn_reduceILi256ELi8EfPKfKPfEviT2_lPT3_lilPT1_i.has_recursion, 0
	.set _ZL23rocblas_gemvt_sn_reduceILi256ELi8EfPKfKPfEviT2_lPT3_lilPT1_i.has_indirect_call, 0
	.section	.AMDGPU.csdata,"",@progbits
; Kernel info:
; codeLenInByte = 1256
; TotalNumSgprs: 40
; NumVgprs: 28
; ScratchSize: 0
; MemoryBound: 0
; FloatMode: 240
; IeeeMode: 1
; LDSByteSize: 128 bytes/workgroup (compile time only)
; SGPRBlocks: 0
; VGPRBlocks: 3
; NumSGPRsForWavesPerEU: 40
; NumVGPRsForWavesPerEU: 28
; Occupancy: 16
; WaveLimiterHint : 1
; COMPUTE_PGM_RSRC2:SCRATCH_EN: 0
; COMPUTE_PGM_RSRC2:USER_SGPR: 2
; COMPUTE_PGM_RSRC2:TRAP_HANDLER: 0
; COMPUTE_PGM_RSRC2:TGID_X_EN: 1
; COMPUTE_PGM_RSRC2:TGID_Y_EN: 1
; COMPUTE_PGM_RSRC2:TGID_Z_EN: 1
; COMPUTE_PGM_RSRC2:TIDIG_COMP_CNT: 0
	.section	.text._ZL23rocblas_gemvt_sn_reduceILi256ELi8EffKPfEviT2_lPT3_lilPT1_i,"axG",@progbits,_ZL23rocblas_gemvt_sn_reduceILi256ELi8EffKPfEviT2_lPT3_lilPT1_i,comdat
	.globl	_ZL23rocblas_gemvt_sn_reduceILi256ELi8EffKPfEviT2_lPT3_lilPT1_i ; -- Begin function _ZL23rocblas_gemvt_sn_reduceILi256ELi8EffKPfEviT2_lPT3_lilPT1_i
	.p2align	8
	.type	_ZL23rocblas_gemvt_sn_reduceILi256ELi8EffKPfEviT2_lPT3_lilPT1_i,@function
_ZL23rocblas_gemvt_sn_reduceILi256ELi8EffKPfEviT2_lPT3_lilPT1_i: ; @_ZL23rocblas_gemvt_sn_reduceILi256ELi8EffKPfEviT2_lPT3_lilPT1_i
; %bb.0:
	s_load_b32 s24, s[0:1], 0x38
	s_lshr_b32 s12, ttmp7, 16
	s_wait_kmcnt 0x0
	s_cmp_ge_u32 s12, s24
	s_cbranch_scc1 .LBB521_21
; %bb.1:
	s_clause 0x5
	s_load_b32 s25, s[0:1], 0x44
	s_load_b32 s2, s[0:1], 0x4c
	;; [unrolled: 1-line block ×3, first 2 shown]
	s_load_b64 s[6:7], s[0:1], 0x0
	s_load_b64 s[14:15], s[0:1], 0x30
	s_load_b128 s[8:11], s[0:1], 0x10
	v_mbcnt_lo_u32_b32 v4, -1, 0
	v_and_b32_e32 v3, 31, v0
	v_dual_mov_b32 v2, 0 :: v_dual_lshlrev_b32 v9, 3, v0
	v_cmp_gt_u32_e64 s0, 32, v0
	s_delay_alu instid0(VALU_DEP_4) | instskip(NEXT) | instid1(VALU_DEP_4)
	v_cmp_gt_u32_e32 vcc_lo, 24, v4
	v_lshlrev_b32_e32 v10, 2, v3
	v_cmp_eq_u32_e64 s3, 0, v3
	v_lshlrev_b32_e32 v3, 5, v0
	v_cmp_gt_u32_e64 s4, 8, v0
	v_cndmask_b32_e64 v5, 0, 8, vcc_lo
	v_cmp_gt_u32_e32 vcc_lo, 28, v4
	v_cmp_eq_u32_e64 s5, 0, v0
	v_lshl_or_b32 v11, v4, 2, 64
	s_mov_b32 s13, 0
	s_wait_kmcnt 0x0
	s_and_b32 s30, s2, 0xffff
	s_wait_alu 0xfffd
	v_cndmask_b32_e64 v6, 0, 4, vcc_lo
	s_ashr_i32 s19, s6, 31
	v_cmp_gt_u32_e32 vcc_lo, 30, v4
	s_lshr_b32 s1, s19, 29
	s_mov_b32 s18, s6
	s_add_co_i32 s1, s6, s1
	v_xad_u32 v1, v0, -1, s6
	s_and_b32 s26, s1, -8
	s_wait_alu 0xfffd
	v_cndmask_b32_e64 v7, 0, 2, vcc_lo
	v_cmp_ne_u32_e32 vcc_lo, 31, v4
	s_sub_co_i32 s2, s6, s26
	v_add_lshl_u32 v12, v5, v4, 2
	v_cmp_gt_u32_e64 s2, s2, v0
	v_lshrrev_b32_e32 v5, 3, v0
	v_add_co_u32 v0, s6, s14, v3
	s_wait_alu 0xfffd
	v_add_co_ci_u32_e64 v8, null, 0, v4, vcc_lo
	v_add_lshl_u32 v13, v6, v4, 2
	v_add_lshl_u32 v14, v7, v4, 2
	s_wait_alu 0xf1ff
	v_add_co_ci_u32_e64 v4, null, s15, 0, s6
	s_and_b32 s16, ttmp7, 0xffff
	s_ashr_i32 s21, s20, 31
	s_lshl_b32 s27, s30, 3
	v_add_co_u32 v3, vcc_lo, v0, 28
	s_cmp_neq_f32 s7, 0
	s_mov_b32 s17, s13
	v_lshlrev_b64_e32 v[0:1], 2, v[1:2]
	v_cmp_gt_i32_e64 s1, s26, v9
	v_lshlrev_b32_e32 v15, 2, v8
	v_and_b32_e32 v16, 28, v5
	s_wait_alu 0xfffd
	v_add_co_ci_u32_e64 v4, null, 0, v4, vcc_lo
	s_mul_u64 s[22:23], s[20:21], s[16:17]
	s_mul_i32 s6, s12, s25
	s_cselect_b32 s28, -1, 0
	s_lshl_b64 s[20:21], s[18:19], 2
	s_wait_alu 0xfffe
	s_add_co_i32 s17, s16, s6
	s_lshl_b32 s29, s25, 16
	s_lshl_b32 s30, s30, 5
	s_lshl_b64 s[10:11], s[10:11], 2
	s_lshl_b64 s[22:23], s[22:23], 2
	s_branch .LBB521_4
.LBB521_2:                              ;   in Loop: Header=BB521_4 Depth=1
	v_add_co_u32 v5, vcc_lo, v5, s22
	s_wait_alu 0xfffd
	v_add_co_ci_u32_e64 v6, null, s23, v6, vcc_lo
	s_wait_dscnt 0x0
	flat_store_b32 v[5:6], v7
.LBB521_3:                              ;   in Loop: Header=BB521_4 Depth=1
	s_wait_alu 0xfffe
	s_or_b32 exec_lo, exec_lo, s6
	s_add_co_i32 s12, s12, 0x10000
	s_add_co_i32 s17, s17, s29
	s_cmp_lt_u32 s12, s24
	s_cbranch_scc0 .LBB521_21
.LBB521_4:                              ; =>This Loop Header: Depth=1
                                        ;     Child Loop BB521_14 Depth 2
	s_lshl_b64 s[34:35], s[12:13], 3
	v_mov_b32_e32 v17, 0
	s_wait_alu 0xfffe
	s_add_nc_u64 s[34:35], s[8:9], s[34:35]
	global_load_b64 v[5:6], v2, s[34:35]
	s_and_saveexec_b32 s31, s1
	s_cbranch_execnz .LBB521_13
; %bb.5:                                ;   in Loop: Header=BB521_4 Depth=1
	s_wait_alu 0xfffe
	s_or_b32 exec_lo, exec_lo, s31
	s_and_saveexec_b32 s6, s2
	s_cbranch_execnz .LBB521_16
.LBB521_6:                              ;   in Loop: Header=BB521_4 Depth=1
	s_wait_alu 0xfffe
	s_or_b32 exec_lo, exec_lo, s6
	s_and_saveexec_b32 s6, s0
.LBB521_7:                              ;   in Loop: Header=BB521_4 Depth=1
	ds_store_b32 v10, v2
.LBB521_8:                              ;   in Loop: Header=BB521_4 Depth=1
	s_wait_alu 0xfffe
	s_or_b32 exec_lo, exec_lo, s6
	s_wait_dscnt 0x0
	ds_bpermute_b32 v7, v11, v17
	s_wait_loadcnt_dscnt 0x0
	s_barrier_signal -1
	s_barrier_wait -1
	global_inv scope:SCOPE_SE
	v_add_f32_e32 v7, v17, v7
	ds_bpermute_b32 v8, v12, v7
	s_wait_dscnt 0x0
	v_add_f32_e32 v7, v7, v8
	ds_bpermute_b32 v8, v13, v7
	s_wait_dscnt 0x0
	v_add_f32_e32 v7, v7, v8
	ds_bpermute_b32 v8, v14, v7
	s_wait_dscnt 0x0
	v_add_f32_e32 v7, v7, v8
	ds_bpermute_b32 v8, v15, v7
	s_and_saveexec_b32 s6, s3
	s_cbranch_execz .LBB521_10
; %bb.9:                                ;   in Loop: Header=BB521_4 Depth=1
	s_wait_dscnt 0x0
	v_add_f32_e32 v7, v7, v8
	ds_store_b32 v16, v7
.LBB521_10:                             ;   in Loop: Header=BB521_4 Depth=1
	s_wait_alu 0xfffe
	s_or_b32 exec_lo, exec_lo, s6
	v_mov_b32_e32 v7, 0
	s_wait_loadcnt_dscnt 0x0
	s_barrier_signal -1
	s_barrier_wait -1
	global_inv scope:SCOPE_SE
	s_and_saveexec_b32 s6, s4
	s_cbranch_execnz .LBB521_17
; %bb.11:                               ;   in Loop: Header=BB521_4 Depth=1
	s_wait_alu 0xfffe
	s_or_b32 exec_lo, exec_lo, s6
	s_and_saveexec_b32 s6, s0
	s_cbranch_execnz .LBB521_18
.LBB521_12:                             ;   in Loop: Header=BB521_4 Depth=1
	s_wait_alu 0xfffe
	s_or_b32 exec_lo, exec_lo, s6
	s_and_saveexec_b32 s6, s5
	s_cbranch_execz .LBB521_3
	s_branch .LBB521_19
.LBB521_13:                             ;   in Loop: Header=BB521_4 Depth=1
	s_wait_dscnt 0x0
	v_mad_co_u64_u32 v[7:8], null, s20, s17, v[3:4]
	s_mov_b32 s33, 0
	v_mad_co_u64_u32 v[18:19], null, s21, s17, v[8:9]
	s_delay_alu instid0(VALU_DEP_1)
	v_dual_mov_b32 v17, 0 :: v_dual_mov_b32 v8, v18
	v_mov_b32_e32 v18, v9
.LBB521_14:                             ;   Parent Loop BB521_4 Depth=1
                                        ; =>  This Inner Loop Header: Depth=2
	s_clause 0x1
	global_load_b128 v[19:22], v[7:8], off offset:-28
	global_load_b128 v[23:26], v[7:8], off offset:-12
	v_add_co_u32 v7, vcc_lo, v7, s30
	s_wait_alu 0xfffd
	v_add_co_ci_u32_e64 v8, null, 0, v8, vcc_lo
	v_add_nc_u32_e32 v18, s27, v18
	s_delay_alu instid0(VALU_DEP_1) | instskip(SKIP_3) | instid1(VALU_DEP_1)
	v_cmp_le_i32_e64 s6, s26, v18
	s_or_b32 s33, s6, s33
	s_wait_loadcnt 0x1
	v_add_f32_e32 v17, v17, v19
	v_add_f32_e32 v17, v17, v20
	s_delay_alu instid0(VALU_DEP_1) | instskip(NEXT) | instid1(VALU_DEP_1)
	v_add_f32_e32 v17, v17, v21
	v_add_f32_e32 v17, v17, v22
	s_wait_loadcnt 0x0
	s_delay_alu instid0(VALU_DEP_1) | instskip(NEXT) | instid1(VALU_DEP_1)
	v_add_f32_e32 v17, v17, v23
	v_add_f32_e32 v17, v17, v24
	s_delay_alu instid0(VALU_DEP_1) | instskip(NEXT) | instid1(VALU_DEP_1)
	v_add_f32_e32 v17, v17, v25
	v_add_f32_e32 v17, v17, v26
	s_and_not1_b32 exec_lo, exec_lo, s33
	s_cbranch_execnz .LBB521_14
; %bb.15:                               ;   in Loop: Header=BB521_4 Depth=1
	s_or_b32 exec_lo, exec_lo, s33
	s_wait_alu 0xfffe
	s_or_b32 exec_lo, exec_lo, s31
	s_and_saveexec_b32 s6, s2
	s_cbranch_execz .LBB521_6
.LBB521_16:                             ;   in Loop: Header=BB521_4 Depth=1
	s_mul_i32 s31, s25, s12
	s_mov_b32 s35, s13
	s_wait_alu 0xfffe
	s_add_co_i32 s34, s31, s16
	s_wait_alu 0xfffe
	s_mul_u64 s[34:35], s[34:35], s[18:19]
	s_wait_alu 0xfffe
	s_lshl_b64 s[34:35], s[34:35], 2
	s_wait_alu 0xfffe
	s_add_nc_u64 s[34:35], s[14:15], s[34:35]
	s_wait_dscnt 0x0
	s_wait_alu 0xfffe
	v_add_co_u32 v7, vcc_lo, s34, v0
	s_wait_alu 0xfffd
	v_add_co_ci_u32_e64 v8, null, s35, v1, vcc_lo
	global_load_b32 v7, v[7:8], off
	s_wait_loadcnt 0x0
	v_add_f32_e32 v17, v17, v7
	s_or_b32 exec_lo, exec_lo, s6
	s_and_saveexec_b32 s6, s0
	s_cbranch_execnz .LBB521_7
	s_branch .LBB521_8
.LBB521_17:                             ;   in Loop: Header=BB521_4 Depth=1
	ds_load_b32 v7, v10
	s_wait_alu 0xfffe
	s_or_b32 exec_lo, exec_lo, s6
	s_and_saveexec_b32 s6, s0
	s_cbranch_execz .LBB521_12
.LBB521_18:                             ;   in Loop: Header=BB521_4 Depth=1
	s_wait_dscnt 0x0
	ds_bpermute_b32 v8, v13, v7
	s_wait_dscnt 0x0
	v_add_f32_e32 v7, v7, v8
	ds_bpermute_b32 v8, v14, v7
	s_wait_dscnt 0x0
	v_add_f32_e32 v7, v7, v8
	;; [unrolled: 3-line block ×3, first 2 shown]
	s_wait_alu 0xfffe
	s_or_b32 exec_lo, exec_lo, s6
	s_and_saveexec_b32 s6, s5
	s_cbranch_execz .LBB521_3
.LBB521_19:                             ;   in Loop: Header=BB521_4 Depth=1
	v_add_co_u32 v5, vcc_lo, v5, s10
	s_wait_alu 0xfffd
	v_add_co_ci_u32_e64 v6, null, s11, v6, vcc_lo
	s_and_not1_b32 vcc_lo, exec_lo, s28
	s_wait_alu 0xfffe
	s_cbranch_vccnz .LBB521_2
; %bb.20:                               ;   in Loop: Header=BB521_4 Depth=1
	v_add_co_u32 v17, vcc_lo, v5, s22
	s_wait_alu 0xfffd
	v_add_co_ci_u32_e64 v18, null, s23, v6, vcc_lo
	flat_load_b32 v8, v[17:18]
	s_wait_loadcnt_dscnt 0x0
	v_fmac_f32_e32 v7, s7, v8
	s_branch .LBB521_2
.LBB521_21:
	s_endpgm
	.section	.rodata,"a",@progbits
	.p2align	6, 0x0
	.amdhsa_kernel _ZL23rocblas_gemvt_sn_reduceILi256ELi8EffKPfEviT2_lPT3_lilPT1_i
		.amdhsa_group_segment_fixed_size 128
		.amdhsa_private_segment_fixed_size 0
		.amdhsa_kernarg_size 320
		.amdhsa_user_sgpr_count 2
		.amdhsa_user_sgpr_dispatch_ptr 0
		.amdhsa_user_sgpr_queue_ptr 0
		.amdhsa_user_sgpr_kernarg_segment_ptr 1
		.amdhsa_user_sgpr_dispatch_id 0
		.amdhsa_user_sgpr_private_segment_size 0
		.amdhsa_wavefront_size32 1
		.amdhsa_uses_dynamic_stack 0
		.amdhsa_enable_private_segment 0
		.amdhsa_system_sgpr_workgroup_id_x 1
		.amdhsa_system_sgpr_workgroup_id_y 1
		.amdhsa_system_sgpr_workgroup_id_z 1
		.amdhsa_system_sgpr_workgroup_info 0
		.amdhsa_system_vgpr_workitem_id 0
		.amdhsa_next_free_vgpr 27
		.amdhsa_next_free_sgpr 36
		.amdhsa_reserve_vcc 1
		.amdhsa_float_round_mode_32 0
		.amdhsa_float_round_mode_16_64 0
		.amdhsa_float_denorm_mode_32 3
		.amdhsa_float_denorm_mode_16_64 3
		.amdhsa_fp16_overflow 0
		.amdhsa_workgroup_processor_mode 1
		.amdhsa_memory_ordered 1
		.amdhsa_forward_progress 1
		.amdhsa_inst_pref_size 10
		.amdhsa_round_robin_scheduling 0
		.amdhsa_exception_fp_ieee_invalid_op 0
		.amdhsa_exception_fp_denorm_src 0
		.amdhsa_exception_fp_ieee_div_zero 0
		.amdhsa_exception_fp_ieee_overflow 0
		.amdhsa_exception_fp_ieee_underflow 0
		.amdhsa_exception_fp_ieee_inexact 0
		.amdhsa_exception_int_div_zero 0
	.end_amdhsa_kernel
	.section	.text._ZL23rocblas_gemvt_sn_reduceILi256ELi8EffKPfEviT2_lPT3_lilPT1_i,"axG",@progbits,_ZL23rocblas_gemvt_sn_reduceILi256ELi8EffKPfEviT2_lPT3_lilPT1_i,comdat
.Lfunc_end521:
	.size	_ZL23rocblas_gemvt_sn_reduceILi256ELi8EffKPfEviT2_lPT3_lilPT1_i, .Lfunc_end521-_ZL23rocblas_gemvt_sn_reduceILi256ELi8EffKPfEviT2_lPT3_lilPT1_i
                                        ; -- End function
	.set _ZL23rocblas_gemvt_sn_reduceILi256ELi8EffKPfEviT2_lPT3_lilPT1_i.num_vgpr, 27
	.set _ZL23rocblas_gemvt_sn_reduceILi256ELi8EffKPfEviT2_lPT3_lilPT1_i.num_agpr, 0
	.set _ZL23rocblas_gemvt_sn_reduceILi256ELi8EffKPfEviT2_lPT3_lilPT1_i.numbered_sgpr, 36
	.set _ZL23rocblas_gemvt_sn_reduceILi256ELi8EffKPfEviT2_lPT3_lilPT1_i.num_named_barrier, 0
	.set _ZL23rocblas_gemvt_sn_reduceILi256ELi8EffKPfEviT2_lPT3_lilPT1_i.private_seg_size, 0
	.set _ZL23rocblas_gemvt_sn_reduceILi256ELi8EffKPfEviT2_lPT3_lilPT1_i.uses_vcc, 1
	.set _ZL23rocblas_gemvt_sn_reduceILi256ELi8EffKPfEviT2_lPT3_lilPT1_i.uses_flat_scratch, 0
	.set _ZL23rocblas_gemvt_sn_reduceILi256ELi8EffKPfEviT2_lPT3_lilPT1_i.has_dyn_sized_stack, 0
	.set _ZL23rocblas_gemvt_sn_reduceILi256ELi8EffKPfEviT2_lPT3_lilPT1_i.has_recursion, 0
	.set _ZL23rocblas_gemvt_sn_reduceILi256ELi8EffKPfEviT2_lPT3_lilPT1_i.has_indirect_call, 0
	.section	.AMDGPU.csdata,"",@progbits
; Kernel info:
; codeLenInByte = 1228
; TotalNumSgprs: 38
; NumVgprs: 27
; ScratchSize: 0
; MemoryBound: 0
; FloatMode: 240
; IeeeMode: 1
; LDSByteSize: 128 bytes/workgroup (compile time only)
; SGPRBlocks: 0
; VGPRBlocks: 3
; NumSGPRsForWavesPerEU: 38
; NumVGPRsForWavesPerEU: 27
; Occupancy: 16
; WaveLimiterHint : 1
; COMPUTE_PGM_RSRC2:SCRATCH_EN: 0
; COMPUTE_PGM_RSRC2:USER_SGPR: 2
; COMPUTE_PGM_RSRC2:TRAP_HANDLER: 0
; COMPUTE_PGM_RSRC2:TGID_X_EN: 1
; COMPUTE_PGM_RSRC2:TGID_Y_EN: 1
; COMPUTE_PGM_RSRC2:TGID_Z_EN: 1
; COMPUTE_PGM_RSRC2:TIDIG_COMP_CNT: 0
	.section	.text._ZL32rocblas_gemvt_warp_reduce_kernelILb0ELi256EiPKDF16_PKfKPfEviiT3_lPKT2_lT1_lS9_lSA_lS6_lPT4_lSA_li,"axG",@progbits,_ZL32rocblas_gemvt_warp_reduce_kernelILb0ELi256EiPKDF16_PKfKPfEviiT3_lPKT2_lT1_lS9_lSA_lS6_lPT4_lSA_li,comdat
	.globl	_ZL32rocblas_gemvt_warp_reduce_kernelILb0ELi256EiPKDF16_PKfKPfEviiT3_lPKT2_lT1_lS9_lSA_lS6_lPT4_lSA_li ; -- Begin function _ZL32rocblas_gemvt_warp_reduce_kernelILb0ELi256EiPKDF16_PKfKPfEviiT3_lPKT2_lT1_lS9_lSA_lS6_lPT4_lSA_li
	.p2align	8
	.type	_ZL32rocblas_gemvt_warp_reduce_kernelILb0ELi256EiPKDF16_PKfKPfEviiT3_lPKT2_lT1_lS9_lSA_lS6_lPT4_lSA_li,@function
_ZL32rocblas_gemvt_warp_reduce_kernelILb0ELi256EiPKDF16_PKfKPfEviiT3_lPKT2_lT1_lS9_lSA_lS6_lPT4_lSA_li: ; @_ZL32rocblas_gemvt_warp_reduce_kernelILb0ELi256EiPKDF16_PKfKPfEviiT3_lPKT2_lT1_lS9_lSA_lS6_lPT4_lSA_li
; %bb.0:
	s_load_b32 s33, s[0:1], 0x88
	s_lshr_b32 s28, ttmp7, 16
	s_wait_kmcnt 0x0
	s_cmp_ge_u32 s28, s33
	s_cbranch_scc1 .LBB522_38
; %bb.1:
	s_clause 0x6
	s_load_b32 s5, s[0:1], 0x0
	s_load_b256 s[8:15], s[0:1], 0x8
	s_load_b32 s4, s[0:1], 0x78
	s_load_b32 s7, s[0:1], 0x28
	s_load_b128 s[24:27], s[0:1], 0x38
	s_load_b32 s31, s[0:1], 0x48
	s_load_b256 s[16:23], s[0:1], 0x58
	v_lshrrev_b32_e32 v2, 3, v0
	v_and_b32_e32 v1, 31, v0
	v_mov_b32_e32 v11, 0
	v_mbcnt_lo_u32_b32 v15, -1, 0
	v_cmp_eq_u32_e64 s0, 0, v0
	v_and_b32_e32 v13, 28, v2
	v_lshlrev_b32_e32 v12, 2, v1
	v_cmp_gt_u32_e64 s1, 32, v0
	v_cmp_gt_u32_e64 s2, 8, v0
	v_lshl_or_b32 v17, v15, 2, 64
	s_mov_b32 s29, 0
	s_wait_kmcnt 0x0
	s_ashr_i32 s3, s5, 31
	v_cmp_gt_i32_e32 vcc_lo, s5, v0
	s_lshr_b32 s3, s3, 24
	s_mul_i32 s36, s7, ttmp9
	s_add_co_i32 s6, s5, s3
	v_cmp_eq_u32_e64 s3, 0, v1
	s_and_b32 s30, s6, 0xffffff00
	v_cndmask_b32_e32 v3, 0, v0, vcc_lo
	v_or_b32_e32 v2, s30, v0
	v_mul_lo_u32 v14, v0, s31
	s_mul_i32 s6, s4, ttmp9
	v_cmp_gt_i32_e64 s4, s30, v0
	v_lshlrev_b32_e32 v16, 1, v3
	v_mul_lo_u32 v1, s31, v2
	v_cmp_gt_i32_e64 s5, s5, v2
	s_lshl_b32 s40, s31, 8
	s_ashr_i32 s7, s6, 31
	s_ashr_i32 s37, s36, 31
	;; [unrolled: 1-line block ×3, first 2 shown]
	s_lshl_b64 s[14:15], s[14:15], 1
	s_lshl_b64 s[26:27], s[26:27], 1
	v_ashrrev_i32_e32 v2, 31, v1
	s_lshl_b64 s[22:23], s[22:23], 2
	s_lshl_b64 s[34:35], s[6:7], 2
	;; [unrolled: 1-line block ×3, first 2 shown]
	s_wait_alu 0xfffe
	s_lshl_b64 s[38:39], s[30:31], 1
	v_lshlrev_b64_e32 v[1:2], 1, v[1:2]
	s_branch .LBB522_4
.LBB522_2:                              ;   in Loop: Header=BB522_4 Depth=1
	s_or_b32 exec_lo, exec_lo, s6
.LBB522_3:                              ;   in Loop: Header=BB522_4 Depth=1
	s_add_co_i32 s28, s28, 0x10000
	s_delay_alu instid0(SALU_CYCLE_1)
	s_cmp_lt_u32 s28, s33
	s_cbranch_scc0 .LBB522_38
.LBB522_4:                              ; =>This Loop Header: Depth=1
                                        ;     Child Loop BB522_27 Depth 2
	s_mul_u64 s[6:7], s[10:11], s[28:29]
	s_mul_u64 s[42:43], s[18:19], s[28:29]
	s_lshl_b64 s[6:7], s[6:7], 2
	s_lshl_b64 s[42:43], s[42:43], 2
	s_add_nc_u64 s[6:7], s[8:9], s[6:7]
	s_add_nc_u64 s[42:43], s[16:17], s[42:43]
	s_clause 0x1
	global_load_b32 v18, v11, s[6:7]
	global_load_b32 v3, v11, s[42:43]
	s_wait_loadcnt 0x1
	v_cmp_eq_f32_e64 s6, 0, v18
	s_wait_loadcnt 0x0
	v_cmp_eq_f32_e32 vcc_lo, 1.0, v3
	v_readfirstlane_b32 s31, v3
	s_and_b32 s7, s6, vcc_lo
	s_delay_alu instid0(SALU_CYCLE_1)
	s_and_b32 vcc_lo, exec_lo, s7
	s_wait_alu 0xfffe
	s_cbranch_vccnz .LBB522_3
; %bb.5:                                ;   in Loop: Header=BB522_4 Depth=1
	v_mov_b32_e32 v3, 0
	s_wait_dscnt 0x0
	v_dual_mov_b32 v4, 0 :: v_dual_mov_b32 v5, 0
	v_cmp_neq_f32_e64 s7, 0, v18
	v_mov_b32_e32 v6, 0
	s_and_b32 vcc_lo, exec_lo, s6
	s_wait_alu 0xfffe
	s_cbranch_vccnz .LBB522_7
; %bb.6:                                ;   in Loop: Header=BB522_4 Depth=1
	s_lshl_b64 s[42:43], s[28:29], 3
	s_delay_alu instid0(SALU_CYCLE_1)
	s_add_nc_u64 s[42:43], s[12:13], s[42:43]
	global_load_b64 v[5:6], v11, s[42:43]
	s_wait_loadcnt 0x0
	v_add_co_u32 v5, vcc_lo, v5, s14
	s_wait_alu 0xfffd
	v_add_co_ci_u32_e64 v6, null, s15, v6, vcc_lo
.LBB522_7:                              ;   in Loop: Header=BB522_4 Depth=1
	s_and_not1_b32 vcc_lo, exec_lo, s7
	s_wait_alu 0xfffe
	s_cbranch_vccnz .LBB522_9
; %bb.8:                                ;   in Loop: Header=BB522_4 Depth=1
	s_lshl_b64 s[42:43], s[28:29], 3
	s_delay_alu instid0(SALU_CYCLE_1)
	s_add_nc_u64 s[42:43], s[24:25], s[42:43]
	global_load_b64 v[3:4], v11, s[42:43]
	s_wait_loadcnt 0x0
	v_add_co_u32 v3, vcc_lo, v3, s26
	s_wait_alu 0xfffd
	v_add_co_ci_u32_e64 v4, null, s27, v4, vcc_lo
.LBB522_9:                              ;   in Loop: Header=BB522_4 Depth=1
	s_lshl_b64 s[42:43], s[28:29], 3
	s_delay_alu instid0(SALU_CYCLE_1)
	s_add_nc_u64 s[42:43], s[20:21], s[42:43]
	global_load_b64 v[7:8], v11, s[42:43]
	s_wait_loadcnt 0x0
	v_add_co_u32 v19, vcc_lo, v7, s22
	s_wait_alu 0xfffd
	v_add_co_ci_u32_e64 v20, null, s23, v8, vcc_lo
	s_and_not1_b32 vcc_lo, exec_lo, s6
	s_wait_alu 0xfffe
	s_cbranch_vccnz .LBB522_13
; %bb.10:                               ;   in Loop: Header=BB522_4 Depth=1
	s_mov_b32 s6, 0
	s_mov_b32 s7, 0
                                        ; implicit-def: $vgpr7
	s_and_saveexec_b32 s41, s0
	s_cbranch_execz .LBB522_14
; %bb.11:                               ;   in Loop: Header=BB522_4 Depth=1
	s_cmp_eq_f32 s31, 0
	s_cbranch_scc1 .LBB522_15
; %bb.12:                               ;   in Loop: Header=BB522_4 Depth=1
	v_add_co_u32 v7, vcc_lo, v19, s34
	s_wait_alu 0xfffd
	v_add_co_ci_u32_e64 v8, null, s35, v20, vcc_lo
	flat_load_b32 v7, v[7:8]
	s_wait_loadcnt_dscnt 0x0
	v_mul_f32_e32 v7, s31, v7
	s_branch .LBB522_16
.LBB522_13:                             ;   in Loop: Header=BB522_4 Depth=1
	s_mov_b32 s7, 0
                                        ; implicit-def: $vgpr7
	s_cbranch_execnz .LBB522_17
	s_branch .LBB522_36
.LBB522_14:                             ;   in Loop: Header=BB522_4 Depth=1
	s_wait_alu 0xfffe
	s_or_b32 exec_lo, exec_lo, s41
	s_delay_alu instid0(SALU_CYCLE_1)
	s_and_b32 vcc_lo, exec_lo, s6
	s_wait_alu 0xfffe
	s_cbranch_vccnz .LBB522_17
	s_branch .LBB522_36
.LBB522_15:                             ;   in Loop: Header=BB522_4 Depth=1
	v_mov_b32_e32 v7, 0
.LBB522_16:                             ;   in Loop: Header=BB522_4 Depth=1
	s_mov_b32 s7, exec_lo
	s_wait_alu 0xfffe
	s_or_b32 exec_lo, exec_lo, s41
	s_delay_alu instid0(SALU_CYCLE_1)
	s_and_b32 vcc_lo, exec_lo, s6
	s_wait_alu 0xfffe
	s_cbranch_vccz .LBB522_36
.LBB522_17:                             ;   in Loop: Header=BB522_4 Depth=1
	v_add_co_u32 v5, vcc_lo, v5, v16
	s_wait_alu 0xfffd
	v_add_co_ci_u32_e64 v6, null, 0, v6, vcc_lo
	v_mov_b32_e32 v21, 0
	s_delay_alu instid0(VALU_DEP_3) | instskip(SKIP_1) | instid1(VALU_DEP_3)
	v_add_co_u32 v5, vcc_lo, v5, s36
	s_wait_alu 0xfffd
	v_add_co_ci_u32_e64 v6, null, s37, v6, vcc_lo
	s_and_saveexec_b32 s41, s4
	s_cbranch_execnz .LBB522_26
; %bb.18:                               ;   in Loop: Header=BB522_4 Depth=1
	s_wait_alu 0xfffe
	s_or_b32 exec_lo, exec_lo, s41
	s_and_saveexec_b32 s6, s5
	s_cbranch_execnz .LBB522_29
.LBB522_19:                             ;   in Loop: Header=BB522_4 Depth=1
	s_or_b32 exec_lo, exec_lo, s6
	s_and_saveexec_b32 s6, s1
.LBB522_20:                             ;   in Loop: Header=BB522_4 Depth=1
	ds_store_b32 v12, v11
.LBB522_21:                             ;   in Loop: Header=BB522_4 Depth=1
	s_or_b32 exec_lo, exec_lo, s6
	ds_bpermute_b32 v3, v17, v21
	v_cmp_gt_u32_e32 vcc_lo, 24, v15
	s_wait_dscnt 0x0
	s_barrier_signal -1
	s_barrier_wait -1
	global_inv scope:SCOPE_SE
	s_wait_alu 0xfffd
	v_cndmask_b32_e64 v4, 0, 8, vcc_lo
	v_cmp_gt_u32_e32 vcc_lo, 28, v15
	s_delay_alu instid0(VALU_DEP_2)
	v_add_lshl_u32 v4, v4, v15, 2
	v_add_f32_e32 v5, v21, v3
	s_wait_alu 0xfffd
	v_cndmask_b32_e64 v3, 0, 4, vcc_lo
	v_cmp_gt_u32_e32 vcc_lo, 30, v15
	ds_bpermute_b32 v4, v4, v5
	v_add_lshl_u32 v3, v3, v15, 2
	s_wait_dscnt 0x0
	v_add_f32_e32 v5, v5, v4
	s_wait_alu 0xfffd
	v_cndmask_b32_e64 v4, 0, 2, vcc_lo
	v_cmp_ne_u32_e32 vcc_lo, 31, v15
	ds_bpermute_b32 v6, v3, v5
	v_add_lshl_u32 v4, v4, v15, 2
	s_wait_alu 0xfffd
	v_add_co_ci_u32_e64 v7, null, 0, v15, vcc_lo
	s_wait_dscnt 0x0
	v_add_f32_e32 v5, v5, v6
	ds_bpermute_b32 v6, v4, v5
	s_wait_dscnt 0x0
	v_dual_add_f32 v6, v5, v6 :: v_dual_lshlrev_b32 v5, 2, v7
	ds_bpermute_b32 v7, v5, v6
	s_and_saveexec_b32 s6, s3
	s_cbranch_execz .LBB522_23
; %bb.22:                               ;   in Loop: Header=BB522_4 Depth=1
	s_wait_dscnt 0x0
	v_add_f32_e32 v6, v6, v7
	ds_store_b32 v13, v6
.LBB522_23:                             ;   in Loop: Header=BB522_4 Depth=1
	s_or_b32 exec_lo, exec_lo, s6
	v_mov_b32_e32 v6, 0
	s_wait_loadcnt_dscnt 0x0
	s_barrier_signal -1
	s_barrier_wait -1
	global_inv scope:SCOPE_SE
	s_and_saveexec_b32 s6, s2
	s_cbranch_execnz .LBB522_30
; %bb.24:                               ;   in Loop: Header=BB522_4 Depth=1
	s_or_b32 exec_lo, exec_lo, s6
	s_and_saveexec_b32 s6, s1
	s_cbranch_execnz .LBB522_31
.LBB522_25:                             ;   in Loop: Header=BB522_4 Depth=1
	s_or_b32 exec_lo, exec_lo, s6
                                        ; implicit-def: $vgpr7
	s_and_saveexec_b32 s6, s0
	s_cbranch_execnz .LBB522_32
	s_branch .LBB522_35
.LBB522_26:                             ;   in Loop: Header=BB522_4 Depth=1
	v_dual_mov_b32 v21, 0 :: v_dual_mov_b32 v10, v6
	v_dual_mov_b32 v7, v14 :: v_dual_mov_b32 v22, v0
	v_mov_b32_e32 v9, v5
	s_mov_b32 s42, 0
.LBB522_27:                             ;   Parent Loop BB522_4 Depth=1
                                        ; =>  This Inner Loop Header: Depth=2
	s_delay_alu instid0(VALU_DEP_2) | instskip(NEXT) | instid1(VALU_DEP_1)
	v_ashrrev_i32_e32 v8, 31, v7
	v_lshlrev_b64_e32 v[23:24], 1, v[7:8]
	v_add_nc_u32_e32 v7, s40, v7
	s_delay_alu instid0(VALU_DEP_2) | instskip(SKIP_1) | instid1(VALU_DEP_3)
	v_add_co_u32 v23, vcc_lo, v3, v23
	s_wait_alu 0xfffd
	v_add_co_ci_u32_e64 v24, null, v4, v24, vcc_lo
	flat_load_u16 v8, v[9:10]
	flat_load_u16 v23, v[23:24]
	v_add_co_u32 v9, vcc_lo, 0x200, v9
	s_wait_alu 0xfffd
	v_add_co_ci_u32_e64 v10, null, 0, v10, vcc_lo
	s_wait_loadcnt_dscnt 0x0
	v_mul_f16_e32 v8, v8, v23
	s_delay_alu instid0(VALU_DEP_1) | instskip(NEXT) | instid1(VALU_DEP_1)
	v_cvt_f32_f16_e32 v8, v8
	v_dual_add_f32 v21, v21, v8 :: v_dual_add_nc_u32 v22, 0x100, v22
	s_delay_alu instid0(VALU_DEP_1) | instskip(SKIP_1) | instid1(SALU_CYCLE_1)
	v_cmp_le_i32_e64 s6, s30, v22
	s_or_b32 s42, s6, s42
	s_and_not1_b32 exec_lo, exec_lo, s42
	s_cbranch_execnz .LBB522_27
; %bb.28:                               ;   in Loop: Header=BB522_4 Depth=1
	s_or_b32 exec_lo, exec_lo, s42
	s_wait_alu 0xfffe
	s_or_b32 exec_lo, exec_lo, s41
	s_and_saveexec_b32 s6, s5
	s_cbranch_execz .LBB522_19
.LBB522_29:                             ;   in Loop: Header=BB522_4 Depth=1
	v_add_co_u32 v5, vcc_lo, v5, s38
	s_wait_alu 0xfffd
	v_add_co_ci_u32_e64 v6, null, s39, v6, vcc_lo
	v_add_co_u32 v3, vcc_lo, v3, v1
	s_wait_alu 0xfffd
	v_add_co_ci_u32_e64 v4, null, v4, v2, vcc_lo
	flat_load_u16 v5, v[5:6]
	flat_load_u16 v3, v[3:4]
	s_wait_loadcnt_dscnt 0x0
	v_mul_f16_e32 v3, v5, v3
	s_delay_alu instid0(VALU_DEP_1) | instskip(NEXT) | instid1(VALU_DEP_1)
	v_cvt_f32_f16_e32 v3, v3
	v_add_f32_e32 v21, v21, v3
	s_or_b32 exec_lo, exec_lo, s6
	s_and_saveexec_b32 s6, s1
	s_cbranch_execnz .LBB522_20
	s_branch .LBB522_21
.LBB522_30:                             ;   in Loop: Header=BB522_4 Depth=1
	ds_load_b32 v6, v12
	s_or_b32 exec_lo, exec_lo, s6
	s_and_saveexec_b32 s6, s1
	s_cbranch_execz .LBB522_25
.LBB522_31:                             ;   in Loop: Header=BB522_4 Depth=1
	s_wait_dscnt 0x0
	ds_bpermute_b32 v3, v3, v6
	s_wait_dscnt 0x0
	v_add_f32_e32 v3, v6, v3
	ds_bpermute_b32 v4, v4, v3
	s_wait_dscnt 0x0
	v_add_f32_e32 v3, v3, v4
	;; [unrolled: 3-line block ×3, first 2 shown]
	s_or_b32 exec_lo, exec_lo, s6
                                        ; implicit-def: $vgpr7
	s_and_saveexec_b32 s6, s0
	s_cbranch_execz .LBB522_35
.LBB522_32:                             ;   in Loop: Header=BB522_4 Depth=1
	s_wait_dscnt 0x0
	v_mul_f32_e32 v7, v18, v6
	s_cmp_eq_f32 s31, 0
	s_cbranch_scc1 .LBB522_34
; %bb.33:                               ;   in Loop: Header=BB522_4 Depth=1
	v_add_co_u32 v3, vcc_lo, v19, s34
	s_wait_alu 0xfffd
	v_add_co_ci_u32_e64 v4, null, s35, v20, vcc_lo
	flat_load_b32 v3, v[3:4]
	s_wait_loadcnt_dscnt 0x0
	v_fmac_f32_e32 v7, s31, v3
.LBB522_34:                             ;   in Loop: Header=BB522_4 Depth=1
	s_or_b32 s7, s7, exec_lo
.LBB522_35:                             ;   in Loop: Header=BB522_4 Depth=1
	s_or_b32 exec_lo, exec_lo, s6
.LBB522_36:                             ;   in Loop: Header=BB522_4 Depth=1
	s_and_saveexec_b32 s6, s7
	s_cbranch_execz .LBB522_2
; %bb.37:                               ;   in Loop: Header=BB522_4 Depth=1
	v_add_co_u32 v3, vcc_lo, v19, s34
	s_wait_alu 0xfffd
	v_add_co_ci_u32_e64 v4, null, s35, v20, vcc_lo
	flat_store_b32 v[3:4], v7
	s_branch .LBB522_2
.LBB522_38:
	s_endpgm
	.section	.rodata,"a",@progbits
	.p2align	6, 0x0
	.amdhsa_kernel _ZL32rocblas_gemvt_warp_reduce_kernelILb0ELi256EiPKDF16_PKfKPfEviiT3_lPKT2_lT1_lS9_lSA_lS6_lPT4_lSA_li
		.amdhsa_group_segment_fixed_size 128
		.amdhsa_private_segment_fixed_size 0
		.amdhsa_kernarg_size 140
		.amdhsa_user_sgpr_count 2
		.amdhsa_user_sgpr_dispatch_ptr 0
		.amdhsa_user_sgpr_queue_ptr 0
		.amdhsa_user_sgpr_kernarg_segment_ptr 1
		.amdhsa_user_sgpr_dispatch_id 0
		.amdhsa_user_sgpr_private_segment_size 0
		.amdhsa_wavefront_size32 1
		.amdhsa_uses_dynamic_stack 0
		.amdhsa_enable_private_segment 0
		.amdhsa_system_sgpr_workgroup_id_x 1
		.amdhsa_system_sgpr_workgroup_id_y 0
		.amdhsa_system_sgpr_workgroup_id_z 1
		.amdhsa_system_sgpr_workgroup_info 0
		.amdhsa_system_vgpr_workitem_id 0
		.amdhsa_next_free_vgpr 25
		.amdhsa_next_free_sgpr 44
		.amdhsa_reserve_vcc 1
		.amdhsa_float_round_mode_32 0
		.amdhsa_float_round_mode_16_64 0
		.amdhsa_float_denorm_mode_32 3
		.amdhsa_float_denorm_mode_16_64 3
		.amdhsa_fp16_overflow 0
		.amdhsa_workgroup_processor_mode 1
		.amdhsa_memory_ordered 1
		.amdhsa_forward_progress 1
		.amdhsa_inst_pref_size 13
		.amdhsa_round_robin_scheduling 0
		.amdhsa_exception_fp_ieee_invalid_op 0
		.amdhsa_exception_fp_denorm_src 0
		.amdhsa_exception_fp_ieee_div_zero 0
		.amdhsa_exception_fp_ieee_overflow 0
		.amdhsa_exception_fp_ieee_underflow 0
		.amdhsa_exception_fp_ieee_inexact 0
		.amdhsa_exception_int_div_zero 0
	.end_amdhsa_kernel
	.section	.text._ZL32rocblas_gemvt_warp_reduce_kernelILb0ELi256EiPKDF16_PKfKPfEviiT3_lPKT2_lT1_lS9_lSA_lS6_lPT4_lSA_li,"axG",@progbits,_ZL32rocblas_gemvt_warp_reduce_kernelILb0ELi256EiPKDF16_PKfKPfEviiT3_lPKT2_lT1_lS9_lSA_lS6_lPT4_lSA_li,comdat
.Lfunc_end522:
	.size	_ZL32rocblas_gemvt_warp_reduce_kernelILb0ELi256EiPKDF16_PKfKPfEviiT3_lPKT2_lT1_lS9_lSA_lS6_lPT4_lSA_li, .Lfunc_end522-_ZL32rocblas_gemvt_warp_reduce_kernelILb0ELi256EiPKDF16_PKfKPfEviiT3_lPKT2_lT1_lS9_lSA_lS6_lPT4_lSA_li
                                        ; -- End function
	.set _ZL32rocblas_gemvt_warp_reduce_kernelILb0ELi256EiPKDF16_PKfKPfEviiT3_lPKT2_lT1_lS9_lSA_lS6_lPT4_lSA_li.num_vgpr, 25
	.set _ZL32rocblas_gemvt_warp_reduce_kernelILb0ELi256EiPKDF16_PKfKPfEviiT3_lPKT2_lT1_lS9_lSA_lS6_lPT4_lSA_li.num_agpr, 0
	.set _ZL32rocblas_gemvt_warp_reduce_kernelILb0ELi256EiPKDF16_PKfKPfEviiT3_lPKT2_lT1_lS9_lSA_lS6_lPT4_lSA_li.numbered_sgpr, 44
	.set _ZL32rocblas_gemvt_warp_reduce_kernelILb0ELi256EiPKDF16_PKfKPfEviiT3_lPKT2_lT1_lS9_lSA_lS6_lPT4_lSA_li.num_named_barrier, 0
	.set _ZL32rocblas_gemvt_warp_reduce_kernelILb0ELi256EiPKDF16_PKfKPfEviiT3_lPKT2_lT1_lS9_lSA_lS6_lPT4_lSA_li.private_seg_size, 0
	.set _ZL32rocblas_gemvt_warp_reduce_kernelILb0ELi256EiPKDF16_PKfKPfEviiT3_lPKT2_lT1_lS9_lSA_lS6_lPT4_lSA_li.uses_vcc, 1
	.set _ZL32rocblas_gemvt_warp_reduce_kernelILb0ELi256EiPKDF16_PKfKPfEviiT3_lPKT2_lT1_lS9_lSA_lS6_lPT4_lSA_li.uses_flat_scratch, 0
	.set _ZL32rocblas_gemvt_warp_reduce_kernelILb0ELi256EiPKDF16_PKfKPfEviiT3_lPKT2_lT1_lS9_lSA_lS6_lPT4_lSA_li.has_dyn_sized_stack, 0
	.set _ZL32rocblas_gemvt_warp_reduce_kernelILb0ELi256EiPKDF16_PKfKPfEviiT3_lPKT2_lT1_lS9_lSA_lS6_lPT4_lSA_li.has_recursion, 0
	.set _ZL32rocblas_gemvt_warp_reduce_kernelILb0ELi256EiPKDF16_PKfKPfEviiT3_lPKT2_lT1_lS9_lSA_lS6_lPT4_lSA_li.has_indirect_call, 0
	.section	.AMDGPU.csdata,"",@progbits
; Kernel info:
; codeLenInByte = 1612
; TotalNumSgprs: 46
; NumVgprs: 25
; ScratchSize: 0
; MemoryBound: 0
; FloatMode: 240
; IeeeMode: 1
; LDSByteSize: 128 bytes/workgroup (compile time only)
; SGPRBlocks: 0
; VGPRBlocks: 3
; NumSGPRsForWavesPerEU: 46
; NumVGPRsForWavesPerEU: 25
; Occupancy: 16
; WaveLimiterHint : 1
; COMPUTE_PGM_RSRC2:SCRATCH_EN: 0
; COMPUTE_PGM_RSRC2:USER_SGPR: 2
; COMPUTE_PGM_RSRC2:TRAP_HANDLER: 0
; COMPUTE_PGM_RSRC2:TGID_X_EN: 1
; COMPUTE_PGM_RSRC2:TGID_Y_EN: 0
; COMPUTE_PGM_RSRC2:TGID_Z_EN: 1
; COMPUTE_PGM_RSRC2:TIDIG_COMP_CNT: 0
	.section	.text._ZL32rocblas_gemvt_warp_reduce_kernelILb0ELi256ElPKDF16_PKfKPfEviiT3_lPKT2_lT1_lS9_lSA_lS6_lPT4_lSA_li,"axG",@progbits,_ZL32rocblas_gemvt_warp_reduce_kernelILb0ELi256ElPKDF16_PKfKPfEviiT3_lPKT2_lT1_lS9_lSA_lS6_lPT4_lSA_li,comdat
	.globl	_ZL32rocblas_gemvt_warp_reduce_kernelILb0ELi256ElPKDF16_PKfKPfEviiT3_lPKT2_lT1_lS9_lSA_lS6_lPT4_lSA_li ; -- Begin function _ZL32rocblas_gemvt_warp_reduce_kernelILb0ELi256ElPKDF16_PKfKPfEviiT3_lPKT2_lT1_lS9_lSA_lS6_lPT4_lSA_li
	.p2align	8
	.type	_ZL32rocblas_gemvt_warp_reduce_kernelILb0ELi256ElPKDF16_PKfKPfEviiT3_lPKT2_lT1_lS9_lSA_lS6_lPT4_lSA_li,@function
_ZL32rocblas_gemvt_warp_reduce_kernelILb0ELi256ElPKDF16_PKfKPfEviiT3_lPKT2_lT1_lS9_lSA_lS6_lPT4_lSA_li: ; @_ZL32rocblas_gemvt_warp_reduce_kernelILb0ELi256ElPKDF16_PKfKPfEviiT3_lPKT2_lT1_lS9_lSA_lS6_lPT4_lSA_li
; %bb.0:
	s_load_b32 s33, s[0:1], 0x88
	s_lshr_b32 s28, ttmp7, 16
	s_wait_kmcnt 0x0
	s_cmp_ge_u32 s28, s33
	s_cbranch_scc1 .LBB523_38
; %bb.1:
	s_clause 0x6
	s_load_b32 s40, s[0:1], 0x0
	s_load_b64 s[6:7], s[0:1], 0x48
	s_load_b256 s[8:15], s[0:1], 0x8
	s_load_b64 s[34:35], s[0:1], 0x28
	s_load_b128 s[24:27], s[0:1], 0x38
	s_load_b64 s[36:37], s[0:1], 0x78
	s_load_b256 s[16:23], s[0:1], 0x58
	v_and_b32_e32 v3, 31, v0
	v_lshrrev_b32_e32 v4, 3, v0
	v_mov_b32_e32 v13, 0
	s_mov_b32 s4, ttmp9
	s_ashr_i32 s5, ttmp9, 31
	v_mbcnt_lo_u32_b32 v14, -1, 0
	v_and_b32_e32 v16, 28, v4
	v_cmp_eq_u32_e64 s0, 0, v0
	v_cmp_gt_u32_e64 s1, 32, v0
	v_cmp_gt_u32_e64 s2, 8, v0
	v_lshl_or_b32 v18, v14, 2, 64
	s_mov_b32 s29, 0
	s_wait_kmcnt 0x0
	s_ashr_i32 s3, s40, 31
	v_mad_co_u64_u32 v[1:2], null, s6, v0, 0
	s_lshr_b32 s30, s3, 24
	v_cmp_eq_u32_e64 s3, 0, v3
	s_add_co_i32 s30, s40, s30
	v_cmp_gt_i32_e32 vcc_lo, s40, v0
	s_and_b32 s30, s30, 0xffffff00
	v_lshlrev_b32_e32 v15, 2, v3
	v_or_b32_e32 v5, s30, v0
	v_mad_co_u64_u32 v[2:3], null, s7, v0, v[2:3]
	s_ashr_i32 s31, s30, 31
	s_mul_u64 s[36:37], s[36:37], s[4:5]
	v_mul_lo_u32 v7, s7, v5
	v_mad_co_u64_u32 v[3:4], null, s6, v5, 0
	s_mul_u64 s[38:39], s[34:35], s[4:5]
	s_wait_alu 0xfffe
	s_mul_i32 s5, s6, s31
	v_cndmask_b32_e32 v6, 0, v0, vcc_lo
	v_lshlrev_b64_e32 v[1:2], 1, v[1:2]
	v_cmp_gt_i32_e64 s4, s30, v0
	s_lshl_b64 s[34:35], s[6:7], 9
	v_add3_u32 v4, v4, s5, v7
	v_cmp_gt_i32_e64 s5, s40, v5
	v_lshlrev_b32_e32 v17, 1, v6
	s_lshl_b64 s[14:15], s[14:15], 1
	s_lshl_b64 s[26:27], s[26:27], 1
	v_lshlrev_b64_e32 v[3:4], 1, v[3:4]
	s_lshl_b64 s[22:23], s[22:23], 2
	s_lshl_b64 s[36:37], s[36:37], 2
	;; [unrolled: 1-line block ×4, first 2 shown]
	s_branch .LBB523_4
.LBB523_2:                              ;   in Loop: Header=BB523_4 Depth=1
	s_wait_alu 0xfffe
	s_or_b32 exec_lo, exec_lo, s6
.LBB523_3:                              ;   in Loop: Header=BB523_4 Depth=1
	s_add_co_i32 s28, s28, 0x10000
	s_delay_alu instid0(SALU_CYCLE_1)
	s_cmp_lt_u32 s28, s33
	s_cbranch_scc0 .LBB523_38
.LBB523_4:                              ; =>This Loop Header: Depth=1
                                        ;     Child Loop BB523_27 Depth 2
	s_mul_u64 s[6:7], s[10:11], s[28:29]
	s_mul_u64 s[42:43], s[18:19], s[28:29]
	s_wait_alu 0xfffe
	s_lshl_b64 s[6:7], s[6:7], 2
	s_lshl_b64 s[42:43], s[42:43], 2
	s_wait_alu 0xfffe
	s_add_nc_u64 s[6:7], s[8:9], s[6:7]
	s_add_nc_u64 s[42:43], s[16:17], s[42:43]
	s_clause 0x1
	global_load_b32 v19, v13, s[6:7]
	global_load_b32 v5, v13, s[42:43]
	s_wait_loadcnt 0x1
	v_cmp_eq_f32_e64 s6, 0, v19
	s_wait_loadcnt 0x0
	v_cmp_eq_f32_e32 vcc_lo, 1.0, v5
	v_readfirstlane_b32 s31, v5
	s_wait_alu 0xfffe
	s_and_b32 s7, s6, vcc_lo
	s_wait_alu 0xfffe
	s_and_b32 vcc_lo, exec_lo, s7
	s_wait_alu 0xfffe
	s_cbranch_vccnz .LBB523_3
; %bb.5:                                ;   in Loop: Header=BB523_4 Depth=1
	v_mov_b32_e32 v5, 0
	s_wait_dscnt 0x0
	v_dual_mov_b32 v6, 0 :: v_dual_mov_b32 v7, 0
	v_cmp_neq_f32_e64 s7, 0, v19
	v_mov_b32_e32 v8, 0
	s_and_b32 vcc_lo, exec_lo, s6
	s_wait_alu 0xfffe
	s_cbranch_vccnz .LBB523_7
; %bb.6:                                ;   in Loop: Header=BB523_4 Depth=1
	s_lshl_b64 s[42:43], s[28:29], 3
	s_delay_alu instid0(SALU_CYCLE_1)
	s_add_nc_u64 s[42:43], s[12:13], s[42:43]
	global_load_b64 v[7:8], v13, s[42:43]
	s_wait_loadcnt 0x0
	v_add_co_u32 v7, vcc_lo, v7, s14
	s_wait_alu 0xfffd
	v_add_co_ci_u32_e64 v8, null, s15, v8, vcc_lo
.LBB523_7:                              ;   in Loop: Header=BB523_4 Depth=1
	s_and_not1_b32 vcc_lo, exec_lo, s7
	s_wait_alu 0xfffe
	s_cbranch_vccnz .LBB523_9
; %bb.8:                                ;   in Loop: Header=BB523_4 Depth=1
	s_lshl_b64 s[42:43], s[28:29], 3
	s_delay_alu instid0(SALU_CYCLE_1)
	s_add_nc_u64 s[42:43], s[24:25], s[42:43]
	global_load_b64 v[5:6], v13, s[42:43]
	s_wait_loadcnt 0x0
	v_add_co_u32 v5, vcc_lo, v5, s26
	s_wait_alu 0xfffd
	v_add_co_ci_u32_e64 v6, null, s27, v6, vcc_lo
.LBB523_9:                              ;   in Loop: Header=BB523_4 Depth=1
	s_lshl_b64 s[42:43], s[28:29], 3
	s_delay_alu instid0(SALU_CYCLE_1)
	s_add_nc_u64 s[42:43], s[20:21], s[42:43]
	global_load_b64 v[9:10], v13, s[42:43]
	s_wait_loadcnt 0x0
	v_add_co_u32 v20, vcc_lo, v9, s22
	s_wait_alu 0xfffd
	v_add_co_ci_u32_e64 v21, null, s23, v10, vcc_lo
	s_and_not1_b32 vcc_lo, exec_lo, s6
	s_wait_alu 0xfffe
	s_cbranch_vccnz .LBB523_13
; %bb.10:                               ;   in Loop: Header=BB523_4 Depth=1
	s_mov_b32 s6, 0
	s_mov_b32 s7, 0
                                        ; implicit-def: $vgpr9
	s_and_saveexec_b32 s42, s0
	s_cbranch_execz .LBB523_14
; %bb.11:                               ;   in Loop: Header=BB523_4 Depth=1
	s_cmp_eq_f32 s31, 0
	s_cbranch_scc1 .LBB523_15
; %bb.12:                               ;   in Loop: Header=BB523_4 Depth=1
	v_add_co_u32 v9, vcc_lo, v20, s36
	s_wait_alu 0xfffd
	v_add_co_ci_u32_e64 v10, null, s37, v21, vcc_lo
	flat_load_b32 v9, v[9:10]
	s_wait_loadcnt_dscnt 0x0
	v_mul_f32_e32 v9, s31, v9
	s_branch .LBB523_16
.LBB523_13:                             ;   in Loop: Header=BB523_4 Depth=1
	s_mov_b32 s7, 0
                                        ; implicit-def: $vgpr9
	s_cbranch_execnz .LBB523_17
	s_branch .LBB523_36
.LBB523_14:                             ;   in Loop: Header=BB523_4 Depth=1
	s_or_b32 exec_lo, exec_lo, s42
	s_wait_alu 0xfffe
	s_and_b32 vcc_lo, exec_lo, s6
	s_wait_alu 0xfffe
	s_cbranch_vccnz .LBB523_17
	s_branch .LBB523_36
.LBB523_15:                             ;   in Loop: Header=BB523_4 Depth=1
	v_mov_b32_e32 v9, 0
.LBB523_16:                             ;   in Loop: Header=BB523_4 Depth=1
	s_mov_b32 s7, exec_lo
	s_or_b32 exec_lo, exec_lo, s42
	s_wait_alu 0xfffe
	s_and_b32 vcc_lo, exec_lo, s6
	s_wait_alu 0xfffe
	s_cbranch_vccz .LBB523_36
.LBB523_17:                             ;   in Loop: Header=BB523_4 Depth=1
	v_add_co_u32 v7, vcc_lo, v7, v17
	s_wait_alu 0xfffd
	v_add_co_ci_u32_e64 v8, null, 0, v8, vcc_lo
	v_mov_b32_e32 v22, 0
	s_delay_alu instid0(VALU_DEP_3) | instskip(SKIP_1) | instid1(VALU_DEP_3)
	v_add_co_u32 v7, vcc_lo, v7, s38
	s_wait_alu 0xfffd
	v_add_co_ci_u32_e64 v8, null, s39, v8, vcc_lo
	s_and_saveexec_b32 s42, s4
	s_cbranch_execnz .LBB523_26
; %bb.18:                               ;   in Loop: Header=BB523_4 Depth=1
	s_or_b32 exec_lo, exec_lo, s42
	s_and_saveexec_b32 s6, s5
	s_cbranch_execnz .LBB523_29
.LBB523_19:                             ;   in Loop: Header=BB523_4 Depth=1
	s_wait_alu 0xfffe
	s_or_b32 exec_lo, exec_lo, s6
	s_and_saveexec_b32 s6, s1
.LBB523_20:                             ;   in Loop: Header=BB523_4 Depth=1
	ds_store_b32 v15, v13
.LBB523_21:                             ;   in Loop: Header=BB523_4 Depth=1
	s_wait_alu 0xfffe
	s_or_b32 exec_lo, exec_lo, s6
	ds_bpermute_b32 v5, v18, v22
	v_cmp_gt_u32_e32 vcc_lo, 24, v14
	s_wait_dscnt 0x0
	s_barrier_signal -1
	s_barrier_wait -1
	global_inv scope:SCOPE_SE
	s_wait_alu 0xfffd
	v_cndmask_b32_e64 v6, 0, 8, vcc_lo
	v_cmp_gt_u32_e32 vcc_lo, 28, v14
	s_delay_alu instid0(VALU_DEP_2)
	v_add_lshl_u32 v6, v6, v14, 2
	v_add_f32_e32 v7, v22, v5
	s_wait_alu 0xfffd
	v_cndmask_b32_e64 v5, 0, 4, vcc_lo
	v_cmp_gt_u32_e32 vcc_lo, 30, v14
	ds_bpermute_b32 v6, v6, v7
	v_add_lshl_u32 v5, v5, v14, 2
	s_wait_dscnt 0x0
	v_add_f32_e32 v7, v7, v6
	s_wait_alu 0xfffd
	v_cndmask_b32_e64 v6, 0, 2, vcc_lo
	v_cmp_ne_u32_e32 vcc_lo, 31, v14
	ds_bpermute_b32 v8, v5, v7
	v_add_lshl_u32 v6, v6, v14, 2
	s_wait_alu 0xfffd
	v_add_co_ci_u32_e64 v9, null, 0, v14, vcc_lo
	s_wait_dscnt 0x0
	v_add_f32_e32 v7, v7, v8
	ds_bpermute_b32 v8, v6, v7
	s_wait_dscnt 0x0
	v_dual_add_f32 v8, v7, v8 :: v_dual_lshlrev_b32 v7, 2, v9
	ds_bpermute_b32 v9, v7, v8
	s_and_saveexec_b32 s6, s3
	s_cbranch_execz .LBB523_23
; %bb.22:                               ;   in Loop: Header=BB523_4 Depth=1
	s_wait_dscnt 0x0
	v_add_f32_e32 v8, v8, v9
	ds_store_b32 v16, v8
.LBB523_23:                             ;   in Loop: Header=BB523_4 Depth=1
	s_wait_alu 0xfffe
	s_or_b32 exec_lo, exec_lo, s6
	v_mov_b32_e32 v8, 0
	s_wait_loadcnt_dscnt 0x0
	s_barrier_signal -1
	s_barrier_wait -1
	global_inv scope:SCOPE_SE
	s_and_saveexec_b32 s6, s2
	s_cbranch_execnz .LBB523_30
; %bb.24:                               ;   in Loop: Header=BB523_4 Depth=1
	s_wait_alu 0xfffe
	s_or_b32 exec_lo, exec_lo, s6
	s_and_saveexec_b32 s6, s1
	s_cbranch_execnz .LBB523_31
.LBB523_25:                             ;   in Loop: Header=BB523_4 Depth=1
	s_wait_alu 0xfffe
	s_or_b32 exec_lo, exec_lo, s6
                                        ; implicit-def: $vgpr9
	s_and_saveexec_b32 s6, s0
	s_cbranch_execnz .LBB523_32
	s_branch .LBB523_35
.LBB523_26:                             ;   in Loop: Header=BB523_4 Depth=1
	v_add_co_u32 v9, vcc_lo, v5, v1
	v_dual_mov_b32 v12, v8 :: v_dual_mov_b32 v23, v0
	s_wait_alu 0xfffd
	v_add_co_ci_u32_e64 v10, null, v6, v2, vcc_lo
	v_dual_mov_b32 v22, 0 :: v_dual_mov_b32 v11, v7
	s_mov_b32 s43, 0
.LBB523_27:                             ;   Parent Loop BB523_4 Depth=1
                                        ; =>  This Inner Loop Header: Depth=2
	flat_load_u16 v24, v[11:12]
	flat_load_u16 v25, v[9:10]
	v_add_co_u32 v11, vcc_lo, 0x200, v11
	s_wait_alu 0xfffd
	v_add_co_ci_u32_e64 v12, null, 0, v12, vcc_lo
	v_add_co_u32 v9, vcc_lo, v9, s34
	s_wait_alu 0xfffd
	v_add_co_ci_u32_e64 v10, null, s35, v10, vcc_lo
	s_wait_loadcnt_dscnt 0x0
	v_mul_f16_e32 v24, v24, v25
	s_delay_alu instid0(VALU_DEP_1) | instskip(NEXT) | instid1(VALU_DEP_1)
	v_cvt_f32_f16_e32 v24, v24
	v_dual_add_f32 v22, v22, v24 :: v_dual_add_nc_u32 v23, 0x100, v23
	s_delay_alu instid0(VALU_DEP_1) | instskip(SKIP_1) | instid1(SALU_CYCLE_1)
	v_cmp_le_i32_e64 s6, s30, v23
	s_or_b32 s43, s6, s43
	s_and_not1_b32 exec_lo, exec_lo, s43
	s_cbranch_execnz .LBB523_27
; %bb.28:                               ;   in Loop: Header=BB523_4 Depth=1
	s_or_b32 exec_lo, exec_lo, s43
	s_delay_alu instid0(SALU_CYCLE_1)
	s_or_b32 exec_lo, exec_lo, s42
	s_and_saveexec_b32 s6, s5
	s_cbranch_execz .LBB523_19
.LBB523_29:                             ;   in Loop: Header=BB523_4 Depth=1
	v_add_co_u32 v7, vcc_lo, v7, s40
	s_wait_alu 0xfffd
	v_add_co_ci_u32_e64 v8, null, s41, v8, vcc_lo
	v_add_co_u32 v5, vcc_lo, v5, v3
	s_wait_alu 0xfffd
	v_add_co_ci_u32_e64 v6, null, v6, v4, vcc_lo
	flat_load_u16 v7, v[7:8]
	flat_load_u16 v5, v[5:6]
	s_wait_loadcnt_dscnt 0x0
	v_mul_f16_e32 v5, v7, v5
	s_delay_alu instid0(VALU_DEP_1) | instskip(NEXT) | instid1(VALU_DEP_1)
	v_cvt_f32_f16_e32 v5, v5
	v_add_f32_e32 v22, v22, v5
	s_wait_alu 0xfffe
	s_or_b32 exec_lo, exec_lo, s6
	s_and_saveexec_b32 s6, s1
	s_cbranch_execnz .LBB523_20
	s_branch .LBB523_21
.LBB523_30:                             ;   in Loop: Header=BB523_4 Depth=1
	ds_load_b32 v8, v15
	s_wait_alu 0xfffe
	s_or_b32 exec_lo, exec_lo, s6
	s_and_saveexec_b32 s6, s1
	s_cbranch_execz .LBB523_25
.LBB523_31:                             ;   in Loop: Header=BB523_4 Depth=1
	s_wait_dscnt 0x0
	ds_bpermute_b32 v5, v5, v8
	s_wait_dscnt 0x0
	v_add_f32_e32 v5, v8, v5
	ds_bpermute_b32 v6, v6, v5
	s_wait_dscnt 0x0
	v_add_f32_e32 v5, v5, v6
	ds_bpermute_b32 v6, v7, v5
	s_wait_dscnt 0x0
	v_add_f32_e32 v8, v5, v6
	s_wait_alu 0xfffe
	s_or_b32 exec_lo, exec_lo, s6
                                        ; implicit-def: $vgpr9
	s_and_saveexec_b32 s6, s0
	s_cbranch_execz .LBB523_35
.LBB523_32:                             ;   in Loop: Header=BB523_4 Depth=1
	s_wait_dscnt 0x0
	v_mul_f32_e32 v9, v19, v8
	s_cmp_eq_f32 s31, 0
	s_cbranch_scc1 .LBB523_34
; %bb.33:                               ;   in Loop: Header=BB523_4 Depth=1
	v_add_co_u32 v5, vcc_lo, v20, s36
	s_wait_alu 0xfffd
	v_add_co_ci_u32_e64 v6, null, s37, v21, vcc_lo
	flat_load_b32 v5, v[5:6]
	s_wait_loadcnt_dscnt 0x0
	v_fmac_f32_e32 v9, s31, v5
.LBB523_34:                             ;   in Loop: Header=BB523_4 Depth=1
	s_or_b32 s7, s7, exec_lo
.LBB523_35:                             ;   in Loop: Header=BB523_4 Depth=1
	s_wait_alu 0xfffe
	s_or_b32 exec_lo, exec_lo, s6
.LBB523_36:                             ;   in Loop: Header=BB523_4 Depth=1
	s_wait_alu 0xfffe
	s_and_saveexec_b32 s6, s7
	s_cbranch_execz .LBB523_2
; %bb.37:                               ;   in Loop: Header=BB523_4 Depth=1
	v_add_co_u32 v5, vcc_lo, v20, s36
	s_wait_alu 0xfffd
	v_add_co_ci_u32_e64 v6, null, s37, v21, vcc_lo
	flat_store_b32 v[5:6], v9
	s_branch .LBB523_2
.LBB523_38:
	s_endpgm
	.section	.rodata,"a",@progbits
	.p2align	6, 0x0
	.amdhsa_kernel _ZL32rocblas_gemvt_warp_reduce_kernelILb0ELi256ElPKDF16_PKfKPfEviiT3_lPKT2_lT1_lS9_lSA_lS6_lPT4_lSA_li
		.amdhsa_group_segment_fixed_size 128
		.amdhsa_private_segment_fixed_size 0
		.amdhsa_kernarg_size 140
		.amdhsa_user_sgpr_count 2
		.amdhsa_user_sgpr_dispatch_ptr 0
		.amdhsa_user_sgpr_queue_ptr 0
		.amdhsa_user_sgpr_kernarg_segment_ptr 1
		.amdhsa_user_sgpr_dispatch_id 0
		.amdhsa_user_sgpr_private_segment_size 0
		.amdhsa_wavefront_size32 1
		.amdhsa_uses_dynamic_stack 0
		.amdhsa_enable_private_segment 0
		.amdhsa_system_sgpr_workgroup_id_x 1
		.amdhsa_system_sgpr_workgroup_id_y 0
		.amdhsa_system_sgpr_workgroup_id_z 1
		.amdhsa_system_sgpr_workgroup_info 0
		.amdhsa_system_vgpr_workitem_id 0
		.amdhsa_next_free_vgpr 26
		.amdhsa_next_free_sgpr 44
		.amdhsa_reserve_vcc 1
		.amdhsa_float_round_mode_32 0
		.amdhsa_float_round_mode_16_64 0
		.amdhsa_float_denorm_mode_32 3
		.amdhsa_float_denorm_mode_16_64 3
		.amdhsa_fp16_overflow 0
		.amdhsa_workgroup_processor_mode 1
		.amdhsa_memory_ordered 1
		.amdhsa_forward_progress 1
		.amdhsa_inst_pref_size 14
		.amdhsa_round_robin_scheduling 0
		.amdhsa_exception_fp_ieee_invalid_op 0
		.amdhsa_exception_fp_denorm_src 0
		.amdhsa_exception_fp_ieee_div_zero 0
		.amdhsa_exception_fp_ieee_overflow 0
		.amdhsa_exception_fp_ieee_underflow 0
		.amdhsa_exception_fp_ieee_inexact 0
		.amdhsa_exception_int_div_zero 0
	.end_amdhsa_kernel
	.section	.text._ZL32rocblas_gemvt_warp_reduce_kernelILb0ELi256ElPKDF16_PKfKPfEviiT3_lPKT2_lT1_lS9_lSA_lS6_lPT4_lSA_li,"axG",@progbits,_ZL32rocblas_gemvt_warp_reduce_kernelILb0ELi256ElPKDF16_PKfKPfEviiT3_lPKT2_lT1_lS9_lSA_lS6_lPT4_lSA_li,comdat
.Lfunc_end523:
	.size	_ZL32rocblas_gemvt_warp_reduce_kernelILb0ELi256ElPKDF16_PKfKPfEviiT3_lPKT2_lT1_lS9_lSA_lS6_lPT4_lSA_li, .Lfunc_end523-_ZL32rocblas_gemvt_warp_reduce_kernelILb0ELi256ElPKDF16_PKfKPfEviiT3_lPKT2_lT1_lS9_lSA_lS6_lPT4_lSA_li
                                        ; -- End function
	.set _ZL32rocblas_gemvt_warp_reduce_kernelILb0ELi256ElPKDF16_PKfKPfEviiT3_lPKT2_lT1_lS9_lSA_lS6_lPT4_lSA_li.num_vgpr, 26
	.set _ZL32rocblas_gemvt_warp_reduce_kernelILb0ELi256ElPKDF16_PKfKPfEviiT3_lPKT2_lT1_lS9_lSA_lS6_lPT4_lSA_li.num_agpr, 0
	.set _ZL32rocblas_gemvt_warp_reduce_kernelILb0ELi256ElPKDF16_PKfKPfEviiT3_lPKT2_lT1_lS9_lSA_lS6_lPT4_lSA_li.numbered_sgpr, 44
	.set _ZL32rocblas_gemvt_warp_reduce_kernelILb0ELi256ElPKDF16_PKfKPfEviiT3_lPKT2_lT1_lS9_lSA_lS6_lPT4_lSA_li.num_named_barrier, 0
	.set _ZL32rocblas_gemvt_warp_reduce_kernelILb0ELi256ElPKDF16_PKfKPfEviiT3_lPKT2_lT1_lS9_lSA_lS6_lPT4_lSA_li.private_seg_size, 0
	.set _ZL32rocblas_gemvt_warp_reduce_kernelILb0ELi256ElPKDF16_PKfKPfEviiT3_lPKT2_lT1_lS9_lSA_lS6_lPT4_lSA_li.uses_vcc, 1
	.set _ZL32rocblas_gemvt_warp_reduce_kernelILb0ELi256ElPKDF16_PKfKPfEviiT3_lPKT2_lT1_lS9_lSA_lS6_lPT4_lSA_li.uses_flat_scratch, 0
	.set _ZL32rocblas_gemvt_warp_reduce_kernelILb0ELi256ElPKDF16_PKfKPfEviiT3_lPKT2_lT1_lS9_lSA_lS6_lPT4_lSA_li.has_dyn_sized_stack, 0
	.set _ZL32rocblas_gemvt_warp_reduce_kernelILb0ELi256ElPKDF16_PKfKPfEviiT3_lPKT2_lT1_lS9_lSA_lS6_lPT4_lSA_li.has_recursion, 0
	.set _ZL32rocblas_gemvt_warp_reduce_kernelILb0ELi256ElPKDF16_PKfKPfEviiT3_lPKT2_lT1_lS9_lSA_lS6_lPT4_lSA_li.has_indirect_call, 0
	.section	.AMDGPU.csdata,"",@progbits
; Kernel info:
; codeLenInByte = 1680
; TotalNumSgprs: 46
; NumVgprs: 26
; ScratchSize: 0
; MemoryBound: 0
; FloatMode: 240
; IeeeMode: 1
; LDSByteSize: 128 bytes/workgroup (compile time only)
; SGPRBlocks: 0
; VGPRBlocks: 3
; NumSGPRsForWavesPerEU: 46
; NumVGPRsForWavesPerEU: 26
; Occupancy: 16
; WaveLimiterHint : 1
; COMPUTE_PGM_RSRC2:SCRATCH_EN: 0
; COMPUTE_PGM_RSRC2:USER_SGPR: 2
; COMPUTE_PGM_RSRC2:TRAP_HANDLER: 0
; COMPUTE_PGM_RSRC2:TGID_X_EN: 1
; COMPUTE_PGM_RSRC2:TGID_Y_EN: 0
; COMPUTE_PGM_RSRC2:TGID_Z_EN: 1
; COMPUTE_PGM_RSRC2:TIDIG_COMP_CNT: 0
	.section	.text._ZL32rocblas_gemvt_warp_reduce_kernelILb0ELi256EiPKDF16_fKPfEviiT3_lPKT2_lT1_lS7_lS8_lS4_lPT4_lS8_li,"axG",@progbits,_ZL32rocblas_gemvt_warp_reduce_kernelILb0ELi256EiPKDF16_fKPfEviiT3_lPKT2_lT1_lS7_lS8_lS4_lPT4_lS8_li,comdat
	.globl	_ZL32rocblas_gemvt_warp_reduce_kernelILb0ELi256EiPKDF16_fKPfEviiT3_lPKT2_lT1_lS7_lS8_lS4_lPT4_lS8_li ; -- Begin function _ZL32rocblas_gemvt_warp_reduce_kernelILb0ELi256EiPKDF16_fKPfEviiT3_lPKT2_lT1_lS7_lS8_lS4_lPT4_lS8_li
	.p2align	8
	.type	_ZL32rocblas_gemvt_warp_reduce_kernelILb0ELi256EiPKDF16_fKPfEviiT3_lPKT2_lT1_lS7_lS8_lS4_lPT4_lS8_li,@function
_ZL32rocblas_gemvt_warp_reduce_kernelILb0ELi256EiPKDF16_fKPfEviiT3_lPKT2_lT1_lS7_lS8_lS4_lPT4_lS8_li: ; @_ZL32rocblas_gemvt_warp_reduce_kernelILb0ELi256EiPKDF16_fKPfEviiT3_lPKT2_lT1_lS7_lS8_lS4_lPT4_lS8_li
; %bb.0:
	s_load_b32 s7, s[0:1], 0x88
	s_lshr_b32 s20, ttmp7, 16
	s_wait_kmcnt 0x0
	s_cmp_ge_u32 s20, s7
	s_cbranch_scc1 .LBB524_41
; %bb.1:
	s_clause 0x8
	s_load_b32 s30, s[0:1], 0x8
	s_load_b32 s31, s[0:1], 0x58
	s_load_b128 s[8:11], s[0:1], 0x18
	s_load_b32 s4, s[0:1], 0x28
	s_load_b32 s5, s[0:1], 0x0
	s_load_b128 s[12:15], s[0:1], 0x38
	s_load_b32 s6, s[0:1], 0x48
	s_load_b128 s[16:19], s[0:1], 0x68
	s_load_b32 s22, s[0:1], 0x78
	v_lshrrev_b32_e32 v2, 3, v0
	v_mov_b32_e32 v11, 0
	v_and_b32_e32 v1, 31, v0
	v_mbcnt_lo_u32_b32 v16, -1, 0
	v_cmp_eq_u32_e64 s0, 0, v0
	v_and_b32_e32 v14, 28, v2
	v_cmp_gt_u32_e64 s1, 32, v0
	v_lshlrev_b32_e32 v13, 2, v1
	v_lshl_or_b32 v18, v16, 2, 64
	s_mov_b32 s21, 0
	s_wait_kmcnt 0x0
	s_cmp_eq_f32 s30, 0
	v_cmp_gt_i32_e32 vcc_lo, s5, v0
	s_mul_i32 s26, s4, ttmp9
	s_cselect_b32 s33, -1, 0
	s_cmp_neq_f32 s31, 1.0
	s_mul_i32 s24, s22, ttmp9
	v_cndmask_b32_e32 v3, 0, v0, vcc_lo
	v_mul_lo_u32 v15, v0, s6
	s_cselect_b32 s2, -1, 0
	s_cmp_neq_f32 s30, 0
	s_delay_alu instid0(VALU_DEP_2) | instskip(SKIP_1) | instid1(SALU_CYCLE_1)
	v_lshlrev_b32_e32 v17, 1, v3
	s_cselect_b32 s3, -1, 0
	s_or_b32 s34, s3, s2
	s_cmp_neq_f32 s31, 0
	v_cndmask_b32_e64 v12, 0, 1, s3
	v_cmp_eq_u32_e64 s3, 0, v1
	v_cmp_gt_u32_e64 s2, 8, v0
	s_cselect_b32 s35, -1, 0
	s_ashr_i32 s23, s5, 31
	s_ashr_i32 s25, s24, 31
	s_lshr_b32 s23, s23, 24
	s_ashr_i32 s27, s26, 31
	s_add_co_i32 s23, s5, s23
	s_lshl_b32 s36, s6, 8
	s_and_b32 s22, s23, 0xffffff00
	s_lshl_b64 s[10:11], s[10:11], 1
	v_or_b32_e32 v2, s22, v0
	v_cmp_gt_i32_e64 s4, s22, v0
	s_ashr_i32 s23, s22, 31
	s_lshl_b64 s[14:15], s[14:15], 1
	s_lshl_b64 s[18:19], s[18:19], 2
	v_mul_lo_u32 v1, s6, v2
	v_cmp_gt_i32_e64 s5, s5, v2
	s_lshl_b64 s[24:25], s[24:25], 2
	s_lshl_b64 s[26:27], s[26:27], 1
	s_wait_alu 0xfffe
	s_lshl_b64 s[28:29], s[22:23], 1
	v_ashrrev_i32_e32 v2, 31, v1
	s_delay_alu instid0(VALU_DEP_1)
	v_lshlrev_b64_e32 v[1:2], 1, v[1:2]
	s_branch .LBB524_4
.LBB524_2:                              ;   in Loop: Header=BB524_4 Depth=1
	s_wait_alu 0xfffe
	s_or_b32 exec_lo, exec_lo, s6
.LBB524_3:                              ;   in Loop: Header=BB524_4 Depth=1
	s_add_co_i32 s20, s20, 0x10000
	s_delay_alu instid0(SALU_CYCLE_1)
	s_cmp_lt_u32 s20, s7
	s_cbranch_scc0 .LBB524_41
.LBB524_4:                              ; =>This Loop Header: Depth=1
                                        ;     Child Loop BB524_30 Depth 2
	s_and_not1_b32 vcc_lo, exec_lo, s34
	s_wait_alu 0xfffe
	s_cbranch_vccnz .LBB524_3
; %bb.5:                                ;   in Loop: Header=BB524_4 Depth=1
	s_and_not1_b32 vcc_lo, exec_lo, s33
	s_wait_alu 0xfffe
	s_cbranch_vccnz .LBB524_7
; %bb.6:                                ;   in Loop: Header=BB524_4 Depth=1
	s_mov_b32 s6, 0
	s_branch .LBB524_8
.LBB524_7:                              ;   in Loop: Header=BB524_4 Depth=1
	s_mov_b32 s6, -1
.LBB524_8:                              ;   in Loop: Header=BB524_4 Depth=1
	v_mov_b32_e32 v3, 0
	s_wait_dscnt 0x0
	v_dual_mov_b32 v4, 0 :: v_dual_mov_b32 v5, 0
	v_mov_b32_e32 v6, 0
	s_wait_alu 0xfffe
	s_and_not1_b32 vcc_lo, exec_lo, s6
	s_wait_alu 0xfffe
	s_cbranch_vccnz .LBB524_10
; %bb.9:                                ;   in Loop: Header=BB524_4 Depth=1
	s_lshl_b64 s[38:39], s[20:21], 3
	s_delay_alu instid0(SALU_CYCLE_1)
	s_add_nc_u64 s[38:39], s[8:9], s[38:39]
	global_load_b64 v[5:6], v11, s[38:39]
	s_wait_loadcnt 0x0
	v_add_co_u32 v5, vcc_lo, v5, s10
	s_wait_alu 0xfffd
	v_add_co_ci_u32_e64 v6, null, s11, v6, vcc_lo
.LBB524_10:                             ;   in Loop: Header=BB524_4 Depth=1
	v_cmp_ne_u32_e32 vcc_lo, 1, v12
	s_cbranch_vccnz .LBB524_12
; %bb.11:                               ;   in Loop: Header=BB524_4 Depth=1
	s_lshl_b64 s[38:39], s[20:21], 3
	s_delay_alu instid0(SALU_CYCLE_1)
	s_add_nc_u64 s[38:39], s[12:13], s[38:39]
	global_load_b64 v[3:4], v11, s[38:39]
	s_wait_loadcnt 0x0
	v_add_co_u32 v3, vcc_lo, v3, s14
	s_wait_alu 0xfffd
	v_add_co_ci_u32_e64 v4, null, s15, v4, vcc_lo
.LBB524_12:                             ;   in Loop: Header=BB524_4 Depth=1
	s_lshl_b64 s[38:39], s[20:21], 3
	s_delay_alu instid0(SALU_CYCLE_1)
	s_add_nc_u64 s[38:39], s[16:17], s[38:39]
	global_load_b64 v[7:8], v11, s[38:39]
	s_wait_loadcnt 0x0
	v_add_co_u32 v19, vcc_lo, v7, s18
	s_wait_alu 0xfffd
	v_add_co_ci_u32_e64 v20, null, s19, v8, vcc_lo
	s_and_not1_b32 vcc_lo, exec_lo, s33
	s_wait_alu 0xfffe
	s_cbranch_vccnz .LBB524_16
; %bb.13:                               ;   in Loop: Header=BB524_4 Depth=1
	s_mov_b32 s6, 0
	s_mov_b32 s23, 0
                                        ; implicit-def: $vgpr7
	s_and_saveexec_b32 s37, s0
	s_cbranch_execz .LBB524_17
; %bb.14:                               ;   in Loop: Header=BB524_4 Depth=1
	s_and_not1_b32 vcc_lo, exec_lo, s35
	s_wait_alu 0xfffe
	s_cbranch_vccnz .LBB524_18
; %bb.15:                               ;   in Loop: Header=BB524_4 Depth=1
	v_add_co_u32 v7, vcc_lo, v19, s24
	s_wait_alu 0xfffd
	v_add_co_ci_u32_e64 v8, null, s25, v20, vcc_lo
	flat_load_b32 v7, v[7:8]
	s_wait_loadcnt_dscnt 0x0
	v_mul_f32_e32 v7, s31, v7
	s_branch .LBB524_19
.LBB524_16:                             ;   in Loop: Header=BB524_4 Depth=1
	s_mov_b32 s23, 0
                                        ; implicit-def: $vgpr7
	s_cbranch_execnz .LBB524_20
	s_branch .LBB524_39
.LBB524_17:                             ;   in Loop: Header=BB524_4 Depth=1
	s_wait_alu 0xfffe
	s_or_b32 exec_lo, exec_lo, s37
	s_delay_alu instid0(SALU_CYCLE_1)
	s_and_b32 vcc_lo, exec_lo, s6
	s_wait_alu 0xfffe
	s_cbranch_vccnz .LBB524_20
	s_branch .LBB524_39
.LBB524_18:                             ;   in Loop: Header=BB524_4 Depth=1
	v_mov_b32_e32 v7, 0
.LBB524_19:                             ;   in Loop: Header=BB524_4 Depth=1
	s_mov_b32 s23, exec_lo
	s_or_b32 exec_lo, exec_lo, s37
	s_delay_alu instid0(SALU_CYCLE_1)
	s_and_b32 vcc_lo, exec_lo, s6
	s_wait_alu 0xfffe
	s_cbranch_vccz .LBB524_39
.LBB524_20:                             ;   in Loop: Header=BB524_4 Depth=1
	v_add_co_u32 v5, vcc_lo, v5, v17
	s_wait_alu 0xfffd
	v_add_co_ci_u32_e64 v6, null, 0, v6, vcc_lo
	v_mov_b32_e32 v21, 0
	s_delay_alu instid0(VALU_DEP_3) | instskip(SKIP_1) | instid1(VALU_DEP_3)
	v_add_co_u32 v5, vcc_lo, v5, s26
	s_wait_alu 0xfffd
	v_add_co_ci_u32_e64 v6, null, s27, v6, vcc_lo
	s_and_saveexec_b32 s37, s4
	s_cbranch_execnz .LBB524_29
; %bb.21:                               ;   in Loop: Header=BB524_4 Depth=1
	s_wait_alu 0xfffe
	s_or_b32 exec_lo, exec_lo, s37
	s_and_saveexec_b32 s6, s5
	s_cbranch_execnz .LBB524_32
.LBB524_22:                             ;   in Loop: Header=BB524_4 Depth=1
	s_wait_alu 0xfffe
	s_or_b32 exec_lo, exec_lo, s6
	s_and_saveexec_b32 s6, s1
.LBB524_23:                             ;   in Loop: Header=BB524_4 Depth=1
	ds_store_b32 v13, v11
.LBB524_24:                             ;   in Loop: Header=BB524_4 Depth=1
	s_wait_alu 0xfffe
	s_or_b32 exec_lo, exec_lo, s6
	ds_bpermute_b32 v3, v18, v21
	v_cmp_gt_u32_e32 vcc_lo, 24, v16
	s_wait_dscnt 0x0
	s_barrier_signal -1
	s_barrier_wait -1
	global_inv scope:SCOPE_SE
	s_wait_alu 0xfffd
	v_cndmask_b32_e64 v4, 0, 8, vcc_lo
	v_cmp_gt_u32_e32 vcc_lo, 28, v16
	s_delay_alu instid0(VALU_DEP_2)
	v_add_lshl_u32 v4, v4, v16, 2
	v_add_f32_e32 v5, v21, v3
	s_wait_alu 0xfffd
	v_cndmask_b32_e64 v3, 0, 4, vcc_lo
	v_cmp_gt_u32_e32 vcc_lo, 30, v16
	ds_bpermute_b32 v4, v4, v5
	v_add_lshl_u32 v3, v3, v16, 2
	s_wait_dscnt 0x0
	v_add_f32_e32 v5, v5, v4
	s_wait_alu 0xfffd
	v_cndmask_b32_e64 v4, 0, 2, vcc_lo
	v_cmp_ne_u32_e32 vcc_lo, 31, v16
	ds_bpermute_b32 v6, v3, v5
	v_add_lshl_u32 v4, v4, v16, 2
	s_wait_alu 0xfffd
	v_add_co_ci_u32_e64 v7, null, 0, v16, vcc_lo
	s_wait_dscnt 0x0
	v_add_f32_e32 v5, v5, v6
	ds_bpermute_b32 v6, v4, v5
	s_wait_dscnt 0x0
	v_dual_add_f32 v6, v5, v6 :: v_dual_lshlrev_b32 v5, 2, v7
	ds_bpermute_b32 v7, v5, v6
	s_and_saveexec_b32 s6, s3
	s_cbranch_execz .LBB524_26
; %bb.25:                               ;   in Loop: Header=BB524_4 Depth=1
	s_wait_dscnt 0x0
	v_add_f32_e32 v6, v6, v7
	ds_store_b32 v14, v6
.LBB524_26:                             ;   in Loop: Header=BB524_4 Depth=1
	s_wait_alu 0xfffe
	s_or_b32 exec_lo, exec_lo, s6
	v_mov_b32_e32 v6, 0
	s_wait_loadcnt_dscnt 0x0
	s_barrier_signal -1
	s_barrier_wait -1
	global_inv scope:SCOPE_SE
	s_and_saveexec_b32 s6, s2
	s_cbranch_execnz .LBB524_33
; %bb.27:                               ;   in Loop: Header=BB524_4 Depth=1
	s_wait_alu 0xfffe
	s_or_b32 exec_lo, exec_lo, s6
	s_and_saveexec_b32 s6, s1
	s_cbranch_execnz .LBB524_34
.LBB524_28:                             ;   in Loop: Header=BB524_4 Depth=1
	s_wait_alu 0xfffe
	s_or_b32 exec_lo, exec_lo, s6
                                        ; implicit-def: $vgpr7
	s_and_saveexec_b32 s6, s0
	s_cbranch_execnz .LBB524_35
	s_branch .LBB524_38
.LBB524_29:                             ;   in Loop: Header=BB524_4 Depth=1
	v_dual_mov_b32 v21, 0 :: v_dual_mov_b32 v10, v6
	v_dual_mov_b32 v7, v15 :: v_dual_mov_b32 v22, v0
	v_mov_b32_e32 v9, v5
	s_mov_b32 s38, 0
.LBB524_30:                             ;   Parent Loop BB524_4 Depth=1
                                        ; =>  This Inner Loop Header: Depth=2
	s_delay_alu instid0(VALU_DEP_2) | instskip(NEXT) | instid1(VALU_DEP_1)
	v_ashrrev_i32_e32 v8, 31, v7
	v_lshlrev_b64_e32 v[23:24], 1, v[7:8]
	v_add_nc_u32_e32 v7, s36, v7
	s_delay_alu instid0(VALU_DEP_2) | instskip(SKIP_1) | instid1(VALU_DEP_3)
	v_add_co_u32 v23, vcc_lo, v3, v23
	s_wait_alu 0xfffd
	v_add_co_ci_u32_e64 v24, null, v4, v24, vcc_lo
	flat_load_u16 v8, v[9:10]
	flat_load_u16 v23, v[23:24]
	v_add_co_u32 v9, vcc_lo, 0x200, v9
	s_wait_alu 0xfffd
	v_add_co_ci_u32_e64 v10, null, 0, v10, vcc_lo
	s_wait_loadcnt_dscnt 0x0
	v_mul_f16_e32 v8, v8, v23
	s_delay_alu instid0(VALU_DEP_1) | instskip(NEXT) | instid1(VALU_DEP_1)
	v_cvt_f32_f16_e32 v8, v8
	v_dual_add_f32 v21, v21, v8 :: v_dual_add_nc_u32 v22, 0x100, v22
	s_delay_alu instid0(VALU_DEP_1) | instskip(SKIP_1) | instid1(SALU_CYCLE_1)
	v_cmp_le_i32_e64 s6, s22, v22
	s_or_b32 s38, s6, s38
	s_and_not1_b32 exec_lo, exec_lo, s38
	s_cbranch_execnz .LBB524_30
; %bb.31:                               ;   in Loop: Header=BB524_4 Depth=1
	s_or_b32 exec_lo, exec_lo, s38
	s_wait_alu 0xfffe
	s_or_b32 exec_lo, exec_lo, s37
	s_and_saveexec_b32 s6, s5
	s_cbranch_execz .LBB524_22
.LBB524_32:                             ;   in Loop: Header=BB524_4 Depth=1
	v_add_co_u32 v5, vcc_lo, v5, s28
	s_wait_alu 0xfffd
	v_add_co_ci_u32_e64 v6, null, s29, v6, vcc_lo
	v_add_co_u32 v3, vcc_lo, v3, v1
	s_wait_alu 0xfffd
	v_add_co_ci_u32_e64 v4, null, v4, v2, vcc_lo
	flat_load_u16 v5, v[5:6]
	flat_load_u16 v3, v[3:4]
	s_wait_loadcnt_dscnt 0x0
	v_mul_f16_e32 v3, v5, v3
	s_delay_alu instid0(VALU_DEP_1) | instskip(NEXT) | instid1(VALU_DEP_1)
	v_cvt_f32_f16_e32 v3, v3
	v_add_f32_e32 v21, v21, v3
	s_wait_alu 0xfffe
	s_or_b32 exec_lo, exec_lo, s6
	s_and_saveexec_b32 s6, s1
	s_cbranch_execnz .LBB524_23
	s_branch .LBB524_24
.LBB524_33:                             ;   in Loop: Header=BB524_4 Depth=1
	ds_load_b32 v6, v13
	s_wait_alu 0xfffe
	s_or_b32 exec_lo, exec_lo, s6
	s_and_saveexec_b32 s6, s1
	s_cbranch_execz .LBB524_28
.LBB524_34:                             ;   in Loop: Header=BB524_4 Depth=1
	s_wait_dscnt 0x0
	ds_bpermute_b32 v3, v3, v6
	s_wait_dscnt 0x0
	v_add_f32_e32 v3, v6, v3
	ds_bpermute_b32 v4, v4, v3
	s_wait_dscnt 0x0
	v_add_f32_e32 v3, v3, v4
	;; [unrolled: 3-line block ×3, first 2 shown]
	s_wait_alu 0xfffe
	s_or_b32 exec_lo, exec_lo, s6
                                        ; implicit-def: $vgpr7
	s_and_saveexec_b32 s6, s0
	s_cbranch_execz .LBB524_38
.LBB524_35:                             ;   in Loop: Header=BB524_4 Depth=1
	s_wait_dscnt 0x0
	v_mul_f32_e32 v7, s30, v6
	s_and_not1_b32 vcc_lo, exec_lo, s35
	s_wait_alu 0xfffe
	s_cbranch_vccnz .LBB524_37
; %bb.36:                               ;   in Loop: Header=BB524_4 Depth=1
	v_add_co_u32 v3, vcc_lo, v19, s24
	s_wait_alu 0xfffd
	v_add_co_ci_u32_e64 v4, null, s25, v20, vcc_lo
	flat_load_b32 v3, v[3:4]
	s_wait_loadcnt_dscnt 0x0
	v_fmac_f32_e32 v7, s31, v3
.LBB524_37:                             ;   in Loop: Header=BB524_4 Depth=1
	s_or_b32 s23, s23, exec_lo
.LBB524_38:                             ;   in Loop: Header=BB524_4 Depth=1
	s_wait_alu 0xfffe
	s_or_b32 exec_lo, exec_lo, s6
.LBB524_39:                             ;   in Loop: Header=BB524_4 Depth=1
	s_wait_alu 0xfffe
	s_and_saveexec_b32 s6, s23
	s_cbranch_execz .LBB524_2
; %bb.40:                               ;   in Loop: Header=BB524_4 Depth=1
	v_add_co_u32 v3, vcc_lo, v19, s24
	s_wait_alu 0xfffd
	v_add_co_ci_u32_e64 v4, null, s25, v20, vcc_lo
	flat_store_b32 v[3:4], v7
	s_branch .LBB524_2
.LBB524_41:
	s_endpgm
	.section	.rodata,"a",@progbits
	.p2align	6, 0x0
	.amdhsa_kernel _ZL32rocblas_gemvt_warp_reduce_kernelILb0ELi256EiPKDF16_fKPfEviiT3_lPKT2_lT1_lS7_lS8_lS4_lPT4_lS8_li
		.amdhsa_group_segment_fixed_size 128
		.amdhsa_private_segment_fixed_size 0
		.amdhsa_kernarg_size 140
		.amdhsa_user_sgpr_count 2
		.amdhsa_user_sgpr_dispatch_ptr 0
		.amdhsa_user_sgpr_queue_ptr 0
		.amdhsa_user_sgpr_kernarg_segment_ptr 1
		.amdhsa_user_sgpr_dispatch_id 0
		.amdhsa_user_sgpr_private_segment_size 0
		.amdhsa_wavefront_size32 1
		.amdhsa_uses_dynamic_stack 0
		.amdhsa_enable_private_segment 0
		.amdhsa_system_sgpr_workgroup_id_x 1
		.amdhsa_system_sgpr_workgroup_id_y 0
		.amdhsa_system_sgpr_workgroup_id_z 1
		.amdhsa_system_sgpr_workgroup_info 0
		.amdhsa_system_vgpr_workitem_id 0
		.amdhsa_next_free_vgpr 25
		.amdhsa_next_free_sgpr 40
		.amdhsa_reserve_vcc 1
		.amdhsa_float_round_mode_32 0
		.amdhsa_float_round_mode_16_64 0
		.amdhsa_float_denorm_mode_32 3
		.amdhsa_float_denorm_mode_16_64 3
		.amdhsa_fp16_overflow 0
		.amdhsa_workgroup_processor_mode 1
		.amdhsa_memory_ordered 1
		.amdhsa_forward_progress 1
		.amdhsa_inst_pref_size 13
		.amdhsa_round_robin_scheduling 0
		.amdhsa_exception_fp_ieee_invalid_op 0
		.amdhsa_exception_fp_denorm_src 0
		.amdhsa_exception_fp_ieee_div_zero 0
		.amdhsa_exception_fp_ieee_overflow 0
		.amdhsa_exception_fp_ieee_underflow 0
		.amdhsa_exception_fp_ieee_inexact 0
		.amdhsa_exception_int_div_zero 0
	.end_amdhsa_kernel
	.section	.text._ZL32rocblas_gemvt_warp_reduce_kernelILb0ELi256EiPKDF16_fKPfEviiT3_lPKT2_lT1_lS7_lS8_lS4_lPT4_lS8_li,"axG",@progbits,_ZL32rocblas_gemvt_warp_reduce_kernelILb0ELi256EiPKDF16_fKPfEviiT3_lPKT2_lT1_lS7_lS8_lS4_lPT4_lS8_li,comdat
.Lfunc_end524:
	.size	_ZL32rocblas_gemvt_warp_reduce_kernelILb0ELi256EiPKDF16_fKPfEviiT3_lPKT2_lT1_lS7_lS8_lS4_lPT4_lS8_li, .Lfunc_end524-_ZL32rocblas_gemvt_warp_reduce_kernelILb0ELi256EiPKDF16_fKPfEviiT3_lPKT2_lT1_lS7_lS8_lS4_lPT4_lS8_li
                                        ; -- End function
	.set _ZL32rocblas_gemvt_warp_reduce_kernelILb0ELi256EiPKDF16_fKPfEviiT3_lPKT2_lT1_lS7_lS8_lS4_lPT4_lS8_li.num_vgpr, 25
	.set _ZL32rocblas_gemvt_warp_reduce_kernelILb0ELi256EiPKDF16_fKPfEviiT3_lPKT2_lT1_lS7_lS8_lS4_lPT4_lS8_li.num_agpr, 0
	.set _ZL32rocblas_gemvt_warp_reduce_kernelILb0ELi256EiPKDF16_fKPfEviiT3_lPKT2_lT1_lS7_lS8_lS4_lPT4_lS8_li.numbered_sgpr, 40
	.set _ZL32rocblas_gemvt_warp_reduce_kernelILb0ELi256EiPKDF16_fKPfEviiT3_lPKT2_lT1_lS7_lS8_lS4_lPT4_lS8_li.num_named_barrier, 0
	.set _ZL32rocblas_gemvt_warp_reduce_kernelILb0ELi256EiPKDF16_fKPfEviiT3_lPKT2_lT1_lS7_lS8_lS4_lPT4_lS8_li.private_seg_size, 0
	.set _ZL32rocblas_gemvt_warp_reduce_kernelILb0ELi256EiPKDF16_fKPfEviiT3_lPKT2_lT1_lS7_lS8_lS4_lPT4_lS8_li.uses_vcc, 1
	.set _ZL32rocblas_gemvt_warp_reduce_kernelILb0ELi256EiPKDF16_fKPfEviiT3_lPKT2_lT1_lS7_lS8_lS4_lPT4_lS8_li.uses_flat_scratch, 0
	.set _ZL32rocblas_gemvt_warp_reduce_kernelILb0ELi256EiPKDF16_fKPfEviiT3_lPKT2_lT1_lS7_lS8_lS4_lPT4_lS8_li.has_dyn_sized_stack, 0
	.set _ZL32rocblas_gemvt_warp_reduce_kernelILb0ELi256EiPKDF16_fKPfEviiT3_lPKT2_lT1_lS7_lS8_lS4_lPT4_lS8_li.has_recursion, 0
	.set _ZL32rocblas_gemvt_warp_reduce_kernelILb0ELi256EiPKDF16_fKPfEviiT3_lPKT2_lT1_lS7_lS8_lS4_lPT4_lS8_li.has_indirect_call, 0
	.section	.AMDGPU.csdata,"",@progbits
; Kernel info:
; codeLenInByte = 1660
; TotalNumSgprs: 42
; NumVgprs: 25
; ScratchSize: 0
; MemoryBound: 0
; FloatMode: 240
; IeeeMode: 1
; LDSByteSize: 128 bytes/workgroup (compile time only)
; SGPRBlocks: 0
; VGPRBlocks: 3
; NumSGPRsForWavesPerEU: 42
; NumVGPRsForWavesPerEU: 25
; Occupancy: 16
; WaveLimiterHint : 1
; COMPUTE_PGM_RSRC2:SCRATCH_EN: 0
; COMPUTE_PGM_RSRC2:USER_SGPR: 2
; COMPUTE_PGM_RSRC2:TRAP_HANDLER: 0
; COMPUTE_PGM_RSRC2:TGID_X_EN: 1
; COMPUTE_PGM_RSRC2:TGID_Y_EN: 0
; COMPUTE_PGM_RSRC2:TGID_Z_EN: 1
; COMPUTE_PGM_RSRC2:TIDIG_COMP_CNT: 0
	.section	.text._ZL32rocblas_gemvt_warp_reduce_kernelILb0ELi256ElPKDF16_fKPfEviiT3_lPKT2_lT1_lS7_lS8_lS4_lPT4_lS8_li,"axG",@progbits,_ZL32rocblas_gemvt_warp_reduce_kernelILb0ELi256ElPKDF16_fKPfEviiT3_lPKT2_lT1_lS7_lS8_lS4_lPT4_lS8_li,comdat
	.globl	_ZL32rocblas_gemvt_warp_reduce_kernelILb0ELi256ElPKDF16_fKPfEviiT3_lPKT2_lT1_lS7_lS8_lS4_lPT4_lS8_li ; -- Begin function _ZL32rocblas_gemvt_warp_reduce_kernelILb0ELi256ElPKDF16_fKPfEviiT3_lPKT2_lT1_lS7_lS8_lS4_lPT4_lS8_li
	.p2align	8
	.type	_ZL32rocblas_gemvt_warp_reduce_kernelILb0ELi256ElPKDF16_fKPfEviiT3_lPKT2_lT1_lS7_lS8_lS4_lPT4_lS8_li,@function
_ZL32rocblas_gemvt_warp_reduce_kernelILb0ELi256ElPKDF16_fKPfEviiT3_lPKT2_lT1_lS7_lS8_lS4_lPT4_lS8_li: ; @_ZL32rocblas_gemvt_warp_reduce_kernelILb0ELi256ElPKDF16_fKPfEviiT3_lPKT2_lT1_lS7_lS8_lS4_lPT4_lS8_li
; %bb.0:
	s_load_b32 s7, s[0:1], 0x88
	s_lshr_b32 s20, ttmp7, 16
	s_wait_kmcnt 0x0
	s_cmp_ge_u32 s20, s7
	s_cbranch_scc1 .LBB525_41
; %bb.1:
	s_clause 0x8
	s_load_b32 s33, s[0:1], 0x8
	s_load_b32 s34, s[0:1], 0x58
	s_load_b64 s[26:27], s[0:1], 0x48
	s_load_b128 s[8:11], s[0:1], 0x38
	s_load_b32 s6, s[0:1], 0x0
	s_load_b128 s[12:15], s[0:1], 0x18
	s_load_b64 s[28:29], s[0:1], 0x28
	s_load_b64 s[30:31], s[0:1], 0x78
	s_load_b128 s[16:19], s[0:1], 0x68
	v_and_b32_e32 v3, 31, v0
	v_lshrrev_b32_e32 v4, 3, v0
	v_mov_b32_e32 v13, 0
	v_mbcnt_lo_u32_b32 v17, -1, 0
	s_mov_b32 s4, ttmp9
	v_lshlrev_b32_e32 v14, 2, v3
	v_and_b32_e32 v16, 28, v4
	v_cmp_eq_u32_e64 s0, 0, v0
	v_cmp_gt_u32_e64 s1, 32, v0
	v_cmp_gt_u32_e64 s2, 8, v0
	v_lshl_or_b32 v19, v17, 2, 64
	s_wait_kmcnt 0x0
	s_cmp_eq_f32 s33, 0
	s_mov_b32 s21, 0
	v_mad_co_u64_u32 v[1:2], null, s26, v0, 0
	s_cselect_b32 s35, -1, 0
	s_cmp_neq_f32 s34, 1.0
	v_cmp_gt_i32_e32 vcc_lo, s6, v0
	s_cselect_b32 s3, -1, 0
	s_cmp_neq_f32 s33, 0
	v_cndmask_b32_e32 v5, 0, v0, vcc_lo
	s_cselect_b32 s5, -1, 0
	s_delay_alu instid0(SALU_CYCLE_1)
	s_or_b32 s36, s5, s3
	s_cmp_neq_f32 s34, 0
	v_cndmask_b32_e64 v15, 0, 1, s5
	v_cmp_eq_u32_e64 s3, 0, v3
	v_mad_co_u64_u32 v[2:3], null, s27, v0, v[2:3]
	s_cselect_b32 s37, -1, 0
	s_ashr_i32 s5, s6, 31
	s_lshl_b64 s[24:25], s[26:27], 9
	s_wait_alu 0xfffe
	s_lshr_b32 s5, s5, 24
	v_lshlrev_b32_e32 v18, 1, v5
	s_wait_alu 0xfffe
	s_add_co_i32 s5, s6, s5
	v_lshlrev_b64_e32 v[1:2], 1, v[1:2]
	s_wait_alu 0xfffe
	s_and_b32 s22, s5, 0xffffff00
	s_ashr_i32 s5, ttmp9, 31
	v_or_b32_e32 v6, s22, v0
	s_ashr_i32 s23, s22, 31
	s_wait_alu 0xfffe
	s_mul_u64 s[30:31], s[30:31], s[4:5]
	s_mul_u64 s[28:29], s[28:29], s[4:5]
	v_cmp_gt_i32_e64 s4, s22, v0
	v_mul_lo_u32 v7, s27, v6
	v_mad_co_u64_u32 v[3:4], null, s26, v6, 0
	s_mul_i32 s26, s26, s23
	v_cmp_gt_i32_e64 s5, s6, v6
	s_lshl_b64 s[14:15], s[14:15], 1
	s_lshl_b64 s[10:11], s[10:11], 1
	;; [unrolled: 1-line block ×4, first 2 shown]
	s_wait_alu 0xfffe
	v_add3_u32 v4, v4, s26, v7
	s_lshl_b64 s[26:27], s[30:31], 2
	s_lshl_b64 s[30:31], s[22:23], 1
	s_delay_alu instid0(VALU_DEP_1)
	v_lshlrev_b64_e32 v[3:4], 1, v[3:4]
	s_branch .LBB525_4
.LBB525_2:                              ;   in Loop: Header=BB525_4 Depth=1
	s_wait_alu 0xfffe
	s_or_b32 exec_lo, exec_lo, s6
.LBB525_3:                              ;   in Loop: Header=BB525_4 Depth=1
	s_add_co_i32 s20, s20, 0x10000
	s_delay_alu instid0(SALU_CYCLE_1)
	s_cmp_lt_u32 s20, s7
	s_cbranch_scc0 .LBB525_41
.LBB525_4:                              ; =>This Loop Header: Depth=1
                                        ;     Child Loop BB525_30 Depth 2
	s_and_not1_b32 vcc_lo, exec_lo, s36
	s_wait_alu 0xfffe
	s_cbranch_vccnz .LBB525_3
; %bb.5:                                ;   in Loop: Header=BB525_4 Depth=1
	s_and_not1_b32 vcc_lo, exec_lo, s35
	s_wait_alu 0xfffe
	s_cbranch_vccnz .LBB525_7
; %bb.6:                                ;   in Loop: Header=BB525_4 Depth=1
	s_mov_b32 s6, 0
	s_branch .LBB525_8
.LBB525_7:                              ;   in Loop: Header=BB525_4 Depth=1
	s_mov_b32 s6, -1
.LBB525_8:                              ;   in Loop: Header=BB525_4 Depth=1
	v_mov_b32_e32 v5, 0
	s_wait_dscnt 0x0
	v_dual_mov_b32 v6, 0 :: v_dual_mov_b32 v7, 0
	v_mov_b32_e32 v8, 0
	s_wait_alu 0xfffe
	s_and_not1_b32 vcc_lo, exec_lo, s6
	s_wait_alu 0xfffe
	s_cbranch_vccnz .LBB525_10
; %bb.9:                                ;   in Loop: Header=BB525_4 Depth=1
	s_lshl_b64 s[38:39], s[20:21], 3
	s_delay_alu instid0(SALU_CYCLE_1)
	s_add_nc_u64 s[38:39], s[12:13], s[38:39]
	global_load_b64 v[7:8], v13, s[38:39]
	s_wait_loadcnt 0x0
	v_add_co_u32 v7, vcc_lo, v7, s14
	s_wait_alu 0xfffd
	v_add_co_ci_u32_e64 v8, null, s15, v8, vcc_lo
.LBB525_10:                             ;   in Loop: Header=BB525_4 Depth=1
	v_cmp_ne_u32_e32 vcc_lo, 1, v15
	s_cbranch_vccnz .LBB525_12
; %bb.11:                               ;   in Loop: Header=BB525_4 Depth=1
	s_lshl_b64 s[38:39], s[20:21], 3
	s_delay_alu instid0(SALU_CYCLE_1)
	s_add_nc_u64 s[38:39], s[8:9], s[38:39]
	global_load_b64 v[5:6], v13, s[38:39]
	s_wait_loadcnt 0x0
	v_add_co_u32 v5, vcc_lo, v5, s10
	s_wait_alu 0xfffd
	v_add_co_ci_u32_e64 v6, null, s11, v6, vcc_lo
.LBB525_12:                             ;   in Loop: Header=BB525_4 Depth=1
	s_lshl_b64 s[38:39], s[20:21], 3
	s_delay_alu instid0(SALU_CYCLE_1)
	s_add_nc_u64 s[38:39], s[16:17], s[38:39]
	global_load_b64 v[9:10], v13, s[38:39]
	s_wait_loadcnt 0x0
	v_add_co_u32 v20, vcc_lo, v9, s18
	s_wait_alu 0xfffd
	v_add_co_ci_u32_e64 v21, null, s19, v10, vcc_lo
	s_and_not1_b32 vcc_lo, exec_lo, s35
	s_wait_alu 0xfffe
	s_cbranch_vccnz .LBB525_16
; %bb.13:                               ;   in Loop: Header=BB525_4 Depth=1
	s_mov_b32 s6, 0
	s_mov_b32 s23, 0
                                        ; implicit-def: $vgpr9
	s_and_saveexec_b32 s38, s0
	s_cbranch_execz .LBB525_17
; %bb.14:                               ;   in Loop: Header=BB525_4 Depth=1
	s_and_not1_b32 vcc_lo, exec_lo, s37
	s_wait_alu 0xfffe
	s_cbranch_vccnz .LBB525_18
; %bb.15:                               ;   in Loop: Header=BB525_4 Depth=1
	v_add_co_u32 v9, vcc_lo, v20, s26
	s_wait_alu 0xfffd
	v_add_co_ci_u32_e64 v10, null, s27, v21, vcc_lo
	flat_load_b32 v9, v[9:10]
	s_wait_loadcnt_dscnt 0x0
	v_mul_f32_e32 v9, s34, v9
	s_branch .LBB525_19
.LBB525_16:                             ;   in Loop: Header=BB525_4 Depth=1
	s_mov_b32 s23, 0
                                        ; implicit-def: $vgpr9
	s_cbranch_execnz .LBB525_20
	s_branch .LBB525_39
.LBB525_17:                             ;   in Loop: Header=BB525_4 Depth=1
	s_or_b32 exec_lo, exec_lo, s38
	s_wait_alu 0xfffe
	s_and_b32 vcc_lo, exec_lo, s6
	s_wait_alu 0xfffe
	s_cbranch_vccnz .LBB525_20
	s_branch .LBB525_39
.LBB525_18:                             ;   in Loop: Header=BB525_4 Depth=1
	v_mov_b32_e32 v9, 0
.LBB525_19:                             ;   in Loop: Header=BB525_4 Depth=1
	s_mov_b32 s23, exec_lo
	s_or_b32 exec_lo, exec_lo, s38
	s_delay_alu instid0(SALU_CYCLE_1)
	s_and_b32 vcc_lo, exec_lo, s6
	s_wait_alu 0xfffe
	s_cbranch_vccz .LBB525_39
.LBB525_20:                             ;   in Loop: Header=BB525_4 Depth=1
	v_add_co_u32 v7, vcc_lo, v7, v18
	s_wait_alu 0xfffd
	v_add_co_ci_u32_e64 v8, null, 0, v8, vcc_lo
	v_mov_b32_e32 v22, 0
	s_delay_alu instid0(VALU_DEP_3) | instskip(SKIP_1) | instid1(VALU_DEP_3)
	v_add_co_u32 v7, vcc_lo, v7, s28
	s_wait_alu 0xfffd
	v_add_co_ci_u32_e64 v8, null, s29, v8, vcc_lo
	s_and_saveexec_b32 s38, s4
	s_cbranch_execnz .LBB525_29
; %bb.21:                               ;   in Loop: Header=BB525_4 Depth=1
	s_or_b32 exec_lo, exec_lo, s38
	s_and_saveexec_b32 s6, s5
	s_cbranch_execnz .LBB525_32
.LBB525_22:                             ;   in Loop: Header=BB525_4 Depth=1
	s_wait_alu 0xfffe
	s_or_b32 exec_lo, exec_lo, s6
	s_and_saveexec_b32 s6, s1
.LBB525_23:                             ;   in Loop: Header=BB525_4 Depth=1
	ds_store_b32 v14, v13
.LBB525_24:                             ;   in Loop: Header=BB525_4 Depth=1
	s_wait_alu 0xfffe
	s_or_b32 exec_lo, exec_lo, s6
	ds_bpermute_b32 v5, v19, v22
	v_cmp_gt_u32_e32 vcc_lo, 24, v17
	s_wait_dscnt 0x0
	s_barrier_signal -1
	s_barrier_wait -1
	global_inv scope:SCOPE_SE
	s_wait_alu 0xfffd
	v_cndmask_b32_e64 v6, 0, 8, vcc_lo
	v_cmp_gt_u32_e32 vcc_lo, 28, v17
	s_delay_alu instid0(VALU_DEP_2)
	v_add_lshl_u32 v6, v6, v17, 2
	v_add_f32_e32 v7, v22, v5
	s_wait_alu 0xfffd
	v_cndmask_b32_e64 v5, 0, 4, vcc_lo
	v_cmp_gt_u32_e32 vcc_lo, 30, v17
	ds_bpermute_b32 v6, v6, v7
	v_add_lshl_u32 v5, v5, v17, 2
	s_wait_dscnt 0x0
	v_add_f32_e32 v7, v7, v6
	s_wait_alu 0xfffd
	v_cndmask_b32_e64 v6, 0, 2, vcc_lo
	v_cmp_ne_u32_e32 vcc_lo, 31, v17
	ds_bpermute_b32 v8, v5, v7
	v_add_lshl_u32 v6, v6, v17, 2
	s_wait_alu 0xfffd
	v_add_co_ci_u32_e64 v9, null, 0, v17, vcc_lo
	s_wait_dscnt 0x0
	v_add_f32_e32 v7, v7, v8
	ds_bpermute_b32 v8, v6, v7
	s_wait_dscnt 0x0
	v_dual_add_f32 v8, v7, v8 :: v_dual_lshlrev_b32 v7, 2, v9
	ds_bpermute_b32 v9, v7, v8
	s_and_saveexec_b32 s6, s3
	s_cbranch_execz .LBB525_26
; %bb.25:                               ;   in Loop: Header=BB525_4 Depth=1
	s_wait_dscnt 0x0
	v_add_f32_e32 v8, v8, v9
	ds_store_b32 v16, v8
.LBB525_26:                             ;   in Loop: Header=BB525_4 Depth=1
	s_wait_alu 0xfffe
	s_or_b32 exec_lo, exec_lo, s6
	v_mov_b32_e32 v8, 0
	s_wait_loadcnt_dscnt 0x0
	s_barrier_signal -1
	s_barrier_wait -1
	global_inv scope:SCOPE_SE
	s_and_saveexec_b32 s6, s2
	s_cbranch_execnz .LBB525_33
; %bb.27:                               ;   in Loop: Header=BB525_4 Depth=1
	s_wait_alu 0xfffe
	s_or_b32 exec_lo, exec_lo, s6
	s_and_saveexec_b32 s6, s1
	s_cbranch_execnz .LBB525_34
.LBB525_28:                             ;   in Loop: Header=BB525_4 Depth=1
	s_wait_alu 0xfffe
	s_or_b32 exec_lo, exec_lo, s6
                                        ; implicit-def: $vgpr9
	s_and_saveexec_b32 s6, s0
	s_cbranch_execnz .LBB525_35
	s_branch .LBB525_38
.LBB525_29:                             ;   in Loop: Header=BB525_4 Depth=1
	v_add_co_u32 v9, vcc_lo, v5, v1
	v_dual_mov_b32 v12, v8 :: v_dual_mov_b32 v23, v0
	s_wait_alu 0xfffd
	v_add_co_ci_u32_e64 v10, null, v6, v2, vcc_lo
	v_dual_mov_b32 v22, 0 :: v_dual_mov_b32 v11, v7
	s_mov_b32 s39, 0
.LBB525_30:                             ;   Parent Loop BB525_4 Depth=1
                                        ; =>  This Inner Loop Header: Depth=2
	flat_load_u16 v24, v[11:12]
	flat_load_u16 v25, v[9:10]
	v_add_co_u32 v11, vcc_lo, 0x200, v11
	s_wait_alu 0xfffd
	v_add_co_ci_u32_e64 v12, null, 0, v12, vcc_lo
	v_add_co_u32 v9, vcc_lo, v9, s24
	s_wait_alu 0xfffd
	v_add_co_ci_u32_e64 v10, null, s25, v10, vcc_lo
	s_wait_loadcnt_dscnt 0x0
	v_mul_f16_e32 v24, v24, v25
	s_delay_alu instid0(VALU_DEP_1) | instskip(NEXT) | instid1(VALU_DEP_1)
	v_cvt_f32_f16_e32 v24, v24
	v_dual_add_f32 v22, v22, v24 :: v_dual_add_nc_u32 v23, 0x100, v23
	s_delay_alu instid0(VALU_DEP_1) | instskip(SKIP_1) | instid1(SALU_CYCLE_1)
	v_cmp_le_i32_e64 s6, s22, v23
	s_or_b32 s39, s6, s39
	s_and_not1_b32 exec_lo, exec_lo, s39
	s_cbranch_execnz .LBB525_30
; %bb.31:                               ;   in Loop: Header=BB525_4 Depth=1
	s_or_b32 exec_lo, exec_lo, s39
	s_delay_alu instid0(SALU_CYCLE_1)
	s_or_b32 exec_lo, exec_lo, s38
	s_and_saveexec_b32 s6, s5
	s_cbranch_execz .LBB525_22
.LBB525_32:                             ;   in Loop: Header=BB525_4 Depth=1
	v_add_co_u32 v7, vcc_lo, v7, s30
	s_wait_alu 0xfffd
	v_add_co_ci_u32_e64 v8, null, s31, v8, vcc_lo
	v_add_co_u32 v5, vcc_lo, v5, v3
	s_wait_alu 0xfffd
	v_add_co_ci_u32_e64 v6, null, v6, v4, vcc_lo
	flat_load_u16 v7, v[7:8]
	flat_load_u16 v5, v[5:6]
	s_wait_loadcnt_dscnt 0x0
	v_mul_f16_e32 v5, v7, v5
	s_delay_alu instid0(VALU_DEP_1) | instskip(NEXT) | instid1(VALU_DEP_1)
	v_cvt_f32_f16_e32 v5, v5
	v_add_f32_e32 v22, v22, v5
	s_wait_alu 0xfffe
	s_or_b32 exec_lo, exec_lo, s6
	s_and_saveexec_b32 s6, s1
	s_cbranch_execnz .LBB525_23
	s_branch .LBB525_24
.LBB525_33:                             ;   in Loop: Header=BB525_4 Depth=1
	ds_load_b32 v8, v14
	s_wait_alu 0xfffe
	s_or_b32 exec_lo, exec_lo, s6
	s_and_saveexec_b32 s6, s1
	s_cbranch_execz .LBB525_28
.LBB525_34:                             ;   in Loop: Header=BB525_4 Depth=1
	s_wait_dscnt 0x0
	ds_bpermute_b32 v5, v5, v8
	s_wait_dscnt 0x0
	v_add_f32_e32 v5, v8, v5
	ds_bpermute_b32 v6, v6, v5
	s_wait_dscnt 0x0
	v_add_f32_e32 v5, v5, v6
	;; [unrolled: 3-line block ×3, first 2 shown]
	s_wait_alu 0xfffe
	s_or_b32 exec_lo, exec_lo, s6
                                        ; implicit-def: $vgpr9
	s_and_saveexec_b32 s6, s0
	s_cbranch_execz .LBB525_38
.LBB525_35:                             ;   in Loop: Header=BB525_4 Depth=1
	s_wait_dscnt 0x0
	v_mul_f32_e32 v9, s33, v8
	s_and_not1_b32 vcc_lo, exec_lo, s37
	s_wait_alu 0xfffe
	s_cbranch_vccnz .LBB525_37
; %bb.36:                               ;   in Loop: Header=BB525_4 Depth=1
	v_add_co_u32 v5, vcc_lo, v20, s26
	s_wait_alu 0xfffd
	v_add_co_ci_u32_e64 v6, null, s27, v21, vcc_lo
	flat_load_b32 v5, v[5:6]
	s_wait_loadcnt_dscnt 0x0
	v_fmac_f32_e32 v9, s34, v5
.LBB525_37:                             ;   in Loop: Header=BB525_4 Depth=1
	s_or_b32 s23, s23, exec_lo
.LBB525_38:                             ;   in Loop: Header=BB525_4 Depth=1
	s_wait_alu 0xfffe
	s_or_b32 exec_lo, exec_lo, s6
.LBB525_39:                             ;   in Loop: Header=BB525_4 Depth=1
	s_wait_alu 0xfffe
	s_and_saveexec_b32 s6, s23
	s_cbranch_execz .LBB525_2
; %bb.40:                               ;   in Loop: Header=BB525_4 Depth=1
	v_add_co_u32 v5, vcc_lo, v20, s26
	s_wait_alu 0xfffd
	v_add_co_ci_u32_e64 v6, null, s27, v21, vcc_lo
	flat_store_b32 v[5:6], v9
	s_branch .LBB525_2
.LBB525_41:
	s_endpgm
	.section	.rodata,"a",@progbits
	.p2align	6, 0x0
	.amdhsa_kernel _ZL32rocblas_gemvt_warp_reduce_kernelILb0ELi256ElPKDF16_fKPfEviiT3_lPKT2_lT1_lS7_lS8_lS4_lPT4_lS8_li
		.amdhsa_group_segment_fixed_size 128
		.amdhsa_private_segment_fixed_size 0
		.amdhsa_kernarg_size 140
		.amdhsa_user_sgpr_count 2
		.amdhsa_user_sgpr_dispatch_ptr 0
		.amdhsa_user_sgpr_queue_ptr 0
		.amdhsa_user_sgpr_kernarg_segment_ptr 1
		.amdhsa_user_sgpr_dispatch_id 0
		.amdhsa_user_sgpr_private_segment_size 0
		.amdhsa_wavefront_size32 1
		.amdhsa_uses_dynamic_stack 0
		.amdhsa_enable_private_segment 0
		.amdhsa_system_sgpr_workgroup_id_x 1
		.amdhsa_system_sgpr_workgroup_id_y 0
		.amdhsa_system_sgpr_workgroup_id_z 1
		.amdhsa_system_sgpr_workgroup_info 0
		.amdhsa_system_vgpr_workitem_id 0
		.amdhsa_next_free_vgpr 26
		.amdhsa_next_free_sgpr 40
		.amdhsa_reserve_vcc 1
		.amdhsa_float_round_mode_32 0
		.amdhsa_float_round_mode_16_64 0
		.amdhsa_float_denorm_mode_32 3
		.amdhsa_float_denorm_mode_16_64 3
		.amdhsa_fp16_overflow 0
		.amdhsa_workgroup_processor_mode 1
		.amdhsa_memory_ordered 1
		.amdhsa_forward_progress 1
		.amdhsa_inst_pref_size 14
		.amdhsa_round_robin_scheduling 0
		.amdhsa_exception_fp_ieee_invalid_op 0
		.amdhsa_exception_fp_denorm_src 0
		.amdhsa_exception_fp_ieee_div_zero 0
		.amdhsa_exception_fp_ieee_overflow 0
		.amdhsa_exception_fp_ieee_underflow 0
		.amdhsa_exception_fp_ieee_inexact 0
		.amdhsa_exception_int_div_zero 0
	.end_amdhsa_kernel
	.section	.text._ZL32rocblas_gemvt_warp_reduce_kernelILb0ELi256ElPKDF16_fKPfEviiT3_lPKT2_lT1_lS7_lS8_lS4_lPT4_lS8_li,"axG",@progbits,_ZL32rocblas_gemvt_warp_reduce_kernelILb0ELi256ElPKDF16_fKPfEviiT3_lPKT2_lT1_lS7_lS8_lS4_lPT4_lS8_li,comdat
.Lfunc_end525:
	.size	_ZL32rocblas_gemvt_warp_reduce_kernelILb0ELi256ElPKDF16_fKPfEviiT3_lPKT2_lT1_lS7_lS8_lS4_lPT4_lS8_li, .Lfunc_end525-_ZL32rocblas_gemvt_warp_reduce_kernelILb0ELi256ElPKDF16_fKPfEviiT3_lPKT2_lT1_lS7_lS8_lS4_lPT4_lS8_li
                                        ; -- End function
	.set _ZL32rocblas_gemvt_warp_reduce_kernelILb0ELi256ElPKDF16_fKPfEviiT3_lPKT2_lT1_lS7_lS8_lS4_lPT4_lS8_li.num_vgpr, 26
	.set _ZL32rocblas_gemvt_warp_reduce_kernelILb0ELi256ElPKDF16_fKPfEviiT3_lPKT2_lT1_lS7_lS8_lS4_lPT4_lS8_li.num_agpr, 0
	.set _ZL32rocblas_gemvt_warp_reduce_kernelILb0ELi256ElPKDF16_fKPfEviiT3_lPKT2_lT1_lS7_lS8_lS4_lPT4_lS8_li.numbered_sgpr, 40
	.set _ZL32rocblas_gemvt_warp_reduce_kernelILb0ELi256ElPKDF16_fKPfEviiT3_lPKT2_lT1_lS7_lS8_lS4_lPT4_lS8_li.num_named_barrier, 0
	.set _ZL32rocblas_gemvt_warp_reduce_kernelILb0ELi256ElPKDF16_fKPfEviiT3_lPKT2_lT1_lS7_lS8_lS4_lPT4_lS8_li.private_seg_size, 0
	.set _ZL32rocblas_gemvt_warp_reduce_kernelILb0ELi256ElPKDF16_fKPfEviiT3_lPKT2_lT1_lS7_lS8_lS4_lPT4_lS8_li.uses_vcc, 1
	.set _ZL32rocblas_gemvt_warp_reduce_kernelILb0ELi256ElPKDF16_fKPfEviiT3_lPKT2_lT1_lS7_lS8_lS4_lPT4_lS8_li.uses_flat_scratch, 0
	.set _ZL32rocblas_gemvt_warp_reduce_kernelILb0ELi256ElPKDF16_fKPfEviiT3_lPKT2_lT1_lS7_lS8_lS4_lPT4_lS8_li.has_dyn_sized_stack, 0
	.set _ZL32rocblas_gemvt_warp_reduce_kernelILb0ELi256ElPKDF16_fKPfEviiT3_lPKT2_lT1_lS7_lS8_lS4_lPT4_lS8_li.has_recursion, 0
	.set _ZL32rocblas_gemvt_warp_reduce_kernelILb0ELi256ElPKDF16_fKPfEviiT3_lPKT2_lT1_lS7_lS8_lS4_lPT4_lS8_li.has_indirect_call, 0
	.section	.AMDGPU.csdata,"",@progbits
; Kernel info:
; codeLenInByte = 1692
; TotalNumSgprs: 42
; NumVgprs: 26
; ScratchSize: 0
; MemoryBound: 0
; FloatMode: 240
; IeeeMode: 1
; LDSByteSize: 128 bytes/workgroup (compile time only)
; SGPRBlocks: 0
; VGPRBlocks: 3
; NumSGPRsForWavesPerEU: 42
; NumVGPRsForWavesPerEU: 26
; Occupancy: 16
; WaveLimiterHint : 1
; COMPUTE_PGM_RSRC2:SCRATCH_EN: 0
; COMPUTE_PGM_RSRC2:USER_SGPR: 2
; COMPUTE_PGM_RSRC2:TRAP_HANDLER: 0
; COMPUTE_PGM_RSRC2:TGID_X_EN: 1
; COMPUTE_PGM_RSRC2:TGID_Y_EN: 0
; COMPUTE_PGM_RSRC2:TGID_Z_EN: 1
; COMPUTE_PGM_RSRC2:TIDIG_COMP_CNT: 0
	.section	.text._ZL20rocblas_gemvt_kernelILb0ELi256EPKDF16_PKfKPfEviiT2_lPKT1_lilS9_lilS6_lPT3_lili,"axG",@progbits,_ZL20rocblas_gemvt_kernelILb0ELi256EPKDF16_PKfKPfEviiT2_lPKT1_lilS9_lilS6_lPT3_lili,comdat
	.globl	_ZL20rocblas_gemvt_kernelILb0ELi256EPKDF16_PKfKPfEviiT2_lPKT1_lilS9_lilS6_lPT3_lili ; -- Begin function _ZL20rocblas_gemvt_kernelILb0ELi256EPKDF16_PKfKPfEviiT2_lPKT1_lilS9_lilS6_lPT3_lili
	.p2align	8
	.type	_ZL20rocblas_gemvt_kernelILb0ELi256EPKDF16_PKfKPfEviiT2_lPKT1_lilS9_lilS6_lPT3_lili,@function
_ZL20rocblas_gemvt_kernelILb0ELi256EPKDF16_PKfKPfEviiT2_lPKT1_lilS9_lilS6_lPT3_lili: ; @_ZL20rocblas_gemvt_kernelILb0ELi256EPKDF16_PKfKPfEviiT2_lPKT1_lilS9_lilS6_lPT3_lili
; %bb.0:
	s_load_b32 s11, s[0:1], 0x88
	s_lshr_b32 s34, ttmp7, 16
	s_wait_kmcnt 0x0
	s_cmp_ge_u32 s34, s11
	s_cbranch_scc1 .LBB526_45
; %bb.1:
	s_clause 0x6
	s_load_b32 s4, s[0:1], 0x28
	s_load_b32 s38, s[0:1], 0x48
	;; [unrolled: 1-line block ×4, first 2 shown]
	s_load_b128 s[28:31], s[0:1], 0x38
	s_load_b256 s[12:19], s[0:1], 0x8
	s_load_b256 s[20:27], s[0:1], 0x58
	s_mov_b32 s2, ttmp9
	s_ashr_i32 s3, ttmp9, 31
	v_cmp_eq_u32_e64 s0, 0, v0
	v_dual_mov_b32 v12, 0 :: v_dual_lshlrev_b32 v13, 2, v0
	v_cmp_gt_u32_e64 s1, 0x80, v0
	s_mov_b32 s35, 0
	s_wait_kmcnt 0x0
	s_ashr_i32 s5, s4, 31
	v_mad_co_i64_i32 v[1:2], null, s38, v0, 0
	s_ashr_i32 s9, s8, 31
	s_ashr_i32 s7, s6, 31
	s_lshr_b32 s9, s9, 24
	v_cmp_gt_i32_e32 vcc_lo, s8, v0
	s_add_co_i32 s9, s8, s9
	s_mul_u64 s[40:41], s[6:7], s[2:3]
	s_wait_alu 0xfffe
	s_and_b32 s36, s9, 0xffffff00
	s_mul_u64 s[42:43], s[4:5], s[2:3]
	v_or_b32_e32 v3, s36, v0
	v_cndmask_b32_e32 v5, 0, v0, vcc_lo
	s_ashr_i32 s39, s38, 31
	s_cmp_gt_i32 s8, 0xff
	v_cmp_gt_u32_e64 s3, 64, v0
	v_cmp_gt_i32_e64 s2, s8, v3
	v_mad_co_i64_i32 v[3:4], null, s38, v3, 0
	v_cmp_gt_u32_e64 s4, 32, v0
	v_cmp_gt_u32_e64 s5, 16, v0
	;; [unrolled: 1-line block ×5, first 2 shown]
	v_lshlrev_b64_e32 v[0:1], 1, v[1:2]
	v_lshlrev_b64_e32 v[2:3], 1, v[3:4]
	v_lshlrev_b32_e32 v14, 1, v5
	s_cselect_b32 s33, -1, 0
	s_ashr_i32 s37, s36, 31
	s_wait_alu 0xfffe
	s_lshl_b64 s[38:39], s[38:39], 9
	s_lshl_b64 s[18:19], s[18:19], 1
	;; [unrolled: 1-line block ×7, first 2 shown]
	s_branch .LBB526_4
.LBB526_2:                              ;   in Loop: Header=BB526_4 Depth=1
	s_or_b32 exec_lo, exec_lo, s10
.LBB526_3:                              ;   in Loop: Header=BB526_4 Depth=1
	s_add_co_i32 s34, s34, 0x10000
	s_delay_alu instid0(SALU_CYCLE_1)
	s_cmp_lt_u32 s34, s11
	s_cbranch_scc0 .LBB526_45
.LBB526_4:                              ; =>This Loop Header: Depth=1
                                        ;     Child Loop BB526_19 Depth 2
	s_mul_u64 s[46:47], s[14:15], s[34:35]
	s_mul_u64 s[48:49], s[22:23], s[34:35]
	s_lshl_b64 s[46:47], s[46:47], 2
	s_lshl_b64 s[48:49], s[48:49], 2
	s_add_nc_u64 s[46:47], s[12:13], s[46:47]
	s_add_nc_u64 s[48:49], s[20:21], s[48:49]
	s_clause 0x1
	global_load_b32 v15, v12, s[46:47]
	global_load_b32 v4, v12, s[48:49]
	s_wait_loadcnt 0x1
	v_cmp_eq_f32_e64 s9, 0, v15
	s_wait_loadcnt 0x0
	v_cmp_eq_f32_e32 vcc_lo, 1.0, v4
	v_readfirstlane_b32 s37, v4
	s_and_b32 s10, s9, vcc_lo
	s_delay_alu instid0(SALU_CYCLE_1)
	s_and_b32 vcc_lo, exec_lo, s10
	s_wait_alu 0xfffe
	s_cbranch_vccnz .LBB526_3
; %bb.5:                                ;   in Loop: Header=BB526_4 Depth=1
	v_mov_b32_e32 v4, 0
	v_dual_mov_b32 v5, 0 :: v_dual_mov_b32 v6, 0
	v_cmp_neq_f32_e64 s10, 0, v15
	v_mov_b32_e32 v7, 0
	s_and_b32 vcc_lo, exec_lo, s9
	s_wait_alu 0xfffe
	s_cbranch_vccnz .LBB526_7
; %bb.6:                                ;   in Loop: Header=BB526_4 Depth=1
	s_lshl_b64 s[46:47], s[34:35], 3
	s_delay_alu instid0(SALU_CYCLE_1)
	s_add_nc_u64 s[46:47], s[16:17], s[46:47]
	global_load_b64 v[6:7], v12, s[46:47]
	s_wait_loadcnt 0x0
	v_add_co_u32 v6, vcc_lo, v6, s18
	s_wait_alu 0xfffd
	v_add_co_ci_u32_e64 v7, null, s19, v7, vcc_lo
.LBB526_7:                              ;   in Loop: Header=BB526_4 Depth=1
	s_and_not1_b32 vcc_lo, exec_lo, s10
	s_wait_alu 0xfffe
	s_cbranch_vccnz .LBB526_9
; %bb.8:                                ;   in Loop: Header=BB526_4 Depth=1
	s_lshl_b64 s[46:47], s[34:35], 3
	s_delay_alu instid0(SALU_CYCLE_1)
	s_add_nc_u64 s[46:47], s[28:29], s[46:47]
	global_load_b64 v[4:5], v12, s[46:47]
	s_wait_loadcnt 0x0
	v_add_co_u32 v4, vcc_lo, v4, s30
	s_wait_alu 0xfffd
	v_add_co_ci_u32_e64 v5, null, s31, v5, vcc_lo
.LBB526_9:                              ;   in Loop: Header=BB526_4 Depth=1
	s_lshl_b64 s[46:47], s[34:35], 3
	s_delay_alu instid0(SALU_CYCLE_1)
	s_add_nc_u64 s[46:47], s[24:25], s[46:47]
	global_load_b64 v[8:9], v12, s[46:47]
	s_wait_loadcnt 0x0
	v_add_co_u32 v16, vcc_lo, v8, s26
	s_wait_alu 0xfffd
	v_add_co_ci_u32_e64 v17, null, s27, v9, vcc_lo
	s_and_not1_b32 vcc_lo, exec_lo, s9
	s_wait_alu 0xfffe
	s_cbranch_vccnz .LBB526_13
; %bb.10:                               ;   in Loop: Header=BB526_4 Depth=1
	s_mov_b32 s10, 0
	s_mov_b32 s9, 0
                                        ; implicit-def: $vgpr8
	s_and_saveexec_b32 s46, s0
	s_cbranch_execz .LBB526_14
; %bb.11:                               ;   in Loop: Header=BB526_4 Depth=1
	s_cmp_eq_f32 s37, 0
	s_cbranch_scc1 .LBB526_15
; %bb.12:                               ;   in Loop: Header=BB526_4 Depth=1
	v_add_co_u32 v8, vcc_lo, v16, s40
	s_wait_alu 0xfffd
	v_add_co_ci_u32_e64 v9, null, s41, v17, vcc_lo
	flat_load_b32 v8, v[8:9]
	s_wait_loadcnt_dscnt 0x0
	v_mul_f32_e32 v8, s37, v8
	s_branch .LBB526_16
.LBB526_13:                             ;   in Loop: Header=BB526_4 Depth=1
	s_mov_b32 s9, 0
                                        ; implicit-def: $vgpr8
	s_cbranch_execnz .LBB526_17
	s_branch .LBB526_43
.LBB526_14:                             ;   in Loop: Header=BB526_4 Depth=1
	s_or_b32 exec_lo, exec_lo, s46
	s_delay_alu instid0(SALU_CYCLE_1)
	s_and_b32 vcc_lo, exec_lo, s10
	s_wait_alu 0xfffe
	s_cbranch_vccnz .LBB526_17
	s_branch .LBB526_43
.LBB526_15:                             ;   in Loop: Header=BB526_4 Depth=1
	v_mov_b32_e32 v8, 0
.LBB526_16:                             ;   in Loop: Header=BB526_4 Depth=1
	s_mov_b32 s9, exec_lo
	s_or_b32 exec_lo, exec_lo, s46
	s_delay_alu instid0(SALU_CYCLE_1)
	s_and_b32 vcc_lo, exec_lo, s10
	s_wait_alu 0xfffe
	s_cbranch_vccz .LBB526_43
.LBB526_17:                             ;   in Loop: Header=BB526_4 Depth=1
	v_add_co_u32 v6, vcc_lo, v6, v14
	s_wait_alu 0xfffd
	v_add_co_ci_u32_e64 v7, null, 0, v7, vcc_lo
	v_mov_b32_e32 v18, 0
	s_delay_alu instid0(VALU_DEP_3) | instskip(SKIP_1) | instid1(VALU_DEP_3)
	v_add_co_u32 v6, vcc_lo, v6, s42
	s_wait_alu 0xfffd
	v_add_co_ci_u32_e64 v7, null, s43, v7, vcc_lo
	s_and_not1_b32 vcc_lo, exec_lo, s33
	s_wait_alu 0xfffe
	s_cbranch_vccnz .LBB526_20
; %bb.18:                               ;   in Loop: Header=BB526_4 Depth=1
	v_add_co_u32 v8, vcc_lo, v4, v0
	v_dual_mov_b32 v18, 0 :: v_dual_mov_b32 v11, v7
	s_wait_alu 0xfffd
	v_add_co_ci_u32_e64 v9, null, v5, v1, vcc_lo
	v_mov_b32_e32 v10, v6
	s_mov_b32 s10, 0
.LBB526_19:                             ;   Parent Loop BB526_4 Depth=1
                                        ; =>  This Inner Loop Header: Depth=2
	flat_load_u16 v19, v[10:11]
	flat_load_u16 v20, v[8:9]
	v_add_co_u32 v8, vcc_lo, v8, s38
	s_wait_alu 0xfffd
	v_add_co_ci_u32_e64 v9, null, s39, v9, vcc_lo
	v_add_co_u32 v10, vcc_lo, 0x200, v10
	s_wait_alu 0xfffd
	v_add_co_ci_u32_e64 v11, null, 0, v11, vcc_lo
	s_addk_co_i32 s10, 0x100
	s_delay_alu instid0(SALU_CYCLE_1) | instskip(SKIP_2) | instid1(VALU_DEP_1)
	s_cmp_ge_i32 s10, s36
	s_wait_loadcnt_dscnt 0x0
	v_mul_f16_e32 v19, v19, v20
	v_cvt_f32_f16_e32 v19, v19
	s_delay_alu instid0(VALU_DEP_1)
	v_add_f32_e32 v18, v18, v19
	s_cbranch_scc0 .LBB526_19
.LBB526_20:                             ;   in Loop: Header=BB526_4 Depth=1
	s_and_saveexec_b32 s10, s2
	s_cbranch_execz .LBB526_22
; %bb.21:                               ;   in Loop: Header=BB526_4 Depth=1
	v_add_co_u32 v6, vcc_lo, v6, s44
	s_wait_alu 0xfffd
	v_add_co_ci_u32_e64 v7, null, s45, v7, vcc_lo
	v_add_co_u32 v4, vcc_lo, v4, v2
	s_wait_alu 0xfffd
	v_add_co_ci_u32_e64 v5, null, v5, v3, vcc_lo
	flat_load_u16 v6, v[6:7]
	flat_load_u16 v4, v[4:5]
	s_wait_loadcnt_dscnt 0x0
	v_mul_f16_e32 v4, v6, v4
	s_delay_alu instid0(VALU_DEP_1) | instskip(NEXT) | instid1(VALU_DEP_1)
	v_cvt_f32_f16_e32 v4, v4
	v_add_f32_e32 v18, v18, v4
.LBB526_22:                             ;   in Loop: Header=BB526_4 Depth=1
	s_or_b32 exec_lo, exec_lo, s10
	ds_store_b32 v13, v18
	s_wait_dscnt 0x0
	s_barrier_signal -1
	s_barrier_wait -1
	global_inv scope:SCOPE_SE
	s_and_saveexec_b32 s10, s1
	s_cbranch_execz .LBB526_24
; %bb.23:                               ;   in Loop: Header=BB526_4 Depth=1
	ds_load_2addr_stride64_b32 v[4:5], v13 offset1:2
	s_wait_dscnt 0x0
	v_add_f32_e32 v4, v5, v4
	ds_store_b32 v13, v4
.LBB526_24:                             ;   in Loop: Header=BB526_4 Depth=1
	s_or_b32 exec_lo, exec_lo, s10
	s_wait_loadcnt_dscnt 0x0
	s_barrier_signal -1
	s_barrier_wait -1
	global_inv scope:SCOPE_SE
	s_and_saveexec_b32 s10, s3
	s_cbranch_execz .LBB526_26
; %bb.25:                               ;   in Loop: Header=BB526_4 Depth=1
	ds_load_2addr_stride64_b32 v[4:5], v13 offset1:1
	s_wait_dscnt 0x0
	v_add_f32_e32 v4, v5, v4
	ds_store_b32 v13, v4
.LBB526_26:                             ;   in Loop: Header=BB526_4 Depth=1
	s_or_b32 exec_lo, exec_lo, s10
	s_wait_loadcnt_dscnt 0x0
	s_barrier_signal -1
	s_barrier_wait -1
	global_inv scope:SCOPE_SE
	s_and_saveexec_b32 s10, s4
	s_cbranch_execz .LBB526_28
; %bb.27:                               ;   in Loop: Header=BB526_4 Depth=1
	ds_load_2addr_b32 v[4:5], v13 offset1:32
	s_wait_dscnt 0x0
	v_add_f32_e32 v4, v5, v4
	ds_store_b32 v13, v4
.LBB526_28:                             ;   in Loop: Header=BB526_4 Depth=1
	s_or_b32 exec_lo, exec_lo, s10
	s_wait_loadcnt_dscnt 0x0
	s_barrier_signal -1
	s_barrier_wait -1
	global_inv scope:SCOPE_SE
	s_and_saveexec_b32 s10, s5
	s_cbranch_execz .LBB526_30
; %bb.29:                               ;   in Loop: Header=BB526_4 Depth=1
	ds_load_2addr_b32 v[4:5], v13 offset1:16
	s_wait_dscnt 0x0
	v_add_f32_e32 v4, v5, v4
	ds_store_b32 v13, v4
.LBB526_30:                             ;   in Loop: Header=BB526_4 Depth=1
	;; [unrolled: 13-line block ×5, first 2 shown]
	s_or_b32 exec_lo, exec_lo, s10
	s_wait_loadcnt_dscnt 0x0
	s_barrier_signal -1
	s_barrier_wait -1
	global_inv scope:SCOPE_SE
	s_and_saveexec_b32 s10, s0
	s_cbranch_execz .LBB526_38
; %bb.37:                               ;   in Loop: Header=BB526_4 Depth=1
	ds_load_b64 v[4:5], v12
	s_wait_dscnt 0x0
	v_add_f32_e32 v4, v5, v4
	ds_store_b32 v12, v4
.LBB526_38:                             ;   in Loop: Header=BB526_4 Depth=1
	s_or_b32 exec_lo, exec_lo, s10
	s_wait_loadcnt_dscnt 0x0
	s_barrier_signal -1
	s_barrier_wait -1
	global_inv scope:SCOPE_SE
                                        ; implicit-def: $vgpr8
	s_and_saveexec_b32 s10, s0
	s_cbranch_execz .LBB526_42
; %bb.39:                               ;   in Loop: Header=BB526_4 Depth=1
	ds_load_b32 v4, v12
	s_cmp_eq_f32 s37, 0
	s_wait_dscnt 0x0
	v_mul_f32_e32 v8, v15, v4
	s_cbranch_scc1 .LBB526_41
; %bb.40:                               ;   in Loop: Header=BB526_4 Depth=1
	v_add_co_u32 v4, vcc_lo, v16, s40
	s_wait_alu 0xfffd
	v_add_co_ci_u32_e64 v5, null, s41, v17, vcc_lo
	flat_load_b32 v4, v[4:5]
	s_wait_loadcnt_dscnt 0x0
	v_fmac_f32_e32 v8, s37, v4
.LBB526_41:                             ;   in Loop: Header=BB526_4 Depth=1
	s_or_b32 s9, s9, exec_lo
.LBB526_42:                             ;   in Loop: Header=BB526_4 Depth=1
	s_or_b32 exec_lo, exec_lo, s10
.LBB526_43:                             ;   in Loop: Header=BB526_4 Depth=1
	s_wait_alu 0xfffe
	s_and_saveexec_b32 s10, s9
	s_cbranch_execz .LBB526_2
; %bb.44:                               ;   in Loop: Header=BB526_4 Depth=1
	v_add_co_u32 v4, vcc_lo, v16, s40
	s_wait_alu 0xfffd
	v_add_co_ci_u32_e64 v5, null, s41, v17, vcc_lo
	flat_store_b32 v[4:5], v8
	s_branch .LBB526_2
.LBB526_45:
	s_endpgm
	.section	.rodata,"a",@progbits
	.p2align	6, 0x0
	.amdhsa_kernel _ZL20rocblas_gemvt_kernelILb0ELi256EPKDF16_PKfKPfEviiT2_lPKT1_lilS9_lilS6_lPT3_lili
		.amdhsa_group_segment_fixed_size 1024
		.amdhsa_private_segment_fixed_size 0
		.amdhsa_kernarg_size 140
		.amdhsa_user_sgpr_count 2
		.amdhsa_user_sgpr_dispatch_ptr 0
		.amdhsa_user_sgpr_queue_ptr 0
		.amdhsa_user_sgpr_kernarg_segment_ptr 1
		.amdhsa_user_sgpr_dispatch_id 0
		.amdhsa_user_sgpr_private_segment_size 0
		.amdhsa_wavefront_size32 1
		.amdhsa_uses_dynamic_stack 0
		.amdhsa_enable_private_segment 0
		.amdhsa_system_sgpr_workgroup_id_x 1
		.amdhsa_system_sgpr_workgroup_id_y 0
		.amdhsa_system_sgpr_workgroup_id_z 1
		.amdhsa_system_sgpr_workgroup_info 0
		.amdhsa_system_vgpr_workitem_id 0
		.amdhsa_next_free_vgpr 21
		.amdhsa_next_free_sgpr 50
		.amdhsa_reserve_vcc 1
		.amdhsa_float_round_mode_32 0
		.amdhsa_float_round_mode_16_64 0
		.amdhsa_float_denorm_mode_32 3
		.amdhsa_float_denorm_mode_16_64 3
		.amdhsa_fp16_overflow 0
		.amdhsa_workgroup_processor_mode 1
		.amdhsa_memory_ordered 1
		.amdhsa_forward_progress 1
		.amdhsa_inst_pref_size 14
		.amdhsa_round_robin_scheduling 0
		.amdhsa_exception_fp_ieee_invalid_op 0
		.amdhsa_exception_fp_denorm_src 0
		.amdhsa_exception_fp_ieee_div_zero 0
		.amdhsa_exception_fp_ieee_overflow 0
		.amdhsa_exception_fp_ieee_underflow 0
		.amdhsa_exception_fp_ieee_inexact 0
		.amdhsa_exception_int_div_zero 0
	.end_amdhsa_kernel
	.section	.text._ZL20rocblas_gemvt_kernelILb0ELi256EPKDF16_PKfKPfEviiT2_lPKT1_lilS9_lilS6_lPT3_lili,"axG",@progbits,_ZL20rocblas_gemvt_kernelILb0ELi256EPKDF16_PKfKPfEviiT2_lPKT1_lilS9_lilS6_lPT3_lili,comdat
.Lfunc_end526:
	.size	_ZL20rocblas_gemvt_kernelILb0ELi256EPKDF16_PKfKPfEviiT2_lPKT1_lilS9_lilS6_lPT3_lili, .Lfunc_end526-_ZL20rocblas_gemvt_kernelILb0ELi256EPKDF16_PKfKPfEviiT2_lPKT1_lilS9_lilS6_lPT3_lili
                                        ; -- End function
	.set _ZL20rocblas_gemvt_kernelILb0ELi256EPKDF16_PKfKPfEviiT2_lPKT1_lilS9_lilS6_lPT3_lili.num_vgpr, 21
	.set _ZL20rocblas_gemvt_kernelILb0ELi256EPKDF16_PKfKPfEviiT2_lPKT1_lilS9_lilS6_lPT3_lili.num_agpr, 0
	.set _ZL20rocblas_gemvt_kernelILb0ELi256EPKDF16_PKfKPfEviiT2_lPKT1_lilS9_lilS6_lPT3_lili.numbered_sgpr, 50
	.set _ZL20rocblas_gemvt_kernelILb0ELi256EPKDF16_PKfKPfEviiT2_lPKT1_lilS9_lilS6_lPT3_lili.num_named_barrier, 0
	.set _ZL20rocblas_gemvt_kernelILb0ELi256EPKDF16_PKfKPfEviiT2_lPKT1_lilS9_lilS6_lPT3_lili.private_seg_size, 0
	.set _ZL20rocblas_gemvt_kernelILb0ELi256EPKDF16_PKfKPfEviiT2_lPKT1_lilS9_lilS6_lPT3_lili.uses_vcc, 1
	.set _ZL20rocblas_gemvt_kernelILb0ELi256EPKDF16_PKfKPfEviiT2_lPKT1_lilS9_lilS6_lPT3_lili.uses_flat_scratch, 0
	.set _ZL20rocblas_gemvt_kernelILb0ELi256EPKDF16_PKfKPfEviiT2_lPKT1_lilS9_lilS6_lPT3_lili.has_dyn_sized_stack, 0
	.set _ZL20rocblas_gemvt_kernelILb0ELi256EPKDF16_PKfKPfEviiT2_lPKT1_lilS9_lilS6_lPT3_lili.has_recursion, 0
	.set _ZL20rocblas_gemvt_kernelILb0ELi256EPKDF16_PKfKPfEviiT2_lPKT1_lilS9_lilS6_lPT3_lili.has_indirect_call, 0
	.section	.AMDGPU.csdata,"",@progbits
; Kernel info:
; codeLenInByte = 1716
; TotalNumSgprs: 52
; NumVgprs: 21
; ScratchSize: 0
; MemoryBound: 0
; FloatMode: 240
; IeeeMode: 1
; LDSByteSize: 1024 bytes/workgroup (compile time only)
; SGPRBlocks: 0
; VGPRBlocks: 2
; NumSGPRsForWavesPerEU: 52
; NumVGPRsForWavesPerEU: 21
; Occupancy: 16
; WaveLimiterHint : 1
; COMPUTE_PGM_RSRC2:SCRATCH_EN: 0
; COMPUTE_PGM_RSRC2:USER_SGPR: 2
; COMPUTE_PGM_RSRC2:TRAP_HANDLER: 0
; COMPUTE_PGM_RSRC2:TGID_X_EN: 1
; COMPUTE_PGM_RSRC2:TGID_Y_EN: 0
; COMPUTE_PGM_RSRC2:TGID_Z_EN: 1
; COMPUTE_PGM_RSRC2:TIDIG_COMP_CNT: 0
	.section	.text._ZL20rocblas_gemvt_kernelILb0ELi256EPKDF16_fKPfEviiT2_lPKT1_lilS7_lilS4_lPT3_lili,"axG",@progbits,_ZL20rocblas_gemvt_kernelILb0ELi256EPKDF16_fKPfEviiT2_lPKT1_lilS7_lilS4_lPT3_lili,comdat
	.globl	_ZL20rocblas_gemvt_kernelILb0ELi256EPKDF16_fKPfEviiT2_lPKT1_lilS7_lilS4_lPT3_lili ; -- Begin function _ZL20rocblas_gemvt_kernelILb0ELi256EPKDF16_fKPfEviiT2_lPKT1_lilS7_lilS4_lPT3_lili
	.p2align	8
	.type	_ZL20rocblas_gemvt_kernelILb0ELi256EPKDF16_fKPfEviiT2_lPKT1_lilS7_lilS4_lPT3_lili,@function
_ZL20rocblas_gemvt_kernelILb0ELi256EPKDF16_fKPfEviiT2_lPKT1_lilS7_lilS4_lPT3_lili: ; @_ZL20rocblas_gemvt_kernelILb0ELi256EPKDF16_fKPfEviiT2_lPKT1_lilS7_lilS4_lPT3_lili
; %bb.0:
	s_load_b32 s33, s[0:1], 0x88
	s_lshr_b32 s10, ttmp7, 16
	s_wait_kmcnt 0x0
	s_cmp_ge_u32 s10, s33
	s_cbranch_scc1 .LBB527_48
; %bb.1:
	s_clause 0x8
	s_load_b32 s26, s[0:1], 0x28
	s_load_b32 s28, s[0:1], 0x48
	s_load_b32 s30, s[0:1], 0x78
	s_load_b32 s36, s[0:1], 0x8
	s_load_b32 s37, s[0:1], 0x58
	s_load_b32 s41, s[0:1], 0x0
	s_load_b128 s[12:15], s[0:1], 0x18
	s_load_b128 s[16:19], s[0:1], 0x38
	;; [unrolled: 1-line block ×3, first 2 shown]
	v_cmp_eq_u32_e64 s0, 0, v0
	v_dual_mov_b32 v13, 0 :: v_dual_lshlrev_b32 v14, 2, v0
	v_cmp_gt_u32_e64 s1, 0x80, v0
	v_cmp_gt_u32_e64 s2, 64, v0
	v_cmp_gt_u32_e64 s3, 32, v0
	v_cmp_gt_u32_e64 s4, 16, v0
	v_cmp_gt_u32_e64 s5, 8, v0
	s_mov_b32 s8, ttmp9
	s_mov_b32 s11, 0
	s_wait_kmcnt 0x0
	s_ashr_i32 s27, s26, 31
	s_ashr_i32 s29, s28, 31
	;; [unrolled: 1-line block ×3, first 2 shown]
	s_cmp_eq_f32 s36, 0
	v_mad_co_i64_i32 v[1:2], null, s28, v0, 0
	v_cmp_gt_i32_e32 vcc_lo, s41, v0
	s_cselect_b32 s38, -1, 0
	s_cmp_neq_f32 s37, 1.0
	v_cndmask_b32_e32 v5, 0, v0, vcc_lo
	s_cselect_b32 s6, -1, 0
	s_cmp_neq_f32 s36, 0
	s_delay_alu instid0(VALU_DEP_3) | instskip(SKIP_1) | instid1(SALU_CYCLE_1)
	v_lshlrev_b64_e32 v[1:2], 1, v[1:2]
	s_cselect_b32 s7, -1, 0
	s_or_b32 s39, s7, s6
	s_cmp_neq_f32 s37, 0
	v_cndmask_b32_e64 v15, 0, 1, s7
	v_cmp_gt_u32_e64 s6, 4, v0
	v_cmp_gt_u32_e64 s7, 2, v0
	s_cselect_b32 s40, -1, 0
	s_ashr_i32 s9, s41, 31
	s_delay_alu instid0(SALU_CYCLE_1) | instskip(NEXT) | instid1(SALU_CYCLE_1)
	s_lshr_b32 s9, s9, 24
	s_add_co_i32 s24, s41, s9
	s_ashr_i32 s9, ttmp9, 31
	s_and_b32 s24, s24, 0xffffff00
	s_cmp_gt_i32 s41, 0xff
	v_or_b32_e32 v0, s24, v0
	s_mul_u64 s[30:31], s[30:31], s[8:9]
	s_mul_u64 s[34:35], s[26:27], s[8:9]
	s_cselect_b32 s9, -1, 0
	s_ashr_i32 s25, s24, 31
	v_mad_co_i64_i32 v[3:4], null, s28, v0, 0
	v_cmp_gt_i32_e64 s8, s41, v0
	v_lshlrev_b32_e32 v0, 1, v5
	s_lshl_b64 s[26:27], s[28:29], 9
	s_lshl_b64 s[14:15], s[14:15], 1
	;; [unrolled: 1-line block ×4, first 2 shown]
	v_lshlrev_b64_e32 v[3:4], 1, v[3:4]
	s_lshl_b64 s[28:29], s[30:31], 2
	s_lshl_b64 s[30:31], s[34:35], 1
	s_wait_alu 0xfffe
	s_lshl_b64 s[34:35], s[24:25], 1
	s_branch .LBB527_4
.LBB527_2:                              ;   in Loop: Header=BB527_4 Depth=1
	s_wait_alu 0xfffe
	s_or_b32 exec_lo, exec_lo, s41
.LBB527_3:                              ;   in Loop: Header=BB527_4 Depth=1
	s_add_co_i32 s10, s10, 0x10000
	s_delay_alu instid0(SALU_CYCLE_1)
	s_cmp_lt_u32 s10, s33
	s_cbranch_scc0 .LBB527_48
.LBB527_4:                              ; =>This Loop Header: Depth=1
                                        ;     Child Loop BB527_22 Depth 2
	s_and_not1_b32 vcc_lo, exec_lo, s39
	s_wait_alu 0xfffe
	s_cbranch_vccnz .LBB527_3
; %bb.5:                                ;   in Loop: Header=BB527_4 Depth=1
	s_and_not1_b32 vcc_lo, exec_lo, s38
	s_wait_alu 0xfffe
	s_cbranch_vccnz .LBB527_7
; %bb.6:                                ;   in Loop: Header=BB527_4 Depth=1
	s_mov_b32 s25, 0
	s_branch .LBB527_8
.LBB527_7:                              ;   in Loop: Header=BB527_4 Depth=1
	s_mov_b32 s25, -1
.LBB527_8:                              ;   in Loop: Header=BB527_4 Depth=1
	v_mov_b32_e32 v5, 0
	v_dual_mov_b32 v6, 0 :: v_dual_mov_b32 v7, 0
	v_mov_b32_e32 v8, 0
	s_wait_alu 0xfffe
	s_and_not1_b32 vcc_lo, exec_lo, s25
	s_wait_alu 0xfffe
	s_cbranch_vccnz .LBB527_10
; %bb.9:                                ;   in Loop: Header=BB527_4 Depth=1
	s_lshl_b64 s[42:43], s[10:11], 3
	s_delay_alu instid0(SALU_CYCLE_1)
	s_add_nc_u64 s[42:43], s[12:13], s[42:43]
	global_load_b64 v[7:8], v13, s[42:43]
	s_wait_loadcnt 0x0
	v_add_co_u32 v7, vcc_lo, v7, s14
	s_wait_alu 0xfffd
	v_add_co_ci_u32_e64 v8, null, s15, v8, vcc_lo
.LBB527_10:                             ;   in Loop: Header=BB527_4 Depth=1
	v_cmp_ne_u32_e32 vcc_lo, 1, v15
	s_cbranch_vccnz .LBB527_12
; %bb.11:                               ;   in Loop: Header=BB527_4 Depth=1
	s_lshl_b64 s[42:43], s[10:11], 3
	s_delay_alu instid0(SALU_CYCLE_1)
	s_add_nc_u64 s[42:43], s[16:17], s[42:43]
	global_load_b64 v[5:6], v13, s[42:43]
	s_wait_loadcnt 0x0
	v_add_co_u32 v5, vcc_lo, v5, s18
	s_wait_alu 0xfffd
	v_add_co_ci_u32_e64 v6, null, s19, v6, vcc_lo
.LBB527_12:                             ;   in Loop: Header=BB527_4 Depth=1
	s_lshl_b64 s[42:43], s[10:11], 3
	s_delay_alu instid0(SALU_CYCLE_1)
	s_add_nc_u64 s[42:43], s[20:21], s[42:43]
	global_load_b64 v[9:10], v13, s[42:43]
	s_wait_loadcnt 0x0
	v_add_co_u32 v16, vcc_lo, v9, s22
	s_wait_alu 0xfffd
	v_add_co_ci_u32_e64 v17, null, s23, v10, vcc_lo
	s_and_not1_b32 vcc_lo, exec_lo, s38
	s_wait_alu 0xfffe
	s_cbranch_vccnz .LBB527_16
; %bb.13:                               ;   in Loop: Header=BB527_4 Depth=1
	s_mov_b32 s41, 0
	s_mov_b32 s25, 0
                                        ; implicit-def: $vgpr9
	s_and_saveexec_b32 s42, s0
	s_cbranch_execz .LBB527_17
; %bb.14:                               ;   in Loop: Header=BB527_4 Depth=1
	s_and_not1_b32 vcc_lo, exec_lo, s40
	s_wait_alu 0xfffe
	s_cbranch_vccnz .LBB527_18
; %bb.15:                               ;   in Loop: Header=BB527_4 Depth=1
	v_add_co_u32 v9, vcc_lo, v16, s28
	s_wait_alu 0xfffd
	v_add_co_ci_u32_e64 v10, null, s29, v17, vcc_lo
	flat_load_b32 v9, v[9:10]
	s_wait_loadcnt_dscnt 0x0
	v_mul_f32_e32 v9, s37, v9
	s_branch .LBB527_19
.LBB527_16:                             ;   in Loop: Header=BB527_4 Depth=1
	s_mov_b32 s25, 0
                                        ; implicit-def: $vgpr9
	s_cbranch_execnz .LBB527_20
	s_branch .LBB527_46
.LBB527_17:                             ;   in Loop: Header=BB527_4 Depth=1
	s_or_b32 exec_lo, exec_lo, s42
	s_wait_alu 0xfffe
	s_and_b32 vcc_lo, exec_lo, s41
	s_wait_alu 0xfffe
	s_cbranch_vccnz .LBB527_20
	s_branch .LBB527_46
.LBB527_18:                             ;   in Loop: Header=BB527_4 Depth=1
	v_mov_b32_e32 v9, 0
.LBB527_19:                             ;   in Loop: Header=BB527_4 Depth=1
	s_mov_b32 s25, exec_lo
	s_or_b32 exec_lo, exec_lo, s42
	s_delay_alu instid0(SALU_CYCLE_1)
	s_and_b32 vcc_lo, exec_lo, s41
	s_wait_alu 0xfffe
	s_cbranch_vccz .LBB527_46
.LBB527_20:                             ;   in Loop: Header=BB527_4 Depth=1
	v_add_co_u32 v7, vcc_lo, v7, v0
	s_wait_alu 0xfffd
	v_add_co_ci_u32_e64 v8, null, 0, v8, vcc_lo
	v_mov_b32_e32 v18, 0
	s_delay_alu instid0(VALU_DEP_3) | instskip(SKIP_1) | instid1(VALU_DEP_3)
	v_add_co_u32 v7, vcc_lo, v7, s30
	s_wait_alu 0xfffd
	v_add_co_ci_u32_e64 v8, null, s31, v8, vcc_lo
	s_and_not1_b32 vcc_lo, exec_lo, s9
	s_wait_alu 0xfffe
	s_cbranch_vccnz .LBB527_23
; %bb.21:                               ;   in Loop: Header=BB527_4 Depth=1
	v_add_co_u32 v9, vcc_lo, v5, v1
	v_mov_b32_e32 v12, v8
	s_wait_alu 0xfffd
	v_add_co_ci_u32_e64 v10, null, v6, v2, vcc_lo
	v_dual_mov_b32 v18, 0 :: v_dual_mov_b32 v11, v7
	s_mov_b32 s41, 0
.LBB527_22:                             ;   Parent Loop BB527_4 Depth=1
                                        ; =>  This Inner Loop Header: Depth=2
	flat_load_u16 v19, v[11:12]
	flat_load_u16 v20, v[9:10]
	v_add_co_u32 v9, vcc_lo, v9, s26
	s_wait_alu 0xfffd
	v_add_co_ci_u32_e64 v10, null, s27, v10, vcc_lo
	v_add_co_u32 v11, vcc_lo, 0x200, v11
	s_wait_alu 0xfffd
	v_add_co_ci_u32_e64 v12, null, 0, v12, vcc_lo
	s_wait_alu 0xfffe
	s_addk_co_i32 s41, 0x100
	s_wait_alu 0xfffe
	s_cmp_ge_i32 s41, s24
	s_wait_loadcnt_dscnt 0x0
	v_mul_f16_e32 v19, v19, v20
	s_delay_alu instid0(VALU_DEP_1) | instskip(NEXT) | instid1(VALU_DEP_1)
	v_cvt_f32_f16_e32 v19, v19
	v_add_f32_e32 v18, v18, v19
	s_cbranch_scc0 .LBB527_22
.LBB527_23:                             ;   in Loop: Header=BB527_4 Depth=1
	s_and_saveexec_b32 s41, s8
	s_cbranch_execz .LBB527_25
; %bb.24:                               ;   in Loop: Header=BB527_4 Depth=1
	v_add_co_u32 v7, vcc_lo, v7, s34
	s_wait_alu 0xfffd
	v_add_co_ci_u32_e64 v8, null, s35, v8, vcc_lo
	v_add_co_u32 v5, vcc_lo, v5, v3
	s_wait_alu 0xfffd
	v_add_co_ci_u32_e64 v6, null, v6, v4, vcc_lo
	flat_load_u16 v7, v[7:8]
	flat_load_u16 v5, v[5:6]
	s_wait_loadcnt_dscnt 0x0
	v_mul_f16_e32 v5, v7, v5
	s_delay_alu instid0(VALU_DEP_1) | instskip(NEXT) | instid1(VALU_DEP_1)
	v_cvt_f32_f16_e32 v5, v5
	v_add_f32_e32 v18, v18, v5
.LBB527_25:                             ;   in Loop: Header=BB527_4 Depth=1
	s_wait_alu 0xfffe
	s_or_b32 exec_lo, exec_lo, s41
	ds_store_b32 v14, v18
	s_wait_dscnt 0x0
	s_barrier_signal -1
	s_barrier_wait -1
	global_inv scope:SCOPE_SE
	s_and_saveexec_b32 s41, s1
	s_cbranch_execz .LBB527_27
; %bb.26:                               ;   in Loop: Header=BB527_4 Depth=1
	ds_load_2addr_stride64_b32 v[5:6], v14 offset1:2
	s_wait_dscnt 0x0
	v_add_f32_e32 v5, v6, v5
	ds_store_b32 v14, v5
.LBB527_27:                             ;   in Loop: Header=BB527_4 Depth=1
	s_wait_alu 0xfffe
	s_or_b32 exec_lo, exec_lo, s41
	s_wait_loadcnt_dscnt 0x0
	s_barrier_signal -1
	s_barrier_wait -1
	global_inv scope:SCOPE_SE
	s_and_saveexec_b32 s41, s2
	s_cbranch_execz .LBB527_29
; %bb.28:                               ;   in Loop: Header=BB527_4 Depth=1
	ds_load_2addr_stride64_b32 v[5:6], v14 offset1:1
	s_wait_dscnt 0x0
	v_add_f32_e32 v5, v6, v5
	ds_store_b32 v14, v5
.LBB527_29:                             ;   in Loop: Header=BB527_4 Depth=1
	s_wait_alu 0xfffe
	s_or_b32 exec_lo, exec_lo, s41
	s_wait_loadcnt_dscnt 0x0
	s_barrier_signal -1
	s_barrier_wait -1
	global_inv scope:SCOPE_SE
	s_and_saveexec_b32 s41, s3
	s_cbranch_execz .LBB527_31
; %bb.30:                               ;   in Loop: Header=BB527_4 Depth=1
	ds_load_2addr_b32 v[5:6], v14 offset1:32
	s_wait_dscnt 0x0
	v_add_f32_e32 v5, v6, v5
	ds_store_b32 v14, v5
.LBB527_31:                             ;   in Loop: Header=BB527_4 Depth=1
	s_wait_alu 0xfffe
	s_or_b32 exec_lo, exec_lo, s41
	s_wait_loadcnt_dscnt 0x0
	s_barrier_signal -1
	s_barrier_wait -1
	global_inv scope:SCOPE_SE
	s_and_saveexec_b32 s41, s4
	s_cbranch_execz .LBB527_33
; %bb.32:                               ;   in Loop: Header=BB527_4 Depth=1
	ds_load_2addr_b32 v[5:6], v14 offset1:16
	s_wait_dscnt 0x0
	v_add_f32_e32 v5, v6, v5
	ds_store_b32 v14, v5
.LBB527_33:                             ;   in Loop: Header=BB527_4 Depth=1
	;; [unrolled: 14-line block ×5, first 2 shown]
	s_wait_alu 0xfffe
	s_or_b32 exec_lo, exec_lo, s41
	s_wait_loadcnt_dscnt 0x0
	s_barrier_signal -1
	s_barrier_wait -1
	global_inv scope:SCOPE_SE
	s_and_saveexec_b32 s41, s0
	s_cbranch_execz .LBB527_41
; %bb.40:                               ;   in Loop: Header=BB527_4 Depth=1
	ds_load_b64 v[5:6], v13
	s_wait_dscnt 0x0
	v_add_f32_e32 v5, v6, v5
	ds_store_b32 v13, v5
.LBB527_41:                             ;   in Loop: Header=BB527_4 Depth=1
	s_wait_alu 0xfffe
	s_or_b32 exec_lo, exec_lo, s41
	s_wait_loadcnt_dscnt 0x0
	s_barrier_signal -1
	s_barrier_wait -1
	global_inv scope:SCOPE_SE
                                        ; implicit-def: $vgpr9
	s_and_saveexec_b32 s41, s0
	s_cbranch_execz .LBB527_45
; %bb.42:                               ;   in Loop: Header=BB527_4 Depth=1
	ds_load_b32 v5, v13
	s_and_not1_b32 vcc_lo, exec_lo, s40
	s_wait_dscnt 0x0
	v_mul_f32_e32 v9, s36, v5
	s_wait_alu 0xfffe
	s_cbranch_vccnz .LBB527_44
; %bb.43:                               ;   in Loop: Header=BB527_4 Depth=1
	v_add_co_u32 v5, vcc_lo, v16, s28
	s_wait_alu 0xfffd
	v_add_co_ci_u32_e64 v6, null, s29, v17, vcc_lo
	flat_load_b32 v5, v[5:6]
	s_wait_loadcnt_dscnt 0x0
	v_fmac_f32_e32 v9, s37, v5
.LBB527_44:                             ;   in Loop: Header=BB527_4 Depth=1
	s_or_b32 s25, s25, exec_lo
.LBB527_45:                             ;   in Loop: Header=BB527_4 Depth=1
	s_wait_alu 0xfffe
	s_or_b32 exec_lo, exec_lo, s41
.LBB527_46:                             ;   in Loop: Header=BB527_4 Depth=1
	s_wait_alu 0xfffe
	s_and_saveexec_b32 s41, s25
	s_cbranch_execz .LBB527_2
; %bb.47:                               ;   in Loop: Header=BB527_4 Depth=1
	v_add_co_u32 v5, vcc_lo, v16, s28
	s_wait_alu 0xfffd
	v_add_co_ci_u32_e64 v6, null, s29, v17, vcc_lo
	flat_store_b32 v[5:6], v9
	s_branch .LBB527_2
.LBB527_48:
	s_endpgm
	.section	.rodata,"a",@progbits
	.p2align	6, 0x0
	.amdhsa_kernel _ZL20rocblas_gemvt_kernelILb0ELi256EPKDF16_fKPfEviiT2_lPKT1_lilS7_lilS4_lPT3_lili
		.amdhsa_group_segment_fixed_size 1024
		.amdhsa_private_segment_fixed_size 0
		.amdhsa_kernarg_size 140
		.amdhsa_user_sgpr_count 2
		.amdhsa_user_sgpr_dispatch_ptr 0
		.amdhsa_user_sgpr_queue_ptr 0
		.amdhsa_user_sgpr_kernarg_segment_ptr 1
		.amdhsa_user_sgpr_dispatch_id 0
		.amdhsa_user_sgpr_private_segment_size 0
		.amdhsa_wavefront_size32 1
		.amdhsa_uses_dynamic_stack 0
		.amdhsa_enable_private_segment 0
		.amdhsa_system_sgpr_workgroup_id_x 1
		.amdhsa_system_sgpr_workgroup_id_y 0
		.amdhsa_system_sgpr_workgroup_id_z 1
		.amdhsa_system_sgpr_workgroup_info 0
		.amdhsa_system_vgpr_workitem_id 0
		.amdhsa_next_free_vgpr 21
		.amdhsa_next_free_sgpr 44
		.amdhsa_reserve_vcc 1
		.amdhsa_float_round_mode_32 0
		.amdhsa_float_round_mode_16_64 0
		.amdhsa_float_denorm_mode_32 3
		.amdhsa_float_denorm_mode_16_64 3
		.amdhsa_fp16_overflow 0
		.amdhsa_workgroup_processor_mode 1
		.amdhsa_memory_ordered 1
		.amdhsa_forward_progress 1
		.amdhsa_inst_pref_size 14
		.amdhsa_round_robin_scheduling 0
		.amdhsa_exception_fp_ieee_invalid_op 0
		.amdhsa_exception_fp_denorm_src 0
		.amdhsa_exception_fp_ieee_div_zero 0
		.amdhsa_exception_fp_ieee_overflow 0
		.amdhsa_exception_fp_ieee_underflow 0
		.amdhsa_exception_fp_ieee_inexact 0
		.amdhsa_exception_int_div_zero 0
	.end_amdhsa_kernel
	.section	.text._ZL20rocblas_gemvt_kernelILb0ELi256EPKDF16_fKPfEviiT2_lPKT1_lilS7_lilS4_lPT3_lili,"axG",@progbits,_ZL20rocblas_gemvt_kernelILb0ELi256EPKDF16_fKPfEviiT2_lPKT1_lilS7_lilS4_lPT3_lili,comdat
.Lfunc_end527:
	.size	_ZL20rocblas_gemvt_kernelILb0ELi256EPKDF16_fKPfEviiT2_lPKT1_lilS7_lilS4_lPT3_lili, .Lfunc_end527-_ZL20rocblas_gemvt_kernelILb0ELi256EPKDF16_fKPfEviiT2_lPKT1_lilS7_lilS4_lPT3_lili
                                        ; -- End function
	.set _ZL20rocblas_gemvt_kernelILb0ELi256EPKDF16_fKPfEviiT2_lPKT1_lilS7_lilS4_lPT3_lili.num_vgpr, 21
	.set _ZL20rocblas_gemvt_kernelILb0ELi256EPKDF16_fKPfEviiT2_lPKT1_lilS7_lilS4_lPT3_lili.num_agpr, 0
	.set _ZL20rocblas_gemvt_kernelILb0ELi256EPKDF16_fKPfEviiT2_lPKT1_lilS7_lilS4_lPT3_lili.numbered_sgpr, 44
	.set _ZL20rocblas_gemvt_kernelILb0ELi256EPKDF16_fKPfEviiT2_lPKT1_lilS7_lilS4_lPT3_lili.num_named_barrier, 0
	.set _ZL20rocblas_gemvt_kernelILb0ELi256EPKDF16_fKPfEviiT2_lPKT1_lilS7_lilS4_lPT3_lili.private_seg_size, 0
	.set _ZL20rocblas_gemvt_kernelILb0ELi256EPKDF16_fKPfEviiT2_lPKT1_lilS7_lilS4_lPT3_lili.uses_vcc, 1
	.set _ZL20rocblas_gemvt_kernelILb0ELi256EPKDF16_fKPfEviiT2_lPKT1_lilS7_lilS4_lPT3_lili.uses_flat_scratch, 0
	.set _ZL20rocblas_gemvt_kernelILb0ELi256EPKDF16_fKPfEviiT2_lPKT1_lilS7_lilS4_lPT3_lili.has_dyn_sized_stack, 0
	.set _ZL20rocblas_gemvt_kernelILb0ELi256EPKDF16_fKPfEviiT2_lPKT1_lilS7_lilS4_lPT3_lili.has_recursion, 0
	.set _ZL20rocblas_gemvt_kernelILb0ELi256EPKDF16_fKPfEviiT2_lPKT1_lilS7_lilS4_lPT3_lili.has_indirect_call, 0
	.section	.AMDGPU.csdata,"",@progbits
; Kernel info:
; codeLenInByte = 1768
; TotalNumSgprs: 46
; NumVgprs: 21
; ScratchSize: 0
; MemoryBound: 0
; FloatMode: 240
; IeeeMode: 1
; LDSByteSize: 1024 bytes/workgroup (compile time only)
; SGPRBlocks: 0
; VGPRBlocks: 2
; NumSGPRsForWavesPerEU: 46
; NumVGPRsForWavesPerEU: 21
; Occupancy: 16
; WaveLimiterHint : 1
; COMPUTE_PGM_RSRC2:SCRATCH_EN: 0
; COMPUTE_PGM_RSRC2:USER_SGPR: 2
; COMPUTE_PGM_RSRC2:TRAP_HANDLER: 0
; COMPUTE_PGM_RSRC2:TGID_X_EN: 1
; COMPUTE_PGM_RSRC2:TGID_Y_EN: 0
; COMPUTE_PGM_RSRC2:TGID_Z_EN: 1
; COMPUTE_PGM_RSRC2:TIDIG_COMP_CNT: 0
	.section	.text._ZL32rocblas_gemvt_warp_reduce_kernelILb0ELi1024EiPKDF16_PKfKPfEviiT3_lPKT2_lT1_lS9_lSA_lS6_lPT4_lSA_li,"axG",@progbits,_ZL32rocblas_gemvt_warp_reduce_kernelILb0ELi1024EiPKDF16_PKfKPfEviiT3_lPKT2_lT1_lS9_lSA_lS6_lPT4_lSA_li,comdat
	.globl	_ZL32rocblas_gemvt_warp_reduce_kernelILb0ELi1024EiPKDF16_PKfKPfEviiT3_lPKT2_lT1_lS9_lSA_lS6_lPT4_lSA_li ; -- Begin function _ZL32rocblas_gemvt_warp_reduce_kernelILb0ELi1024EiPKDF16_PKfKPfEviiT3_lPKT2_lT1_lS9_lSA_lS6_lPT4_lSA_li
	.p2align	8
	.type	_ZL32rocblas_gemvt_warp_reduce_kernelILb0ELi1024EiPKDF16_PKfKPfEviiT3_lPKT2_lT1_lS9_lSA_lS6_lPT4_lSA_li,@function
_ZL32rocblas_gemvt_warp_reduce_kernelILb0ELi1024EiPKDF16_PKfKPfEviiT3_lPKT2_lT1_lS9_lSA_lS6_lPT4_lSA_li: ; @_ZL32rocblas_gemvt_warp_reduce_kernelILb0ELi1024EiPKDF16_PKfKPfEviiT3_lPKT2_lT1_lS9_lSA_lS6_lPT4_lSA_li
; %bb.0:
	s_load_b32 s7, s[0:1], 0x88
	s_lshr_b32 s28, ttmp7, 16
	s_wait_kmcnt 0x0
	s_cmp_ge_u32 s28, s7
	s_cbranch_scc1 .LBB528_38
; %bb.1:
	s_clause 0x6
	s_load_b32 s4, s[0:1], 0x0
	s_load_b32 s3, s[0:1], 0x78
	s_load_b256 s[8:15], s[0:1], 0x8
	s_load_b32 s5, s[0:1], 0x28
	s_load_b128 s[24:27], s[0:1], 0x38
	s_load_b32 s6, s[0:1], 0x48
	s_load_b256 s[16:23], s[0:1], 0x58
	v_lshrrev_b32_e32 v2, 3, v0
	v_and_b32_e32 v1, 31, v0
	v_mov_b32_e32 v11, 0
	v_mbcnt_lo_u32_b32 v15, -1, 0
	v_cmp_eq_u32_e64 s0, 0, v0
	v_and_b32_e32 v13, 0x7c, v2
	v_lshlrev_b32_e32 v12, 2, v1
	v_cmp_gt_u32_e64 s1, 32, v0
	v_lshl_or_b32 v17, v15, 2, 64
	s_mov_b32 s29, 0
	s_wait_kmcnt 0x0
	s_ashr_i32 s2, s4, 31
	v_cmp_gt_i32_e32 vcc_lo, s4, v0
	s_lshr_b32 s2, s2, 22
	s_mul_i32 s34, s3, ttmp9
	s_add_co_i32 s30, s4, s2
	v_cmp_eq_u32_e64 s2, 0, v1
	s_and_b32 s30, s30, 0xfffffc00
	v_cndmask_b32_e32 v3, 0, v0, vcc_lo
	v_or_b32_e32 v2, s30, v0
	v_mul_lo_u32 v14, v0, s6
	s_mul_i32 s36, s5, ttmp9
	v_cmp_gt_i32_e64 s3, s30, v0
	v_lshlrev_b32_e32 v16, 1, v3
	v_mul_lo_u32 v1, s6, v2
	v_cmp_gt_i32_e64 s4, s4, v2
	s_ashr_i32 s35, s34, 31
	s_ashr_i32 s37, s36, 31
	;; [unrolled: 1-line block ×3, first 2 shown]
	s_lshl_b32 s33, s6, 10
	s_lshl_b64 s[14:15], s[14:15], 1
	s_lshl_b64 s[26:27], s[26:27], 1
	v_ashrrev_i32_e32 v2, 31, v1
	s_lshl_b64 s[22:23], s[22:23], 2
	s_lshl_b64 s[34:35], s[34:35], 2
	;; [unrolled: 1-line block ×3, first 2 shown]
	s_wait_alu 0xfffe
	s_lshl_b64 s[38:39], s[30:31], 1
	v_lshlrev_b64_e32 v[1:2], 1, v[1:2]
	s_branch .LBB528_4
.LBB528_2:                              ;   in Loop: Header=BB528_4 Depth=1
	s_wait_alu 0xfffe
	s_or_b32 exec_lo, exec_lo, s5
.LBB528_3:                              ;   in Loop: Header=BB528_4 Depth=1
	s_add_co_i32 s28, s28, 0x10000
	s_delay_alu instid0(SALU_CYCLE_1)
	s_cmp_lt_u32 s28, s7
	s_cbranch_scc0 .LBB528_38
.LBB528_4:                              ; =>This Loop Header: Depth=1
                                        ;     Child Loop BB528_27 Depth 2
	s_mul_u64 s[40:41], s[10:11], s[28:29]
	s_mul_u64 s[42:43], s[18:19], s[28:29]
	s_lshl_b64 s[40:41], s[40:41], 2
	s_lshl_b64 s[42:43], s[42:43], 2
	s_add_nc_u64 s[40:41], s[8:9], s[40:41]
	s_add_nc_u64 s[42:43], s[16:17], s[42:43]
	s_clause 0x1
	global_load_b32 v18, v11, s[40:41]
	global_load_b32 v3, v11, s[42:43]
	s_wait_loadcnt 0x1
	v_cmp_eq_f32_e64 s5, 0, v18
	s_wait_loadcnt 0x0
	v_cmp_eq_f32_e32 vcc_lo, 1.0, v3
	v_readfirstlane_b32 s31, v3
	s_and_b32 s6, s5, vcc_lo
	s_wait_alu 0xfffe
	s_and_b32 vcc_lo, exec_lo, s6
	s_wait_alu 0xfffe
	s_cbranch_vccnz .LBB528_3
; %bb.5:                                ;   in Loop: Header=BB528_4 Depth=1
	v_mov_b32_e32 v3, 0
	v_dual_mov_b32 v4, 0 :: v_dual_mov_b32 v5, 0
	v_cmp_neq_f32_e64 s6, 0, v18
	v_mov_b32_e32 v6, 0
	s_and_b32 vcc_lo, exec_lo, s5
	s_wait_alu 0xfffe
	s_cbranch_vccnz .LBB528_7
; %bb.6:                                ;   in Loop: Header=BB528_4 Depth=1
	s_lshl_b64 s[40:41], s[28:29], 3
	s_delay_alu instid0(SALU_CYCLE_1)
	s_add_nc_u64 s[40:41], s[12:13], s[40:41]
	global_load_b64 v[5:6], v11, s[40:41]
	s_wait_loadcnt 0x0
	v_add_co_u32 v5, vcc_lo, v5, s14
	s_wait_alu 0xfffd
	v_add_co_ci_u32_e64 v6, null, s15, v6, vcc_lo
.LBB528_7:                              ;   in Loop: Header=BB528_4 Depth=1
	s_and_not1_b32 vcc_lo, exec_lo, s6
	s_wait_alu 0xfffe
	s_cbranch_vccnz .LBB528_9
; %bb.8:                                ;   in Loop: Header=BB528_4 Depth=1
	s_lshl_b64 s[40:41], s[28:29], 3
	s_delay_alu instid0(SALU_CYCLE_1)
	s_add_nc_u64 s[40:41], s[24:25], s[40:41]
	global_load_b64 v[3:4], v11, s[40:41]
	s_wait_loadcnt 0x0
	v_add_co_u32 v3, vcc_lo, v3, s26
	s_wait_alu 0xfffd
	v_add_co_ci_u32_e64 v4, null, s27, v4, vcc_lo
.LBB528_9:                              ;   in Loop: Header=BB528_4 Depth=1
	s_lshl_b64 s[40:41], s[28:29], 3
	s_delay_alu instid0(SALU_CYCLE_1)
	s_add_nc_u64 s[40:41], s[20:21], s[40:41]
	s_wait_dscnt 0x0
	global_load_b64 v[7:8], v11, s[40:41]
	s_wait_loadcnt 0x0
	v_add_co_u32 v19, vcc_lo, v7, s22
	s_wait_alu 0xfffd
	v_add_co_ci_u32_e64 v20, null, s23, v8, vcc_lo
	s_and_not1_b32 vcc_lo, exec_lo, s5
	s_wait_alu 0xfffe
	s_cbranch_vccnz .LBB528_13
; %bb.10:                               ;   in Loop: Header=BB528_4 Depth=1
	s_mov_b32 s5, 0
	s_mov_b32 s6, 0
                                        ; implicit-def: $vgpr7
	s_and_saveexec_b32 s40, s0
	s_cbranch_execz .LBB528_14
; %bb.11:                               ;   in Loop: Header=BB528_4 Depth=1
	s_cmp_eq_f32 s31, 0
	s_cbranch_scc1 .LBB528_15
; %bb.12:                               ;   in Loop: Header=BB528_4 Depth=1
	v_add_co_u32 v7, vcc_lo, v19, s34
	s_wait_alu 0xfffd
	v_add_co_ci_u32_e64 v8, null, s35, v20, vcc_lo
	flat_load_b32 v7, v[7:8]
	s_wait_loadcnt_dscnt 0x0
	v_mul_f32_e32 v7, s31, v7
	s_branch .LBB528_16
.LBB528_13:                             ;   in Loop: Header=BB528_4 Depth=1
	s_mov_b32 s6, 0
                                        ; implicit-def: $vgpr7
	s_cbranch_execnz .LBB528_17
	s_branch .LBB528_36
.LBB528_14:                             ;   in Loop: Header=BB528_4 Depth=1
	s_or_b32 exec_lo, exec_lo, s40
	s_wait_alu 0xfffe
	s_and_b32 vcc_lo, exec_lo, s5
	s_wait_alu 0xfffe
	s_cbranch_vccnz .LBB528_17
	s_branch .LBB528_36
.LBB528_15:                             ;   in Loop: Header=BB528_4 Depth=1
	v_mov_b32_e32 v7, 0
.LBB528_16:                             ;   in Loop: Header=BB528_4 Depth=1
	s_mov_b32 s6, exec_lo
	s_or_b32 exec_lo, exec_lo, s40
	s_wait_alu 0xfffe
	s_and_b32 vcc_lo, exec_lo, s5
	s_wait_alu 0xfffe
	s_cbranch_vccz .LBB528_36
.LBB528_17:                             ;   in Loop: Header=BB528_4 Depth=1
	v_add_co_u32 v5, vcc_lo, v5, v16
	s_wait_alu 0xfffd
	v_add_co_ci_u32_e64 v6, null, 0, v6, vcc_lo
	v_mov_b32_e32 v21, 0
	s_delay_alu instid0(VALU_DEP_3) | instskip(SKIP_1) | instid1(VALU_DEP_3)
	v_add_co_u32 v5, vcc_lo, v5, s36
	s_wait_alu 0xfffd
	v_add_co_ci_u32_e64 v6, null, s37, v6, vcc_lo
	s_and_saveexec_b32 s40, s3
	s_cbranch_execnz .LBB528_26
; %bb.18:                               ;   in Loop: Header=BB528_4 Depth=1
	s_or_b32 exec_lo, exec_lo, s40
	s_and_saveexec_b32 s5, s4
	s_cbranch_execnz .LBB528_29
.LBB528_19:                             ;   in Loop: Header=BB528_4 Depth=1
	s_wait_alu 0xfffe
	s_or_b32 exec_lo, exec_lo, s5
	s_and_saveexec_b32 s5, s1
.LBB528_20:                             ;   in Loop: Header=BB528_4 Depth=1
	ds_store_b32 v12, v11
.LBB528_21:                             ;   in Loop: Header=BB528_4 Depth=1
	s_wait_alu 0xfffe
	s_or_b32 exec_lo, exec_lo, s5
	ds_bpermute_b32 v4, v17, v21
	v_cmp_gt_u32_e32 vcc_lo, 24, v15
	s_wait_dscnt 0x0
	s_barrier_signal -1
	s_barrier_wait -1
	global_inv scope:SCOPE_SE
	s_wait_alu 0xfffd
	v_cndmask_b32_e64 v3, 0, 8, vcc_lo
	v_cmp_gt_u32_e32 vcc_lo, 28, v15
	s_delay_alu instid0(VALU_DEP_2)
	v_add_lshl_u32 v3, v3, v15, 2
	v_add_f32_e32 v5, v21, v4
	s_wait_alu 0xfffd
	v_cndmask_b32_e64 v4, 0, 4, vcc_lo
	v_cmp_gt_u32_e32 vcc_lo, 30, v15
	ds_bpermute_b32 v6, v3, v5
	v_add_lshl_u32 v4, v4, v15, 2
	s_wait_dscnt 0x0
	v_add_f32_e32 v6, v5, v6
	s_wait_alu 0xfffd
	v_cndmask_b32_e64 v5, 0, 2, vcc_lo
	v_cmp_ne_u32_e32 vcc_lo, 31, v15
	ds_bpermute_b32 v7, v4, v6
	v_add_lshl_u32 v5, v5, v15, 2
	s_wait_alu 0xfffd
	v_add_co_ci_u32_e64 v8, null, 0, v15, vcc_lo
	s_wait_dscnt 0x0
	v_add_f32_e32 v6, v6, v7
	ds_bpermute_b32 v7, v5, v6
	s_wait_dscnt 0x0
	v_dual_add_f32 v7, v6, v7 :: v_dual_lshlrev_b32 v6, 2, v8
	ds_bpermute_b32 v8, v6, v7
	s_and_saveexec_b32 s5, s2
	s_cbranch_execz .LBB528_23
; %bb.22:                               ;   in Loop: Header=BB528_4 Depth=1
	s_wait_dscnt 0x0
	v_add_f32_e32 v7, v7, v8
	ds_store_b32 v13, v7
.LBB528_23:                             ;   in Loop: Header=BB528_4 Depth=1
	s_wait_alu 0xfffe
	s_or_b32 exec_lo, exec_lo, s5
	s_wait_dscnt 0x0
	v_mov_b32_e32 v8, 0
	s_wait_loadcnt 0x0
	s_barrier_signal -1
	s_barrier_wait -1
	global_inv scope:SCOPE_SE
	s_and_saveexec_b32 s5, s1
	s_cbranch_execnz .LBB528_30
; %bb.24:                               ;   in Loop: Header=BB528_4 Depth=1
	s_wait_alu 0xfffe
	s_or_b32 exec_lo, exec_lo, s5
	s_and_saveexec_b32 s5, s1
	s_cbranch_execnz .LBB528_31
.LBB528_25:                             ;   in Loop: Header=BB528_4 Depth=1
	s_wait_alu 0xfffe
	s_or_b32 exec_lo, exec_lo, s5
                                        ; implicit-def: $vgpr7
	s_and_saveexec_b32 s5, s0
	s_cbranch_execnz .LBB528_32
	s_branch .LBB528_35
.LBB528_26:                             ;   in Loop: Header=BB528_4 Depth=1
	v_dual_mov_b32 v21, 0 :: v_dual_mov_b32 v8, v6
	v_dual_mov_b32 v7, v5 :: v_dual_mov_b32 v22, v0
	v_mov_b32_e32 v9, v14
	s_mov_b32 s41, 0
.LBB528_27:                             ;   Parent Loop BB528_4 Depth=1
                                        ; =>  This Inner Loop Header: Depth=2
	s_delay_alu instid0(VALU_DEP_1) | instskip(NEXT) | instid1(VALU_DEP_3)
	v_ashrrev_i32_e32 v10, 31, v9
	v_add_nc_u32_e32 v22, 0x400, v22
	s_delay_alu instid0(VALU_DEP_2) | instskip(NEXT) | instid1(VALU_DEP_2)
	v_lshlrev_b64_e32 v[23:24], 1, v[9:10]
	v_cmp_le_i32_e64 s5, s30, v22
	v_add_nc_u32_e32 v9, s33, v9
	s_or_b32 s41, s5, s41
	v_add_co_u32 v23, vcc_lo, v3, v23
	s_wait_alu 0xfffd
	v_add_co_ci_u32_e64 v24, null, v4, v24, vcc_lo
	flat_load_u16 v10, v[7:8]
	flat_load_u16 v23, v[23:24]
	v_add_co_u32 v7, vcc_lo, 0x800, v7
	s_wait_alu 0xfffd
	v_add_co_ci_u32_e64 v8, null, 0, v8, vcc_lo
	s_wait_loadcnt_dscnt 0x0
	v_mul_f16_e32 v10, v10, v23
	s_delay_alu instid0(VALU_DEP_1) | instskip(NEXT) | instid1(VALU_DEP_1)
	v_cvt_f32_f16_e32 v10, v10
	v_add_f32_e32 v21, v21, v10
	s_and_not1_b32 exec_lo, exec_lo, s41
	s_cbranch_execnz .LBB528_27
; %bb.28:                               ;   in Loop: Header=BB528_4 Depth=1
	s_or_b32 exec_lo, exec_lo, s41
	s_delay_alu instid0(SALU_CYCLE_1)
	s_or_b32 exec_lo, exec_lo, s40
	s_and_saveexec_b32 s5, s4
	s_cbranch_execz .LBB528_19
.LBB528_29:                             ;   in Loop: Header=BB528_4 Depth=1
	v_add_co_u32 v5, vcc_lo, v5, s38
	s_wait_alu 0xfffd
	v_add_co_ci_u32_e64 v6, null, s39, v6, vcc_lo
	v_add_co_u32 v3, vcc_lo, v3, v1
	s_wait_alu 0xfffd
	v_add_co_ci_u32_e64 v4, null, v4, v2, vcc_lo
	flat_load_u16 v5, v[5:6]
	flat_load_u16 v3, v[3:4]
	s_wait_loadcnt_dscnt 0x0
	v_mul_f16_e32 v3, v5, v3
	s_delay_alu instid0(VALU_DEP_1) | instskip(NEXT) | instid1(VALU_DEP_1)
	v_cvt_f32_f16_e32 v3, v3
	v_add_f32_e32 v21, v21, v3
	s_wait_alu 0xfffe
	s_or_b32 exec_lo, exec_lo, s5
	s_and_saveexec_b32 s5, s1
	s_cbranch_execnz .LBB528_20
	s_branch .LBB528_21
.LBB528_30:                             ;   in Loop: Header=BB528_4 Depth=1
	ds_load_b32 v8, v12
	s_wait_alu 0xfffe
	s_or_b32 exec_lo, exec_lo, s5
	s_and_saveexec_b32 s5, s1
	s_cbranch_execz .LBB528_25
.LBB528_31:                             ;   in Loop: Header=BB528_4 Depth=1
	s_wait_dscnt 0x0
	ds_bpermute_b32 v7, v17, v8
	s_wait_dscnt 0x0
	v_add_f32_e32 v7, v8, v7
	ds_bpermute_b32 v3, v3, v7
	s_wait_dscnt 0x0
	v_add_f32_e32 v3, v7, v3
	;; [unrolled: 3-line block ×5, first 2 shown]
	s_wait_alu 0xfffe
	s_or_b32 exec_lo, exec_lo, s5
                                        ; implicit-def: $vgpr7
	s_and_saveexec_b32 s5, s0
	s_cbranch_execz .LBB528_35
.LBB528_32:                             ;   in Loop: Header=BB528_4 Depth=1
	s_wait_dscnt 0x0
	v_mul_f32_e32 v7, v18, v8
	s_cmp_eq_f32 s31, 0
	s_cbranch_scc1 .LBB528_34
; %bb.33:                               ;   in Loop: Header=BB528_4 Depth=1
	v_add_co_u32 v3, vcc_lo, v19, s34
	s_wait_alu 0xfffd
	v_add_co_ci_u32_e64 v4, null, s35, v20, vcc_lo
	flat_load_b32 v3, v[3:4]
	s_wait_loadcnt_dscnt 0x0
	v_fmac_f32_e32 v7, s31, v3
.LBB528_34:                             ;   in Loop: Header=BB528_4 Depth=1
	s_or_b32 s6, s6, exec_lo
.LBB528_35:                             ;   in Loop: Header=BB528_4 Depth=1
	s_wait_alu 0xfffe
	s_or_b32 exec_lo, exec_lo, s5
.LBB528_36:                             ;   in Loop: Header=BB528_4 Depth=1
	s_wait_alu 0xfffe
	s_and_saveexec_b32 s5, s6
	s_cbranch_execz .LBB528_2
; %bb.37:                               ;   in Loop: Header=BB528_4 Depth=1
	v_add_co_u32 v3, vcc_lo, v19, s34
	s_wait_alu 0xfffd
	v_add_co_ci_u32_e64 v4, null, s35, v20, vcc_lo
	flat_store_b32 v[3:4], v7
	s_branch .LBB528_2
.LBB528_38:
	s_endpgm
	.section	.rodata,"a",@progbits
	.p2align	6, 0x0
	.amdhsa_kernel _ZL32rocblas_gemvt_warp_reduce_kernelILb0ELi1024EiPKDF16_PKfKPfEviiT3_lPKT2_lT1_lS9_lSA_lS6_lPT4_lSA_li
		.amdhsa_group_segment_fixed_size 128
		.amdhsa_private_segment_fixed_size 0
		.amdhsa_kernarg_size 140
		.amdhsa_user_sgpr_count 2
		.amdhsa_user_sgpr_dispatch_ptr 0
		.amdhsa_user_sgpr_queue_ptr 0
		.amdhsa_user_sgpr_kernarg_segment_ptr 1
		.amdhsa_user_sgpr_dispatch_id 0
		.amdhsa_user_sgpr_private_segment_size 0
		.amdhsa_wavefront_size32 1
		.amdhsa_uses_dynamic_stack 0
		.amdhsa_enable_private_segment 0
		.amdhsa_system_sgpr_workgroup_id_x 1
		.amdhsa_system_sgpr_workgroup_id_y 0
		.amdhsa_system_sgpr_workgroup_id_z 1
		.amdhsa_system_sgpr_workgroup_info 0
		.amdhsa_system_vgpr_workitem_id 0
		.amdhsa_next_free_vgpr 25
		.amdhsa_next_free_sgpr 44
		.amdhsa_reserve_vcc 1
		.amdhsa_float_round_mode_32 0
		.amdhsa_float_round_mode_16_64 0
		.amdhsa_float_denorm_mode_32 3
		.amdhsa_float_denorm_mode_16_64 3
		.amdhsa_fp16_overflow 0
		.amdhsa_workgroup_processor_mode 1
		.amdhsa_memory_ordered 1
		.amdhsa_forward_progress 1
		.amdhsa_inst_pref_size 14
		.amdhsa_round_robin_scheduling 0
		.amdhsa_exception_fp_ieee_invalid_op 0
		.amdhsa_exception_fp_denorm_src 0
		.amdhsa_exception_fp_ieee_div_zero 0
		.amdhsa_exception_fp_ieee_overflow 0
		.amdhsa_exception_fp_ieee_underflow 0
		.amdhsa_exception_fp_ieee_inexact 0
		.amdhsa_exception_int_div_zero 0
	.end_amdhsa_kernel
	.section	.text._ZL32rocblas_gemvt_warp_reduce_kernelILb0ELi1024EiPKDF16_PKfKPfEviiT3_lPKT2_lT1_lS9_lSA_lS6_lPT4_lSA_li,"axG",@progbits,_ZL32rocblas_gemvt_warp_reduce_kernelILb0ELi1024EiPKDF16_PKfKPfEviiT3_lPKT2_lT1_lS9_lSA_lS6_lPT4_lSA_li,comdat
.Lfunc_end528:
	.size	_ZL32rocblas_gemvt_warp_reduce_kernelILb0ELi1024EiPKDF16_PKfKPfEviiT3_lPKT2_lT1_lS9_lSA_lS6_lPT4_lSA_li, .Lfunc_end528-_ZL32rocblas_gemvt_warp_reduce_kernelILb0ELi1024EiPKDF16_PKfKPfEviiT3_lPKT2_lT1_lS9_lSA_lS6_lPT4_lSA_li
                                        ; -- End function
	.set _ZL32rocblas_gemvt_warp_reduce_kernelILb0ELi1024EiPKDF16_PKfKPfEviiT3_lPKT2_lT1_lS9_lSA_lS6_lPT4_lSA_li.num_vgpr, 25
	.set _ZL32rocblas_gemvt_warp_reduce_kernelILb0ELi1024EiPKDF16_PKfKPfEviiT3_lPKT2_lT1_lS9_lSA_lS6_lPT4_lSA_li.num_agpr, 0
	.set _ZL32rocblas_gemvt_warp_reduce_kernelILb0ELi1024EiPKDF16_PKfKPfEviiT3_lPKT2_lT1_lS9_lSA_lS6_lPT4_lSA_li.numbered_sgpr, 44
	.set _ZL32rocblas_gemvt_warp_reduce_kernelILb0ELi1024EiPKDF16_PKfKPfEviiT3_lPKT2_lT1_lS9_lSA_lS6_lPT4_lSA_li.num_named_barrier, 0
	.set _ZL32rocblas_gemvt_warp_reduce_kernelILb0ELi1024EiPKDF16_PKfKPfEviiT3_lPKT2_lT1_lS9_lSA_lS6_lPT4_lSA_li.private_seg_size, 0
	.set _ZL32rocblas_gemvt_warp_reduce_kernelILb0ELi1024EiPKDF16_PKfKPfEviiT3_lPKT2_lT1_lS9_lSA_lS6_lPT4_lSA_li.uses_vcc, 1
	.set _ZL32rocblas_gemvt_warp_reduce_kernelILb0ELi1024EiPKDF16_PKfKPfEviiT3_lPKT2_lT1_lS9_lSA_lS6_lPT4_lSA_li.uses_flat_scratch, 0
	.set _ZL32rocblas_gemvt_warp_reduce_kernelILb0ELi1024EiPKDF16_PKfKPfEviiT3_lPKT2_lT1_lS9_lSA_lS6_lPT4_lSA_li.has_dyn_sized_stack, 0
	.set _ZL32rocblas_gemvt_warp_reduce_kernelILb0ELi1024EiPKDF16_PKfKPfEviiT3_lPKT2_lT1_lS9_lSA_lS6_lPT4_lSA_li.has_recursion, 0
	.set _ZL32rocblas_gemvt_warp_reduce_kernelILb0ELi1024EiPKDF16_PKfKPfEviiT3_lPKT2_lT1_lS9_lSA_lS6_lPT4_lSA_li.has_indirect_call, 0
	.section	.AMDGPU.csdata,"",@progbits
; Kernel info:
; codeLenInByte = 1672
; TotalNumSgprs: 46
; NumVgprs: 25
; ScratchSize: 0
; MemoryBound: 0
; FloatMode: 240
; IeeeMode: 1
; LDSByteSize: 128 bytes/workgroup (compile time only)
; SGPRBlocks: 0
; VGPRBlocks: 3
; NumSGPRsForWavesPerEU: 46
; NumVGPRsForWavesPerEU: 25
; Occupancy: 16
; WaveLimiterHint : 1
; COMPUTE_PGM_RSRC2:SCRATCH_EN: 0
; COMPUTE_PGM_RSRC2:USER_SGPR: 2
; COMPUTE_PGM_RSRC2:TRAP_HANDLER: 0
; COMPUTE_PGM_RSRC2:TGID_X_EN: 1
; COMPUTE_PGM_RSRC2:TGID_Y_EN: 0
; COMPUTE_PGM_RSRC2:TGID_Z_EN: 1
; COMPUTE_PGM_RSRC2:TIDIG_COMP_CNT: 0
	.section	.text._ZL32rocblas_gemvt_warp_reduce_kernelILb0ELi1024ElPKDF16_PKfKPfEviiT3_lPKT2_lT1_lS9_lSA_lS6_lPT4_lSA_li,"axG",@progbits,_ZL32rocblas_gemvt_warp_reduce_kernelILb0ELi1024ElPKDF16_PKfKPfEviiT3_lPKT2_lT1_lS9_lSA_lS6_lPT4_lSA_li,comdat
	.globl	_ZL32rocblas_gemvt_warp_reduce_kernelILb0ELi1024ElPKDF16_PKfKPfEviiT3_lPKT2_lT1_lS9_lSA_lS6_lPT4_lSA_li ; -- Begin function _ZL32rocblas_gemvt_warp_reduce_kernelILb0ELi1024ElPKDF16_PKfKPfEviiT3_lPKT2_lT1_lS9_lSA_lS6_lPT4_lSA_li
	.p2align	8
	.type	_ZL32rocblas_gemvt_warp_reduce_kernelILb0ELi1024ElPKDF16_PKfKPfEviiT3_lPKT2_lT1_lS9_lSA_lS6_lPT4_lSA_li,@function
_ZL32rocblas_gemvt_warp_reduce_kernelILb0ELi1024ElPKDF16_PKfKPfEviiT3_lPKT2_lT1_lS9_lSA_lS6_lPT4_lSA_li: ; @_ZL32rocblas_gemvt_warp_reduce_kernelILb0ELi1024ElPKDF16_PKfKPfEviiT3_lPKT2_lT1_lS9_lSA_lS6_lPT4_lSA_li
; %bb.0:
	s_load_b32 s7, s[0:1], 0x88
	s_lshr_b32 s28, ttmp7, 16
	s_wait_kmcnt 0x0
	s_cmp_ge_u32 s28, s7
	s_cbranch_scc1 .LBB529_38
; %bb.1:
	s_clause 0x6
	s_load_b32 s6, s[0:1], 0x0
	s_load_b64 s[36:37], s[0:1], 0x48
	s_load_b256 s[8:15], s[0:1], 0x8
	s_load_b64 s[34:35], s[0:1], 0x78
	s_load_b64 s[38:39], s[0:1], 0x28
	s_load_b128 s[24:27], s[0:1], 0x38
	s_load_b256 s[16:23], s[0:1], 0x58
	v_and_b32_e32 v3, 31, v0
	v_lshrrev_b32_e32 v4, 3, v0
	v_mov_b32_e32 v13, 0
	v_mbcnt_lo_u32_b32 v14, -1, 0
	s_mov_b32 s4, ttmp9
	s_ashr_i32 s5, ttmp9, 31
	v_and_b32_e32 v16, 0x7c, v4
	v_cmp_eq_u32_e64 s0, 0, v0
	v_cmp_gt_u32_e64 s1, 32, v0
	v_lshl_or_b32 v18, v14, 2, 64
	s_mov_b32 s29, 0
	s_wait_kmcnt 0x0
	s_ashr_i32 s2, s6, 31
	v_mad_co_u64_u32 v[1:2], null, s36, v0, 0
	s_lshr_b32 s3, s2, 22
	v_cmp_eq_u32_e64 s2, 0, v3
	s_add_co_i32 s3, s6, s3
	v_cmp_gt_i32_e32 vcc_lo, s6, v0
	s_and_b32 s30, s3, 0xfffffc00
	v_lshlrev_b32_e32 v15, 2, v3
	v_or_b32_e32 v5, s30, v0
	v_mad_co_u64_u32 v[2:3], null, s37, v0, v[2:3]
	s_ashr_i32 s31, s30, 31
	v_cndmask_b32_e32 v6, 0, v0, vcc_lo
	v_mul_lo_u32 v7, s37, v5
	v_mad_co_u64_u32 v[3:4], null, s36, v5, 0
	s_wait_alu 0xfffe
	s_mul_i32 s3, s36, s31
	v_lshlrev_b64_e32 v[1:2], 1, v[1:2]
	s_mul_u64 s[40:41], s[34:35], s[4:5]
	s_mul_u64 s[38:39], s[38:39], s[4:5]
	v_cmp_gt_i32_e64 s4, s6, v5
	v_lshlrev_b32_e32 v17, 1, v6
	v_add3_u32 v4, v4, s3, v7
	v_cmp_gt_i32_e64 s3, s30, v0
	s_lshl_b64 s[34:35], s[36:37], 11
	s_lshl_b64 s[14:15], s[14:15], 1
	s_lshl_b64 s[26:27], s[26:27], 1
	v_lshlrev_b64_e32 v[3:4], 1, v[3:4]
	s_lshl_b64 s[22:23], s[22:23], 2
	s_lshl_b64 s[36:37], s[40:41], 2
	;; [unrolled: 1-line block ×4, first 2 shown]
	s_branch .LBB529_4
.LBB529_2:                              ;   in Loop: Header=BB529_4 Depth=1
	s_or_b32 exec_lo, exec_lo, s5
.LBB529_3:                              ;   in Loop: Header=BB529_4 Depth=1
	s_add_co_i32 s28, s28, 0x10000
	s_delay_alu instid0(SALU_CYCLE_1)
	s_cmp_lt_u32 s28, s7
	s_cbranch_scc0 .LBB529_38
.LBB529_4:                              ; =>This Loop Header: Depth=1
                                        ;     Child Loop BB529_27 Depth 2
	s_mul_u64 s[42:43], s[10:11], s[28:29]
	s_mul_u64 s[44:45], s[18:19], s[28:29]
	s_lshl_b64 s[42:43], s[42:43], 2
	s_lshl_b64 s[44:45], s[44:45], 2
	s_add_nc_u64 s[42:43], s[8:9], s[42:43]
	s_add_nc_u64 s[44:45], s[16:17], s[44:45]
	s_clause 0x1
	global_load_b32 v19, v13, s[42:43]
	global_load_b32 v5, v13, s[44:45]
	s_wait_loadcnt 0x1
	v_cmp_eq_f32_e64 s5, 0, v19
	s_wait_loadcnt 0x0
	v_cmp_eq_f32_e32 vcc_lo, 1.0, v5
	v_readfirstlane_b32 s31, v5
	s_and_b32 s6, s5, vcc_lo
	s_wait_alu 0xfffe
	s_and_b32 vcc_lo, exec_lo, s6
	s_wait_alu 0xfffe
	s_cbranch_vccnz .LBB529_3
; %bb.5:                                ;   in Loop: Header=BB529_4 Depth=1
	v_mov_b32_e32 v5, 0
	v_dual_mov_b32 v6, 0 :: v_dual_mov_b32 v7, 0
	v_cmp_neq_f32_e64 s6, 0, v19
	v_mov_b32_e32 v8, 0
	s_and_b32 vcc_lo, exec_lo, s5
	s_wait_alu 0xfffe
	s_cbranch_vccnz .LBB529_7
; %bb.6:                                ;   in Loop: Header=BB529_4 Depth=1
	s_lshl_b64 s[42:43], s[28:29], 3
	s_delay_alu instid0(SALU_CYCLE_1)
	s_add_nc_u64 s[42:43], s[12:13], s[42:43]
	global_load_b64 v[7:8], v13, s[42:43]
	s_wait_loadcnt 0x0
	v_add_co_u32 v7, vcc_lo, v7, s14
	s_wait_alu 0xfffd
	v_add_co_ci_u32_e64 v8, null, s15, v8, vcc_lo
.LBB529_7:                              ;   in Loop: Header=BB529_4 Depth=1
	s_and_not1_b32 vcc_lo, exec_lo, s6
	s_wait_alu 0xfffe
	s_cbranch_vccnz .LBB529_9
; %bb.8:                                ;   in Loop: Header=BB529_4 Depth=1
	s_lshl_b64 s[42:43], s[28:29], 3
	s_delay_alu instid0(SALU_CYCLE_1)
	s_add_nc_u64 s[42:43], s[24:25], s[42:43]
	global_load_b64 v[5:6], v13, s[42:43]
	s_wait_loadcnt 0x0
	v_add_co_u32 v5, vcc_lo, v5, s26
	s_wait_alu 0xfffd
	v_add_co_ci_u32_e64 v6, null, s27, v6, vcc_lo
.LBB529_9:                              ;   in Loop: Header=BB529_4 Depth=1
	s_lshl_b64 s[42:43], s[28:29], 3
	s_delay_alu instid0(SALU_CYCLE_1)
	s_add_nc_u64 s[42:43], s[20:21], s[42:43]
	s_wait_dscnt 0x0
	global_load_b64 v[9:10], v13, s[42:43]
	s_wait_loadcnt 0x0
	v_add_co_u32 v20, vcc_lo, v9, s22
	s_wait_alu 0xfffd
	v_add_co_ci_u32_e64 v21, null, s23, v10, vcc_lo
	s_and_not1_b32 vcc_lo, exec_lo, s5
	s_wait_alu 0xfffe
	s_cbranch_vccnz .LBB529_13
; %bb.10:                               ;   in Loop: Header=BB529_4 Depth=1
	s_mov_b32 s5, 0
	s_mov_b32 s6, 0
                                        ; implicit-def: $vgpr9
	s_and_saveexec_b32 s33, s0
	s_cbranch_execz .LBB529_14
; %bb.11:                               ;   in Loop: Header=BB529_4 Depth=1
	s_cmp_eq_f32 s31, 0
	s_cbranch_scc1 .LBB529_15
; %bb.12:                               ;   in Loop: Header=BB529_4 Depth=1
	v_add_co_u32 v9, vcc_lo, v20, s36
	s_wait_alu 0xfffd
	v_add_co_ci_u32_e64 v10, null, s37, v21, vcc_lo
	flat_load_b32 v9, v[9:10]
	s_wait_loadcnt_dscnt 0x0
	v_mul_f32_e32 v9, s31, v9
	s_branch .LBB529_16
.LBB529_13:                             ;   in Loop: Header=BB529_4 Depth=1
	s_mov_b32 s6, 0
                                        ; implicit-def: $vgpr9
	s_cbranch_execnz .LBB529_17
	s_branch .LBB529_36
.LBB529_14:                             ;   in Loop: Header=BB529_4 Depth=1
	s_or_b32 exec_lo, exec_lo, s33
	s_delay_alu instid0(SALU_CYCLE_1)
	s_and_b32 vcc_lo, exec_lo, s5
	s_wait_alu 0xfffe
	s_cbranch_vccnz .LBB529_17
	s_branch .LBB529_36
.LBB529_15:                             ;   in Loop: Header=BB529_4 Depth=1
	v_mov_b32_e32 v9, 0
.LBB529_16:                             ;   in Loop: Header=BB529_4 Depth=1
	s_mov_b32 s6, exec_lo
	s_or_b32 exec_lo, exec_lo, s33
	s_delay_alu instid0(SALU_CYCLE_1)
	s_and_b32 vcc_lo, exec_lo, s5
	s_wait_alu 0xfffe
	s_cbranch_vccz .LBB529_36
.LBB529_17:                             ;   in Loop: Header=BB529_4 Depth=1
	v_add_co_u32 v7, vcc_lo, v7, v17
	s_wait_alu 0xfffd
	v_add_co_ci_u32_e64 v8, null, 0, v8, vcc_lo
	v_mov_b32_e32 v22, 0
	s_delay_alu instid0(VALU_DEP_3) | instskip(SKIP_1) | instid1(VALU_DEP_3)
	v_add_co_u32 v7, vcc_lo, v7, s38
	s_wait_alu 0xfffd
	v_add_co_ci_u32_e64 v8, null, s39, v8, vcc_lo
	s_and_saveexec_b32 s33, s3
	s_cbranch_execnz .LBB529_26
; %bb.18:                               ;   in Loop: Header=BB529_4 Depth=1
	s_or_b32 exec_lo, exec_lo, s33
	s_and_saveexec_b32 s5, s4
	s_cbranch_execnz .LBB529_29
.LBB529_19:                             ;   in Loop: Header=BB529_4 Depth=1
	s_or_b32 exec_lo, exec_lo, s5
	s_and_saveexec_b32 s5, s1
.LBB529_20:                             ;   in Loop: Header=BB529_4 Depth=1
	ds_store_b32 v15, v13
.LBB529_21:                             ;   in Loop: Header=BB529_4 Depth=1
	s_or_b32 exec_lo, exec_lo, s5
	ds_bpermute_b32 v6, v18, v22
	v_cmp_gt_u32_e32 vcc_lo, 24, v14
	s_wait_dscnt 0x0
	s_barrier_signal -1
	s_barrier_wait -1
	global_inv scope:SCOPE_SE
	s_wait_alu 0xfffd
	v_cndmask_b32_e64 v5, 0, 8, vcc_lo
	v_cmp_gt_u32_e32 vcc_lo, 28, v14
	s_delay_alu instid0(VALU_DEP_2)
	v_add_lshl_u32 v5, v5, v14, 2
	v_add_f32_e32 v7, v22, v6
	s_wait_alu 0xfffd
	v_cndmask_b32_e64 v6, 0, 4, vcc_lo
	v_cmp_gt_u32_e32 vcc_lo, 30, v14
	ds_bpermute_b32 v8, v5, v7
	v_add_lshl_u32 v6, v6, v14, 2
	s_wait_dscnt 0x0
	v_add_f32_e32 v8, v7, v8
	s_wait_alu 0xfffd
	v_cndmask_b32_e64 v7, 0, 2, vcc_lo
	v_cmp_ne_u32_e32 vcc_lo, 31, v14
	ds_bpermute_b32 v9, v6, v8
	v_add_lshl_u32 v7, v7, v14, 2
	s_wait_alu 0xfffd
	v_add_co_ci_u32_e64 v10, null, 0, v14, vcc_lo
	s_wait_dscnt 0x0
	v_add_f32_e32 v8, v8, v9
	ds_bpermute_b32 v9, v7, v8
	s_wait_dscnt 0x0
	v_dual_add_f32 v9, v8, v9 :: v_dual_lshlrev_b32 v8, 2, v10
	ds_bpermute_b32 v10, v8, v9
	s_and_saveexec_b32 s5, s2
	s_cbranch_execz .LBB529_23
; %bb.22:                               ;   in Loop: Header=BB529_4 Depth=1
	s_wait_dscnt 0x0
	v_add_f32_e32 v9, v9, v10
	ds_store_b32 v16, v9
.LBB529_23:                             ;   in Loop: Header=BB529_4 Depth=1
	s_or_b32 exec_lo, exec_lo, s5
	s_wait_dscnt 0x0
	v_mov_b32_e32 v10, 0
	s_wait_loadcnt 0x0
	s_barrier_signal -1
	s_barrier_wait -1
	global_inv scope:SCOPE_SE
	s_and_saveexec_b32 s5, s1
	s_cbranch_execnz .LBB529_30
; %bb.24:                               ;   in Loop: Header=BB529_4 Depth=1
	s_or_b32 exec_lo, exec_lo, s5
	s_and_saveexec_b32 s5, s1
	s_cbranch_execnz .LBB529_31
.LBB529_25:                             ;   in Loop: Header=BB529_4 Depth=1
	s_or_b32 exec_lo, exec_lo, s5
                                        ; implicit-def: $vgpr9
	s_and_saveexec_b32 s5, s0
	s_cbranch_execnz .LBB529_32
	s_branch .LBB529_35
.LBB529_26:                             ;   in Loop: Header=BB529_4 Depth=1
	v_add_co_u32 v9, vcc_lo, v5, v1
	v_dual_mov_b32 v12, v8 :: v_dual_mov_b32 v23, v0
	s_wait_alu 0xfffd
	v_add_co_ci_u32_e64 v10, null, v6, v2, vcc_lo
	v_dual_mov_b32 v22, 0 :: v_dual_mov_b32 v11, v7
	s_mov_b32 s42, 0
.LBB529_27:                             ;   Parent Loop BB529_4 Depth=1
                                        ; =>  This Inner Loop Header: Depth=2
	flat_load_u16 v24, v[11:12]
	flat_load_u16 v25, v[9:10]
	v_add_co_u32 v11, vcc_lo, 0x800, v11
	s_wait_alu 0xfffd
	v_add_co_ci_u32_e64 v12, null, 0, v12, vcc_lo
	v_add_co_u32 v9, vcc_lo, v9, s34
	s_wait_alu 0xfffd
	v_add_co_ci_u32_e64 v10, null, s35, v10, vcc_lo
	s_wait_loadcnt_dscnt 0x0
	v_mul_f16_e32 v24, v24, v25
	s_delay_alu instid0(VALU_DEP_1) | instskip(NEXT) | instid1(VALU_DEP_1)
	v_cvt_f32_f16_e32 v24, v24
	v_dual_add_f32 v22, v22, v24 :: v_dual_add_nc_u32 v23, 0x400, v23
	s_delay_alu instid0(VALU_DEP_1) | instskip(SKIP_1) | instid1(SALU_CYCLE_1)
	v_cmp_le_i32_e64 s5, s30, v23
	s_or_b32 s42, s5, s42
	s_and_not1_b32 exec_lo, exec_lo, s42
	s_cbranch_execnz .LBB529_27
; %bb.28:                               ;   in Loop: Header=BB529_4 Depth=1
	s_or_b32 exec_lo, exec_lo, s42
	s_delay_alu instid0(SALU_CYCLE_1)
	s_or_b32 exec_lo, exec_lo, s33
	s_and_saveexec_b32 s5, s4
	s_cbranch_execz .LBB529_19
.LBB529_29:                             ;   in Loop: Header=BB529_4 Depth=1
	v_add_co_u32 v7, vcc_lo, v7, s40
	s_wait_alu 0xfffd
	v_add_co_ci_u32_e64 v8, null, s41, v8, vcc_lo
	v_add_co_u32 v5, vcc_lo, v5, v3
	s_wait_alu 0xfffd
	v_add_co_ci_u32_e64 v6, null, v6, v4, vcc_lo
	flat_load_u16 v7, v[7:8]
	flat_load_u16 v5, v[5:6]
	s_wait_loadcnt_dscnt 0x0
	v_mul_f16_e32 v5, v7, v5
	s_delay_alu instid0(VALU_DEP_1) | instskip(NEXT) | instid1(VALU_DEP_1)
	v_cvt_f32_f16_e32 v5, v5
	v_add_f32_e32 v22, v22, v5
	s_or_b32 exec_lo, exec_lo, s5
	s_and_saveexec_b32 s5, s1
	s_cbranch_execnz .LBB529_20
	s_branch .LBB529_21
.LBB529_30:                             ;   in Loop: Header=BB529_4 Depth=1
	ds_load_b32 v10, v15
	s_or_b32 exec_lo, exec_lo, s5
	s_and_saveexec_b32 s5, s1
	s_cbranch_execz .LBB529_25
.LBB529_31:                             ;   in Loop: Header=BB529_4 Depth=1
	s_wait_dscnt 0x0
	ds_bpermute_b32 v9, v18, v10
	s_wait_dscnt 0x0
	v_add_f32_e32 v9, v10, v9
	ds_bpermute_b32 v5, v5, v9
	s_wait_dscnt 0x0
	v_add_f32_e32 v5, v9, v5
	;; [unrolled: 3-line block ×5, first 2 shown]
	s_or_b32 exec_lo, exec_lo, s5
                                        ; implicit-def: $vgpr9
	s_and_saveexec_b32 s5, s0
	s_cbranch_execz .LBB529_35
.LBB529_32:                             ;   in Loop: Header=BB529_4 Depth=1
	s_wait_dscnt 0x0
	v_mul_f32_e32 v9, v19, v10
	s_cmp_eq_f32 s31, 0
	s_cbranch_scc1 .LBB529_34
; %bb.33:                               ;   in Loop: Header=BB529_4 Depth=1
	v_add_co_u32 v5, vcc_lo, v20, s36
	s_wait_alu 0xfffd
	v_add_co_ci_u32_e64 v6, null, s37, v21, vcc_lo
	flat_load_b32 v5, v[5:6]
	s_wait_loadcnt_dscnt 0x0
	v_fmac_f32_e32 v9, s31, v5
.LBB529_34:                             ;   in Loop: Header=BB529_4 Depth=1
	s_wait_alu 0xfffe
	s_or_b32 s6, s6, exec_lo
.LBB529_35:                             ;   in Loop: Header=BB529_4 Depth=1
	s_or_b32 exec_lo, exec_lo, s5
.LBB529_36:                             ;   in Loop: Header=BB529_4 Depth=1
	s_wait_alu 0xfffe
	s_and_saveexec_b32 s5, s6
	s_cbranch_execz .LBB529_2
; %bb.37:                               ;   in Loop: Header=BB529_4 Depth=1
	v_add_co_u32 v5, vcc_lo, v20, s36
	s_wait_alu 0xfffd
	v_add_co_ci_u32_e64 v6, null, s37, v21, vcc_lo
	flat_store_b32 v[5:6], v9
	s_branch .LBB529_2
.LBB529_38:
	s_endpgm
	.section	.rodata,"a",@progbits
	.p2align	6, 0x0
	.amdhsa_kernel _ZL32rocblas_gemvt_warp_reduce_kernelILb0ELi1024ElPKDF16_PKfKPfEviiT3_lPKT2_lT1_lS9_lSA_lS6_lPT4_lSA_li
		.amdhsa_group_segment_fixed_size 128
		.amdhsa_private_segment_fixed_size 0
		.amdhsa_kernarg_size 140
		.amdhsa_user_sgpr_count 2
		.amdhsa_user_sgpr_dispatch_ptr 0
		.amdhsa_user_sgpr_queue_ptr 0
		.amdhsa_user_sgpr_kernarg_segment_ptr 1
		.amdhsa_user_sgpr_dispatch_id 0
		.amdhsa_user_sgpr_private_segment_size 0
		.amdhsa_wavefront_size32 1
		.amdhsa_uses_dynamic_stack 0
		.amdhsa_enable_private_segment 0
		.amdhsa_system_sgpr_workgroup_id_x 1
		.amdhsa_system_sgpr_workgroup_id_y 0
		.amdhsa_system_sgpr_workgroup_id_z 1
		.amdhsa_system_sgpr_workgroup_info 0
		.amdhsa_system_vgpr_workitem_id 0
		.amdhsa_next_free_vgpr 26
		.amdhsa_next_free_sgpr 46
		.amdhsa_reserve_vcc 1
		.amdhsa_float_round_mode_32 0
		.amdhsa_float_round_mode_16_64 0
		.amdhsa_float_denorm_mode_32 3
		.amdhsa_float_denorm_mode_16_64 3
		.amdhsa_fp16_overflow 0
		.amdhsa_workgroup_processor_mode 1
		.amdhsa_memory_ordered 1
		.amdhsa_forward_progress 1
		.amdhsa_inst_pref_size 13
		.amdhsa_round_robin_scheduling 0
		.amdhsa_exception_fp_ieee_invalid_op 0
		.amdhsa_exception_fp_denorm_src 0
		.amdhsa_exception_fp_ieee_div_zero 0
		.amdhsa_exception_fp_ieee_overflow 0
		.amdhsa_exception_fp_ieee_underflow 0
		.amdhsa_exception_fp_ieee_inexact 0
		.amdhsa_exception_int_div_zero 0
	.end_amdhsa_kernel
	.section	.text._ZL32rocblas_gemvt_warp_reduce_kernelILb0ELi1024ElPKDF16_PKfKPfEviiT3_lPKT2_lT1_lS9_lSA_lS6_lPT4_lSA_li,"axG",@progbits,_ZL32rocblas_gemvt_warp_reduce_kernelILb0ELi1024ElPKDF16_PKfKPfEviiT3_lPKT2_lT1_lS9_lSA_lS6_lPT4_lSA_li,comdat
.Lfunc_end529:
	.size	_ZL32rocblas_gemvt_warp_reduce_kernelILb0ELi1024ElPKDF16_PKfKPfEviiT3_lPKT2_lT1_lS9_lSA_lS6_lPT4_lSA_li, .Lfunc_end529-_ZL32rocblas_gemvt_warp_reduce_kernelILb0ELi1024ElPKDF16_PKfKPfEviiT3_lPKT2_lT1_lS9_lSA_lS6_lPT4_lSA_li
                                        ; -- End function
	.set _ZL32rocblas_gemvt_warp_reduce_kernelILb0ELi1024ElPKDF16_PKfKPfEviiT3_lPKT2_lT1_lS9_lSA_lS6_lPT4_lSA_li.num_vgpr, 26
	.set _ZL32rocblas_gemvt_warp_reduce_kernelILb0ELi1024ElPKDF16_PKfKPfEviiT3_lPKT2_lT1_lS9_lSA_lS6_lPT4_lSA_li.num_agpr, 0
	.set _ZL32rocblas_gemvt_warp_reduce_kernelILb0ELi1024ElPKDF16_PKfKPfEviiT3_lPKT2_lT1_lS9_lSA_lS6_lPT4_lSA_li.numbered_sgpr, 46
	.set _ZL32rocblas_gemvt_warp_reduce_kernelILb0ELi1024ElPKDF16_PKfKPfEviiT3_lPKT2_lT1_lS9_lSA_lS6_lPT4_lSA_li.num_named_barrier, 0
	.set _ZL32rocblas_gemvt_warp_reduce_kernelILb0ELi1024ElPKDF16_PKfKPfEviiT3_lPKT2_lT1_lS9_lSA_lS6_lPT4_lSA_li.private_seg_size, 0
	.set _ZL32rocblas_gemvt_warp_reduce_kernelILb0ELi1024ElPKDF16_PKfKPfEviiT3_lPKT2_lT1_lS9_lSA_lS6_lPT4_lSA_li.uses_vcc, 1
	.set _ZL32rocblas_gemvt_warp_reduce_kernelILb0ELi1024ElPKDF16_PKfKPfEviiT3_lPKT2_lT1_lS9_lSA_lS6_lPT4_lSA_li.uses_flat_scratch, 0
	.set _ZL32rocblas_gemvt_warp_reduce_kernelILb0ELi1024ElPKDF16_PKfKPfEviiT3_lPKT2_lT1_lS9_lSA_lS6_lPT4_lSA_li.has_dyn_sized_stack, 0
	.set _ZL32rocblas_gemvt_warp_reduce_kernelILb0ELi1024ElPKDF16_PKfKPfEviiT3_lPKT2_lT1_lS9_lSA_lS6_lPT4_lSA_li.has_recursion, 0
	.set _ZL32rocblas_gemvt_warp_reduce_kernelILb0ELi1024ElPKDF16_PKfKPfEviiT3_lPKT2_lT1_lS9_lSA_lS6_lPT4_lSA_li.has_indirect_call, 0
	.section	.AMDGPU.csdata,"",@progbits
; Kernel info:
; codeLenInByte = 1664
; TotalNumSgprs: 48
; NumVgprs: 26
; ScratchSize: 0
; MemoryBound: 0
; FloatMode: 240
; IeeeMode: 1
; LDSByteSize: 128 bytes/workgroup (compile time only)
; SGPRBlocks: 0
; VGPRBlocks: 3
; NumSGPRsForWavesPerEU: 48
; NumVGPRsForWavesPerEU: 26
; Occupancy: 16
; WaveLimiterHint : 1
; COMPUTE_PGM_RSRC2:SCRATCH_EN: 0
; COMPUTE_PGM_RSRC2:USER_SGPR: 2
; COMPUTE_PGM_RSRC2:TRAP_HANDLER: 0
; COMPUTE_PGM_RSRC2:TGID_X_EN: 1
; COMPUTE_PGM_RSRC2:TGID_Y_EN: 0
; COMPUTE_PGM_RSRC2:TGID_Z_EN: 1
; COMPUTE_PGM_RSRC2:TIDIG_COMP_CNT: 0
	.section	.text._ZL32rocblas_gemvt_warp_reduce_kernelILb0ELi1024EiPKDF16_fKPfEviiT3_lPKT2_lT1_lS7_lS8_lS4_lPT4_lS8_li,"axG",@progbits,_ZL32rocblas_gemvt_warp_reduce_kernelILb0ELi1024EiPKDF16_fKPfEviiT3_lPKT2_lT1_lS7_lS8_lS4_lPT4_lS8_li,comdat
	.globl	_ZL32rocblas_gemvt_warp_reduce_kernelILb0ELi1024EiPKDF16_fKPfEviiT3_lPKT2_lT1_lS7_lS8_lS4_lPT4_lS8_li ; -- Begin function _ZL32rocblas_gemvt_warp_reduce_kernelILb0ELi1024EiPKDF16_fKPfEviiT3_lPKT2_lT1_lS7_lS8_lS4_lPT4_lS8_li
	.p2align	8
	.type	_ZL32rocblas_gemvt_warp_reduce_kernelILb0ELi1024EiPKDF16_fKPfEviiT3_lPKT2_lT1_lS7_lS8_lS4_lPT4_lS8_li,@function
_ZL32rocblas_gemvt_warp_reduce_kernelILb0ELi1024EiPKDF16_fKPfEviiT3_lPKT2_lT1_lS7_lS8_lS4_lPT4_lS8_li: ; @_ZL32rocblas_gemvt_warp_reduce_kernelILb0ELi1024EiPKDF16_fKPfEviiT3_lPKT2_lT1_lS7_lS8_lS4_lPT4_lS8_li
; %bb.0:
	s_load_b32 s28, s[0:1], 0x88
	s_lshr_b32 s6, ttmp7, 16
	s_wait_kmcnt 0x0
	s_cmp_ge_u32 s6, s28
	s_cbranch_scc1 .LBB530_41
; %bb.1:
	s_clause 0x8
	s_load_b32 s29, s[0:1], 0x8
	s_load_b32 s30, s[0:1], 0x58
	s_load_b128 s[8:11], s[0:1], 0x18
	s_load_b32 s3, s[0:1], 0x28
	s_load_b32 s4, s[0:1], 0x0
	s_load_b128 s[12:15], s[0:1], 0x38
	s_load_b32 s5, s[0:1], 0x48
	s_load_b128 s[16:19], s[0:1], 0x68
	s_load_b32 s20, s[0:1], 0x78
	v_lshrrev_b32_e32 v2, 3, v0
	v_mov_b32_e32 v11, 0
	v_and_b32_e32 v1, 31, v0
	v_mbcnt_lo_u32_b32 v16, -1, 0
	v_cmp_eq_u32_e64 s0, 0, v0
	v_and_b32_e32 v14, 0x7c, v2
	s_mov_b32 s7, 0
	v_lshlrev_b32_e32 v13, 2, v1
	v_lshl_or_b32 v18, v16, 2, 64
	s_wait_kmcnt 0x0
	s_cmp_eq_f32 s29, 0
	v_cmp_gt_i32_e32 vcc_lo, s4, v0
	s_mul_i32 s24, s3, ttmp9
	s_cselect_b32 s31, -1, 0
	s_cmp_neq_f32 s30, 1.0
	s_mul_i32 s22, s20, ttmp9
	v_cndmask_b32_e32 v3, 0, v0, vcc_lo
	v_mul_lo_u32 v15, v0, s5
	s_cselect_b32 s1, -1, 0
	s_cmp_neq_f32 s29, 0
	s_delay_alu instid0(VALU_DEP_2) | instskip(SKIP_1) | instid1(SALU_CYCLE_1)
	v_lshlrev_b32_e32 v17, 1, v3
	s_cselect_b32 s2, -1, 0
	s_or_b32 s33, s2, s1
	s_cmp_neq_f32 s30, 0
	v_cndmask_b32_e64 v12, 0, 1, s2
	v_cmp_eq_u32_e64 s2, 0, v1
	v_cmp_gt_u32_e64 s1, 32, v0
	s_cselect_b32 s34, -1, 0
	s_ashr_i32 s21, s4, 31
	s_ashr_i32 s23, s22, 31
	s_lshr_b32 s21, s21, 22
	s_ashr_i32 s25, s24, 31
	s_add_co_i32 s21, s4, s21
	s_lshl_b32 s35, s5, 10
	s_and_b32 s20, s21, 0xfffffc00
	s_lshl_b64 s[10:11], s[10:11], 1
	v_or_b32_e32 v2, s20, v0
	v_cmp_gt_i32_e64 s3, s20, v0
	s_ashr_i32 s21, s20, 31
	s_lshl_b64 s[14:15], s[14:15], 1
	s_lshl_b64 s[18:19], s[18:19], 2
	v_mul_lo_u32 v1, s5, v2
	v_cmp_gt_i32_e64 s4, s4, v2
	s_lshl_b64 s[22:23], s[22:23], 2
	s_lshl_b64 s[24:25], s[24:25], 1
	s_wait_alu 0xfffe
	s_lshl_b64 s[26:27], s[20:21], 1
	v_ashrrev_i32_e32 v2, 31, v1
	s_delay_alu instid0(VALU_DEP_1)
	v_lshlrev_b64_e32 v[1:2], 1, v[1:2]
	s_branch .LBB530_4
.LBB530_2:                              ;   in Loop: Header=BB530_4 Depth=1
	s_wait_alu 0xfffe
	s_or_b32 exec_lo, exec_lo, s5
.LBB530_3:                              ;   in Loop: Header=BB530_4 Depth=1
	s_add_co_i32 s6, s6, 0x10000
	s_delay_alu instid0(SALU_CYCLE_1)
	s_cmp_lt_u32 s6, s28
	s_cbranch_scc0 .LBB530_41
.LBB530_4:                              ; =>This Loop Header: Depth=1
                                        ;     Child Loop BB530_30 Depth 2
	s_and_not1_b32 vcc_lo, exec_lo, s33
	s_wait_alu 0xfffe
	s_cbranch_vccnz .LBB530_3
; %bb.5:                                ;   in Loop: Header=BB530_4 Depth=1
	s_and_not1_b32 vcc_lo, exec_lo, s31
	s_wait_alu 0xfffe
	s_cbranch_vccnz .LBB530_7
; %bb.6:                                ;   in Loop: Header=BB530_4 Depth=1
	s_mov_b32 s5, 0
	s_branch .LBB530_8
.LBB530_7:                              ;   in Loop: Header=BB530_4 Depth=1
	s_mov_b32 s5, -1
.LBB530_8:                              ;   in Loop: Header=BB530_4 Depth=1
	v_mov_b32_e32 v3, 0
	v_dual_mov_b32 v4, 0 :: v_dual_mov_b32 v5, 0
	v_mov_b32_e32 v6, 0
	s_wait_alu 0xfffe
	s_and_not1_b32 vcc_lo, exec_lo, s5
	s_wait_alu 0xfffe
	s_cbranch_vccnz .LBB530_10
; %bb.9:                                ;   in Loop: Header=BB530_4 Depth=1
	s_lshl_b64 s[36:37], s[6:7], 3
	s_delay_alu instid0(SALU_CYCLE_1)
	s_add_nc_u64 s[36:37], s[8:9], s[36:37]
	global_load_b64 v[5:6], v11, s[36:37]
	s_wait_loadcnt 0x0
	v_add_co_u32 v5, vcc_lo, v5, s10
	s_wait_alu 0xfffd
	v_add_co_ci_u32_e64 v6, null, s11, v6, vcc_lo
.LBB530_10:                             ;   in Loop: Header=BB530_4 Depth=1
	v_cmp_ne_u32_e32 vcc_lo, 1, v12
	s_cbranch_vccnz .LBB530_12
; %bb.11:                               ;   in Loop: Header=BB530_4 Depth=1
	s_lshl_b64 s[36:37], s[6:7], 3
	s_delay_alu instid0(SALU_CYCLE_1)
	s_add_nc_u64 s[36:37], s[12:13], s[36:37]
	global_load_b64 v[3:4], v11, s[36:37]
	s_wait_loadcnt 0x0
	v_add_co_u32 v3, vcc_lo, v3, s14
	s_wait_alu 0xfffd
	v_add_co_ci_u32_e64 v4, null, s15, v4, vcc_lo
.LBB530_12:                             ;   in Loop: Header=BB530_4 Depth=1
	s_lshl_b64 s[36:37], s[6:7], 3
	s_delay_alu instid0(SALU_CYCLE_1)
	s_add_nc_u64 s[36:37], s[16:17], s[36:37]
	s_wait_dscnt 0x0
	global_load_b64 v[7:8], v11, s[36:37]
	s_wait_loadcnt 0x0
	v_add_co_u32 v19, vcc_lo, v7, s18
	s_wait_alu 0xfffd
	v_add_co_ci_u32_e64 v20, null, s19, v8, vcc_lo
	s_and_not1_b32 vcc_lo, exec_lo, s31
	s_wait_alu 0xfffe
	s_cbranch_vccnz .LBB530_16
; %bb.13:                               ;   in Loop: Header=BB530_4 Depth=1
	s_mov_b32 s5, 0
	s_mov_b32 s21, 0
                                        ; implicit-def: $vgpr7
	s_and_saveexec_b32 s36, s0
	s_cbranch_execz .LBB530_17
; %bb.14:                               ;   in Loop: Header=BB530_4 Depth=1
	s_and_not1_b32 vcc_lo, exec_lo, s34
	s_wait_alu 0xfffe
	s_cbranch_vccnz .LBB530_18
; %bb.15:                               ;   in Loop: Header=BB530_4 Depth=1
	v_add_co_u32 v7, vcc_lo, v19, s22
	s_wait_alu 0xfffd
	v_add_co_ci_u32_e64 v8, null, s23, v20, vcc_lo
	flat_load_b32 v7, v[7:8]
	s_wait_loadcnt_dscnt 0x0
	v_mul_f32_e32 v7, s30, v7
	s_branch .LBB530_19
.LBB530_16:                             ;   in Loop: Header=BB530_4 Depth=1
	s_mov_b32 s21, 0
                                        ; implicit-def: $vgpr7
	s_cbranch_execnz .LBB530_20
	s_branch .LBB530_39
.LBB530_17:                             ;   in Loop: Header=BB530_4 Depth=1
	s_or_b32 exec_lo, exec_lo, s36
	s_wait_alu 0xfffe
	s_and_b32 vcc_lo, exec_lo, s5
	s_wait_alu 0xfffe
	s_cbranch_vccnz .LBB530_20
	s_branch .LBB530_39
.LBB530_18:                             ;   in Loop: Header=BB530_4 Depth=1
	v_mov_b32_e32 v7, 0
.LBB530_19:                             ;   in Loop: Header=BB530_4 Depth=1
	s_mov_b32 s21, exec_lo
	s_or_b32 exec_lo, exec_lo, s36
	s_delay_alu instid0(SALU_CYCLE_1)
	s_and_b32 vcc_lo, exec_lo, s5
	s_wait_alu 0xfffe
	s_cbranch_vccz .LBB530_39
.LBB530_20:                             ;   in Loop: Header=BB530_4 Depth=1
	v_add_co_u32 v5, vcc_lo, v5, v17
	s_wait_alu 0xfffd
	v_add_co_ci_u32_e64 v6, null, 0, v6, vcc_lo
	v_mov_b32_e32 v21, 0
	s_delay_alu instid0(VALU_DEP_3) | instskip(SKIP_1) | instid1(VALU_DEP_3)
	v_add_co_u32 v5, vcc_lo, v5, s24
	s_wait_alu 0xfffd
	v_add_co_ci_u32_e64 v6, null, s25, v6, vcc_lo
	s_and_saveexec_b32 s36, s3
	s_cbranch_execnz .LBB530_29
; %bb.21:                               ;   in Loop: Header=BB530_4 Depth=1
	s_or_b32 exec_lo, exec_lo, s36
	s_and_saveexec_b32 s5, s4
	s_cbranch_execnz .LBB530_32
.LBB530_22:                             ;   in Loop: Header=BB530_4 Depth=1
	s_wait_alu 0xfffe
	s_or_b32 exec_lo, exec_lo, s5
	s_and_saveexec_b32 s5, s1
.LBB530_23:                             ;   in Loop: Header=BB530_4 Depth=1
	ds_store_b32 v13, v11
.LBB530_24:                             ;   in Loop: Header=BB530_4 Depth=1
	s_wait_alu 0xfffe
	s_or_b32 exec_lo, exec_lo, s5
	ds_bpermute_b32 v4, v18, v21
	v_cmp_gt_u32_e32 vcc_lo, 24, v16
	s_wait_dscnt 0x0
	s_barrier_signal -1
	s_barrier_wait -1
	global_inv scope:SCOPE_SE
	s_wait_alu 0xfffd
	v_cndmask_b32_e64 v3, 0, 8, vcc_lo
	v_cmp_gt_u32_e32 vcc_lo, 28, v16
	s_delay_alu instid0(VALU_DEP_2)
	v_add_lshl_u32 v3, v3, v16, 2
	v_add_f32_e32 v5, v21, v4
	s_wait_alu 0xfffd
	v_cndmask_b32_e64 v4, 0, 4, vcc_lo
	v_cmp_gt_u32_e32 vcc_lo, 30, v16
	ds_bpermute_b32 v6, v3, v5
	v_add_lshl_u32 v4, v4, v16, 2
	s_wait_dscnt 0x0
	v_add_f32_e32 v6, v5, v6
	s_wait_alu 0xfffd
	v_cndmask_b32_e64 v5, 0, 2, vcc_lo
	v_cmp_ne_u32_e32 vcc_lo, 31, v16
	ds_bpermute_b32 v7, v4, v6
	v_add_lshl_u32 v5, v5, v16, 2
	s_wait_alu 0xfffd
	v_add_co_ci_u32_e64 v8, null, 0, v16, vcc_lo
	s_wait_dscnt 0x0
	v_add_f32_e32 v6, v6, v7
	ds_bpermute_b32 v7, v5, v6
	s_wait_dscnt 0x0
	v_dual_add_f32 v7, v6, v7 :: v_dual_lshlrev_b32 v6, 2, v8
	ds_bpermute_b32 v8, v6, v7
	s_and_saveexec_b32 s5, s2
	s_cbranch_execz .LBB530_26
; %bb.25:                               ;   in Loop: Header=BB530_4 Depth=1
	s_wait_dscnt 0x0
	v_add_f32_e32 v7, v7, v8
	ds_store_b32 v14, v7
.LBB530_26:                             ;   in Loop: Header=BB530_4 Depth=1
	s_wait_alu 0xfffe
	s_or_b32 exec_lo, exec_lo, s5
	s_wait_dscnt 0x0
	v_mov_b32_e32 v8, 0
	s_wait_loadcnt 0x0
	s_barrier_signal -1
	s_barrier_wait -1
	global_inv scope:SCOPE_SE
	s_and_saveexec_b32 s5, s1
	s_cbranch_execnz .LBB530_33
; %bb.27:                               ;   in Loop: Header=BB530_4 Depth=1
	s_wait_alu 0xfffe
	s_or_b32 exec_lo, exec_lo, s5
	s_and_saveexec_b32 s5, s1
	s_cbranch_execnz .LBB530_34
.LBB530_28:                             ;   in Loop: Header=BB530_4 Depth=1
	s_wait_alu 0xfffe
	s_or_b32 exec_lo, exec_lo, s5
                                        ; implicit-def: $vgpr7
	s_and_saveexec_b32 s5, s0
	s_cbranch_execnz .LBB530_35
	s_branch .LBB530_38
.LBB530_29:                             ;   in Loop: Header=BB530_4 Depth=1
	v_dual_mov_b32 v21, 0 :: v_dual_mov_b32 v8, v6
	v_dual_mov_b32 v7, v5 :: v_dual_mov_b32 v22, v0
	v_mov_b32_e32 v9, v15
	s_mov_b32 s37, 0
.LBB530_30:                             ;   Parent Loop BB530_4 Depth=1
                                        ; =>  This Inner Loop Header: Depth=2
	s_delay_alu instid0(VALU_DEP_1) | instskip(NEXT) | instid1(VALU_DEP_3)
	v_ashrrev_i32_e32 v10, 31, v9
	v_add_nc_u32_e32 v22, 0x400, v22
	s_delay_alu instid0(VALU_DEP_2) | instskip(NEXT) | instid1(VALU_DEP_2)
	v_lshlrev_b64_e32 v[23:24], 1, v[9:10]
	v_cmp_le_i32_e64 s5, s20, v22
	v_add_nc_u32_e32 v9, s35, v9
	s_or_b32 s37, s5, s37
	v_add_co_u32 v23, vcc_lo, v3, v23
	s_wait_alu 0xfffd
	v_add_co_ci_u32_e64 v24, null, v4, v24, vcc_lo
	flat_load_u16 v10, v[7:8]
	flat_load_u16 v23, v[23:24]
	v_add_co_u32 v7, vcc_lo, 0x800, v7
	s_wait_alu 0xfffd
	v_add_co_ci_u32_e64 v8, null, 0, v8, vcc_lo
	s_wait_loadcnt_dscnt 0x0
	v_mul_f16_e32 v10, v10, v23
	s_delay_alu instid0(VALU_DEP_1) | instskip(NEXT) | instid1(VALU_DEP_1)
	v_cvt_f32_f16_e32 v10, v10
	v_add_f32_e32 v21, v21, v10
	s_and_not1_b32 exec_lo, exec_lo, s37
	s_cbranch_execnz .LBB530_30
; %bb.31:                               ;   in Loop: Header=BB530_4 Depth=1
	s_or_b32 exec_lo, exec_lo, s37
	s_delay_alu instid0(SALU_CYCLE_1)
	s_or_b32 exec_lo, exec_lo, s36
	s_and_saveexec_b32 s5, s4
	s_cbranch_execz .LBB530_22
.LBB530_32:                             ;   in Loop: Header=BB530_4 Depth=1
	v_add_co_u32 v5, vcc_lo, v5, s26
	s_wait_alu 0xfffd
	v_add_co_ci_u32_e64 v6, null, s27, v6, vcc_lo
	v_add_co_u32 v3, vcc_lo, v3, v1
	s_wait_alu 0xfffd
	v_add_co_ci_u32_e64 v4, null, v4, v2, vcc_lo
	flat_load_u16 v5, v[5:6]
	flat_load_u16 v3, v[3:4]
	s_wait_loadcnt_dscnt 0x0
	v_mul_f16_e32 v3, v5, v3
	s_delay_alu instid0(VALU_DEP_1) | instskip(NEXT) | instid1(VALU_DEP_1)
	v_cvt_f32_f16_e32 v3, v3
	v_add_f32_e32 v21, v21, v3
	s_wait_alu 0xfffe
	s_or_b32 exec_lo, exec_lo, s5
	s_and_saveexec_b32 s5, s1
	s_cbranch_execnz .LBB530_23
	s_branch .LBB530_24
.LBB530_33:                             ;   in Loop: Header=BB530_4 Depth=1
	ds_load_b32 v8, v13
	s_wait_alu 0xfffe
	s_or_b32 exec_lo, exec_lo, s5
	s_and_saveexec_b32 s5, s1
	s_cbranch_execz .LBB530_28
.LBB530_34:                             ;   in Loop: Header=BB530_4 Depth=1
	s_wait_dscnt 0x0
	ds_bpermute_b32 v7, v18, v8
	s_wait_dscnt 0x0
	v_add_f32_e32 v7, v8, v7
	ds_bpermute_b32 v3, v3, v7
	s_wait_dscnt 0x0
	v_add_f32_e32 v3, v7, v3
	;; [unrolled: 3-line block ×5, first 2 shown]
	s_wait_alu 0xfffe
	s_or_b32 exec_lo, exec_lo, s5
                                        ; implicit-def: $vgpr7
	s_and_saveexec_b32 s5, s0
	s_cbranch_execz .LBB530_38
.LBB530_35:                             ;   in Loop: Header=BB530_4 Depth=1
	s_wait_dscnt 0x0
	v_mul_f32_e32 v7, s29, v8
	s_and_not1_b32 vcc_lo, exec_lo, s34
	s_wait_alu 0xfffe
	s_cbranch_vccnz .LBB530_37
; %bb.36:                               ;   in Loop: Header=BB530_4 Depth=1
	v_add_co_u32 v3, vcc_lo, v19, s22
	s_wait_alu 0xfffd
	v_add_co_ci_u32_e64 v4, null, s23, v20, vcc_lo
	flat_load_b32 v3, v[3:4]
	s_wait_loadcnt_dscnt 0x0
	v_fmac_f32_e32 v7, s30, v3
.LBB530_37:                             ;   in Loop: Header=BB530_4 Depth=1
	s_or_b32 s21, s21, exec_lo
.LBB530_38:                             ;   in Loop: Header=BB530_4 Depth=1
	s_wait_alu 0xfffe
	s_or_b32 exec_lo, exec_lo, s5
.LBB530_39:                             ;   in Loop: Header=BB530_4 Depth=1
	s_wait_alu 0xfffe
	s_and_saveexec_b32 s5, s21
	s_cbranch_execz .LBB530_2
; %bb.40:                               ;   in Loop: Header=BB530_4 Depth=1
	v_add_co_u32 v3, vcc_lo, v19, s22
	s_wait_alu 0xfffd
	v_add_co_ci_u32_e64 v4, null, s23, v20, vcc_lo
	flat_store_b32 v[3:4], v7
	s_branch .LBB530_2
.LBB530_41:
	s_endpgm
	.section	.rodata,"a",@progbits
	.p2align	6, 0x0
	.amdhsa_kernel _ZL32rocblas_gemvt_warp_reduce_kernelILb0ELi1024EiPKDF16_fKPfEviiT3_lPKT2_lT1_lS7_lS8_lS4_lPT4_lS8_li
		.amdhsa_group_segment_fixed_size 128
		.amdhsa_private_segment_fixed_size 0
		.amdhsa_kernarg_size 140
		.amdhsa_user_sgpr_count 2
		.amdhsa_user_sgpr_dispatch_ptr 0
		.amdhsa_user_sgpr_queue_ptr 0
		.amdhsa_user_sgpr_kernarg_segment_ptr 1
		.amdhsa_user_sgpr_dispatch_id 0
		.amdhsa_user_sgpr_private_segment_size 0
		.amdhsa_wavefront_size32 1
		.amdhsa_uses_dynamic_stack 0
		.amdhsa_enable_private_segment 0
		.amdhsa_system_sgpr_workgroup_id_x 1
		.amdhsa_system_sgpr_workgroup_id_y 0
		.amdhsa_system_sgpr_workgroup_id_z 1
		.amdhsa_system_sgpr_workgroup_info 0
		.amdhsa_system_vgpr_workitem_id 0
		.amdhsa_next_free_vgpr 25
		.amdhsa_next_free_sgpr 38
		.amdhsa_reserve_vcc 1
		.amdhsa_float_round_mode_32 0
		.amdhsa_float_round_mode_16_64 0
		.amdhsa_float_denorm_mode_32 3
		.amdhsa_float_denorm_mode_16_64 3
		.amdhsa_fp16_overflow 0
		.amdhsa_workgroup_processor_mode 1
		.amdhsa_memory_ordered 1
		.amdhsa_forward_progress 1
		.amdhsa_inst_pref_size 14
		.amdhsa_round_robin_scheduling 0
		.amdhsa_exception_fp_ieee_invalid_op 0
		.amdhsa_exception_fp_denorm_src 0
		.amdhsa_exception_fp_ieee_div_zero 0
		.amdhsa_exception_fp_ieee_overflow 0
		.amdhsa_exception_fp_ieee_underflow 0
		.amdhsa_exception_fp_ieee_inexact 0
		.amdhsa_exception_int_div_zero 0
	.end_amdhsa_kernel
	.section	.text._ZL32rocblas_gemvt_warp_reduce_kernelILb0ELi1024EiPKDF16_fKPfEviiT3_lPKT2_lT1_lS7_lS8_lS4_lPT4_lS8_li,"axG",@progbits,_ZL32rocblas_gemvt_warp_reduce_kernelILb0ELi1024EiPKDF16_fKPfEviiT3_lPKT2_lT1_lS7_lS8_lS4_lPT4_lS8_li,comdat
.Lfunc_end530:
	.size	_ZL32rocblas_gemvt_warp_reduce_kernelILb0ELi1024EiPKDF16_fKPfEviiT3_lPKT2_lT1_lS7_lS8_lS4_lPT4_lS8_li, .Lfunc_end530-_ZL32rocblas_gemvt_warp_reduce_kernelILb0ELi1024EiPKDF16_fKPfEviiT3_lPKT2_lT1_lS7_lS8_lS4_lPT4_lS8_li
                                        ; -- End function
	.set _ZL32rocblas_gemvt_warp_reduce_kernelILb0ELi1024EiPKDF16_fKPfEviiT3_lPKT2_lT1_lS7_lS8_lS4_lPT4_lS8_li.num_vgpr, 25
	.set _ZL32rocblas_gemvt_warp_reduce_kernelILb0ELi1024EiPKDF16_fKPfEviiT3_lPKT2_lT1_lS7_lS8_lS4_lPT4_lS8_li.num_agpr, 0
	.set _ZL32rocblas_gemvt_warp_reduce_kernelILb0ELi1024EiPKDF16_fKPfEviiT3_lPKT2_lT1_lS7_lS8_lS4_lPT4_lS8_li.numbered_sgpr, 38
	.set _ZL32rocblas_gemvt_warp_reduce_kernelILb0ELi1024EiPKDF16_fKPfEviiT3_lPKT2_lT1_lS7_lS8_lS4_lPT4_lS8_li.num_named_barrier, 0
	.set _ZL32rocblas_gemvt_warp_reduce_kernelILb0ELi1024EiPKDF16_fKPfEviiT3_lPKT2_lT1_lS7_lS8_lS4_lPT4_lS8_li.private_seg_size, 0
	.set _ZL32rocblas_gemvt_warp_reduce_kernelILb0ELi1024EiPKDF16_fKPfEviiT3_lPKT2_lT1_lS7_lS8_lS4_lPT4_lS8_li.uses_vcc, 1
	.set _ZL32rocblas_gemvt_warp_reduce_kernelILb0ELi1024EiPKDF16_fKPfEviiT3_lPKT2_lT1_lS7_lS8_lS4_lPT4_lS8_li.uses_flat_scratch, 0
	.set _ZL32rocblas_gemvt_warp_reduce_kernelILb0ELi1024EiPKDF16_fKPfEviiT3_lPKT2_lT1_lS7_lS8_lS4_lPT4_lS8_li.has_dyn_sized_stack, 0
	.set _ZL32rocblas_gemvt_warp_reduce_kernelILb0ELi1024EiPKDF16_fKPfEviiT3_lPKT2_lT1_lS7_lS8_lS4_lPT4_lS8_li.has_recursion, 0
	.set _ZL32rocblas_gemvt_warp_reduce_kernelILb0ELi1024EiPKDF16_fKPfEviiT3_lPKT2_lT1_lS7_lS8_lS4_lPT4_lS8_li.has_indirect_call, 0
	.section	.AMDGPU.csdata,"",@progbits
; Kernel info:
; codeLenInByte = 1680
; TotalNumSgprs: 40
; NumVgprs: 25
; ScratchSize: 0
; MemoryBound: 0
; FloatMode: 240
; IeeeMode: 1
; LDSByteSize: 128 bytes/workgroup (compile time only)
; SGPRBlocks: 0
; VGPRBlocks: 3
; NumSGPRsForWavesPerEU: 40
; NumVGPRsForWavesPerEU: 25
; Occupancy: 16
; WaveLimiterHint : 1
; COMPUTE_PGM_RSRC2:SCRATCH_EN: 0
; COMPUTE_PGM_RSRC2:USER_SGPR: 2
; COMPUTE_PGM_RSRC2:TRAP_HANDLER: 0
; COMPUTE_PGM_RSRC2:TGID_X_EN: 1
; COMPUTE_PGM_RSRC2:TGID_Y_EN: 0
; COMPUTE_PGM_RSRC2:TGID_Z_EN: 1
; COMPUTE_PGM_RSRC2:TIDIG_COMP_CNT: 0
	.section	.text._ZL32rocblas_gemvt_warp_reduce_kernelILb0ELi1024ElPKDF16_fKPfEviiT3_lPKT2_lT1_lS7_lS8_lS4_lPT4_lS8_li,"axG",@progbits,_ZL32rocblas_gemvt_warp_reduce_kernelILb0ELi1024ElPKDF16_fKPfEviiT3_lPKT2_lT1_lS7_lS8_lS4_lPT4_lS8_li,comdat
	.globl	_ZL32rocblas_gemvt_warp_reduce_kernelILb0ELi1024ElPKDF16_fKPfEviiT3_lPKT2_lT1_lS7_lS8_lS4_lPT4_lS8_li ; -- Begin function _ZL32rocblas_gemvt_warp_reduce_kernelILb0ELi1024ElPKDF16_fKPfEviiT3_lPKT2_lT1_lS7_lS8_lS4_lPT4_lS8_li
	.p2align	8
	.type	_ZL32rocblas_gemvt_warp_reduce_kernelILb0ELi1024ElPKDF16_fKPfEviiT3_lPKT2_lT1_lS7_lS8_lS4_lPT4_lS8_li,@function
_ZL32rocblas_gemvt_warp_reduce_kernelILb0ELi1024ElPKDF16_fKPfEviiT3_lPKT2_lT1_lS7_lS8_lS4_lPT4_lS8_li: ; @_ZL32rocblas_gemvt_warp_reduce_kernelILb0ELi1024ElPKDF16_fKPfEviiT3_lPKT2_lT1_lS7_lS8_lS4_lPT4_lS8_li
; %bb.0:
	s_load_b32 s30, s[0:1], 0x88
	s_lshr_b32 s6, ttmp7, 16
	s_wait_kmcnt 0x0
	s_cmp_ge_u32 s6, s30
	s_cbranch_scc1 .LBB531_41
; %bb.1:
	s_clause 0x8
	s_load_b32 s31, s[0:1], 0x8
	s_load_b32 s33, s[0:1], 0x58
	s_load_b64 s[24:25], s[0:1], 0x48
	s_load_b128 s[8:11], s[0:1], 0x38
	s_load_b32 s37, s[0:1], 0x0
	s_load_b128 s[12:15], s[0:1], 0x18
	s_load_b64 s[26:27], s[0:1], 0x28
	s_load_b64 s[28:29], s[0:1], 0x78
	s_load_b128 s[16:19], s[0:1], 0x68
	v_and_b32_e32 v3, 31, v0
	v_lshrrev_b32_e32 v4, 3, v0
	v_mov_b32_e32 v13, 0
	s_mov_b32 s4, ttmp9
	v_mbcnt_lo_u32_b32 v17, -1, 0
	v_lshlrev_b32_e32 v14, 2, v3
	v_and_b32_e32 v16, 0x7c, v4
	v_cmp_eq_u32_e64 s0, 0, v0
	v_cmp_gt_u32_e64 s1, 32, v0
	v_lshl_or_b32 v19, v17, 2, 64
	s_mov_b32 s7, 0
	s_wait_kmcnt 0x0
	s_cmp_eq_f32 s31, 0
	v_mad_co_u64_u32 v[1:2], null, s24, v0, 0
	s_cselect_b32 s34, -1, 0
	s_cmp_neq_f32 s33, 1.0
	v_cmp_gt_i32_e32 vcc_lo, s37, v0
	s_cselect_b32 s2, -1, 0
	s_cmp_neq_f32 s31, 0
	v_cndmask_b32_e32 v5, 0, v0, vcc_lo
	s_cselect_b32 s3, -1, 0
	s_delay_alu instid0(SALU_CYCLE_1)
	s_or_b32 s35, s3, s2
	s_cmp_neq_f32 s33, 0
	v_cndmask_b32_e64 v15, 0, 1, s3
	v_cmp_eq_u32_e64 s2, 0, v3
	v_mad_co_u64_u32 v[2:3], null, s25, v0, v[2:3]
	s_cselect_b32 s36, -1, 0
	s_ashr_i32 s3, s37, 31
	s_ashr_i32 s5, ttmp9, 31
	s_wait_alu 0xfffe
	s_lshr_b32 s3, s3, 22
	s_mul_u64 s[28:29], s[28:29], s[4:5]
	s_wait_alu 0xfffe
	s_add_co_i32 s3, s37, s3
	s_mul_u64 s[26:27], s[26:27], s[4:5]
	s_wait_alu 0xfffe
	s_and_b32 s20, s3, 0xfffffc00
	v_lshlrev_b64_e32 v[1:2], 1, v[1:2]
	v_or_b32_e32 v6, s20, v0
	s_ashr_i32 s21, s20, 31
	v_cmp_gt_i32_e64 s3, s20, v0
	s_wait_alu 0xfffe
	s_mul_i32 s5, s24, s21
	v_lshlrev_b32_e32 v18, 1, v5
	v_mul_lo_u32 v7, s25, v6
	v_mad_co_u64_u32 v[3:4], null, s24, v6, 0
	v_cmp_gt_i32_e64 s4, s37, v6
	s_lshl_b64 s[22:23], s[24:25], 11
	s_lshl_b64 s[14:15], s[14:15], 1
	;; [unrolled: 1-line block ×5, first 2 shown]
	v_add3_u32 v4, v4, s5, v7
	s_lshl_b64 s[26:27], s[26:27], 1
	s_lshl_b64 s[28:29], s[20:21], 1
	s_delay_alu instid0(VALU_DEP_1)
	v_lshlrev_b64_e32 v[3:4], 1, v[3:4]
	s_branch .LBB531_4
.LBB531_2:                              ;   in Loop: Header=BB531_4 Depth=1
	s_wait_alu 0xfffe
	s_or_b32 exec_lo, exec_lo, s5
.LBB531_3:                              ;   in Loop: Header=BB531_4 Depth=1
	s_add_co_i32 s6, s6, 0x10000
	s_delay_alu instid0(SALU_CYCLE_1)
	s_cmp_lt_u32 s6, s30
	s_cbranch_scc0 .LBB531_41
.LBB531_4:                              ; =>This Loop Header: Depth=1
                                        ;     Child Loop BB531_30 Depth 2
	s_and_not1_b32 vcc_lo, exec_lo, s35
	s_wait_alu 0xfffe
	s_cbranch_vccnz .LBB531_3
; %bb.5:                                ;   in Loop: Header=BB531_4 Depth=1
	s_and_not1_b32 vcc_lo, exec_lo, s34
	s_wait_alu 0xfffe
	s_cbranch_vccnz .LBB531_7
; %bb.6:                                ;   in Loop: Header=BB531_4 Depth=1
	s_mov_b32 s5, 0
	s_branch .LBB531_8
.LBB531_7:                              ;   in Loop: Header=BB531_4 Depth=1
	s_mov_b32 s5, -1
.LBB531_8:                              ;   in Loop: Header=BB531_4 Depth=1
	v_mov_b32_e32 v5, 0
	v_dual_mov_b32 v6, 0 :: v_dual_mov_b32 v7, 0
	v_mov_b32_e32 v8, 0
	s_wait_alu 0xfffe
	s_and_not1_b32 vcc_lo, exec_lo, s5
	s_wait_alu 0xfffe
	s_cbranch_vccnz .LBB531_10
; %bb.9:                                ;   in Loop: Header=BB531_4 Depth=1
	s_lshl_b64 s[38:39], s[6:7], 3
	s_delay_alu instid0(SALU_CYCLE_1)
	s_add_nc_u64 s[38:39], s[12:13], s[38:39]
	global_load_b64 v[7:8], v13, s[38:39]
	s_wait_loadcnt 0x0
	v_add_co_u32 v7, vcc_lo, v7, s14
	s_wait_alu 0xfffd
	v_add_co_ci_u32_e64 v8, null, s15, v8, vcc_lo
.LBB531_10:                             ;   in Loop: Header=BB531_4 Depth=1
	v_cmp_ne_u32_e32 vcc_lo, 1, v15
	s_cbranch_vccnz .LBB531_12
; %bb.11:                               ;   in Loop: Header=BB531_4 Depth=1
	s_lshl_b64 s[38:39], s[6:7], 3
	s_delay_alu instid0(SALU_CYCLE_1)
	s_add_nc_u64 s[38:39], s[8:9], s[38:39]
	global_load_b64 v[5:6], v13, s[38:39]
	s_wait_loadcnt 0x0
	v_add_co_u32 v5, vcc_lo, v5, s10
	s_wait_alu 0xfffd
	v_add_co_ci_u32_e64 v6, null, s11, v6, vcc_lo
.LBB531_12:                             ;   in Loop: Header=BB531_4 Depth=1
	s_lshl_b64 s[38:39], s[6:7], 3
	s_delay_alu instid0(SALU_CYCLE_1)
	s_add_nc_u64 s[38:39], s[16:17], s[38:39]
	s_wait_dscnt 0x0
	global_load_b64 v[9:10], v13, s[38:39]
	s_wait_loadcnt 0x0
	v_add_co_u32 v20, vcc_lo, v9, s18
	s_wait_alu 0xfffd
	v_add_co_ci_u32_e64 v21, null, s19, v10, vcc_lo
	s_and_not1_b32 vcc_lo, exec_lo, s34
	s_wait_alu 0xfffe
	s_cbranch_vccnz .LBB531_16
; %bb.13:                               ;   in Loop: Header=BB531_4 Depth=1
	s_mov_b32 s5, 0
	s_mov_b32 s21, 0
                                        ; implicit-def: $vgpr9
	s_and_saveexec_b32 s37, s0
	s_cbranch_execz .LBB531_17
; %bb.14:                               ;   in Loop: Header=BB531_4 Depth=1
	s_and_not1_b32 vcc_lo, exec_lo, s36
	s_wait_alu 0xfffe
	s_cbranch_vccnz .LBB531_18
; %bb.15:                               ;   in Loop: Header=BB531_4 Depth=1
	v_add_co_u32 v9, vcc_lo, v20, s24
	s_wait_alu 0xfffd
	v_add_co_ci_u32_e64 v10, null, s25, v21, vcc_lo
	flat_load_b32 v9, v[9:10]
	s_wait_loadcnt_dscnt 0x0
	v_mul_f32_e32 v9, s33, v9
	s_branch .LBB531_19
.LBB531_16:                             ;   in Loop: Header=BB531_4 Depth=1
	s_mov_b32 s21, 0
                                        ; implicit-def: $vgpr9
	s_cbranch_execnz .LBB531_20
	s_branch .LBB531_39
.LBB531_17:                             ;   in Loop: Header=BB531_4 Depth=1
	s_wait_alu 0xfffe
	s_or_b32 exec_lo, exec_lo, s37
	s_delay_alu instid0(SALU_CYCLE_1)
	s_and_b32 vcc_lo, exec_lo, s5
	s_wait_alu 0xfffe
	s_cbranch_vccnz .LBB531_20
	s_branch .LBB531_39
.LBB531_18:                             ;   in Loop: Header=BB531_4 Depth=1
	v_mov_b32_e32 v9, 0
.LBB531_19:                             ;   in Loop: Header=BB531_4 Depth=1
	s_mov_b32 s21, exec_lo
	s_or_b32 exec_lo, exec_lo, s37
	s_delay_alu instid0(SALU_CYCLE_1)
	s_and_b32 vcc_lo, exec_lo, s5
	s_wait_alu 0xfffe
	s_cbranch_vccz .LBB531_39
.LBB531_20:                             ;   in Loop: Header=BB531_4 Depth=1
	v_add_co_u32 v7, vcc_lo, v7, v18
	s_wait_alu 0xfffd
	v_add_co_ci_u32_e64 v8, null, 0, v8, vcc_lo
	v_mov_b32_e32 v22, 0
	s_delay_alu instid0(VALU_DEP_3) | instskip(SKIP_1) | instid1(VALU_DEP_3)
	v_add_co_u32 v7, vcc_lo, v7, s26
	s_wait_alu 0xfffd
	v_add_co_ci_u32_e64 v8, null, s27, v8, vcc_lo
	s_and_saveexec_b32 s37, s3
	s_cbranch_execnz .LBB531_29
; %bb.21:                               ;   in Loop: Header=BB531_4 Depth=1
	s_wait_alu 0xfffe
	s_or_b32 exec_lo, exec_lo, s37
	s_and_saveexec_b32 s5, s4
	s_cbranch_execnz .LBB531_32
.LBB531_22:                             ;   in Loop: Header=BB531_4 Depth=1
	s_wait_alu 0xfffe
	s_or_b32 exec_lo, exec_lo, s5
	s_and_saveexec_b32 s5, s1
.LBB531_23:                             ;   in Loop: Header=BB531_4 Depth=1
	ds_store_b32 v14, v13
.LBB531_24:                             ;   in Loop: Header=BB531_4 Depth=1
	s_wait_alu 0xfffe
	s_or_b32 exec_lo, exec_lo, s5
	ds_bpermute_b32 v6, v19, v22
	v_cmp_gt_u32_e32 vcc_lo, 24, v17
	s_wait_dscnt 0x0
	s_barrier_signal -1
	s_barrier_wait -1
	global_inv scope:SCOPE_SE
	s_wait_alu 0xfffd
	v_cndmask_b32_e64 v5, 0, 8, vcc_lo
	v_cmp_gt_u32_e32 vcc_lo, 28, v17
	s_delay_alu instid0(VALU_DEP_2)
	v_add_lshl_u32 v5, v5, v17, 2
	v_add_f32_e32 v7, v22, v6
	s_wait_alu 0xfffd
	v_cndmask_b32_e64 v6, 0, 4, vcc_lo
	v_cmp_gt_u32_e32 vcc_lo, 30, v17
	ds_bpermute_b32 v8, v5, v7
	v_add_lshl_u32 v6, v6, v17, 2
	s_wait_dscnt 0x0
	v_add_f32_e32 v8, v7, v8
	s_wait_alu 0xfffd
	v_cndmask_b32_e64 v7, 0, 2, vcc_lo
	v_cmp_ne_u32_e32 vcc_lo, 31, v17
	ds_bpermute_b32 v9, v6, v8
	v_add_lshl_u32 v7, v7, v17, 2
	s_wait_alu 0xfffd
	v_add_co_ci_u32_e64 v10, null, 0, v17, vcc_lo
	s_wait_dscnt 0x0
	v_add_f32_e32 v8, v8, v9
	ds_bpermute_b32 v9, v7, v8
	s_wait_dscnt 0x0
	v_dual_add_f32 v9, v8, v9 :: v_dual_lshlrev_b32 v8, 2, v10
	ds_bpermute_b32 v10, v8, v9
	s_and_saveexec_b32 s5, s2
	s_cbranch_execz .LBB531_26
; %bb.25:                               ;   in Loop: Header=BB531_4 Depth=1
	s_wait_dscnt 0x0
	v_add_f32_e32 v9, v9, v10
	ds_store_b32 v16, v9
.LBB531_26:                             ;   in Loop: Header=BB531_4 Depth=1
	s_wait_alu 0xfffe
	s_or_b32 exec_lo, exec_lo, s5
	s_wait_dscnt 0x0
	v_mov_b32_e32 v10, 0
	s_wait_loadcnt 0x0
	s_barrier_signal -1
	s_barrier_wait -1
	global_inv scope:SCOPE_SE
	s_and_saveexec_b32 s5, s1
	s_cbranch_execnz .LBB531_33
; %bb.27:                               ;   in Loop: Header=BB531_4 Depth=1
	s_wait_alu 0xfffe
	s_or_b32 exec_lo, exec_lo, s5
	s_and_saveexec_b32 s5, s1
	s_cbranch_execnz .LBB531_34
.LBB531_28:                             ;   in Loop: Header=BB531_4 Depth=1
	s_wait_alu 0xfffe
	s_or_b32 exec_lo, exec_lo, s5
                                        ; implicit-def: $vgpr9
	s_and_saveexec_b32 s5, s0
	s_cbranch_execnz .LBB531_35
	s_branch .LBB531_38
.LBB531_29:                             ;   in Loop: Header=BB531_4 Depth=1
	v_add_co_u32 v9, vcc_lo, v5, v1
	v_dual_mov_b32 v12, v8 :: v_dual_mov_b32 v23, v0
	s_wait_alu 0xfffd
	v_add_co_ci_u32_e64 v10, null, v6, v2, vcc_lo
	v_dual_mov_b32 v22, 0 :: v_dual_mov_b32 v11, v7
	s_mov_b32 s38, 0
.LBB531_30:                             ;   Parent Loop BB531_4 Depth=1
                                        ; =>  This Inner Loop Header: Depth=2
	flat_load_u16 v24, v[11:12]
	flat_load_u16 v25, v[9:10]
	v_add_co_u32 v11, vcc_lo, 0x800, v11
	s_wait_alu 0xfffd
	v_add_co_ci_u32_e64 v12, null, 0, v12, vcc_lo
	v_add_co_u32 v9, vcc_lo, v9, s22
	s_wait_alu 0xfffd
	v_add_co_ci_u32_e64 v10, null, s23, v10, vcc_lo
	s_wait_loadcnt_dscnt 0x0
	v_mul_f16_e32 v24, v24, v25
	s_delay_alu instid0(VALU_DEP_1) | instskip(NEXT) | instid1(VALU_DEP_1)
	v_cvt_f32_f16_e32 v24, v24
	v_dual_add_f32 v22, v22, v24 :: v_dual_add_nc_u32 v23, 0x400, v23
	s_delay_alu instid0(VALU_DEP_1) | instskip(SKIP_1) | instid1(SALU_CYCLE_1)
	v_cmp_le_i32_e64 s5, s20, v23
	s_or_b32 s38, s5, s38
	s_and_not1_b32 exec_lo, exec_lo, s38
	s_cbranch_execnz .LBB531_30
; %bb.31:                               ;   in Loop: Header=BB531_4 Depth=1
	s_or_b32 exec_lo, exec_lo, s38
	s_wait_alu 0xfffe
	s_or_b32 exec_lo, exec_lo, s37
	s_and_saveexec_b32 s5, s4
	s_cbranch_execz .LBB531_22
.LBB531_32:                             ;   in Loop: Header=BB531_4 Depth=1
	v_add_co_u32 v7, vcc_lo, v7, s28
	s_wait_alu 0xfffd
	v_add_co_ci_u32_e64 v8, null, s29, v8, vcc_lo
	v_add_co_u32 v5, vcc_lo, v5, v3
	s_wait_alu 0xfffd
	v_add_co_ci_u32_e64 v6, null, v6, v4, vcc_lo
	flat_load_u16 v7, v[7:8]
	flat_load_u16 v5, v[5:6]
	s_wait_loadcnt_dscnt 0x0
	v_mul_f16_e32 v5, v7, v5
	s_delay_alu instid0(VALU_DEP_1) | instskip(NEXT) | instid1(VALU_DEP_1)
	v_cvt_f32_f16_e32 v5, v5
	v_add_f32_e32 v22, v22, v5
	s_wait_alu 0xfffe
	s_or_b32 exec_lo, exec_lo, s5
	s_and_saveexec_b32 s5, s1
	s_cbranch_execnz .LBB531_23
	s_branch .LBB531_24
.LBB531_33:                             ;   in Loop: Header=BB531_4 Depth=1
	ds_load_b32 v10, v14
	s_wait_alu 0xfffe
	s_or_b32 exec_lo, exec_lo, s5
	s_and_saveexec_b32 s5, s1
	s_cbranch_execz .LBB531_28
.LBB531_34:                             ;   in Loop: Header=BB531_4 Depth=1
	s_wait_dscnt 0x0
	ds_bpermute_b32 v9, v19, v10
	s_wait_dscnt 0x0
	v_add_f32_e32 v9, v10, v9
	ds_bpermute_b32 v5, v5, v9
	s_wait_dscnt 0x0
	v_add_f32_e32 v5, v9, v5
	;; [unrolled: 3-line block ×5, first 2 shown]
	s_wait_alu 0xfffe
	s_or_b32 exec_lo, exec_lo, s5
                                        ; implicit-def: $vgpr9
	s_and_saveexec_b32 s5, s0
	s_cbranch_execz .LBB531_38
.LBB531_35:                             ;   in Loop: Header=BB531_4 Depth=1
	s_wait_dscnt 0x0
	v_mul_f32_e32 v9, s31, v10
	s_and_not1_b32 vcc_lo, exec_lo, s36
	s_wait_alu 0xfffe
	s_cbranch_vccnz .LBB531_37
; %bb.36:                               ;   in Loop: Header=BB531_4 Depth=1
	v_add_co_u32 v5, vcc_lo, v20, s24
	s_wait_alu 0xfffd
	v_add_co_ci_u32_e64 v6, null, s25, v21, vcc_lo
	flat_load_b32 v5, v[5:6]
	s_wait_loadcnt_dscnt 0x0
	v_fmac_f32_e32 v9, s33, v5
.LBB531_37:                             ;   in Loop: Header=BB531_4 Depth=1
	s_or_b32 s21, s21, exec_lo
.LBB531_38:                             ;   in Loop: Header=BB531_4 Depth=1
	s_wait_alu 0xfffe
	s_or_b32 exec_lo, exec_lo, s5
.LBB531_39:                             ;   in Loop: Header=BB531_4 Depth=1
	s_wait_alu 0xfffe
	s_and_saveexec_b32 s5, s21
	s_cbranch_execz .LBB531_2
; %bb.40:                               ;   in Loop: Header=BB531_4 Depth=1
	v_add_co_u32 v5, vcc_lo, v20, s24
	s_wait_alu 0xfffd
	v_add_co_ci_u32_e64 v6, null, s25, v21, vcc_lo
	flat_store_b32 v[5:6], v9
	s_branch .LBB531_2
.LBB531_41:
	s_endpgm
	.section	.rodata,"a",@progbits
	.p2align	6, 0x0
	.amdhsa_kernel _ZL32rocblas_gemvt_warp_reduce_kernelILb0ELi1024ElPKDF16_fKPfEviiT3_lPKT2_lT1_lS7_lS8_lS4_lPT4_lS8_li
		.amdhsa_group_segment_fixed_size 128
		.amdhsa_private_segment_fixed_size 0
		.amdhsa_kernarg_size 140
		.amdhsa_user_sgpr_count 2
		.amdhsa_user_sgpr_dispatch_ptr 0
		.amdhsa_user_sgpr_queue_ptr 0
		.amdhsa_user_sgpr_kernarg_segment_ptr 1
		.amdhsa_user_sgpr_dispatch_id 0
		.amdhsa_user_sgpr_private_segment_size 0
		.amdhsa_wavefront_size32 1
		.amdhsa_uses_dynamic_stack 0
		.amdhsa_enable_private_segment 0
		.amdhsa_system_sgpr_workgroup_id_x 1
		.amdhsa_system_sgpr_workgroup_id_y 0
		.amdhsa_system_sgpr_workgroup_id_z 1
		.amdhsa_system_sgpr_workgroup_info 0
		.amdhsa_system_vgpr_workitem_id 0
		.amdhsa_next_free_vgpr 26
		.amdhsa_next_free_sgpr 40
		.amdhsa_reserve_vcc 1
		.amdhsa_float_round_mode_32 0
		.amdhsa_float_round_mode_16_64 0
		.amdhsa_float_denorm_mode_32 3
		.amdhsa_float_denorm_mode_16_64 3
		.amdhsa_fp16_overflow 0
		.amdhsa_workgroup_processor_mode 1
		.amdhsa_memory_ordered 1
		.amdhsa_forward_progress 1
		.amdhsa_inst_pref_size 14
		.amdhsa_round_robin_scheduling 0
		.amdhsa_exception_fp_ieee_invalid_op 0
		.amdhsa_exception_fp_denorm_src 0
		.amdhsa_exception_fp_ieee_div_zero 0
		.amdhsa_exception_fp_ieee_overflow 0
		.amdhsa_exception_fp_ieee_underflow 0
		.amdhsa_exception_fp_ieee_inexact 0
		.amdhsa_exception_int_div_zero 0
	.end_amdhsa_kernel
	.section	.text._ZL32rocblas_gemvt_warp_reduce_kernelILb0ELi1024ElPKDF16_fKPfEviiT3_lPKT2_lT1_lS7_lS8_lS4_lPT4_lS8_li,"axG",@progbits,_ZL32rocblas_gemvt_warp_reduce_kernelILb0ELi1024ElPKDF16_fKPfEviiT3_lPKT2_lT1_lS7_lS8_lS4_lPT4_lS8_li,comdat
.Lfunc_end531:
	.size	_ZL32rocblas_gemvt_warp_reduce_kernelILb0ELi1024ElPKDF16_fKPfEviiT3_lPKT2_lT1_lS7_lS8_lS4_lPT4_lS8_li, .Lfunc_end531-_ZL32rocblas_gemvt_warp_reduce_kernelILb0ELi1024ElPKDF16_fKPfEviiT3_lPKT2_lT1_lS7_lS8_lS4_lPT4_lS8_li
                                        ; -- End function
	.set _ZL32rocblas_gemvt_warp_reduce_kernelILb0ELi1024ElPKDF16_fKPfEviiT3_lPKT2_lT1_lS7_lS8_lS4_lPT4_lS8_li.num_vgpr, 26
	.set _ZL32rocblas_gemvt_warp_reduce_kernelILb0ELi1024ElPKDF16_fKPfEviiT3_lPKT2_lT1_lS7_lS8_lS4_lPT4_lS8_li.num_agpr, 0
	.set _ZL32rocblas_gemvt_warp_reduce_kernelILb0ELi1024ElPKDF16_fKPfEviiT3_lPKT2_lT1_lS7_lS8_lS4_lPT4_lS8_li.numbered_sgpr, 40
	.set _ZL32rocblas_gemvt_warp_reduce_kernelILb0ELi1024ElPKDF16_fKPfEviiT3_lPKT2_lT1_lS7_lS8_lS4_lPT4_lS8_li.num_named_barrier, 0
	.set _ZL32rocblas_gemvt_warp_reduce_kernelILb0ELi1024ElPKDF16_fKPfEviiT3_lPKT2_lT1_lS7_lS8_lS4_lPT4_lS8_li.private_seg_size, 0
	.set _ZL32rocblas_gemvt_warp_reduce_kernelILb0ELi1024ElPKDF16_fKPfEviiT3_lPKT2_lT1_lS7_lS8_lS4_lPT4_lS8_li.uses_vcc, 1
	.set _ZL32rocblas_gemvt_warp_reduce_kernelILb0ELi1024ElPKDF16_fKPfEviiT3_lPKT2_lT1_lS7_lS8_lS4_lPT4_lS8_li.uses_flat_scratch, 0
	.set _ZL32rocblas_gemvt_warp_reduce_kernelILb0ELi1024ElPKDF16_fKPfEviiT3_lPKT2_lT1_lS7_lS8_lS4_lPT4_lS8_li.has_dyn_sized_stack, 0
	.set _ZL32rocblas_gemvt_warp_reduce_kernelILb0ELi1024ElPKDF16_fKPfEviiT3_lPKT2_lT1_lS7_lS8_lS4_lPT4_lS8_li.has_recursion, 0
	.set _ZL32rocblas_gemvt_warp_reduce_kernelILb0ELi1024ElPKDF16_fKPfEviiT3_lPKT2_lT1_lS7_lS8_lS4_lPT4_lS8_li.has_indirect_call, 0
	.section	.AMDGPU.csdata,"",@progbits
; Kernel info:
; codeLenInByte = 1728
; TotalNumSgprs: 42
; NumVgprs: 26
; ScratchSize: 0
; MemoryBound: 0
; FloatMode: 240
; IeeeMode: 1
; LDSByteSize: 128 bytes/workgroup (compile time only)
; SGPRBlocks: 0
; VGPRBlocks: 3
; NumSGPRsForWavesPerEU: 42
; NumVGPRsForWavesPerEU: 26
; Occupancy: 16
; WaveLimiterHint : 1
; COMPUTE_PGM_RSRC2:SCRATCH_EN: 0
; COMPUTE_PGM_RSRC2:USER_SGPR: 2
; COMPUTE_PGM_RSRC2:TRAP_HANDLER: 0
; COMPUTE_PGM_RSRC2:TGID_X_EN: 1
; COMPUTE_PGM_RSRC2:TGID_Y_EN: 0
; COMPUTE_PGM_RSRC2:TGID_Z_EN: 1
; COMPUTE_PGM_RSRC2:TIDIG_COMP_CNT: 0
	.section	.text._ZL22rocblas_gemvtsm_kernelILb1ELi256EPKDF16_PKfKPfEviiT2_lPKT1_lilS9_lilS6_lPT3_lil,"axG",@progbits,_ZL22rocblas_gemvtsm_kernelILb1ELi256EPKDF16_PKfKPfEviiT2_lPKT1_lilS9_lilS6_lPT3_lil,comdat
	.globl	_ZL22rocblas_gemvtsm_kernelILb1ELi256EPKDF16_PKfKPfEviiT2_lPKT1_lilS9_lilS6_lPT3_lil ; -- Begin function _ZL22rocblas_gemvtsm_kernelILb1ELi256EPKDF16_PKfKPfEviiT2_lPKT1_lilS9_lilS6_lPT3_lil
	.p2align	8
	.type	_ZL22rocblas_gemvtsm_kernelILb1ELi256EPKDF16_PKfKPfEviiT2_lPKT1_lilS9_lilS6_lPT3_lil,@function
_ZL22rocblas_gemvtsm_kernelILb1ELi256EPKDF16_PKfKPfEviiT2_lPKT1_lilS9_lilS6_lPT3_lil: ; @_ZL22rocblas_gemvtsm_kernelILb1ELi256EPKDF16_PKfKPfEviiT2_lPKT1_lilS9_lilS6_lPT3_lil
; %bb.0:
	s_clause 0x1
	s_load_b256 s[12:19], s[0:1], 0x8
	s_load_b256 s[4:11], s[0:1], 0x58
	s_mov_b32 s2, ttmp9
	s_mov_b32 s3, 0
	s_wait_kmcnt 0x0
	s_mul_u64 s[14:15], s[14:15], s[2:3]
	s_mul_u64 s[6:7], s[6:7], s[2:3]
	s_lshl_b64 s[14:15], s[14:15], 2
	s_lshl_b64 s[6:7], s[6:7], 2
	s_add_nc_u64 s[12:13], s[12:13], s[14:15]
	s_add_nc_u64 s[4:5], s[4:5], s[6:7]
	s_load_b32 s21, s[12:13], 0x0
	s_load_b32 s20, s[4:5], 0x0
	s_wait_kmcnt 0x0
	s_cmp_eq_f32 s21, 0
	s_cselect_b32 s4, -1, 0
	s_cmp_eq_f32 s20, 1.0
	s_cselect_b32 s5, -1, 0
	s_delay_alu instid0(SALU_CYCLE_1) | instskip(NEXT) | instid1(SALU_CYCLE_1)
	s_and_b32 s4, s4, s5
	s_and_b32 vcc_lo, exec_lo, s4
	s_cbranch_vccnz .LBB532_38
; %bb.1:
	s_cmp_neq_f32 s21, 0
	s_mov_b64 s[12:13], 0
	s_mov_b64 s[6:7], 0
	s_cselect_b32 s4, -1, 0
	s_cmp_eq_f32 s21, 0
	s_cselect_b32 s5, -1, 0
	s_delay_alu instid0(SALU_CYCLE_1)
	s_and_b32 vcc_lo, exec_lo, s5
	s_cbranch_vccnz .LBB532_3
; %bb.2:
	s_lshl_b64 s[6:7], s[2:3], 3
	s_lshl_b64 s[14:15], s[18:19], 1
	s_add_nc_u64 s[6:7], s[16:17], s[6:7]
	s_load_b64 s[6:7], s[6:7], 0x0
	s_wait_kmcnt 0x0
	s_add_nc_u64 s[6:7], s[6:7], s[14:15]
.LBB532_3:
	s_and_not1_b32 vcc_lo, exec_lo, s4
	s_cbranch_vccnz .LBB532_5
; %bb.4:
	s_load_b128 s[12:15], s[0:1], 0x38
	s_lshl_b64 s[16:17], s[2:3], 3
	s_wait_kmcnt 0x0
	s_add_nc_u64 s[12:13], s[12:13], s[16:17]
	s_lshl_b64 s[14:15], s[14:15], 1
	s_load_b64 s[12:13], s[12:13], 0x0
	s_wait_kmcnt 0x0
	s_add_nc_u64 s[12:13], s[12:13], s[14:15]
.LBB532_5:
	s_lshl_b64 s[2:3], s[2:3], 3
	s_and_not1_b32 vcc_lo, exec_lo, s5
	s_add_nc_u64 s[8:9], s[8:9], s[2:3]
	s_clause 0x1
	s_load_b64 s[2:3], s[0:1], 0x0
	s_load_b32 s4, s[0:1], 0x78
	s_load_b64 s[8:9], s[8:9], 0x0
	s_mov_b32 s5, -1
	s_cbranch_vccnz .LBB532_20
; %bb.6:
	s_wait_kmcnt 0x0
	s_cmp_gt_i32 s3, 0
	s_cselect_b32 s16, -1, 0
	s_cmp_neq_f32 s20, 0
	v_cndmask_b32_e64 v1, 0, 1, s16
	s_delay_alu instid0(VALU_DEP_1)
	v_cmp_ne_u32_e32 vcc_lo, 1, v1
	s_cbranch_scc1 .LBB532_13
; %bb.7:
	s_and_b32 vcc_lo, exec_lo, vcc_lo
	s_cbranch_vccnz .LBB532_12
; %bb.8:
	v_mad_co_i64_i32 v[1:2], null, s4, v0, 0
	s_lshl_b64 s[14:15], s[10:11], 2
	v_mov_b32_e32 v3, 0
	s_add_nc_u64 s[14:15], s[8:9], s[14:15]
	s_ashr_i32 s5, s4, 31
	v_lshlrev_b64_e32 v[1:2], 2, v[1:2]
	s_delay_alu instid0(VALU_DEP_1) | instskip(NEXT) | instid1(VALU_DEP_1)
	v_add_co_u32 v1, vcc_lo, s14, v1
	v_add_co_ci_u32_e64 v2, null, s15, v2, vcc_lo
	s_wait_alu 0xfffe
	s_lshl_b64 s[14:15], s[4:5], 10
	s_mov_b32 s5, 0
	s_branch .LBB532_10
.LBB532_9:                              ;   in Loop: Header=BB532_10 Depth=1
	s_wait_alu 0xfffe
	s_or_b32 exec_lo, exec_lo, s17
	v_add_co_u32 v1, vcc_lo, v1, s14
	s_wait_alu 0xfffd
	v_add_co_ci_u32_e64 v2, null, s15, v2, vcc_lo
	s_addk_co_i32 s5, 0x100
	s_wait_alu 0xfffe
	s_cmp_ge_i32 s5, s3
	s_cbranch_scc1 .LBB532_12
.LBB532_10:                             ; =>This Inner Loop Header: Depth=1
	s_wait_alu 0xfffe
	v_add_nc_u32_e32 v4, s5, v0
	s_mov_b32 s17, exec_lo
	s_delay_alu instid0(VALU_DEP_1)
	v_cmpx_gt_i32_e64 s3, v4
	s_cbranch_execz .LBB532_9
; %bb.11:                               ;   in Loop: Header=BB532_10 Depth=1
	flat_store_b32 v[1:2], v3
	s_branch .LBB532_9
.LBB532_12:
	s_mov_b32 s5, 0
.LBB532_13:
	s_wait_alu 0xfffe
	s_and_not1_b32 vcc_lo, exec_lo, s5
	s_wait_alu 0xfffe
	s_cbranch_vccnz .LBB532_19
; %bb.14:
	s_and_not1_b32 vcc_lo, exec_lo, s16
	s_wait_alu 0xfffe
	s_cbranch_vccnz .LBB532_19
; %bb.15:
	v_mad_co_i64_i32 v[1:2], null, s4, v0, 0
	s_lshl_b64 s[14:15], s[10:11], 2
	s_ashr_i32 s5, s4, 31
	s_wait_alu 0xfffe
	s_add_nc_u64 s[14:15], s[8:9], s[14:15]
	v_lshlrev_b64_e32 v[1:2], 2, v[1:2]
	s_wait_alu 0xfffe
	s_delay_alu instid0(VALU_DEP_1) | instskip(SKIP_1) | instid1(VALU_DEP_2)
	v_add_co_u32 v1, vcc_lo, s14, v1
	s_wait_alu 0xfffd
	v_add_co_ci_u32_e64 v2, null, s15, v2, vcc_lo
	s_lshl_b64 s[14:15], s[4:5], 10
	s_mov_b32 s5, 0
	s_branch .LBB532_17
.LBB532_16:                             ;   in Loop: Header=BB532_17 Depth=1
	s_wait_alu 0xfffe
	s_or_b32 exec_lo, exec_lo, s16
	v_add_co_u32 v1, vcc_lo, v1, s14
	s_wait_alu 0xfffd
	v_add_co_ci_u32_e64 v2, null, s15, v2, vcc_lo
	s_addk_co_i32 s5, 0x100
	s_wait_alu 0xfffe
	s_cmp_ge_i32 s5, s3
	s_cbranch_scc1 .LBB532_19
.LBB532_17:                             ; =>This Inner Loop Header: Depth=1
	s_wait_alu 0xfffe
	v_add_nc_u32_e32 v3, s5, v0
	s_mov_b32 s16, exec_lo
	s_delay_alu instid0(VALU_DEP_1)
	v_cmpx_gt_i32_e64 s3, v3
	s_cbranch_execz .LBB532_16
; %bb.18:                               ;   in Loop: Header=BB532_17 Depth=1
	flat_load_b32 v3, v[1:2]
	s_wait_loadcnt_dscnt 0x0
	v_mul_f32_e32 v3, s20, v3
	flat_store_b32 v[1:2], v3
	s_branch .LBB532_16
.LBB532_19:
	s_mov_b32 s5, 0
.LBB532_20:
	s_wait_alu 0xfffe
	s_and_not1_b32 vcc_lo, exec_lo, s5
	s_wait_alu 0xfffe
	s_cbranch_vccnz .LBB532_38
; %bb.21:
	s_mov_b32 s5, exec_lo
	s_wait_kmcnt 0x0
	v_cmpx_gt_i32_e64 s2, v0
	s_cbranch_execz .LBB532_23
; %bb.22:
	s_load_b32 s14, s[0:1], 0x48
	s_wait_kmcnt 0x0
	v_mad_co_i64_i32 v[1:2], null, s14, v0, 0
	s_delay_alu instid0(VALU_DEP_1) | instskip(NEXT) | instid1(VALU_DEP_1)
	v_lshlrev_b64_e32 v[1:2], 1, v[1:2]
	v_add_co_u32 v1, vcc_lo, s12, v1
	s_wait_alu 0xfffd
	s_delay_alu instid0(VALU_DEP_2) | instskip(SKIP_4) | instid1(VALU_DEP_1)
	v_add_co_ci_u32_e64 v2, null, s13, v2, vcc_lo
	flat_load_u16 v1, v[1:2]
	v_lshlrev_b32_e32 v2, 2, v0
	s_wait_loadcnt_dscnt 0x0
	v_cvt_f32_f16_e32 v1, v1
	v_mul_f32_e32 v1, s21, v1
	ds_store_b32 v2, v1
.LBB532_23:
	s_wait_alu 0xfffe
	s_or_b32 exec_lo, exec_lo, s5
	s_cmp_lt_i32 s3, 1
	s_wait_storecnt_dscnt 0x0
	s_barrier_signal -1
	s_barrier_wait -1
	global_inv scope:SCOPE_SE
	s_cbranch_scc1 .LBB532_38
; %bb.24:
	s_load_b32 s16, s[0:1], 0x28
	s_lshl_b64 s[0:1], s[10:11], 2
	s_ashr_i32 s5, s4, 31
	s_add_nc_u64 s[0:1], s[8:9], s[0:1]
	s_mov_b32 s8, 0
	s_wait_kmcnt 0x0
	v_mad_co_i64_i32 v[1:2], null, s16, v0, 0
	s_ashr_i32 s17, s16, 31
	s_cmp_neq_f32 s20, 0
	s_cselect_b32 s10, -1, 0
	v_lshlrev_b64_e32 v[1:2], 1, v[1:2]
	s_cmp_gt_i32 s2, 0
	s_cselect_b32 s11, -1, 0
	s_and_b32 s12, s2, 7
	s_cmp_gt_u32 s2, 7
	s_delay_alu instid0(VALU_DEP_1)
	v_add_co_u32 v7, vcc_lo, s6, v1
	s_wait_alu 0xfffd
	v_add_co_ci_u32_e64 v8, null, s7, v2, vcc_lo
	s_cselect_b32 s13, -1, 0
	v_add_co_u32 v1, vcc_lo, v7, 14
	s_and_b32 s2, s2, 0x7ffffff8
	s_wait_alu 0xfffd
	v_add_co_ci_u32_e64 v2, null, 0, v8, vcc_lo
	s_wait_alu 0xfffe
	s_cmp_lg_u32 s12, 0
	s_cselect_b32 s14, -1, 0
	s_lshl_b64 s[6:7], s[16:17], 9
	s_branch .LBB532_27
.LBB532_25:                             ;   in Loop: Header=BB532_27 Depth=1
	v_add_co_u32 v3, vcc_lo, s0, v3
	s_wait_alu 0xfffd
	v_add_co_ci_u32_e64 v4, null, s1, v4, vcc_lo
	flat_store_b32 v[3:4], v9
.LBB532_26:                             ;   in Loop: Header=BB532_27 Depth=1
	s_wait_alu 0xfffe
	s_or_b32 exec_lo, exec_lo, s9
	v_add_co_u32 v1, vcc_lo, v1, s6
	s_wait_alu 0xfffd
	v_add_co_ci_u32_e64 v2, null, s7, v2, vcc_lo
	v_add_co_u32 v7, vcc_lo, v7, s6
	s_wait_alu 0xfffd
	v_add_co_ci_u32_e64 v8, null, s7, v8, vcc_lo
	s_addk_co_i32 s8, 0x100
	s_wait_alu 0xfffe
	s_cmp_ge_i32 s8, s3
	s_cbranch_scc1 .LBB532_38
.LBB532_27:                             ; =>This Loop Header: Depth=1
                                        ;     Child Loop BB532_33 Depth 2
                                        ;     Child Loop BB532_37 Depth 2
	v_add_nc_u32_e32 v3, s8, v0
	s_mov_b32 s9, exec_lo
	s_delay_alu instid0(VALU_DEP_1)
	v_cmpx_gt_i32_e64 s3, v3
	s_cbranch_execz .LBB532_26
; %bb.28:                               ;   in Loop: Header=BB532_27 Depth=1
	v_mad_co_u64_u32 v[4:5], null, v3, s4, 0
	s_and_not1_b32 vcc_lo, exec_lo, s10
	v_mad_co_u64_u32 v[5:6], null, v3, s5, v[5:6]
	s_delay_alu instid0(VALU_DEP_1)
	v_lshlrev_b64_e32 v[3:4], 2, v[4:5]
	s_wait_alu 0xfffe
	s_cbranch_vccnz .LBB532_30
; %bb.29:                               ;   in Loop: Header=BB532_27 Depth=1
	s_delay_alu instid0(VALU_DEP_1) | instskip(SKIP_1) | instid1(VALU_DEP_2)
	v_add_co_u32 v5, vcc_lo, s0, v3
	s_wait_alu 0xfffd
	v_add_co_ci_u32_e64 v6, null, s1, v4, vcc_lo
	flat_load_b32 v5, v[5:6]
	s_wait_loadcnt_dscnt 0x0
	v_mul_f32_e32 v9, s20, v5
	s_and_not1_b32 vcc_lo, exec_lo, s11
	s_wait_alu 0xfffe
	s_cbranch_vccz .LBB532_31
	s_branch .LBB532_25
.LBB532_30:                             ;   in Loop: Header=BB532_27 Depth=1
	v_mov_b32_e32 v9, 0
	s_and_not1_b32 vcc_lo, exec_lo, s11
	s_wait_alu 0xfffe
	s_cbranch_vccnz .LBB532_25
.LBB532_31:                             ;   in Loop: Header=BB532_27 Depth=1
	s_and_not1_b32 vcc_lo, exec_lo, s13
	s_mov_b32 s15, 0
	s_wait_alu 0xfffe
	s_cbranch_vccnz .LBB532_35
; %bb.32:                               ;   in Loop: Header=BB532_27 Depth=1
	v_dual_mov_b32 v6, v2 :: v_dual_mov_b32 v5, v1
	s_mov_b32 s16, 0
.LBB532_33:                             ;   Parent Loop BB532_27 Depth=1
                                        ; =>  This Inner Loop Header: Depth=2
	flat_load_b128 v[10:13], v[5:6] offset:-14
	v_mov_b32_e32 v18, s15
	v_add_co_u32 v5, vcc_lo, v5, 16
	s_wait_alu 0xfffd
	v_add_co_ci_u32_e64 v6, null, 0, v6, vcc_lo
	ds_load_b128 v[14:17], v18
	ds_load_b128 v[18:21], v18 offset:16
	s_wait_alu 0xfffe
	s_add_co_i32 s16, s16, 8
	s_add_co_i32 s15, s15, 32
	s_wait_alu 0xfffe
	s_cmp_eq_u32 s2, s16
	s_wait_loadcnt_dscnt 0x1
	v_fma_mix_f32 v9, v14, v10, v9 op_sel_hi:[0,1,0]
	s_delay_alu instid0(VALU_DEP_1) | instskip(NEXT) | instid1(VALU_DEP_1)
	v_fma_mix_f32 v9, v15, v10, v9 op_sel:[0,1,0] op_sel_hi:[0,1,0]
	v_fma_mix_f32 v9, v16, v11, v9 op_sel_hi:[0,1,0]
	s_delay_alu instid0(VALU_DEP_1) | instskip(SKIP_1) | instid1(VALU_DEP_1)
	v_fma_mix_f32 v9, v17, v11, v9 op_sel:[0,1,0] op_sel_hi:[0,1,0]
	s_wait_dscnt 0x0
	v_fma_mix_f32 v9, v18, v12, v9 op_sel_hi:[0,1,0]
	s_delay_alu instid0(VALU_DEP_1) | instskip(NEXT) | instid1(VALU_DEP_1)
	v_fma_mix_f32 v9, v19, v12, v9 op_sel:[0,1,0] op_sel_hi:[0,1,0]
	v_fma_mix_f32 v9, v20, v13, v9 op_sel_hi:[0,1,0]
	s_delay_alu instid0(VALU_DEP_1)
	v_fma_mix_f32 v9, v21, v13, v9 op_sel:[0,1,0] op_sel_hi:[0,1,0]
	s_cbranch_scc0 .LBB532_33
; %bb.34:                               ;   in Loop: Header=BB532_27 Depth=1
	s_mov_b32 s15, s2
.LBB532_35:                             ;   in Loop: Header=BB532_27 Depth=1
	s_and_not1_b32 vcc_lo, exec_lo, s14
	s_wait_alu 0xfffe
	s_cbranch_vccnz .LBB532_25
; %bb.36:                               ;   in Loop: Header=BB532_27 Depth=1
	s_lshl_b32 s16, s15, 1
	s_lshl_b32 s15, s15, 2
	s_wait_alu 0xfffe
	v_add_co_u32 v5, vcc_lo, v7, s16
	s_wait_alu 0xfffd
	v_add_co_ci_u32_e64 v6, null, 0, v8, vcc_lo
	s_mov_b32 s16, s12
.LBB532_37:                             ;   Parent Loop BB532_27 Depth=1
                                        ; =>  This Inner Loop Header: Depth=2
	flat_load_u16 v10, v[5:6]
	v_mov_b32_e32 v11, s15
	v_add_co_u32 v5, vcc_lo, v5, 2
	s_wait_alu 0xfffd
	v_add_co_ci_u32_e64 v6, null, 0, v6, vcc_lo
	ds_load_b32 v11, v11
	s_wait_alu 0xfffe
	s_add_co_i32 s16, s16, -1
	s_add_co_i32 s15, s15, 4
	s_wait_alu 0xfffe
	s_cmp_lg_u32 s16, 0
	s_wait_loadcnt_dscnt 0x0
	v_fma_mix_f32 v9, v11, v10, v9 op_sel_hi:[0,1,0]
	s_cbranch_scc1 .LBB532_37
	s_branch .LBB532_25
.LBB532_38:
	s_endpgm
	.section	.rodata,"a",@progbits
	.p2align	6, 0x0
	.amdhsa_kernel _ZL22rocblas_gemvtsm_kernelILb1ELi256EPKDF16_PKfKPfEviiT2_lPKT1_lilS9_lilS6_lPT3_lil
		.amdhsa_group_segment_fixed_size 256
		.amdhsa_private_segment_fixed_size 0
		.amdhsa_kernarg_size 136
		.amdhsa_user_sgpr_count 2
		.amdhsa_user_sgpr_dispatch_ptr 0
		.amdhsa_user_sgpr_queue_ptr 0
		.amdhsa_user_sgpr_kernarg_segment_ptr 1
		.amdhsa_user_sgpr_dispatch_id 0
		.amdhsa_user_sgpr_private_segment_size 0
		.amdhsa_wavefront_size32 1
		.amdhsa_uses_dynamic_stack 0
		.amdhsa_enable_private_segment 0
		.amdhsa_system_sgpr_workgroup_id_x 1
		.amdhsa_system_sgpr_workgroup_id_y 0
		.amdhsa_system_sgpr_workgroup_id_z 0
		.amdhsa_system_sgpr_workgroup_info 0
		.amdhsa_system_vgpr_workitem_id 0
		.amdhsa_next_free_vgpr 22
		.amdhsa_next_free_sgpr 22
		.amdhsa_reserve_vcc 1
		.amdhsa_float_round_mode_32 0
		.amdhsa_float_round_mode_16_64 0
		.amdhsa_float_denorm_mode_32 3
		.amdhsa_float_denorm_mode_16_64 3
		.amdhsa_fp16_overflow 0
		.amdhsa_workgroup_processor_mode 1
		.amdhsa_memory_ordered 1
		.amdhsa_forward_progress 1
		.amdhsa_inst_pref_size 13
		.amdhsa_round_robin_scheduling 0
		.amdhsa_exception_fp_ieee_invalid_op 0
		.amdhsa_exception_fp_denorm_src 0
		.amdhsa_exception_fp_ieee_div_zero 0
		.amdhsa_exception_fp_ieee_overflow 0
		.amdhsa_exception_fp_ieee_underflow 0
		.amdhsa_exception_fp_ieee_inexact 0
		.amdhsa_exception_int_div_zero 0
	.end_amdhsa_kernel
	.section	.text._ZL22rocblas_gemvtsm_kernelILb1ELi256EPKDF16_PKfKPfEviiT2_lPKT1_lilS9_lilS6_lPT3_lil,"axG",@progbits,_ZL22rocblas_gemvtsm_kernelILb1ELi256EPKDF16_PKfKPfEviiT2_lPKT1_lilS9_lilS6_lPT3_lil,comdat
.Lfunc_end532:
	.size	_ZL22rocblas_gemvtsm_kernelILb1ELi256EPKDF16_PKfKPfEviiT2_lPKT1_lilS9_lilS6_lPT3_lil, .Lfunc_end532-_ZL22rocblas_gemvtsm_kernelILb1ELi256EPKDF16_PKfKPfEviiT2_lPKT1_lilS9_lilS6_lPT3_lil
                                        ; -- End function
	.set _ZL22rocblas_gemvtsm_kernelILb1ELi256EPKDF16_PKfKPfEviiT2_lPKT1_lilS9_lilS6_lPT3_lil.num_vgpr, 22
	.set _ZL22rocblas_gemvtsm_kernelILb1ELi256EPKDF16_PKfKPfEviiT2_lPKT1_lilS9_lilS6_lPT3_lil.num_agpr, 0
	.set _ZL22rocblas_gemvtsm_kernelILb1ELi256EPKDF16_PKfKPfEviiT2_lPKT1_lilS9_lilS6_lPT3_lil.numbered_sgpr, 22
	.set _ZL22rocblas_gemvtsm_kernelILb1ELi256EPKDF16_PKfKPfEviiT2_lPKT1_lilS9_lilS6_lPT3_lil.num_named_barrier, 0
	.set _ZL22rocblas_gemvtsm_kernelILb1ELi256EPKDF16_PKfKPfEviiT2_lPKT1_lilS9_lilS6_lPT3_lil.private_seg_size, 0
	.set _ZL22rocblas_gemvtsm_kernelILb1ELi256EPKDF16_PKfKPfEviiT2_lPKT1_lilS9_lilS6_lPT3_lil.uses_vcc, 1
	.set _ZL22rocblas_gemvtsm_kernelILb1ELi256EPKDF16_PKfKPfEviiT2_lPKT1_lilS9_lilS6_lPT3_lil.uses_flat_scratch, 0
	.set _ZL22rocblas_gemvtsm_kernelILb1ELi256EPKDF16_PKfKPfEviiT2_lPKT1_lilS9_lilS6_lPT3_lil.has_dyn_sized_stack, 0
	.set _ZL22rocblas_gemvtsm_kernelILb1ELi256EPKDF16_PKfKPfEviiT2_lPKT1_lilS9_lilS6_lPT3_lil.has_recursion, 0
	.set _ZL22rocblas_gemvtsm_kernelILb1ELi256EPKDF16_PKfKPfEviiT2_lPKT1_lilS9_lilS6_lPT3_lil.has_indirect_call, 0
	.section	.AMDGPU.csdata,"",@progbits
; Kernel info:
; codeLenInByte = 1548
; TotalNumSgprs: 24
; NumVgprs: 22
; ScratchSize: 0
; MemoryBound: 0
; FloatMode: 240
; IeeeMode: 1
; LDSByteSize: 256 bytes/workgroup (compile time only)
; SGPRBlocks: 0
; VGPRBlocks: 2
; NumSGPRsForWavesPerEU: 24
; NumVGPRsForWavesPerEU: 22
; Occupancy: 16
; WaveLimiterHint : 1
; COMPUTE_PGM_RSRC2:SCRATCH_EN: 0
; COMPUTE_PGM_RSRC2:USER_SGPR: 2
; COMPUTE_PGM_RSRC2:TRAP_HANDLER: 0
; COMPUTE_PGM_RSRC2:TGID_X_EN: 1
; COMPUTE_PGM_RSRC2:TGID_Y_EN: 0
; COMPUTE_PGM_RSRC2:TGID_Z_EN: 0
; COMPUTE_PGM_RSRC2:TIDIG_COMP_CNT: 0
	.section	.text._ZL22rocblas_gemvtsm_kernelILb1ELi256EPKDF16_fKPfEviiT2_lPKT1_lilS7_lilS4_lPT3_lil,"axG",@progbits,_ZL22rocblas_gemvtsm_kernelILb1ELi256EPKDF16_fKPfEviiT2_lPKT1_lilS7_lilS4_lPT3_lil,comdat
	.globl	_ZL22rocblas_gemvtsm_kernelILb1ELi256EPKDF16_fKPfEviiT2_lPKT1_lilS7_lilS4_lPT3_lil ; -- Begin function _ZL22rocblas_gemvtsm_kernelILb1ELi256EPKDF16_fKPfEviiT2_lPKT1_lilS7_lilS4_lPT3_lil
	.p2align	8
	.type	_ZL22rocblas_gemvtsm_kernelILb1ELi256EPKDF16_fKPfEviiT2_lPKT1_lilS7_lilS4_lPT3_lil,@function
_ZL22rocblas_gemvtsm_kernelILb1ELi256EPKDF16_fKPfEviiT2_lPKT1_lilS7_lilS4_lPT3_lil: ; @_ZL22rocblas_gemvtsm_kernelILb1ELi256EPKDF16_fKPfEviiT2_lPKT1_lilS7_lilS4_lPT3_lil
; %bb.0:
	s_clause 0x1
	s_load_b96 s[8:10], s[0:1], 0x0
	s_load_b32 s11, s[0:1], 0x58
	s_mov_b32 s5, 0
	s_wait_kmcnt 0x0
	s_cmp_eq_f32 s10, 0
	s_cselect_b32 s2, -1, 0
	s_cmp_eq_f32 s11, 1.0
	s_cselect_b32 s3, -1, 0
	s_delay_alu instid0(SALU_CYCLE_1) | instskip(NEXT) | instid1(SALU_CYCLE_1)
	s_and_b32 s2, s2, s3
	s_and_b32 vcc_lo, exec_lo, s2
	s_cbranch_vccnz .LBB533_40
; %bb.1:
	s_cmp_neq_f32 s10, 0
	s_mov_b32 s4, ttmp9
	s_cselect_b32 s6, -1, 0
	s_cmp_eq_f32 s10, 0
	s_cselect_b32 s16, -1, 0
	s_and_b32 vcc_lo, exec_lo, s6
	s_cbranch_vccnz .LBB533_3
; %bb.2:
	s_mov_b32 s3, 0
	s_mov_b32 s2, ttmp9
	s_mov_b32 s7, s3
	s_mov_b64 s[14:15], 0
	s_and_not1_b32 vcc_lo, exec_lo, s7
	s_mov_b64 s[12:13], 0
	s_cbranch_vccz .LBB533_4
	s_branch .LBB533_5
.LBB533_3:
	s_mov_b64 s[2:3], s[4:5]
	s_mov_b64 s[14:15], 0
	s_mov_b64 s[12:13], 0
.LBB533_4:
	s_load_b128 s[20:23], s[0:1], 0x18
	s_lshl_b64 s[4:5], s[4:5], 3
	s_wait_kmcnt 0x0
	s_add_nc_u64 s[4:5], s[20:21], s[4:5]
	s_lshl_b64 s[12:13], s[22:23], 1
	s_load_b64 s[4:5], s[4:5], 0x0
	s_wait_kmcnt 0x0
	s_add_nc_u64 s[12:13], s[4:5], s[12:13]
.LBB533_5:
	s_and_not1_b32 vcc_lo, exec_lo, s6
	s_cbranch_vccnz .LBB533_7
; %bb.6:
	s_load_b128 s[4:7], s[0:1], 0x38
	s_lshl_b64 s[14:15], s[2:3], 3
	s_wait_kmcnt 0x0
	s_add_nc_u64 s[4:5], s[4:5], s[14:15]
	s_lshl_b64 s[6:7], s[6:7], 1
	s_load_b64 s[4:5], s[4:5], 0x0
	s_wait_kmcnt 0x0
	s_add_nc_u64 s[14:15], s[4:5], s[6:7]
.LBB533_7:
	s_load_b128 s[4:7], s[0:1], 0x68
	s_lshl_b64 s[18:19], s[2:3], 3
	s_load_b32 s2, s[0:1], 0x78
	s_and_not1_b32 vcc_lo, exec_lo, s16
	s_mov_b32 s3, -1
	s_wait_kmcnt 0x0
	s_add_nc_u64 s[4:5], s[4:5], s[18:19]
	s_load_b64 s[4:5], s[4:5], 0x0
	s_cbranch_vccnz .LBB533_22
; %bb.8:
	s_cmp_gt_i32 s9, 0
	s_cselect_b32 s18, -1, 0
	s_cmp_neq_f32 s11, 0
	v_cndmask_b32_e64 v1, 0, 1, s18
	s_delay_alu instid0(VALU_DEP_1)
	v_cmp_ne_u32_e32 vcc_lo, 1, v1
	s_cbranch_scc1 .LBB533_15
; %bb.9:
	s_and_b32 vcc_lo, exec_lo, vcc_lo
	s_cbranch_vccnz .LBB533_14
; %bb.10:
	v_mad_co_i64_i32 v[1:2], null, s2, v0, 0
	s_lshl_b64 s[16:17], s[6:7], 2
	v_mov_b32_e32 v3, 0
	s_wait_kmcnt 0x0
	s_add_nc_u64 s[16:17], s[4:5], s[16:17]
	s_ashr_i32 s3, s2, 31
	v_lshlrev_b64_e32 v[1:2], 2, v[1:2]
	s_delay_alu instid0(VALU_DEP_1) | instskip(NEXT) | instid1(VALU_DEP_1)
	v_add_co_u32 v1, vcc_lo, s16, v1
	v_add_co_ci_u32_e64 v2, null, s17, v2, vcc_lo
	s_wait_alu 0xfffe
	s_lshl_b64 s[16:17], s[2:3], 10
	s_mov_b32 s3, 0
	s_branch .LBB533_12
.LBB533_11:                             ;   in Loop: Header=BB533_12 Depth=1
	s_wait_alu 0xfffe
	s_or_b32 exec_lo, exec_lo, s19
	v_add_co_u32 v1, vcc_lo, v1, s16
	s_wait_alu 0xfffd
	v_add_co_ci_u32_e64 v2, null, s17, v2, vcc_lo
	s_addk_co_i32 s3, 0x100
	s_wait_alu 0xfffe
	s_cmp_ge_i32 s3, s9
	s_cbranch_scc1 .LBB533_14
.LBB533_12:                             ; =>This Inner Loop Header: Depth=1
	s_wait_alu 0xfffe
	v_add_nc_u32_e32 v4, s3, v0
	s_mov_b32 s19, exec_lo
	s_delay_alu instid0(VALU_DEP_1)
	v_cmpx_gt_i32_e64 s9, v4
	s_cbranch_execz .LBB533_11
; %bb.13:                               ;   in Loop: Header=BB533_12 Depth=1
	flat_store_b32 v[1:2], v3
	s_branch .LBB533_11
.LBB533_14:
	s_mov_b32 s3, 0
.LBB533_15:
	s_wait_alu 0xfffe
	s_and_not1_b32 vcc_lo, exec_lo, s3
	s_wait_alu 0xfffe
	s_cbranch_vccnz .LBB533_21
; %bb.16:
	s_and_not1_b32 vcc_lo, exec_lo, s18
	s_wait_alu 0xfffe
	s_cbranch_vccnz .LBB533_21
; %bb.17:
	v_mad_co_i64_i32 v[1:2], null, s2, v0, 0
	s_lshl_b64 s[16:17], s[6:7], 2
	s_ashr_i32 s3, s2, 31
	s_wait_kmcnt 0x0
	s_wait_alu 0xfffe
	s_add_nc_u64 s[16:17], s[4:5], s[16:17]
	v_lshlrev_b64_e32 v[1:2], 2, v[1:2]
	s_wait_alu 0xfffe
	s_delay_alu instid0(VALU_DEP_1) | instskip(SKIP_1) | instid1(VALU_DEP_2)
	v_add_co_u32 v1, vcc_lo, s16, v1
	s_wait_alu 0xfffd
	v_add_co_ci_u32_e64 v2, null, s17, v2, vcc_lo
	s_lshl_b64 s[16:17], s[2:3], 10
	s_mov_b32 s3, 0
	s_branch .LBB533_19
.LBB533_18:                             ;   in Loop: Header=BB533_19 Depth=1
	s_wait_alu 0xfffe
	s_or_b32 exec_lo, exec_lo, s18
	v_add_co_u32 v1, vcc_lo, v1, s16
	s_wait_alu 0xfffd
	v_add_co_ci_u32_e64 v2, null, s17, v2, vcc_lo
	s_addk_co_i32 s3, 0x100
	s_wait_alu 0xfffe
	s_cmp_ge_i32 s3, s9
	s_cbranch_scc1 .LBB533_21
.LBB533_19:                             ; =>This Inner Loop Header: Depth=1
	s_wait_alu 0xfffe
	v_add_nc_u32_e32 v3, s3, v0
	s_mov_b32 s18, exec_lo
	s_delay_alu instid0(VALU_DEP_1)
	v_cmpx_gt_i32_e64 s9, v3
	s_cbranch_execz .LBB533_18
; %bb.20:                               ;   in Loop: Header=BB533_19 Depth=1
	flat_load_b32 v3, v[1:2]
	s_wait_loadcnt_dscnt 0x0
	v_mul_f32_e32 v3, s11, v3
	flat_store_b32 v[1:2], v3
	s_branch .LBB533_18
.LBB533_21:
	s_mov_b32 s3, 0
.LBB533_22:
	s_wait_alu 0xfffe
	s_and_not1_b32 vcc_lo, exec_lo, s3
	s_wait_alu 0xfffe
	s_cbranch_vccnz .LBB533_40
; %bb.23:
	s_mov_b32 s3, exec_lo
	v_cmpx_gt_i32_e64 s8, v0
	s_cbranch_execz .LBB533_25
; %bb.24:
	s_load_b32 s16, s[0:1], 0x48
	s_wait_kmcnt 0x0
	v_mad_co_i64_i32 v[1:2], null, s16, v0, 0
	s_delay_alu instid0(VALU_DEP_1) | instskip(NEXT) | instid1(VALU_DEP_1)
	v_lshlrev_b64_e32 v[1:2], 1, v[1:2]
	v_add_co_u32 v1, vcc_lo, s14, v1
	s_wait_alu 0xfffd
	s_delay_alu instid0(VALU_DEP_2) | instskip(SKIP_4) | instid1(VALU_DEP_1)
	v_add_co_ci_u32_e64 v2, null, s15, v2, vcc_lo
	flat_load_u16 v1, v[1:2]
	v_lshlrev_b32_e32 v2, 2, v0
	s_wait_loadcnt_dscnt 0x0
	v_cvt_f32_f16_e32 v1, v1
	v_mul_f32_e32 v1, s10, v1
	ds_store_b32 v2, v1
.LBB533_25:
	s_wait_alu 0xfffe
	s_or_b32 exec_lo, exec_lo, s3
	s_cmp_lt_i32 s9, 1
	s_wait_storecnt_dscnt 0x0
	s_barrier_signal -1
	s_barrier_wait -1
	global_inv scope:SCOPE_SE
	s_cbranch_scc1 .LBB533_40
; %bb.26:
	s_load_b32 s16, s[0:1], 0x28
	s_lshl_b64 s[0:1], s[6:7], 2
	s_ashr_i32 s3, s2, 31
	s_wait_kmcnt 0x0
	s_add_nc_u64 s[0:1], s[4:5], s[0:1]
	v_mad_co_i64_i32 v[1:2], null, s16, v0, 0
	s_ashr_i32 s17, s16, 31
	s_cmp_neq_f32 s11, 0
	s_cselect_b32 s6, -1, 0
	v_lshlrev_b64_e32 v[1:2], 1, v[1:2]
	s_cmp_gt_i32 s8, 0
	s_cselect_b32 s7, -1, 0
	s_and_b32 s10, s8, 7
	s_cmp_gt_u32 s8, 7
	s_delay_alu instid0(VALU_DEP_1)
	v_add_co_u32 v7, vcc_lo, s12, v1
	s_wait_alu 0xfffd
	v_add_co_ci_u32_e64 v8, null, s13, v2, vcc_lo
	s_cselect_b32 s14, -1, 0
	v_add_co_u32 v1, vcc_lo, v7, 14
	s_and_b32 s8, s8, 0x7ffffff8
	s_wait_alu 0xfffd
	v_add_co_ci_u32_e64 v2, null, 0, v8, vcc_lo
	s_wait_alu 0xfffe
	s_cmp_lg_u32 s10, 0
	s_mov_b32 s13, 0
	s_cselect_b32 s12, -1, 0
	s_lshl_b64 s[4:5], s[16:17], 9
	s_branch .LBB533_29
.LBB533_27:                             ;   in Loop: Header=BB533_29 Depth=1
	v_add_co_u32 v3, vcc_lo, s0, v3
	s_wait_alu 0xfffd
	v_add_co_ci_u32_e64 v4, null, s1, v4, vcc_lo
	flat_store_b32 v[3:4], v9
.LBB533_28:                             ;   in Loop: Header=BB533_29 Depth=1
	s_wait_alu 0xfffe
	s_or_b32 exec_lo, exec_lo, s15
	v_add_co_u32 v1, vcc_lo, v1, s4
	s_wait_alu 0xfffd
	v_add_co_ci_u32_e64 v2, null, s5, v2, vcc_lo
	v_add_co_u32 v7, vcc_lo, v7, s4
	s_wait_alu 0xfffd
	v_add_co_ci_u32_e64 v8, null, s5, v8, vcc_lo
	s_addk_co_i32 s13, 0x100
	s_wait_alu 0xfffe
	s_cmp_ge_i32 s13, s9
	s_cbranch_scc1 .LBB533_40
.LBB533_29:                             ; =>This Loop Header: Depth=1
                                        ;     Child Loop BB533_35 Depth 2
                                        ;     Child Loop BB533_39 Depth 2
	s_wait_alu 0xfffe
	v_add_nc_u32_e32 v3, s13, v0
	s_mov_b32 s15, exec_lo
	s_delay_alu instid0(VALU_DEP_1)
	v_cmpx_gt_i32_e64 s9, v3
	s_cbranch_execz .LBB533_28
; %bb.30:                               ;   in Loop: Header=BB533_29 Depth=1
	v_mad_co_u64_u32 v[4:5], null, v3, s2, 0
	s_and_not1_b32 vcc_lo, exec_lo, s6
	v_mad_co_u64_u32 v[5:6], null, v3, s3, v[5:6]
	s_delay_alu instid0(VALU_DEP_1)
	v_lshlrev_b64_e32 v[3:4], 2, v[4:5]
	s_wait_alu 0xfffe
	s_cbranch_vccnz .LBB533_32
; %bb.31:                               ;   in Loop: Header=BB533_29 Depth=1
	s_delay_alu instid0(VALU_DEP_1) | instskip(SKIP_1) | instid1(VALU_DEP_2)
	v_add_co_u32 v5, vcc_lo, s0, v3
	s_wait_alu 0xfffd
	v_add_co_ci_u32_e64 v6, null, s1, v4, vcc_lo
	flat_load_b32 v5, v[5:6]
	s_wait_loadcnt_dscnt 0x0
	v_mul_f32_e32 v9, s11, v5
	s_and_not1_b32 vcc_lo, exec_lo, s7
	s_wait_alu 0xfffe
	s_cbranch_vccz .LBB533_33
	s_branch .LBB533_27
.LBB533_32:                             ;   in Loop: Header=BB533_29 Depth=1
	v_mov_b32_e32 v9, 0
	s_and_not1_b32 vcc_lo, exec_lo, s7
	s_wait_alu 0xfffe
	s_cbranch_vccnz .LBB533_27
.LBB533_33:                             ;   in Loop: Header=BB533_29 Depth=1
	s_and_not1_b32 vcc_lo, exec_lo, s14
	s_mov_b32 s16, 0
	s_wait_alu 0xfffe
	s_cbranch_vccnz .LBB533_37
; %bb.34:                               ;   in Loop: Header=BB533_29 Depth=1
	v_dual_mov_b32 v6, v2 :: v_dual_mov_b32 v5, v1
	s_mov_b32 s17, 0
.LBB533_35:                             ;   Parent Loop BB533_29 Depth=1
                                        ; =>  This Inner Loop Header: Depth=2
	flat_load_b128 v[10:13], v[5:6] offset:-14
	v_mov_b32_e32 v18, s16
	v_add_co_u32 v5, vcc_lo, v5, 16
	s_wait_alu 0xfffd
	v_add_co_ci_u32_e64 v6, null, 0, v6, vcc_lo
	ds_load_b128 v[14:17], v18
	ds_load_b128 v[18:21], v18 offset:16
	s_wait_alu 0xfffe
	s_add_co_i32 s17, s17, 8
	s_add_co_i32 s16, s16, 32
	s_wait_alu 0xfffe
	s_cmp_eq_u32 s8, s17
	s_wait_loadcnt_dscnt 0x1
	v_fma_mix_f32 v9, v14, v10, v9 op_sel_hi:[0,1,0]
	s_delay_alu instid0(VALU_DEP_1) | instskip(NEXT) | instid1(VALU_DEP_1)
	v_fma_mix_f32 v9, v15, v10, v9 op_sel:[0,1,0] op_sel_hi:[0,1,0]
	v_fma_mix_f32 v9, v16, v11, v9 op_sel_hi:[0,1,0]
	s_delay_alu instid0(VALU_DEP_1) | instskip(SKIP_1) | instid1(VALU_DEP_1)
	v_fma_mix_f32 v9, v17, v11, v9 op_sel:[0,1,0] op_sel_hi:[0,1,0]
	s_wait_dscnt 0x0
	v_fma_mix_f32 v9, v18, v12, v9 op_sel_hi:[0,1,0]
	s_delay_alu instid0(VALU_DEP_1) | instskip(NEXT) | instid1(VALU_DEP_1)
	v_fma_mix_f32 v9, v19, v12, v9 op_sel:[0,1,0] op_sel_hi:[0,1,0]
	v_fma_mix_f32 v9, v20, v13, v9 op_sel_hi:[0,1,0]
	s_delay_alu instid0(VALU_DEP_1)
	v_fma_mix_f32 v9, v21, v13, v9 op_sel:[0,1,0] op_sel_hi:[0,1,0]
	s_cbranch_scc0 .LBB533_35
; %bb.36:                               ;   in Loop: Header=BB533_29 Depth=1
	s_mov_b32 s16, s8
.LBB533_37:                             ;   in Loop: Header=BB533_29 Depth=1
	s_and_not1_b32 vcc_lo, exec_lo, s12
	s_wait_alu 0xfffe
	s_cbranch_vccnz .LBB533_27
; %bb.38:                               ;   in Loop: Header=BB533_29 Depth=1
	s_lshl_b32 s17, s16, 1
	s_lshl_b32 s16, s16, 2
	s_wait_alu 0xfffe
	v_add_co_u32 v5, vcc_lo, v7, s17
	s_wait_alu 0xfffd
	v_add_co_ci_u32_e64 v6, null, 0, v8, vcc_lo
	s_mov_b32 s17, s10
.LBB533_39:                             ;   Parent Loop BB533_29 Depth=1
                                        ; =>  This Inner Loop Header: Depth=2
	flat_load_u16 v10, v[5:6]
	v_mov_b32_e32 v11, s16
	v_add_co_u32 v5, vcc_lo, v5, 2
	s_wait_alu 0xfffd
	v_add_co_ci_u32_e64 v6, null, 0, v6, vcc_lo
	ds_load_b32 v11, v11
	s_wait_alu 0xfffe
	s_add_co_i32 s17, s17, -1
	s_add_co_i32 s16, s16, 4
	s_wait_alu 0xfffe
	s_cmp_lg_u32 s17, 0
	s_wait_loadcnt_dscnt 0x0
	v_fma_mix_f32 v9, v11, v10, v9 op_sel_hi:[0,1,0]
	s_cbranch_scc1 .LBB533_39
	s_branch .LBB533_27
.LBB533_40:
	s_endpgm
	.section	.rodata,"a",@progbits
	.p2align	6, 0x0
	.amdhsa_kernel _ZL22rocblas_gemvtsm_kernelILb1ELi256EPKDF16_fKPfEviiT2_lPKT1_lilS7_lilS4_lPT3_lil
		.amdhsa_group_segment_fixed_size 256
		.amdhsa_private_segment_fixed_size 0
		.amdhsa_kernarg_size 136
		.amdhsa_user_sgpr_count 2
		.amdhsa_user_sgpr_dispatch_ptr 0
		.amdhsa_user_sgpr_queue_ptr 0
		.amdhsa_user_sgpr_kernarg_segment_ptr 1
		.amdhsa_user_sgpr_dispatch_id 0
		.amdhsa_user_sgpr_private_segment_size 0
		.amdhsa_wavefront_size32 1
		.amdhsa_uses_dynamic_stack 0
		.amdhsa_enable_private_segment 0
		.amdhsa_system_sgpr_workgroup_id_x 1
		.amdhsa_system_sgpr_workgroup_id_y 0
		.amdhsa_system_sgpr_workgroup_id_z 0
		.amdhsa_system_sgpr_workgroup_info 0
		.amdhsa_system_vgpr_workitem_id 0
		.amdhsa_next_free_vgpr 22
		.amdhsa_next_free_sgpr 24
		.amdhsa_reserve_vcc 1
		.amdhsa_float_round_mode_32 0
		.amdhsa_float_round_mode_16_64 0
		.amdhsa_float_denorm_mode_32 3
		.amdhsa_float_denorm_mode_16_64 3
		.amdhsa_fp16_overflow 0
		.amdhsa_workgroup_processor_mode 1
		.amdhsa_memory_ordered 1
		.amdhsa_forward_progress 1
		.amdhsa_inst_pref_size 13
		.amdhsa_round_robin_scheduling 0
		.amdhsa_exception_fp_ieee_invalid_op 0
		.amdhsa_exception_fp_denorm_src 0
		.amdhsa_exception_fp_ieee_div_zero 0
		.amdhsa_exception_fp_ieee_overflow 0
		.amdhsa_exception_fp_ieee_underflow 0
		.amdhsa_exception_fp_ieee_inexact 0
		.amdhsa_exception_int_div_zero 0
	.end_amdhsa_kernel
	.section	.text._ZL22rocblas_gemvtsm_kernelILb1ELi256EPKDF16_fKPfEviiT2_lPKT1_lilS7_lilS4_lPT3_lil,"axG",@progbits,_ZL22rocblas_gemvtsm_kernelILb1ELi256EPKDF16_fKPfEviiT2_lPKT1_lilS7_lilS4_lPT3_lil,comdat
.Lfunc_end533:
	.size	_ZL22rocblas_gemvtsm_kernelILb1ELi256EPKDF16_fKPfEviiT2_lPKT1_lilS7_lilS4_lPT3_lil, .Lfunc_end533-_ZL22rocblas_gemvtsm_kernelILb1ELi256EPKDF16_fKPfEviiT2_lPKT1_lilS7_lilS4_lPT3_lil
                                        ; -- End function
	.set _ZL22rocblas_gemvtsm_kernelILb1ELi256EPKDF16_fKPfEviiT2_lPKT1_lilS7_lilS4_lPT3_lil.num_vgpr, 22
	.set _ZL22rocblas_gemvtsm_kernelILb1ELi256EPKDF16_fKPfEviiT2_lPKT1_lilS7_lilS4_lPT3_lil.num_agpr, 0
	.set _ZL22rocblas_gemvtsm_kernelILb1ELi256EPKDF16_fKPfEviiT2_lPKT1_lilS7_lilS4_lPT3_lil.numbered_sgpr, 24
	.set _ZL22rocblas_gemvtsm_kernelILb1ELi256EPKDF16_fKPfEviiT2_lPKT1_lilS7_lilS4_lPT3_lil.num_named_barrier, 0
	.set _ZL22rocblas_gemvtsm_kernelILb1ELi256EPKDF16_fKPfEviiT2_lPKT1_lilS7_lilS4_lPT3_lil.private_seg_size, 0
	.set _ZL22rocblas_gemvtsm_kernelILb1ELi256EPKDF16_fKPfEviiT2_lPKT1_lilS7_lilS4_lPT3_lil.uses_vcc, 1
	.set _ZL22rocblas_gemvtsm_kernelILb1ELi256EPKDF16_fKPfEviiT2_lPKT1_lilS7_lilS4_lPT3_lil.uses_flat_scratch, 0
	.set _ZL22rocblas_gemvtsm_kernelILb1ELi256EPKDF16_fKPfEviiT2_lPKT1_lilS7_lilS4_lPT3_lil.has_dyn_sized_stack, 0
	.set _ZL22rocblas_gemvtsm_kernelILb1ELi256EPKDF16_fKPfEviiT2_lPKT1_lilS7_lilS4_lPT3_lil.has_recursion, 0
	.set _ZL22rocblas_gemvtsm_kernelILb1ELi256EPKDF16_fKPfEviiT2_lPKT1_lilS7_lilS4_lPT3_lil.has_indirect_call, 0
	.section	.AMDGPU.csdata,"",@progbits
; Kernel info:
; codeLenInByte = 1552
; TotalNumSgprs: 26
; NumVgprs: 22
; ScratchSize: 0
; MemoryBound: 0
; FloatMode: 240
; IeeeMode: 1
; LDSByteSize: 256 bytes/workgroup (compile time only)
; SGPRBlocks: 0
; VGPRBlocks: 2
; NumSGPRsForWavesPerEU: 26
; NumVGPRsForWavesPerEU: 22
; Occupancy: 16
; WaveLimiterHint : 1
; COMPUTE_PGM_RSRC2:SCRATCH_EN: 0
; COMPUTE_PGM_RSRC2:USER_SGPR: 2
; COMPUTE_PGM_RSRC2:TRAP_HANDLER: 0
; COMPUTE_PGM_RSRC2:TGID_X_EN: 1
; COMPUTE_PGM_RSRC2:TGID_Y_EN: 0
; COMPUTE_PGM_RSRC2:TGID_Z_EN: 0
; COMPUTE_PGM_RSRC2:TIDIG_COMP_CNT: 0
	.section	.text._ZL20rocblas_gemvt_kernelILb1ELi256EPKDF16_PKfKPfEviiT2_lPKT1_lilS9_lilS6_lPT3_lili,"axG",@progbits,_ZL20rocblas_gemvt_kernelILb1ELi256EPKDF16_PKfKPfEviiT2_lPKT1_lilS9_lilS6_lPT3_lili,comdat
	.globl	_ZL20rocblas_gemvt_kernelILb1ELi256EPKDF16_PKfKPfEviiT2_lPKT1_lilS9_lilS6_lPT3_lili ; -- Begin function _ZL20rocblas_gemvt_kernelILb1ELi256EPKDF16_PKfKPfEviiT2_lPKT1_lilS9_lilS6_lPT3_lili
	.p2align	8
	.type	_ZL20rocblas_gemvt_kernelILb1ELi256EPKDF16_PKfKPfEviiT2_lPKT1_lilS9_lilS6_lPT3_lili,@function
_ZL20rocblas_gemvt_kernelILb1ELi256EPKDF16_PKfKPfEviiT2_lPKT1_lilS9_lilS6_lPT3_lili: ; @_ZL20rocblas_gemvt_kernelILb1ELi256EPKDF16_PKfKPfEviiT2_lPKT1_lilS9_lilS6_lPT3_lili
; %bb.0:
	s_load_b32 s11, s[0:1], 0x88
	s_lshr_b32 s34, ttmp7, 16
	s_wait_kmcnt 0x0
	s_cmp_ge_u32 s34, s11
	s_cbranch_scc1 .LBB534_45
; %bb.1:
	s_clause 0x6
	s_load_b32 s4, s[0:1], 0x28
	s_load_b32 s38, s[0:1], 0x48
	;; [unrolled: 1-line block ×4, first 2 shown]
	s_load_b128 s[28:31], s[0:1], 0x38
	s_load_b256 s[12:19], s[0:1], 0x8
	s_load_b256 s[20:27], s[0:1], 0x58
	s_mov_b32 s2, ttmp9
	s_ashr_i32 s3, ttmp9, 31
	v_cmp_eq_u32_e64 s0, 0, v0
	v_dual_mov_b32 v12, 0 :: v_dual_lshlrev_b32 v13, 2, v0
	v_cmp_gt_u32_e64 s1, 0x80, v0
	s_mov_b32 s35, 0
	s_wait_kmcnt 0x0
	s_ashr_i32 s5, s4, 31
	v_mad_co_i64_i32 v[1:2], null, s38, v0, 0
	s_ashr_i32 s9, s8, 31
	s_ashr_i32 s7, s6, 31
	s_lshr_b32 s9, s9, 24
	v_cmp_gt_i32_e32 vcc_lo, s8, v0
	s_add_co_i32 s9, s8, s9
	s_mul_u64 s[40:41], s[6:7], s[2:3]
	s_wait_alu 0xfffe
	s_and_b32 s36, s9, 0xffffff00
	s_mul_u64 s[42:43], s[4:5], s[2:3]
	v_or_b32_e32 v3, s36, v0
	v_cndmask_b32_e32 v5, 0, v0, vcc_lo
	s_ashr_i32 s39, s38, 31
	s_cmp_gt_i32 s8, 0xff
	v_cmp_gt_u32_e64 s3, 64, v0
	v_cmp_gt_i32_e64 s2, s8, v3
	v_mad_co_i64_i32 v[3:4], null, s38, v3, 0
	v_cmp_gt_u32_e64 s4, 32, v0
	v_cmp_gt_u32_e64 s5, 16, v0
	;; [unrolled: 1-line block ×5, first 2 shown]
	v_lshlrev_b64_e32 v[0:1], 1, v[1:2]
	v_lshlrev_b64_e32 v[2:3], 1, v[3:4]
	v_lshlrev_b32_e32 v14, 1, v5
	s_cselect_b32 s33, -1, 0
	s_ashr_i32 s37, s36, 31
	s_wait_alu 0xfffe
	s_lshl_b64 s[38:39], s[38:39], 9
	s_lshl_b64 s[18:19], s[18:19], 1
	;; [unrolled: 1-line block ×7, first 2 shown]
	s_branch .LBB534_4
.LBB534_2:                              ;   in Loop: Header=BB534_4 Depth=1
	s_or_b32 exec_lo, exec_lo, s10
.LBB534_3:                              ;   in Loop: Header=BB534_4 Depth=1
	s_add_co_i32 s34, s34, 0x10000
	s_delay_alu instid0(SALU_CYCLE_1)
	s_cmp_lt_u32 s34, s11
	s_cbranch_scc0 .LBB534_45
.LBB534_4:                              ; =>This Loop Header: Depth=1
                                        ;     Child Loop BB534_19 Depth 2
	s_mul_u64 s[46:47], s[14:15], s[34:35]
	s_mul_u64 s[48:49], s[22:23], s[34:35]
	s_lshl_b64 s[46:47], s[46:47], 2
	s_lshl_b64 s[48:49], s[48:49], 2
	s_add_nc_u64 s[46:47], s[12:13], s[46:47]
	s_add_nc_u64 s[48:49], s[20:21], s[48:49]
	s_clause 0x1
	global_load_b32 v15, v12, s[46:47]
	global_load_b32 v4, v12, s[48:49]
	s_wait_loadcnt 0x1
	v_cmp_eq_f32_e64 s9, 0, v15
	s_wait_loadcnt 0x0
	v_cmp_eq_f32_e32 vcc_lo, 1.0, v4
	v_readfirstlane_b32 s37, v4
	s_and_b32 s10, s9, vcc_lo
	s_delay_alu instid0(SALU_CYCLE_1)
	s_and_b32 vcc_lo, exec_lo, s10
	s_wait_alu 0xfffe
	s_cbranch_vccnz .LBB534_3
; %bb.5:                                ;   in Loop: Header=BB534_4 Depth=1
	v_mov_b32_e32 v4, 0
	v_dual_mov_b32 v5, 0 :: v_dual_mov_b32 v6, 0
	v_cmp_neq_f32_e64 s10, 0, v15
	v_mov_b32_e32 v7, 0
	s_and_b32 vcc_lo, exec_lo, s9
	s_wait_alu 0xfffe
	s_cbranch_vccnz .LBB534_7
; %bb.6:                                ;   in Loop: Header=BB534_4 Depth=1
	s_lshl_b64 s[46:47], s[34:35], 3
	s_delay_alu instid0(SALU_CYCLE_1)
	s_add_nc_u64 s[46:47], s[16:17], s[46:47]
	global_load_b64 v[6:7], v12, s[46:47]
	s_wait_loadcnt 0x0
	v_add_co_u32 v6, vcc_lo, v6, s18
	s_wait_alu 0xfffd
	v_add_co_ci_u32_e64 v7, null, s19, v7, vcc_lo
.LBB534_7:                              ;   in Loop: Header=BB534_4 Depth=1
	s_and_not1_b32 vcc_lo, exec_lo, s10
	s_wait_alu 0xfffe
	s_cbranch_vccnz .LBB534_9
; %bb.8:                                ;   in Loop: Header=BB534_4 Depth=1
	s_lshl_b64 s[46:47], s[34:35], 3
	s_delay_alu instid0(SALU_CYCLE_1)
	s_add_nc_u64 s[46:47], s[28:29], s[46:47]
	global_load_b64 v[4:5], v12, s[46:47]
	s_wait_loadcnt 0x0
	v_add_co_u32 v4, vcc_lo, v4, s30
	s_wait_alu 0xfffd
	v_add_co_ci_u32_e64 v5, null, s31, v5, vcc_lo
.LBB534_9:                              ;   in Loop: Header=BB534_4 Depth=1
	s_lshl_b64 s[46:47], s[34:35], 3
	s_delay_alu instid0(SALU_CYCLE_1)
	s_add_nc_u64 s[46:47], s[24:25], s[46:47]
	global_load_b64 v[8:9], v12, s[46:47]
	s_wait_loadcnt 0x0
	v_add_co_u32 v16, vcc_lo, v8, s26
	s_wait_alu 0xfffd
	v_add_co_ci_u32_e64 v17, null, s27, v9, vcc_lo
	s_and_not1_b32 vcc_lo, exec_lo, s9
	s_wait_alu 0xfffe
	s_cbranch_vccnz .LBB534_13
; %bb.10:                               ;   in Loop: Header=BB534_4 Depth=1
	s_mov_b32 s10, 0
	s_mov_b32 s9, 0
                                        ; implicit-def: $vgpr8
	s_and_saveexec_b32 s46, s0
	s_cbranch_execz .LBB534_14
; %bb.11:                               ;   in Loop: Header=BB534_4 Depth=1
	s_cmp_eq_f32 s37, 0
	s_cbranch_scc1 .LBB534_15
; %bb.12:                               ;   in Loop: Header=BB534_4 Depth=1
	v_add_co_u32 v8, vcc_lo, v16, s40
	s_wait_alu 0xfffd
	v_add_co_ci_u32_e64 v9, null, s41, v17, vcc_lo
	flat_load_b32 v8, v[8:9]
	s_wait_loadcnt_dscnt 0x0
	v_mul_f32_e32 v8, s37, v8
	s_branch .LBB534_16
.LBB534_13:                             ;   in Loop: Header=BB534_4 Depth=1
	s_mov_b32 s9, 0
                                        ; implicit-def: $vgpr8
	s_cbranch_execnz .LBB534_17
	s_branch .LBB534_43
.LBB534_14:                             ;   in Loop: Header=BB534_4 Depth=1
	s_or_b32 exec_lo, exec_lo, s46
	s_delay_alu instid0(SALU_CYCLE_1)
	s_and_b32 vcc_lo, exec_lo, s10
	s_wait_alu 0xfffe
	s_cbranch_vccnz .LBB534_17
	s_branch .LBB534_43
.LBB534_15:                             ;   in Loop: Header=BB534_4 Depth=1
	v_mov_b32_e32 v8, 0
.LBB534_16:                             ;   in Loop: Header=BB534_4 Depth=1
	s_mov_b32 s9, exec_lo
	s_or_b32 exec_lo, exec_lo, s46
	s_delay_alu instid0(SALU_CYCLE_1)
	s_and_b32 vcc_lo, exec_lo, s10
	s_wait_alu 0xfffe
	s_cbranch_vccz .LBB534_43
.LBB534_17:                             ;   in Loop: Header=BB534_4 Depth=1
	v_add_co_u32 v6, vcc_lo, v6, v14
	s_wait_alu 0xfffd
	v_add_co_ci_u32_e64 v7, null, 0, v7, vcc_lo
	v_mov_b32_e32 v18, 0
	s_delay_alu instid0(VALU_DEP_3) | instskip(SKIP_1) | instid1(VALU_DEP_3)
	v_add_co_u32 v6, vcc_lo, v6, s42
	s_wait_alu 0xfffd
	v_add_co_ci_u32_e64 v7, null, s43, v7, vcc_lo
	s_and_not1_b32 vcc_lo, exec_lo, s33
	s_wait_alu 0xfffe
	s_cbranch_vccnz .LBB534_20
; %bb.18:                               ;   in Loop: Header=BB534_4 Depth=1
	v_add_co_u32 v8, vcc_lo, v4, v0
	v_dual_mov_b32 v18, 0 :: v_dual_mov_b32 v11, v7
	s_wait_alu 0xfffd
	v_add_co_ci_u32_e64 v9, null, v5, v1, vcc_lo
	v_mov_b32_e32 v10, v6
	s_mov_b32 s10, 0
.LBB534_19:                             ;   Parent Loop BB534_4 Depth=1
                                        ; =>  This Inner Loop Header: Depth=2
	flat_load_u16 v19, v[10:11]
	flat_load_u16 v20, v[8:9]
	v_add_co_u32 v8, vcc_lo, v8, s38
	s_wait_alu 0xfffd
	v_add_co_ci_u32_e64 v9, null, s39, v9, vcc_lo
	v_add_co_u32 v10, vcc_lo, 0x200, v10
	s_wait_alu 0xfffd
	v_add_co_ci_u32_e64 v11, null, 0, v11, vcc_lo
	s_addk_co_i32 s10, 0x100
	s_delay_alu instid0(SALU_CYCLE_1) | instskip(SKIP_2) | instid1(VALU_DEP_1)
	s_cmp_ge_i32 s10, s36
	s_wait_loadcnt_dscnt 0x0
	v_mul_f16_e32 v19, v19, v20
	v_cvt_f32_f16_e32 v19, v19
	s_delay_alu instid0(VALU_DEP_1)
	v_add_f32_e32 v18, v18, v19
	s_cbranch_scc0 .LBB534_19
.LBB534_20:                             ;   in Loop: Header=BB534_4 Depth=1
	s_and_saveexec_b32 s10, s2
	s_cbranch_execz .LBB534_22
; %bb.21:                               ;   in Loop: Header=BB534_4 Depth=1
	v_add_co_u32 v6, vcc_lo, v6, s44
	s_wait_alu 0xfffd
	v_add_co_ci_u32_e64 v7, null, s45, v7, vcc_lo
	v_add_co_u32 v4, vcc_lo, v4, v2
	s_wait_alu 0xfffd
	v_add_co_ci_u32_e64 v5, null, v5, v3, vcc_lo
	flat_load_u16 v6, v[6:7]
	flat_load_u16 v4, v[4:5]
	s_wait_loadcnt_dscnt 0x0
	v_mul_f16_e32 v4, v6, v4
	s_delay_alu instid0(VALU_DEP_1) | instskip(NEXT) | instid1(VALU_DEP_1)
	v_cvt_f32_f16_e32 v4, v4
	v_add_f32_e32 v18, v18, v4
.LBB534_22:                             ;   in Loop: Header=BB534_4 Depth=1
	s_or_b32 exec_lo, exec_lo, s10
	ds_store_b32 v13, v18
	s_wait_dscnt 0x0
	s_barrier_signal -1
	s_barrier_wait -1
	global_inv scope:SCOPE_SE
	s_and_saveexec_b32 s10, s1
	s_cbranch_execz .LBB534_24
; %bb.23:                               ;   in Loop: Header=BB534_4 Depth=1
	ds_load_2addr_stride64_b32 v[4:5], v13 offset1:2
	s_wait_dscnt 0x0
	v_add_f32_e32 v4, v5, v4
	ds_store_b32 v13, v4
.LBB534_24:                             ;   in Loop: Header=BB534_4 Depth=1
	s_or_b32 exec_lo, exec_lo, s10
	s_wait_loadcnt_dscnt 0x0
	s_barrier_signal -1
	s_barrier_wait -1
	global_inv scope:SCOPE_SE
	s_and_saveexec_b32 s10, s3
	s_cbranch_execz .LBB534_26
; %bb.25:                               ;   in Loop: Header=BB534_4 Depth=1
	ds_load_2addr_stride64_b32 v[4:5], v13 offset1:1
	s_wait_dscnt 0x0
	v_add_f32_e32 v4, v5, v4
	ds_store_b32 v13, v4
.LBB534_26:                             ;   in Loop: Header=BB534_4 Depth=1
	s_or_b32 exec_lo, exec_lo, s10
	s_wait_loadcnt_dscnt 0x0
	s_barrier_signal -1
	s_barrier_wait -1
	global_inv scope:SCOPE_SE
	s_and_saveexec_b32 s10, s4
	s_cbranch_execz .LBB534_28
; %bb.27:                               ;   in Loop: Header=BB534_4 Depth=1
	ds_load_2addr_b32 v[4:5], v13 offset1:32
	s_wait_dscnt 0x0
	v_add_f32_e32 v4, v5, v4
	ds_store_b32 v13, v4
.LBB534_28:                             ;   in Loop: Header=BB534_4 Depth=1
	s_or_b32 exec_lo, exec_lo, s10
	s_wait_loadcnt_dscnt 0x0
	s_barrier_signal -1
	s_barrier_wait -1
	global_inv scope:SCOPE_SE
	s_and_saveexec_b32 s10, s5
	s_cbranch_execz .LBB534_30
; %bb.29:                               ;   in Loop: Header=BB534_4 Depth=1
	ds_load_2addr_b32 v[4:5], v13 offset1:16
	s_wait_dscnt 0x0
	v_add_f32_e32 v4, v5, v4
	ds_store_b32 v13, v4
.LBB534_30:                             ;   in Loop: Header=BB534_4 Depth=1
	;; [unrolled: 13-line block ×5, first 2 shown]
	s_or_b32 exec_lo, exec_lo, s10
	s_wait_loadcnt_dscnt 0x0
	s_barrier_signal -1
	s_barrier_wait -1
	global_inv scope:SCOPE_SE
	s_and_saveexec_b32 s10, s0
	s_cbranch_execz .LBB534_38
; %bb.37:                               ;   in Loop: Header=BB534_4 Depth=1
	ds_load_b64 v[4:5], v12
	s_wait_dscnt 0x0
	v_add_f32_e32 v4, v5, v4
	ds_store_b32 v12, v4
.LBB534_38:                             ;   in Loop: Header=BB534_4 Depth=1
	s_or_b32 exec_lo, exec_lo, s10
	s_wait_loadcnt_dscnt 0x0
	s_barrier_signal -1
	s_barrier_wait -1
	global_inv scope:SCOPE_SE
                                        ; implicit-def: $vgpr8
	s_and_saveexec_b32 s10, s0
	s_cbranch_execz .LBB534_42
; %bb.39:                               ;   in Loop: Header=BB534_4 Depth=1
	ds_load_b32 v4, v12
	s_cmp_eq_f32 s37, 0
	s_wait_dscnt 0x0
	v_mul_f32_e32 v8, v15, v4
	s_cbranch_scc1 .LBB534_41
; %bb.40:                               ;   in Loop: Header=BB534_4 Depth=1
	v_add_co_u32 v4, vcc_lo, v16, s40
	s_wait_alu 0xfffd
	v_add_co_ci_u32_e64 v5, null, s41, v17, vcc_lo
	flat_load_b32 v4, v[4:5]
	s_wait_loadcnt_dscnt 0x0
	v_fmac_f32_e32 v8, s37, v4
.LBB534_41:                             ;   in Loop: Header=BB534_4 Depth=1
	s_or_b32 s9, s9, exec_lo
.LBB534_42:                             ;   in Loop: Header=BB534_4 Depth=1
	s_or_b32 exec_lo, exec_lo, s10
.LBB534_43:                             ;   in Loop: Header=BB534_4 Depth=1
	s_wait_alu 0xfffe
	s_and_saveexec_b32 s10, s9
	s_cbranch_execz .LBB534_2
; %bb.44:                               ;   in Loop: Header=BB534_4 Depth=1
	v_add_co_u32 v4, vcc_lo, v16, s40
	s_wait_alu 0xfffd
	v_add_co_ci_u32_e64 v5, null, s41, v17, vcc_lo
	flat_store_b32 v[4:5], v8
	s_branch .LBB534_2
.LBB534_45:
	s_endpgm
	.section	.rodata,"a",@progbits
	.p2align	6, 0x0
	.amdhsa_kernel _ZL20rocblas_gemvt_kernelILb1ELi256EPKDF16_PKfKPfEviiT2_lPKT1_lilS9_lilS6_lPT3_lili
		.amdhsa_group_segment_fixed_size 1024
		.amdhsa_private_segment_fixed_size 0
		.amdhsa_kernarg_size 140
		.amdhsa_user_sgpr_count 2
		.amdhsa_user_sgpr_dispatch_ptr 0
		.amdhsa_user_sgpr_queue_ptr 0
		.amdhsa_user_sgpr_kernarg_segment_ptr 1
		.amdhsa_user_sgpr_dispatch_id 0
		.amdhsa_user_sgpr_private_segment_size 0
		.amdhsa_wavefront_size32 1
		.amdhsa_uses_dynamic_stack 0
		.amdhsa_enable_private_segment 0
		.amdhsa_system_sgpr_workgroup_id_x 1
		.amdhsa_system_sgpr_workgroup_id_y 0
		.amdhsa_system_sgpr_workgroup_id_z 1
		.amdhsa_system_sgpr_workgroup_info 0
		.amdhsa_system_vgpr_workitem_id 0
		.amdhsa_next_free_vgpr 21
		.amdhsa_next_free_sgpr 50
		.amdhsa_reserve_vcc 1
		.amdhsa_float_round_mode_32 0
		.amdhsa_float_round_mode_16_64 0
		.amdhsa_float_denorm_mode_32 3
		.amdhsa_float_denorm_mode_16_64 3
		.amdhsa_fp16_overflow 0
		.amdhsa_workgroup_processor_mode 1
		.amdhsa_memory_ordered 1
		.amdhsa_forward_progress 1
		.amdhsa_inst_pref_size 14
		.amdhsa_round_robin_scheduling 0
		.amdhsa_exception_fp_ieee_invalid_op 0
		.amdhsa_exception_fp_denorm_src 0
		.amdhsa_exception_fp_ieee_div_zero 0
		.amdhsa_exception_fp_ieee_overflow 0
		.amdhsa_exception_fp_ieee_underflow 0
		.amdhsa_exception_fp_ieee_inexact 0
		.amdhsa_exception_int_div_zero 0
	.end_amdhsa_kernel
	.section	.text._ZL20rocblas_gemvt_kernelILb1ELi256EPKDF16_PKfKPfEviiT2_lPKT1_lilS9_lilS6_lPT3_lili,"axG",@progbits,_ZL20rocblas_gemvt_kernelILb1ELi256EPKDF16_PKfKPfEviiT2_lPKT1_lilS9_lilS6_lPT3_lili,comdat
.Lfunc_end534:
	.size	_ZL20rocblas_gemvt_kernelILb1ELi256EPKDF16_PKfKPfEviiT2_lPKT1_lilS9_lilS6_lPT3_lili, .Lfunc_end534-_ZL20rocblas_gemvt_kernelILb1ELi256EPKDF16_PKfKPfEviiT2_lPKT1_lilS9_lilS6_lPT3_lili
                                        ; -- End function
	.set _ZL20rocblas_gemvt_kernelILb1ELi256EPKDF16_PKfKPfEviiT2_lPKT1_lilS9_lilS6_lPT3_lili.num_vgpr, 21
	.set _ZL20rocblas_gemvt_kernelILb1ELi256EPKDF16_PKfKPfEviiT2_lPKT1_lilS9_lilS6_lPT3_lili.num_agpr, 0
	.set _ZL20rocblas_gemvt_kernelILb1ELi256EPKDF16_PKfKPfEviiT2_lPKT1_lilS9_lilS6_lPT3_lili.numbered_sgpr, 50
	.set _ZL20rocblas_gemvt_kernelILb1ELi256EPKDF16_PKfKPfEviiT2_lPKT1_lilS9_lilS6_lPT3_lili.num_named_barrier, 0
	.set _ZL20rocblas_gemvt_kernelILb1ELi256EPKDF16_PKfKPfEviiT2_lPKT1_lilS9_lilS6_lPT3_lili.private_seg_size, 0
	.set _ZL20rocblas_gemvt_kernelILb1ELi256EPKDF16_PKfKPfEviiT2_lPKT1_lilS9_lilS6_lPT3_lili.uses_vcc, 1
	.set _ZL20rocblas_gemvt_kernelILb1ELi256EPKDF16_PKfKPfEviiT2_lPKT1_lilS9_lilS6_lPT3_lili.uses_flat_scratch, 0
	.set _ZL20rocblas_gemvt_kernelILb1ELi256EPKDF16_PKfKPfEviiT2_lPKT1_lilS9_lilS6_lPT3_lili.has_dyn_sized_stack, 0
	.set _ZL20rocblas_gemvt_kernelILb1ELi256EPKDF16_PKfKPfEviiT2_lPKT1_lilS9_lilS6_lPT3_lili.has_recursion, 0
	.set _ZL20rocblas_gemvt_kernelILb1ELi256EPKDF16_PKfKPfEviiT2_lPKT1_lilS9_lilS6_lPT3_lili.has_indirect_call, 0
	.section	.AMDGPU.csdata,"",@progbits
; Kernel info:
; codeLenInByte = 1716
; TotalNumSgprs: 52
; NumVgprs: 21
; ScratchSize: 0
; MemoryBound: 0
; FloatMode: 240
; IeeeMode: 1
; LDSByteSize: 1024 bytes/workgroup (compile time only)
; SGPRBlocks: 0
; VGPRBlocks: 2
; NumSGPRsForWavesPerEU: 52
; NumVGPRsForWavesPerEU: 21
; Occupancy: 16
; WaveLimiterHint : 1
; COMPUTE_PGM_RSRC2:SCRATCH_EN: 0
; COMPUTE_PGM_RSRC2:USER_SGPR: 2
; COMPUTE_PGM_RSRC2:TRAP_HANDLER: 0
; COMPUTE_PGM_RSRC2:TGID_X_EN: 1
; COMPUTE_PGM_RSRC2:TGID_Y_EN: 0
; COMPUTE_PGM_RSRC2:TGID_Z_EN: 1
; COMPUTE_PGM_RSRC2:TIDIG_COMP_CNT: 0
	.section	.text._ZL20rocblas_gemvt_kernelILb1ELi256EPKDF16_fKPfEviiT2_lPKT1_lilS7_lilS4_lPT3_lili,"axG",@progbits,_ZL20rocblas_gemvt_kernelILb1ELi256EPKDF16_fKPfEviiT2_lPKT1_lilS7_lilS4_lPT3_lili,comdat
	.globl	_ZL20rocblas_gemvt_kernelILb1ELi256EPKDF16_fKPfEviiT2_lPKT1_lilS7_lilS4_lPT3_lili ; -- Begin function _ZL20rocblas_gemvt_kernelILb1ELi256EPKDF16_fKPfEviiT2_lPKT1_lilS7_lilS4_lPT3_lili
	.p2align	8
	.type	_ZL20rocblas_gemvt_kernelILb1ELi256EPKDF16_fKPfEviiT2_lPKT1_lilS7_lilS4_lPT3_lili,@function
_ZL20rocblas_gemvt_kernelILb1ELi256EPKDF16_fKPfEviiT2_lPKT1_lilS7_lilS4_lPT3_lili: ; @_ZL20rocblas_gemvt_kernelILb1ELi256EPKDF16_fKPfEviiT2_lPKT1_lilS7_lilS4_lPT3_lili
; %bb.0:
	s_load_b32 s33, s[0:1], 0x88
	s_lshr_b32 s10, ttmp7, 16
	s_wait_kmcnt 0x0
	s_cmp_ge_u32 s10, s33
	s_cbranch_scc1 .LBB535_48
; %bb.1:
	s_clause 0x8
	s_load_b32 s26, s[0:1], 0x28
	s_load_b32 s28, s[0:1], 0x48
	;; [unrolled: 1-line block ×6, first 2 shown]
	s_load_b128 s[12:15], s[0:1], 0x18
	s_load_b128 s[16:19], s[0:1], 0x38
	;; [unrolled: 1-line block ×3, first 2 shown]
	v_cmp_eq_u32_e64 s0, 0, v0
	v_dual_mov_b32 v13, 0 :: v_dual_lshlrev_b32 v14, 2, v0
	v_cmp_gt_u32_e64 s1, 0x80, v0
	v_cmp_gt_u32_e64 s2, 64, v0
	;; [unrolled: 1-line block ×5, first 2 shown]
	s_mov_b32 s8, ttmp9
	s_mov_b32 s11, 0
	s_wait_kmcnt 0x0
	s_ashr_i32 s27, s26, 31
	s_ashr_i32 s29, s28, 31
	;; [unrolled: 1-line block ×3, first 2 shown]
	s_cmp_eq_f32 s36, 0
	v_mad_co_i64_i32 v[1:2], null, s28, v0, 0
	v_cmp_gt_i32_e32 vcc_lo, s41, v0
	s_cselect_b32 s38, -1, 0
	s_cmp_neq_f32 s37, 1.0
	v_cndmask_b32_e32 v5, 0, v0, vcc_lo
	s_cselect_b32 s6, -1, 0
	s_cmp_neq_f32 s36, 0
	s_delay_alu instid0(VALU_DEP_3) | instskip(SKIP_1) | instid1(SALU_CYCLE_1)
	v_lshlrev_b64_e32 v[1:2], 1, v[1:2]
	s_cselect_b32 s7, -1, 0
	s_or_b32 s39, s7, s6
	s_cmp_neq_f32 s37, 0
	v_cndmask_b32_e64 v15, 0, 1, s7
	v_cmp_gt_u32_e64 s6, 4, v0
	v_cmp_gt_u32_e64 s7, 2, v0
	s_cselect_b32 s40, -1, 0
	s_ashr_i32 s9, s41, 31
	s_delay_alu instid0(SALU_CYCLE_1) | instskip(NEXT) | instid1(SALU_CYCLE_1)
	s_lshr_b32 s9, s9, 24
	s_add_co_i32 s24, s41, s9
	s_ashr_i32 s9, ttmp9, 31
	s_and_b32 s24, s24, 0xffffff00
	s_cmp_gt_i32 s41, 0xff
	v_or_b32_e32 v0, s24, v0
	s_mul_u64 s[30:31], s[30:31], s[8:9]
	s_mul_u64 s[34:35], s[26:27], s[8:9]
	s_cselect_b32 s9, -1, 0
	s_ashr_i32 s25, s24, 31
	v_mad_co_i64_i32 v[3:4], null, s28, v0, 0
	v_cmp_gt_i32_e64 s8, s41, v0
	v_lshlrev_b32_e32 v0, 1, v5
	s_lshl_b64 s[26:27], s[28:29], 9
	s_lshl_b64 s[14:15], s[14:15], 1
	;; [unrolled: 1-line block ×4, first 2 shown]
	v_lshlrev_b64_e32 v[3:4], 1, v[3:4]
	s_lshl_b64 s[28:29], s[30:31], 2
	s_lshl_b64 s[30:31], s[34:35], 1
	s_wait_alu 0xfffe
	s_lshl_b64 s[34:35], s[24:25], 1
	s_branch .LBB535_4
.LBB535_2:                              ;   in Loop: Header=BB535_4 Depth=1
	s_wait_alu 0xfffe
	s_or_b32 exec_lo, exec_lo, s41
.LBB535_3:                              ;   in Loop: Header=BB535_4 Depth=1
	s_add_co_i32 s10, s10, 0x10000
	s_delay_alu instid0(SALU_CYCLE_1)
	s_cmp_lt_u32 s10, s33
	s_cbranch_scc0 .LBB535_48
.LBB535_4:                              ; =>This Loop Header: Depth=1
                                        ;     Child Loop BB535_22 Depth 2
	s_and_not1_b32 vcc_lo, exec_lo, s39
	s_wait_alu 0xfffe
	s_cbranch_vccnz .LBB535_3
; %bb.5:                                ;   in Loop: Header=BB535_4 Depth=1
	s_and_not1_b32 vcc_lo, exec_lo, s38
	s_wait_alu 0xfffe
	s_cbranch_vccnz .LBB535_7
; %bb.6:                                ;   in Loop: Header=BB535_4 Depth=1
	s_mov_b32 s25, 0
	s_branch .LBB535_8
.LBB535_7:                              ;   in Loop: Header=BB535_4 Depth=1
	s_mov_b32 s25, -1
.LBB535_8:                              ;   in Loop: Header=BB535_4 Depth=1
	v_mov_b32_e32 v5, 0
	v_dual_mov_b32 v6, 0 :: v_dual_mov_b32 v7, 0
	v_mov_b32_e32 v8, 0
	s_wait_alu 0xfffe
	s_and_not1_b32 vcc_lo, exec_lo, s25
	s_wait_alu 0xfffe
	s_cbranch_vccnz .LBB535_10
; %bb.9:                                ;   in Loop: Header=BB535_4 Depth=1
	s_lshl_b64 s[42:43], s[10:11], 3
	s_delay_alu instid0(SALU_CYCLE_1)
	s_add_nc_u64 s[42:43], s[12:13], s[42:43]
	global_load_b64 v[7:8], v13, s[42:43]
	s_wait_loadcnt 0x0
	v_add_co_u32 v7, vcc_lo, v7, s14
	s_wait_alu 0xfffd
	v_add_co_ci_u32_e64 v8, null, s15, v8, vcc_lo
.LBB535_10:                             ;   in Loop: Header=BB535_4 Depth=1
	v_cmp_ne_u32_e32 vcc_lo, 1, v15
	s_cbranch_vccnz .LBB535_12
; %bb.11:                               ;   in Loop: Header=BB535_4 Depth=1
	s_lshl_b64 s[42:43], s[10:11], 3
	s_delay_alu instid0(SALU_CYCLE_1)
	s_add_nc_u64 s[42:43], s[16:17], s[42:43]
	global_load_b64 v[5:6], v13, s[42:43]
	s_wait_loadcnt 0x0
	v_add_co_u32 v5, vcc_lo, v5, s18
	s_wait_alu 0xfffd
	v_add_co_ci_u32_e64 v6, null, s19, v6, vcc_lo
.LBB535_12:                             ;   in Loop: Header=BB535_4 Depth=1
	s_lshl_b64 s[42:43], s[10:11], 3
	s_delay_alu instid0(SALU_CYCLE_1)
	s_add_nc_u64 s[42:43], s[20:21], s[42:43]
	global_load_b64 v[9:10], v13, s[42:43]
	s_wait_loadcnt 0x0
	v_add_co_u32 v16, vcc_lo, v9, s22
	s_wait_alu 0xfffd
	v_add_co_ci_u32_e64 v17, null, s23, v10, vcc_lo
	s_and_not1_b32 vcc_lo, exec_lo, s38
	s_wait_alu 0xfffe
	s_cbranch_vccnz .LBB535_16
; %bb.13:                               ;   in Loop: Header=BB535_4 Depth=1
	s_mov_b32 s41, 0
	s_mov_b32 s25, 0
                                        ; implicit-def: $vgpr9
	s_and_saveexec_b32 s42, s0
	s_cbranch_execz .LBB535_17
; %bb.14:                               ;   in Loop: Header=BB535_4 Depth=1
	s_and_not1_b32 vcc_lo, exec_lo, s40
	s_wait_alu 0xfffe
	s_cbranch_vccnz .LBB535_18
; %bb.15:                               ;   in Loop: Header=BB535_4 Depth=1
	v_add_co_u32 v9, vcc_lo, v16, s28
	s_wait_alu 0xfffd
	v_add_co_ci_u32_e64 v10, null, s29, v17, vcc_lo
	flat_load_b32 v9, v[9:10]
	s_wait_loadcnt_dscnt 0x0
	v_mul_f32_e32 v9, s37, v9
	s_branch .LBB535_19
.LBB535_16:                             ;   in Loop: Header=BB535_4 Depth=1
	s_mov_b32 s25, 0
                                        ; implicit-def: $vgpr9
	s_cbranch_execnz .LBB535_20
	s_branch .LBB535_46
.LBB535_17:                             ;   in Loop: Header=BB535_4 Depth=1
	s_or_b32 exec_lo, exec_lo, s42
	s_wait_alu 0xfffe
	s_and_b32 vcc_lo, exec_lo, s41
	s_wait_alu 0xfffe
	s_cbranch_vccnz .LBB535_20
	s_branch .LBB535_46
.LBB535_18:                             ;   in Loop: Header=BB535_4 Depth=1
	v_mov_b32_e32 v9, 0
.LBB535_19:                             ;   in Loop: Header=BB535_4 Depth=1
	s_mov_b32 s25, exec_lo
	s_or_b32 exec_lo, exec_lo, s42
	s_delay_alu instid0(SALU_CYCLE_1)
	s_and_b32 vcc_lo, exec_lo, s41
	s_wait_alu 0xfffe
	s_cbranch_vccz .LBB535_46
.LBB535_20:                             ;   in Loop: Header=BB535_4 Depth=1
	v_add_co_u32 v7, vcc_lo, v7, v0
	s_wait_alu 0xfffd
	v_add_co_ci_u32_e64 v8, null, 0, v8, vcc_lo
	v_mov_b32_e32 v18, 0
	s_delay_alu instid0(VALU_DEP_3) | instskip(SKIP_1) | instid1(VALU_DEP_3)
	v_add_co_u32 v7, vcc_lo, v7, s30
	s_wait_alu 0xfffd
	v_add_co_ci_u32_e64 v8, null, s31, v8, vcc_lo
	s_and_not1_b32 vcc_lo, exec_lo, s9
	s_wait_alu 0xfffe
	s_cbranch_vccnz .LBB535_23
; %bb.21:                               ;   in Loop: Header=BB535_4 Depth=1
	v_add_co_u32 v9, vcc_lo, v5, v1
	v_mov_b32_e32 v12, v8
	s_wait_alu 0xfffd
	v_add_co_ci_u32_e64 v10, null, v6, v2, vcc_lo
	v_dual_mov_b32 v18, 0 :: v_dual_mov_b32 v11, v7
	s_mov_b32 s41, 0
.LBB535_22:                             ;   Parent Loop BB535_4 Depth=1
                                        ; =>  This Inner Loop Header: Depth=2
	flat_load_u16 v19, v[11:12]
	flat_load_u16 v20, v[9:10]
	v_add_co_u32 v9, vcc_lo, v9, s26
	s_wait_alu 0xfffd
	v_add_co_ci_u32_e64 v10, null, s27, v10, vcc_lo
	v_add_co_u32 v11, vcc_lo, 0x200, v11
	s_wait_alu 0xfffd
	v_add_co_ci_u32_e64 v12, null, 0, v12, vcc_lo
	s_wait_alu 0xfffe
	s_addk_co_i32 s41, 0x100
	s_wait_alu 0xfffe
	s_cmp_ge_i32 s41, s24
	s_wait_loadcnt_dscnt 0x0
	v_mul_f16_e32 v19, v19, v20
	s_delay_alu instid0(VALU_DEP_1) | instskip(NEXT) | instid1(VALU_DEP_1)
	v_cvt_f32_f16_e32 v19, v19
	v_add_f32_e32 v18, v18, v19
	s_cbranch_scc0 .LBB535_22
.LBB535_23:                             ;   in Loop: Header=BB535_4 Depth=1
	s_and_saveexec_b32 s41, s8
	s_cbranch_execz .LBB535_25
; %bb.24:                               ;   in Loop: Header=BB535_4 Depth=1
	v_add_co_u32 v7, vcc_lo, v7, s34
	s_wait_alu 0xfffd
	v_add_co_ci_u32_e64 v8, null, s35, v8, vcc_lo
	v_add_co_u32 v5, vcc_lo, v5, v3
	s_wait_alu 0xfffd
	v_add_co_ci_u32_e64 v6, null, v6, v4, vcc_lo
	flat_load_u16 v7, v[7:8]
	flat_load_u16 v5, v[5:6]
	s_wait_loadcnt_dscnt 0x0
	v_mul_f16_e32 v5, v7, v5
	s_delay_alu instid0(VALU_DEP_1) | instskip(NEXT) | instid1(VALU_DEP_1)
	v_cvt_f32_f16_e32 v5, v5
	v_add_f32_e32 v18, v18, v5
.LBB535_25:                             ;   in Loop: Header=BB535_4 Depth=1
	s_wait_alu 0xfffe
	s_or_b32 exec_lo, exec_lo, s41
	ds_store_b32 v14, v18
	s_wait_dscnt 0x0
	s_barrier_signal -1
	s_barrier_wait -1
	global_inv scope:SCOPE_SE
	s_and_saveexec_b32 s41, s1
	s_cbranch_execz .LBB535_27
; %bb.26:                               ;   in Loop: Header=BB535_4 Depth=1
	ds_load_2addr_stride64_b32 v[5:6], v14 offset1:2
	s_wait_dscnt 0x0
	v_add_f32_e32 v5, v6, v5
	ds_store_b32 v14, v5
.LBB535_27:                             ;   in Loop: Header=BB535_4 Depth=1
	s_wait_alu 0xfffe
	s_or_b32 exec_lo, exec_lo, s41
	s_wait_loadcnt_dscnt 0x0
	s_barrier_signal -1
	s_barrier_wait -1
	global_inv scope:SCOPE_SE
	s_and_saveexec_b32 s41, s2
	s_cbranch_execz .LBB535_29
; %bb.28:                               ;   in Loop: Header=BB535_4 Depth=1
	ds_load_2addr_stride64_b32 v[5:6], v14 offset1:1
	s_wait_dscnt 0x0
	v_add_f32_e32 v5, v6, v5
	ds_store_b32 v14, v5
.LBB535_29:                             ;   in Loop: Header=BB535_4 Depth=1
	s_wait_alu 0xfffe
	s_or_b32 exec_lo, exec_lo, s41
	s_wait_loadcnt_dscnt 0x0
	s_barrier_signal -1
	s_barrier_wait -1
	global_inv scope:SCOPE_SE
	s_and_saveexec_b32 s41, s3
	s_cbranch_execz .LBB535_31
; %bb.30:                               ;   in Loop: Header=BB535_4 Depth=1
	ds_load_2addr_b32 v[5:6], v14 offset1:32
	s_wait_dscnt 0x0
	v_add_f32_e32 v5, v6, v5
	ds_store_b32 v14, v5
.LBB535_31:                             ;   in Loop: Header=BB535_4 Depth=1
	s_wait_alu 0xfffe
	s_or_b32 exec_lo, exec_lo, s41
	s_wait_loadcnt_dscnt 0x0
	s_barrier_signal -1
	s_barrier_wait -1
	global_inv scope:SCOPE_SE
	s_and_saveexec_b32 s41, s4
	s_cbranch_execz .LBB535_33
; %bb.32:                               ;   in Loop: Header=BB535_4 Depth=1
	ds_load_2addr_b32 v[5:6], v14 offset1:16
	s_wait_dscnt 0x0
	v_add_f32_e32 v5, v6, v5
	ds_store_b32 v14, v5
.LBB535_33:                             ;   in Loop: Header=BB535_4 Depth=1
	;; [unrolled: 14-line block ×5, first 2 shown]
	s_wait_alu 0xfffe
	s_or_b32 exec_lo, exec_lo, s41
	s_wait_loadcnt_dscnt 0x0
	s_barrier_signal -1
	s_barrier_wait -1
	global_inv scope:SCOPE_SE
	s_and_saveexec_b32 s41, s0
	s_cbranch_execz .LBB535_41
; %bb.40:                               ;   in Loop: Header=BB535_4 Depth=1
	ds_load_b64 v[5:6], v13
	s_wait_dscnt 0x0
	v_add_f32_e32 v5, v6, v5
	ds_store_b32 v13, v5
.LBB535_41:                             ;   in Loop: Header=BB535_4 Depth=1
	s_wait_alu 0xfffe
	s_or_b32 exec_lo, exec_lo, s41
	s_wait_loadcnt_dscnt 0x0
	s_barrier_signal -1
	s_barrier_wait -1
	global_inv scope:SCOPE_SE
                                        ; implicit-def: $vgpr9
	s_and_saveexec_b32 s41, s0
	s_cbranch_execz .LBB535_45
; %bb.42:                               ;   in Loop: Header=BB535_4 Depth=1
	ds_load_b32 v5, v13
	s_and_not1_b32 vcc_lo, exec_lo, s40
	s_wait_dscnt 0x0
	v_mul_f32_e32 v9, s36, v5
	s_wait_alu 0xfffe
	s_cbranch_vccnz .LBB535_44
; %bb.43:                               ;   in Loop: Header=BB535_4 Depth=1
	v_add_co_u32 v5, vcc_lo, v16, s28
	s_wait_alu 0xfffd
	v_add_co_ci_u32_e64 v6, null, s29, v17, vcc_lo
	flat_load_b32 v5, v[5:6]
	s_wait_loadcnt_dscnt 0x0
	v_fmac_f32_e32 v9, s37, v5
.LBB535_44:                             ;   in Loop: Header=BB535_4 Depth=1
	s_or_b32 s25, s25, exec_lo
.LBB535_45:                             ;   in Loop: Header=BB535_4 Depth=1
	s_wait_alu 0xfffe
	s_or_b32 exec_lo, exec_lo, s41
.LBB535_46:                             ;   in Loop: Header=BB535_4 Depth=1
	s_wait_alu 0xfffe
	s_and_saveexec_b32 s41, s25
	s_cbranch_execz .LBB535_2
; %bb.47:                               ;   in Loop: Header=BB535_4 Depth=1
	v_add_co_u32 v5, vcc_lo, v16, s28
	s_wait_alu 0xfffd
	v_add_co_ci_u32_e64 v6, null, s29, v17, vcc_lo
	flat_store_b32 v[5:6], v9
	s_branch .LBB535_2
.LBB535_48:
	s_endpgm
	.section	.rodata,"a",@progbits
	.p2align	6, 0x0
	.amdhsa_kernel _ZL20rocblas_gemvt_kernelILb1ELi256EPKDF16_fKPfEviiT2_lPKT1_lilS7_lilS4_lPT3_lili
		.amdhsa_group_segment_fixed_size 1024
		.amdhsa_private_segment_fixed_size 0
		.amdhsa_kernarg_size 140
		.amdhsa_user_sgpr_count 2
		.amdhsa_user_sgpr_dispatch_ptr 0
		.amdhsa_user_sgpr_queue_ptr 0
		.amdhsa_user_sgpr_kernarg_segment_ptr 1
		.amdhsa_user_sgpr_dispatch_id 0
		.amdhsa_user_sgpr_private_segment_size 0
		.amdhsa_wavefront_size32 1
		.amdhsa_uses_dynamic_stack 0
		.amdhsa_enable_private_segment 0
		.amdhsa_system_sgpr_workgroup_id_x 1
		.amdhsa_system_sgpr_workgroup_id_y 0
		.amdhsa_system_sgpr_workgroup_id_z 1
		.amdhsa_system_sgpr_workgroup_info 0
		.amdhsa_system_vgpr_workitem_id 0
		.amdhsa_next_free_vgpr 21
		.amdhsa_next_free_sgpr 44
		.amdhsa_reserve_vcc 1
		.amdhsa_float_round_mode_32 0
		.amdhsa_float_round_mode_16_64 0
		.amdhsa_float_denorm_mode_32 3
		.amdhsa_float_denorm_mode_16_64 3
		.amdhsa_fp16_overflow 0
		.amdhsa_workgroup_processor_mode 1
		.amdhsa_memory_ordered 1
		.amdhsa_forward_progress 1
		.amdhsa_inst_pref_size 14
		.amdhsa_round_robin_scheduling 0
		.amdhsa_exception_fp_ieee_invalid_op 0
		.amdhsa_exception_fp_denorm_src 0
		.amdhsa_exception_fp_ieee_div_zero 0
		.amdhsa_exception_fp_ieee_overflow 0
		.amdhsa_exception_fp_ieee_underflow 0
		.amdhsa_exception_fp_ieee_inexact 0
		.amdhsa_exception_int_div_zero 0
	.end_amdhsa_kernel
	.section	.text._ZL20rocblas_gemvt_kernelILb1ELi256EPKDF16_fKPfEviiT2_lPKT1_lilS7_lilS4_lPT3_lili,"axG",@progbits,_ZL20rocblas_gemvt_kernelILb1ELi256EPKDF16_fKPfEviiT2_lPKT1_lilS7_lilS4_lPT3_lili,comdat
.Lfunc_end535:
	.size	_ZL20rocblas_gemvt_kernelILb1ELi256EPKDF16_fKPfEviiT2_lPKT1_lilS7_lilS4_lPT3_lili, .Lfunc_end535-_ZL20rocblas_gemvt_kernelILb1ELi256EPKDF16_fKPfEviiT2_lPKT1_lilS7_lilS4_lPT3_lili
                                        ; -- End function
	.set _ZL20rocblas_gemvt_kernelILb1ELi256EPKDF16_fKPfEviiT2_lPKT1_lilS7_lilS4_lPT3_lili.num_vgpr, 21
	.set _ZL20rocblas_gemvt_kernelILb1ELi256EPKDF16_fKPfEviiT2_lPKT1_lilS7_lilS4_lPT3_lili.num_agpr, 0
	.set _ZL20rocblas_gemvt_kernelILb1ELi256EPKDF16_fKPfEviiT2_lPKT1_lilS7_lilS4_lPT3_lili.numbered_sgpr, 44
	.set _ZL20rocblas_gemvt_kernelILb1ELi256EPKDF16_fKPfEviiT2_lPKT1_lilS7_lilS4_lPT3_lili.num_named_barrier, 0
	.set _ZL20rocblas_gemvt_kernelILb1ELi256EPKDF16_fKPfEviiT2_lPKT1_lilS7_lilS4_lPT3_lili.private_seg_size, 0
	.set _ZL20rocblas_gemvt_kernelILb1ELi256EPKDF16_fKPfEviiT2_lPKT1_lilS7_lilS4_lPT3_lili.uses_vcc, 1
	.set _ZL20rocblas_gemvt_kernelILb1ELi256EPKDF16_fKPfEviiT2_lPKT1_lilS7_lilS4_lPT3_lili.uses_flat_scratch, 0
	.set _ZL20rocblas_gemvt_kernelILb1ELi256EPKDF16_fKPfEviiT2_lPKT1_lilS7_lilS4_lPT3_lili.has_dyn_sized_stack, 0
	.set _ZL20rocblas_gemvt_kernelILb1ELi256EPKDF16_fKPfEviiT2_lPKT1_lilS7_lilS4_lPT3_lili.has_recursion, 0
	.set _ZL20rocblas_gemvt_kernelILb1ELi256EPKDF16_fKPfEviiT2_lPKT1_lilS7_lilS4_lPT3_lili.has_indirect_call, 0
	.section	.AMDGPU.csdata,"",@progbits
; Kernel info:
; codeLenInByte = 1768
; TotalNumSgprs: 46
; NumVgprs: 21
; ScratchSize: 0
; MemoryBound: 0
; FloatMode: 240
; IeeeMode: 1
; LDSByteSize: 1024 bytes/workgroup (compile time only)
; SGPRBlocks: 0
; VGPRBlocks: 2
; NumSGPRsForWavesPerEU: 46
; NumVGPRsForWavesPerEU: 21
; Occupancy: 16
; WaveLimiterHint : 1
; COMPUTE_PGM_RSRC2:SCRATCH_EN: 0
; COMPUTE_PGM_RSRC2:USER_SGPR: 2
; COMPUTE_PGM_RSRC2:TRAP_HANDLER: 0
; COMPUTE_PGM_RSRC2:TGID_X_EN: 1
; COMPUTE_PGM_RSRC2:TGID_Y_EN: 0
; COMPUTE_PGM_RSRC2:TGID_Z_EN: 1
; COMPUTE_PGM_RSRC2:TIDIG_COMP_CNT: 0
	.section	.text._ZL32rocblas_gemvt_warp_reduce_kernelILb1ELi1024EiPKDF16_PKfKPfEviiT3_lPKT2_lT1_lS9_lSA_lS6_lPT4_lSA_li,"axG",@progbits,_ZL32rocblas_gemvt_warp_reduce_kernelILb1ELi1024EiPKDF16_PKfKPfEviiT3_lPKT2_lT1_lS9_lSA_lS6_lPT4_lSA_li,comdat
	.globl	_ZL32rocblas_gemvt_warp_reduce_kernelILb1ELi1024EiPKDF16_PKfKPfEviiT3_lPKT2_lT1_lS9_lSA_lS6_lPT4_lSA_li ; -- Begin function _ZL32rocblas_gemvt_warp_reduce_kernelILb1ELi1024EiPKDF16_PKfKPfEviiT3_lPKT2_lT1_lS9_lSA_lS6_lPT4_lSA_li
	.p2align	8
	.type	_ZL32rocblas_gemvt_warp_reduce_kernelILb1ELi1024EiPKDF16_PKfKPfEviiT3_lPKT2_lT1_lS9_lSA_lS6_lPT4_lSA_li,@function
_ZL32rocblas_gemvt_warp_reduce_kernelILb1ELi1024EiPKDF16_PKfKPfEviiT3_lPKT2_lT1_lS9_lSA_lS6_lPT4_lSA_li: ; @_ZL32rocblas_gemvt_warp_reduce_kernelILb1ELi1024EiPKDF16_PKfKPfEviiT3_lPKT2_lT1_lS9_lSA_lS6_lPT4_lSA_li
; %bb.0:
	s_load_b32 s7, s[0:1], 0x88
	s_lshr_b32 s28, ttmp7, 16
	s_wait_kmcnt 0x0
	s_cmp_ge_u32 s28, s7
	s_cbranch_scc1 .LBB536_38
; %bb.1:
	s_clause 0x6
	s_load_b32 s4, s[0:1], 0x0
	s_load_b32 s3, s[0:1], 0x78
	s_load_b256 s[8:15], s[0:1], 0x8
	s_load_b32 s5, s[0:1], 0x28
	s_load_b128 s[24:27], s[0:1], 0x38
	s_load_b32 s6, s[0:1], 0x48
	s_load_b256 s[16:23], s[0:1], 0x58
	v_lshrrev_b32_e32 v2, 3, v0
	v_and_b32_e32 v1, 31, v0
	v_mov_b32_e32 v11, 0
	v_mbcnt_lo_u32_b32 v15, -1, 0
	v_cmp_eq_u32_e64 s0, 0, v0
	v_and_b32_e32 v13, 0x7c, v2
	v_lshlrev_b32_e32 v12, 2, v1
	v_cmp_gt_u32_e64 s1, 32, v0
	v_lshl_or_b32 v17, v15, 2, 64
	s_mov_b32 s29, 0
	s_wait_kmcnt 0x0
	s_ashr_i32 s2, s4, 31
	v_cmp_gt_i32_e32 vcc_lo, s4, v0
	s_lshr_b32 s2, s2, 22
	s_mul_i32 s34, s3, ttmp9
	s_add_co_i32 s30, s4, s2
	v_cmp_eq_u32_e64 s2, 0, v1
	s_and_b32 s30, s30, 0xfffffc00
	v_cndmask_b32_e32 v3, 0, v0, vcc_lo
	v_or_b32_e32 v2, s30, v0
	v_mul_lo_u32 v14, v0, s6
	s_mul_i32 s36, s5, ttmp9
	v_cmp_gt_i32_e64 s3, s30, v0
	v_lshlrev_b32_e32 v16, 1, v3
	v_mul_lo_u32 v1, s6, v2
	v_cmp_gt_i32_e64 s4, s4, v2
	s_ashr_i32 s35, s34, 31
	s_ashr_i32 s37, s36, 31
	;; [unrolled: 1-line block ×3, first 2 shown]
	s_lshl_b32 s33, s6, 10
	s_lshl_b64 s[14:15], s[14:15], 1
	s_lshl_b64 s[26:27], s[26:27], 1
	v_ashrrev_i32_e32 v2, 31, v1
	s_lshl_b64 s[22:23], s[22:23], 2
	s_lshl_b64 s[34:35], s[34:35], 2
	;; [unrolled: 1-line block ×3, first 2 shown]
	s_wait_alu 0xfffe
	s_lshl_b64 s[38:39], s[30:31], 1
	v_lshlrev_b64_e32 v[1:2], 1, v[1:2]
	s_branch .LBB536_4
.LBB536_2:                              ;   in Loop: Header=BB536_4 Depth=1
	s_wait_alu 0xfffe
	s_or_b32 exec_lo, exec_lo, s5
.LBB536_3:                              ;   in Loop: Header=BB536_4 Depth=1
	s_add_co_i32 s28, s28, 0x10000
	s_delay_alu instid0(SALU_CYCLE_1)
	s_cmp_lt_u32 s28, s7
	s_cbranch_scc0 .LBB536_38
.LBB536_4:                              ; =>This Loop Header: Depth=1
                                        ;     Child Loop BB536_27 Depth 2
	s_mul_u64 s[40:41], s[10:11], s[28:29]
	s_mul_u64 s[42:43], s[18:19], s[28:29]
	s_lshl_b64 s[40:41], s[40:41], 2
	s_lshl_b64 s[42:43], s[42:43], 2
	s_add_nc_u64 s[40:41], s[8:9], s[40:41]
	s_add_nc_u64 s[42:43], s[16:17], s[42:43]
	s_clause 0x1
	global_load_b32 v18, v11, s[40:41]
	global_load_b32 v3, v11, s[42:43]
	s_wait_loadcnt 0x1
	v_cmp_eq_f32_e64 s5, 0, v18
	s_wait_loadcnt 0x0
	v_cmp_eq_f32_e32 vcc_lo, 1.0, v3
	v_readfirstlane_b32 s31, v3
	s_and_b32 s6, s5, vcc_lo
	s_wait_alu 0xfffe
	s_and_b32 vcc_lo, exec_lo, s6
	s_wait_alu 0xfffe
	s_cbranch_vccnz .LBB536_3
; %bb.5:                                ;   in Loop: Header=BB536_4 Depth=1
	v_mov_b32_e32 v3, 0
	v_dual_mov_b32 v4, 0 :: v_dual_mov_b32 v5, 0
	v_cmp_neq_f32_e64 s6, 0, v18
	v_mov_b32_e32 v6, 0
	s_and_b32 vcc_lo, exec_lo, s5
	s_wait_alu 0xfffe
	s_cbranch_vccnz .LBB536_7
; %bb.6:                                ;   in Loop: Header=BB536_4 Depth=1
	s_lshl_b64 s[40:41], s[28:29], 3
	s_delay_alu instid0(SALU_CYCLE_1)
	s_add_nc_u64 s[40:41], s[12:13], s[40:41]
	global_load_b64 v[5:6], v11, s[40:41]
	s_wait_loadcnt 0x0
	v_add_co_u32 v5, vcc_lo, v5, s14
	s_wait_alu 0xfffd
	v_add_co_ci_u32_e64 v6, null, s15, v6, vcc_lo
.LBB536_7:                              ;   in Loop: Header=BB536_4 Depth=1
	s_and_not1_b32 vcc_lo, exec_lo, s6
	s_wait_alu 0xfffe
	s_cbranch_vccnz .LBB536_9
; %bb.8:                                ;   in Loop: Header=BB536_4 Depth=1
	s_lshl_b64 s[40:41], s[28:29], 3
	s_delay_alu instid0(SALU_CYCLE_1)
	s_add_nc_u64 s[40:41], s[24:25], s[40:41]
	global_load_b64 v[3:4], v11, s[40:41]
	s_wait_loadcnt 0x0
	v_add_co_u32 v3, vcc_lo, v3, s26
	s_wait_alu 0xfffd
	v_add_co_ci_u32_e64 v4, null, s27, v4, vcc_lo
.LBB536_9:                              ;   in Loop: Header=BB536_4 Depth=1
	s_lshl_b64 s[40:41], s[28:29], 3
	s_delay_alu instid0(SALU_CYCLE_1)
	s_add_nc_u64 s[40:41], s[20:21], s[40:41]
	s_wait_dscnt 0x0
	global_load_b64 v[7:8], v11, s[40:41]
	s_wait_loadcnt 0x0
	v_add_co_u32 v19, vcc_lo, v7, s22
	s_wait_alu 0xfffd
	v_add_co_ci_u32_e64 v20, null, s23, v8, vcc_lo
	s_and_not1_b32 vcc_lo, exec_lo, s5
	s_wait_alu 0xfffe
	s_cbranch_vccnz .LBB536_13
; %bb.10:                               ;   in Loop: Header=BB536_4 Depth=1
	s_mov_b32 s5, 0
	s_mov_b32 s6, 0
                                        ; implicit-def: $vgpr7
	s_and_saveexec_b32 s40, s0
	s_cbranch_execz .LBB536_14
; %bb.11:                               ;   in Loop: Header=BB536_4 Depth=1
	s_cmp_eq_f32 s31, 0
	s_cbranch_scc1 .LBB536_15
; %bb.12:                               ;   in Loop: Header=BB536_4 Depth=1
	v_add_co_u32 v7, vcc_lo, v19, s34
	s_wait_alu 0xfffd
	v_add_co_ci_u32_e64 v8, null, s35, v20, vcc_lo
	flat_load_b32 v7, v[7:8]
	s_wait_loadcnt_dscnt 0x0
	v_mul_f32_e32 v7, s31, v7
	s_branch .LBB536_16
.LBB536_13:                             ;   in Loop: Header=BB536_4 Depth=1
	s_mov_b32 s6, 0
                                        ; implicit-def: $vgpr7
	s_cbranch_execnz .LBB536_17
	s_branch .LBB536_36
.LBB536_14:                             ;   in Loop: Header=BB536_4 Depth=1
	s_or_b32 exec_lo, exec_lo, s40
	s_wait_alu 0xfffe
	s_and_b32 vcc_lo, exec_lo, s5
	s_wait_alu 0xfffe
	s_cbranch_vccnz .LBB536_17
	s_branch .LBB536_36
.LBB536_15:                             ;   in Loop: Header=BB536_4 Depth=1
	v_mov_b32_e32 v7, 0
.LBB536_16:                             ;   in Loop: Header=BB536_4 Depth=1
	s_mov_b32 s6, exec_lo
	s_or_b32 exec_lo, exec_lo, s40
	s_wait_alu 0xfffe
	s_and_b32 vcc_lo, exec_lo, s5
	s_wait_alu 0xfffe
	s_cbranch_vccz .LBB536_36
.LBB536_17:                             ;   in Loop: Header=BB536_4 Depth=1
	v_add_co_u32 v5, vcc_lo, v5, v16
	s_wait_alu 0xfffd
	v_add_co_ci_u32_e64 v6, null, 0, v6, vcc_lo
	v_mov_b32_e32 v21, 0
	s_delay_alu instid0(VALU_DEP_3) | instskip(SKIP_1) | instid1(VALU_DEP_3)
	v_add_co_u32 v5, vcc_lo, v5, s36
	s_wait_alu 0xfffd
	v_add_co_ci_u32_e64 v6, null, s37, v6, vcc_lo
	s_and_saveexec_b32 s40, s3
	s_cbranch_execnz .LBB536_26
; %bb.18:                               ;   in Loop: Header=BB536_4 Depth=1
	s_or_b32 exec_lo, exec_lo, s40
	s_and_saveexec_b32 s5, s4
	s_cbranch_execnz .LBB536_29
.LBB536_19:                             ;   in Loop: Header=BB536_4 Depth=1
	s_wait_alu 0xfffe
	s_or_b32 exec_lo, exec_lo, s5
	s_and_saveexec_b32 s5, s1
.LBB536_20:                             ;   in Loop: Header=BB536_4 Depth=1
	ds_store_b32 v12, v11
.LBB536_21:                             ;   in Loop: Header=BB536_4 Depth=1
	s_wait_alu 0xfffe
	s_or_b32 exec_lo, exec_lo, s5
	ds_bpermute_b32 v4, v17, v21
	v_cmp_gt_u32_e32 vcc_lo, 24, v15
	s_wait_dscnt 0x0
	s_barrier_signal -1
	s_barrier_wait -1
	global_inv scope:SCOPE_SE
	s_wait_alu 0xfffd
	v_cndmask_b32_e64 v3, 0, 8, vcc_lo
	v_cmp_gt_u32_e32 vcc_lo, 28, v15
	s_delay_alu instid0(VALU_DEP_2)
	v_add_lshl_u32 v3, v3, v15, 2
	v_add_f32_e32 v5, v21, v4
	s_wait_alu 0xfffd
	v_cndmask_b32_e64 v4, 0, 4, vcc_lo
	v_cmp_gt_u32_e32 vcc_lo, 30, v15
	ds_bpermute_b32 v6, v3, v5
	v_add_lshl_u32 v4, v4, v15, 2
	s_wait_dscnt 0x0
	v_add_f32_e32 v6, v5, v6
	s_wait_alu 0xfffd
	v_cndmask_b32_e64 v5, 0, 2, vcc_lo
	v_cmp_ne_u32_e32 vcc_lo, 31, v15
	ds_bpermute_b32 v7, v4, v6
	v_add_lshl_u32 v5, v5, v15, 2
	s_wait_alu 0xfffd
	v_add_co_ci_u32_e64 v8, null, 0, v15, vcc_lo
	s_wait_dscnt 0x0
	v_add_f32_e32 v6, v6, v7
	ds_bpermute_b32 v7, v5, v6
	s_wait_dscnt 0x0
	v_dual_add_f32 v7, v6, v7 :: v_dual_lshlrev_b32 v6, 2, v8
	ds_bpermute_b32 v8, v6, v7
	s_and_saveexec_b32 s5, s2
	s_cbranch_execz .LBB536_23
; %bb.22:                               ;   in Loop: Header=BB536_4 Depth=1
	s_wait_dscnt 0x0
	v_add_f32_e32 v7, v7, v8
	ds_store_b32 v13, v7
.LBB536_23:                             ;   in Loop: Header=BB536_4 Depth=1
	s_wait_alu 0xfffe
	s_or_b32 exec_lo, exec_lo, s5
	s_wait_dscnt 0x0
	v_mov_b32_e32 v8, 0
	s_wait_loadcnt 0x0
	s_barrier_signal -1
	s_barrier_wait -1
	global_inv scope:SCOPE_SE
	s_and_saveexec_b32 s5, s1
	s_cbranch_execnz .LBB536_30
; %bb.24:                               ;   in Loop: Header=BB536_4 Depth=1
	s_wait_alu 0xfffe
	s_or_b32 exec_lo, exec_lo, s5
	s_and_saveexec_b32 s5, s1
	s_cbranch_execnz .LBB536_31
.LBB536_25:                             ;   in Loop: Header=BB536_4 Depth=1
	s_wait_alu 0xfffe
	s_or_b32 exec_lo, exec_lo, s5
                                        ; implicit-def: $vgpr7
	s_and_saveexec_b32 s5, s0
	s_cbranch_execnz .LBB536_32
	s_branch .LBB536_35
.LBB536_26:                             ;   in Loop: Header=BB536_4 Depth=1
	v_dual_mov_b32 v21, 0 :: v_dual_mov_b32 v8, v6
	v_dual_mov_b32 v7, v5 :: v_dual_mov_b32 v22, v0
	v_mov_b32_e32 v9, v14
	s_mov_b32 s41, 0
.LBB536_27:                             ;   Parent Loop BB536_4 Depth=1
                                        ; =>  This Inner Loop Header: Depth=2
	s_delay_alu instid0(VALU_DEP_1) | instskip(NEXT) | instid1(VALU_DEP_3)
	v_ashrrev_i32_e32 v10, 31, v9
	v_add_nc_u32_e32 v22, 0x400, v22
	s_delay_alu instid0(VALU_DEP_2) | instskip(NEXT) | instid1(VALU_DEP_2)
	v_lshlrev_b64_e32 v[23:24], 1, v[9:10]
	v_cmp_le_i32_e64 s5, s30, v22
	v_add_nc_u32_e32 v9, s33, v9
	s_or_b32 s41, s5, s41
	v_add_co_u32 v23, vcc_lo, v3, v23
	s_wait_alu 0xfffd
	v_add_co_ci_u32_e64 v24, null, v4, v24, vcc_lo
	flat_load_u16 v10, v[7:8]
	flat_load_u16 v23, v[23:24]
	v_add_co_u32 v7, vcc_lo, 0x800, v7
	s_wait_alu 0xfffd
	v_add_co_ci_u32_e64 v8, null, 0, v8, vcc_lo
	s_wait_loadcnt_dscnt 0x0
	v_mul_f16_e32 v10, v10, v23
	s_delay_alu instid0(VALU_DEP_1) | instskip(NEXT) | instid1(VALU_DEP_1)
	v_cvt_f32_f16_e32 v10, v10
	v_add_f32_e32 v21, v21, v10
	s_and_not1_b32 exec_lo, exec_lo, s41
	s_cbranch_execnz .LBB536_27
; %bb.28:                               ;   in Loop: Header=BB536_4 Depth=1
	s_or_b32 exec_lo, exec_lo, s41
	s_delay_alu instid0(SALU_CYCLE_1)
	s_or_b32 exec_lo, exec_lo, s40
	s_and_saveexec_b32 s5, s4
	s_cbranch_execz .LBB536_19
.LBB536_29:                             ;   in Loop: Header=BB536_4 Depth=1
	v_add_co_u32 v5, vcc_lo, v5, s38
	s_wait_alu 0xfffd
	v_add_co_ci_u32_e64 v6, null, s39, v6, vcc_lo
	v_add_co_u32 v3, vcc_lo, v3, v1
	s_wait_alu 0xfffd
	v_add_co_ci_u32_e64 v4, null, v4, v2, vcc_lo
	flat_load_u16 v5, v[5:6]
	flat_load_u16 v3, v[3:4]
	s_wait_loadcnt_dscnt 0x0
	v_mul_f16_e32 v3, v5, v3
	s_delay_alu instid0(VALU_DEP_1) | instskip(NEXT) | instid1(VALU_DEP_1)
	v_cvt_f32_f16_e32 v3, v3
	v_add_f32_e32 v21, v21, v3
	s_wait_alu 0xfffe
	s_or_b32 exec_lo, exec_lo, s5
	s_and_saveexec_b32 s5, s1
	s_cbranch_execnz .LBB536_20
	s_branch .LBB536_21
.LBB536_30:                             ;   in Loop: Header=BB536_4 Depth=1
	ds_load_b32 v8, v12
	s_wait_alu 0xfffe
	s_or_b32 exec_lo, exec_lo, s5
	s_and_saveexec_b32 s5, s1
	s_cbranch_execz .LBB536_25
.LBB536_31:                             ;   in Loop: Header=BB536_4 Depth=1
	s_wait_dscnt 0x0
	ds_bpermute_b32 v7, v17, v8
	s_wait_dscnt 0x0
	v_add_f32_e32 v7, v8, v7
	ds_bpermute_b32 v3, v3, v7
	s_wait_dscnt 0x0
	v_add_f32_e32 v3, v7, v3
	;; [unrolled: 3-line block ×5, first 2 shown]
	s_wait_alu 0xfffe
	s_or_b32 exec_lo, exec_lo, s5
                                        ; implicit-def: $vgpr7
	s_and_saveexec_b32 s5, s0
	s_cbranch_execz .LBB536_35
.LBB536_32:                             ;   in Loop: Header=BB536_4 Depth=1
	s_wait_dscnt 0x0
	v_mul_f32_e32 v7, v18, v8
	s_cmp_eq_f32 s31, 0
	s_cbranch_scc1 .LBB536_34
; %bb.33:                               ;   in Loop: Header=BB536_4 Depth=1
	v_add_co_u32 v3, vcc_lo, v19, s34
	s_wait_alu 0xfffd
	v_add_co_ci_u32_e64 v4, null, s35, v20, vcc_lo
	flat_load_b32 v3, v[3:4]
	s_wait_loadcnt_dscnt 0x0
	v_fmac_f32_e32 v7, s31, v3
.LBB536_34:                             ;   in Loop: Header=BB536_4 Depth=1
	s_or_b32 s6, s6, exec_lo
.LBB536_35:                             ;   in Loop: Header=BB536_4 Depth=1
	s_wait_alu 0xfffe
	s_or_b32 exec_lo, exec_lo, s5
.LBB536_36:                             ;   in Loop: Header=BB536_4 Depth=1
	s_wait_alu 0xfffe
	s_and_saveexec_b32 s5, s6
	s_cbranch_execz .LBB536_2
; %bb.37:                               ;   in Loop: Header=BB536_4 Depth=1
	v_add_co_u32 v3, vcc_lo, v19, s34
	s_wait_alu 0xfffd
	v_add_co_ci_u32_e64 v4, null, s35, v20, vcc_lo
	flat_store_b32 v[3:4], v7
	s_branch .LBB536_2
.LBB536_38:
	s_endpgm
	.section	.rodata,"a",@progbits
	.p2align	6, 0x0
	.amdhsa_kernel _ZL32rocblas_gemvt_warp_reduce_kernelILb1ELi1024EiPKDF16_PKfKPfEviiT3_lPKT2_lT1_lS9_lSA_lS6_lPT4_lSA_li
		.amdhsa_group_segment_fixed_size 128
		.amdhsa_private_segment_fixed_size 0
		.amdhsa_kernarg_size 140
		.amdhsa_user_sgpr_count 2
		.amdhsa_user_sgpr_dispatch_ptr 0
		.amdhsa_user_sgpr_queue_ptr 0
		.amdhsa_user_sgpr_kernarg_segment_ptr 1
		.amdhsa_user_sgpr_dispatch_id 0
		.amdhsa_user_sgpr_private_segment_size 0
		.amdhsa_wavefront_size32 1
		.amdhsa_uses_dynamic_stack 0
		.amdhsa_enable_private_segment 0
		.amdhsa_system_sgpr_workgroup_id_x 1
		.amdhsa_system_sgpr_workgroup_id_y 0
		.amdhsa_system_sgpr_workgroup_id_z 1
		.amdhsa_system_sgpr_workgroup_info 0
		.amdhsa_system_vgpr_workitem_id 0
		.amdhsa_next_free_vgpr 25
		.amdhsa_next_free_sgpr 44
		.amdhsa_reserve_vcc 1
		.amdhsa_float_round_mode_32 0
		.amdhsa_float_round_mode_16_64 0
		.amdhsa_float_denorm_mode_32 3
		.amdhsa_float_denorm_mode_16_64 3
		.amdhsa_fp16_overflow 0
		.amdhsa_workgroup_processor_mode 1
		.amdhsa_memory_ordered 1
		.amdhsa_forward_progress 1
		.amdhsa_inst_pref_size 14
		.amdhsa_round_robin_scheduling 0
		.amdhsa_exception_fp_ieee_invalid_op 0
		.amdhsa_exception_fp_denorm_src 0
		.amdhsa_exception_fp_ieee_div_zero 0
		.amdhsa_exception_fp_ieee_overflow 0
		.amdhsa_exception_fp_ieee_underflow 0
		.amdhsa_exception_fp_ieee_inexact 0
		.amdhsa_exception_int_div_zero 0
	.end_amdhsa_kernel
	.section	.text._ZL32rocblas_gemvt_warp_reduce_kernelILb1ELi1024EiPKDF16_PKfKPfEviiT3_lPKT2_lT1_lS9_lSA_lS6_lPT4_lSA_li,"axG",@progbits,_ZL32rocblas_gemvt_warp_reduce_kernelILb1ELi1024EiPKDF16_PKfKPfEviiT3_lPKT2_lT1_lS9_lSA_lS6_lPT4_lSA_li,comdat
.Lfunc_end536:
	.size	_ZL32rocblas_gemvt_warp_reduce_kernelILb1ELi1024EiPKDF16_PKfKPfEviiT3_lPKT2_lT1_lS9_lSA_lS6_lPT4_lSA_li, .Lfunc_end536-_ZL32rocblas_gemvt_warp_reduce_kernelILb1ELi1024EiPKDF16_PKfKPfEviiT3_lPKT2_lT1_lS9_lSA_lS6_lPT4_lSA_li
                                        ; -- End function
	.set _ZL32rocblas_gemvt_warp_reduce_kernelILb1ELi1024EiPKDF16_PKfKPfEviiT3_lPKT2_lT1_lS9_lSA_lS6_lPT4_lSA_li.num_vgpr, 25
	.set _ZL32rocblas_gemvt_warp_reduce_kernelILb1ELi1024EiPKDF16_PKfKPfEviiT3_lPKT2_lT1_lS9_lSA_lS6_lPT4_lSA_li.num_agpr, 0
	.set _ZL32rocblas_gemvt_warp_reduce_kernelILb1ELi1024EiPKDF16_PKfKPfEviiT3_lPKT2_lT1_lS9_lSA_lS6_lPT4_lSA_li.numbered_sgpr, 44
	.set _ZL32rocblas_gemvt_warp_reduce_kernelILb1ELi1024EiPKDF16_PKfKPfEviiT3_lPKT2_lT1_lS9_lSA_lS6_lPT4_lSA_li.num_named_barrier, 0
	.set _ZL32rocblas_gemvt_warp_reduce_kernelILb1ELi1024EiPKDF16_PKfKPfEviiT3_lPKT2_lT1_lS9_lSA_lS6_lPT4_lSA_li.private_seg_size, 0
	.set _ZL32rocblas_gemvt_warp_reduce_kernelILb1ELi1024EiPKDF16_PKfKPfEviiT3_lPKT2_lT1_lS9_lSA_lS6_lPT4_lSA_li.uses_vcc, 1
	.set _ZL32rocblas_gemvt_warp_reduce_kernelILb1ELi1024EiPKDF16_PKfKPfEviiT3_lPKT2_lT1_lS9_lSA_lS6_lPT4_lSA_li.uses_flat_scratch, 0
	.set _ZL32rocblas_gemvt_warp_reduce_kernelILb1ELi1024EiPKDF16_PKfKPfEviiT3_lPKT2_lT1_lS9_lSA_lS6_lPT4_lSA_li.has_dyn_sized_stack, 0
	.set _ZL32rocblas_gemvt_warp_reduce_kernelILb1ELi1024EiPKDF16_PKfKPfEviiT3_lPKT2_lT1_lS9_lSA_lS6_lPT4_lSA_li.has_recursion, 0
	.set _ZL32rocblas_gemvt_warp_reduce_kernelILb1ELi1024EiPKDF16_PKfKPfEviiT3_lPKT2_lT1_lS9_lSA_lS6_lPT4_lSA_li.has_indirect_call, 0
	.section	.AMDGPU.csdata,"",@progbits
; Kernel info:
; codeLenInByte = 1672
; TotalNumSgprs: 46
; NumVgprs: 25
; ScratchSize: 0
; MemoryBound: 0
; FloatMode: 240
; IeeeMode: 1
; LDSByteSize: 128 bytes/workgroup (compile time only)
; SGPRBlocks: 0
; VGPRBlocks: 3
; NumSGPRsForWavesPerEU: 46
; NumVGPRsForWavesPerEU: 25
; Occupancy: 16
; WaveLimiterHint : 1
; COMPUTE_PGM_RSRC2:SCRATCH_EN: 0
; COMPUTE_PGM_RSRC2:USER_SGPR: 2
; COMPUTE_PGM_RSRC2:TRAP_HANDLER: 0
; COMPUTE_PGM_RSRC2:TGID_X_EN: 1
; COMPUTE_PGM_RSRC2:TGID_Y_EN: 0
; COMPUTE_PGM_RSRC2:TGID_Z_EN: 1
; COMPUTE_PGM_RSRC2:TIDIG_COMP_CNT: 0
	.section	.text._ZL32rocblas_gemvt_warp_reduce_kernelILb1ELi1024ElPKDF16_PKfKPfEviiT3_lPKT2_lT1_lS9_lSA_lS6_lPT4_lSA_li,"axG",@progbits,_ZL32rocblas_gemvt_warp_reduce_kernelILb1ELi1024ElPKDF16_PKfKPfEviiT3_lPKT2_lT1_lS9_lSA_lS6_lPT4_lSA_li,comdat
	.globl	_ZL32rocblas_gemvt_warp_reduce_kernelILb1ELi1024ElPKDF16_PKfKPfEviiT3_lPKT2_lT1_lS9_lSA_lS6_lPT4_lSA_li ; -- Begin function _ZL32rocblas_gemvt_warp_reduce_kernelILb1ELi1024ElPKDF16_PKfKPfEviiT3_lPKT2_lT1_lS9_lSA_lS6_lPT4_lSA_li
	.p2align	8
	.type	_ZL32rocblas_gemvt_warp_reduce_kernelILb1ELi1024ElPKDF16_PKfKPfEviiT3_lPKT2_lT1_lS9_lSA_lS6_lPT4_lSA_li,@function
_ZL32rocblas_gemvt_warp_reduce_kernelILb1ELi1024ElPKDF16_PKfKPfEviiT3_lPKT2_lT1_lS9_lSA_lS6_lPT4_lSA_li: ; @_ZL32rocblas_gemvt_warp_reduce_kernelILb1ELi1024ElPKDF16_PKfKPfEviiT3_lPKT2_lT1_lS9_lSA_lS6_lPT4_lSA_li
; %bb.0:
	s_load_b32 s7, s[0:1], 0x88
	s_lshr_b32 s28, ttmp7, 16
	s_wait_kmcnt 0x0
	s_cmp_ge_u32 s28, s7
	s_cbranch_scc1 .LBB537_38
; %bb.1:
	s_clause 0x6
	s_load_b32 s6, s[0:1], 0x0
	s_load_b64 s[36:37], s[0:1], 0x48
	s_load_b256 s[8:15], s[0:1], 0x8
	s_load_b64 s[34:35], s[0:1], 0x78
	s_load_b64 s[38:39], s[0:1], 0x28
	s_load_b128 s[24:27], s[0:1], 0x38
	s_load_b256 s[16:23], s[0:1], 0x58
	v_and_b32_e32 v3, 31, v0
	v_lshrrev_b32_e32 v4, 3, v0
	v_mov_b32_e32 v13, 0
	v_mbcnt_lo_u32_b32 v14, -1, 0
	s_mov_b32 s4, ttmp9
	s_ashr_i32 s5, ttmp9, 31
	v_and_b32_e32 v16, 0x7c, v4
	v_cmp_eq_u32_e64 s0, 0, v0
	v_cmp_gt_u32_e64 s1, 32, v0
	v_lshl_or_b32 v18, v14, 2, 64
	s_mov_b32 s29, 0
	s_wait_kmcnt 0x0
	s_ashr_i32 s2, s6, 31
	v_mad_co_u64_u32 v[1:2], null, s36, v0, 0
	s_lshr_b32 s3, s2, 22
	v_cmp_eq_u32_e64 s2, 0, v3
	s_add_co_i32 s3, s6, s3
	v_cmp_gt_i32_e32 vcc_lo, s6, v0
	s_and_b32 s30, s3, 0xfffffc00
	v_lshlrev_b32_e32 v15, 2, v3
	v_or_b32_e32 v5, s30, v0
	v_mad_co_u64_u32 v[2:3], null, s37, v0, v[2:3]
	s_ashr_i32 s31, s30, 31
	v_cndmask_b32_e32 v6, 0, v0, vcc_lo
	v_mul_lo_u32 v7, s37, v5
	v_mad_co_u64_u32 v[3:4], null, s36, v5, 0
	s_wait_alu 0xfffe
	s_mul_i32 s3, s36, s31
	v_lshlrev_b64_e32 v[1:2], 1, v[1:2]
	s_mul_u64 s[40:41], s[34:35], s[4:5]
	s_mul_u64 s[38:39], s[38:39], s[4:5]
	v_cmp_gt_i32_e64 s4, s6, v5
	v_lshlrev_b32_e32 v17, 1, v6
	v_add3_u32 v4, v4, s3, v7
	v_cmp_gt_i32_e64 s3, s30, v0
	s_lshl_b64 s[34:35], s[36:37], 11
	s_lshl_b64 s[14:15], s[14:15], 1
	;; [unrolled: 1-line block ×3, first 2 shown]
	v_lshlrev_b64_e32 v[3:4], 1, v[3:4]
	s_lshl_b64 s[22:23], s[22:23], 2
	s_lshl_b64 s[36:37], s[40:41], 2
	;; [unrolled: 1-line block ×4, first 2 shown]
	s_branch .LBB537_4
.LBB537_2:                              ;   in Loop: Header=BB537_4 Depth=1
	s_or_b32 exec_lo, exec_lo, s5
.LBB537_3:                              ;   in Loop: Header=BB537_4 Depth=1
	s_add_co_i32 s28, s28, 0x10000
	s_delay_alu instid0(SALU_CYCLE_1)
	s_cmp_lt_u32 s28, s7
	s_cbranch_scc0 .LBB537_38
.LBB537_4:                              ; =>This Loop Header: Depth=1
                                        ;     Child Loop BB537_27 Depth 2
	s_mul_u64 s[42:43], s[10:11], s[28:29]
	s_mul_u64 s[44:45], s[18:19], s[28:29]
	s_lshl_b64 s[42:43], s[42:43], 2
	s_lshl_b64 s[44:45], s[44:45], 2
	s_add_nc_u64 s[42:43], s[8:9], s[42:43]
	s_add_nc_u64 s[44:45], s[16:17], s[44:45]
	s_clause 0x1
	global_load_b32 v19, v13, s[42:43]
	global_load_b32 v5, v13, s[44:45]
	s_wait_loadcnt 0x1
	v_cmp_eq_f32_e64 s5, 0, v19
	s_wait_loadcnt 0x0
	v_cmp_eq_f32_e32 vcc_lo, 1.0, v5
	v_readfirstlane_b32 s31, v5
	s_and_b32 s6, s5, vcc_lo
	s_wait_alu 0xfffe
	s_and_b32 vcc_lo, exec_lo, s6
	s_wait_alu 0xfffe
	s_cbranch_vccnz .LBB537_3
; %bb.5:                                ;   in Loop: Header=BB537_4 Depth=1
	v_mov_b32_e32 v5, 0
	v_dual_mov_b32 v6, 0 :: v_dual_mov_b32 v7, 0
	v_cmp_neq_f32_e64 s6, 0, v19
	v_mov_b32_e32 v8, 0
	s_and_b32 vcc_lo, exec_lo, s5
	s_wait_alu 0xfffe
	s_cbranch_vccnz .LBB537_7
; %bb.6:                                ;   in Loop: Header=BB537_4 Depth=1
	s_lshl_b64 s[42:43], s[28:29], 3
	s_delay_alu instid0(SALU_CYCLE_1)
	s_add_nc_u64 s[42:43], s[12:13], s[42:43]
	global_load_b64 v[7:8], v13, s[42:43]
	s_wait_loadcnt 0x0
	v_add_co_u32 v7, vcc_lo, v7, s14
	s_wait_alu 0xfffd
	v_add_co_ci_u32_e64 v8, null, s15, v8, vcc_lo
.LBB537_7:                              ;   in Loop: Header=BB537_4 Depth=1
	s_and_not1_b32 vcc_lo, exec_lo, s6
	s_wait_alu 0xfffe
	s_cbranch_vccnz .LBB537_9
; %bb.8:                                ;   in Loop: Header=BB537_4 Depth=1
	s_lshl_b64 s[42:43], s[28:29], 3
	s_delay_alu instid0(SALU_CYCLE_1)
	s_add_nc_u64 s[42:43], s[24:25], s[42:43]
	global_load_b64 v[5:6], v13, s[42:43]
	s_wait_loadcnt 0x0
	v_add_co_u32 v5, vcc_lo, v5, s26
	s_wait_alu 0xfffd
	v_add_co_ci_u32_e64 v6, null, s27, v6, vcc_lo
.LBB537_9:                              ;   in Loop: Header=BB537_4 Depth=1
	s_lshl_b64 s[42:43], s[28:29], 3
	s_delay_alu instid0(SALU_CYCLE_1)
	s_add_nc_u64 s[42:43], s[20:21], s[42:43]
	s_wait_dscnt 0x0
	global_load_b64 v[9:10], v13, s[42:43]
	s_wait_loadcnt 0x0
	v_add_co_u32 v20, vcc_lo, v9, s22
	s_wait_alu 0xfffd
	v_add_co_ci_u32_e64 v21, null, s23, v10, vcc_lo
	s_and_not1_b32 vcc_lo, exec_lo, s5
	s_wait_alu 0xfffe
	s_cbranch_vccnz .LBB537_13
; %bb.10:                               ;   in Loop: Header=BB537_4 Depth=1
	s_mov_b32 s5, 0
	s_mov_b32 s6, 0
                                        ; implicit-def: $vgpr9
	s_and_saveexec_b32 s33, s0
	s_cbranch_execz .LBB537_14
; %bb.11:                               ;   in Loop: Header=BB537_4 Depth=1
	s_cmp_eq_f32 s31, 0
	s_cbranch_scc1 .LBB537_15
; %bb.12:                               ;   in Loop: Header=BB537_4 Depth=1
	v_add_co_u32 v9, vcc_lo, v20, s36
	s_wait_alu 0xfffd
	v_add_co_ci_u32_e64 v10, null, s37, v21, vcc_lo
	flat_load_b32 v9, v[9:10]
	s_wait_loadcnt_dscnt 0x0
	v_mul_f32_e32 v9, s31, v9
	s_branch .LBB537_16
.LBB537_13:                             ;   in Loop: Header=BB537_4 Depth=1
	s_mov_b32 s6, 0
                                        ; implicit-def: $vgpr9
	s_cbranch_execnz .LBB537_17
	s_branch .LBB537_36
.LBB537_14:                             ;   in Loop: Header=BB537_4 Depth=1
	s_or_b32 exec_lo, exec_lo, s33
	s_delay_alu instid0(SALU_CYCLE_1)
	s_and_b32 vcc_lo, exec_lo, s5
	s_wait_alu 0xfffe
	s_cbranch_vccnz .LBB537_17
	s_branch .LBB537_36
.LBB537_15:                             ;   in Loop: Header=BB537_4 Depth=1
	v_mov_b32_e32 v9, 0
.LBB537_16:                             ;   in Loop: Header=BB537_4 Depth=1
	s_mov_b32 s6, exec_lo
	s_or_b32 exec_lo, exec_lo, s33
	s_delay_alu instid0(SALU_CYCLE_1)
	s_and_b32 vcc_lo, exec_lo, s5
	s_wait_alu 0xfffe
	s_cbranch_vccz .LBB537_36
.LBB537_17:                             ;   in Loop: Header=BB537_4 Depth=1
	v_add_co_u32 v7, vcc_lo, v7, v17
	s_wait_alu 0xfffd
	v_add_co_ci_u32_e64 v8, null, 0, v8, vcc_lo
	v_mov_b32_e32 v22, 0
	s_delay_alu instid0(VALU_DEP_3) | instskip(SKIP_1) | instid1(VALU_DEP_3)
	v_add_co_u32 v7, vcc_lo, v7, s38
	s_wait_alu 0xfffd
	v_add_co_ci_u32_e64 v8, null, s39, v8, vcc_lo
	s_and_saveexec_b32 s33, s3
	s_cbranch_execnz .LBB537_26
; %bb.18:                               ;   in Loop: Header=BB537_4 Depth=1
	s_or_b32 exec_lo, exec_lo, s33
	s_and_saveexec_b32 s5, s4
	s_cbranch_execnz .LBB537_29
.LBB537_19:                             ;   in Loop: Header=BB537_4 Depth=1
	s_or_b32 exec_lo, exec_lo, s5
	s_and_saveexec_b32 s5, s1
.LBB537_20:                             ;   in Loop: Header=BB537_4 Depth=1
	ds_store_b32 v15, v13
.LBB537_21:                             ;   in Loop: Header=BB537_4 Depth=1
	s_or_b32 exec_lo, exec_lo, s5
	ds_bpermute_b32 v6, v18, v22
	v_cmp_gt_u32_e32 vcc_lo, 24, v14
	s_wait_dscnt 0x0
	s_barrier_signal -1
	s_barrier_wait -1
	global_inv scope:SCOPE_SE
	s_wait_alu 0xfffd
	v_cndmask_b32_e64 v5, 0, 8, vcc_lo
	v_cmp_gt_u32_e32 vcc_lo, 28, v14
	s_delay_alu instid0(VALU_DEP_2)
	v_add_lshl_u32 v5, v5, v14, 2
	v_add_f32_e32 v7, v22, v6
	s_wait_alu 0xfffd
	v_cndmask_b32_e64 v6, 0, 4, vcc_lo
	v_cmp_gt_u32_e32 vcc_lo, 30, v14
	ds_bpermute_b32 v8, v5, v7
	v_add_lshl_u32 v6, v6, v14, 2
	s_wait_dscnt 0x0
	v_add_f32_e32 v8, v7, v8
	s_wait_alu 0xfffd
	v_cndmask_b32_e64 v7, 0, 2, vcc_lo
	v_cmp_ne_u32_e32 vcc_lo, 31, v14
	ds_bpermute_b32 v9, v6, v8
	v_add_lshl_u32 v7, v7, v14, 2
	s_wait_alu 0xfffd
	v_add_co_ci_u32_e64 v10, null, 0, v14, vcc_lo
	s_wait_dscnt 0x0
	v_add_f32_e32 v8, v8, v9
	ds_bpermute_b32 v9, v7, v8
	s_wait_dscnt 0x0
	v_dual_add_f32 v9, v8, v9 :: v_dual_lshlrev_b32 v8, 2, v10
	ds_bpermute_b32 v10, v8, v9
	s_and_saveexec_b32 s5, s2
	s_cbranch_execz .LBB537_23
; %bb.22:                               ;   in Loop: Header=BB537_4 Depth=1
	s_wait_dscnt 0x0
	v_add_f32_e32 v9, v9, v10
	ds_store_b32 v16, v9
.LBB537_23:                             ;   in Loop: Header=BB537_4 Depth=1
	s_or_b32 exec_lo, exec_lo, s5
	s_wait_dscnt 0x0
	v_mov_b32_e32 v10, 0
	s_wait_loadcnt 0x0
	s_barrier_signal -1
	s_barrier_wait -1
	global_inv scope:SCOPE_SE
	s_and_saveexec_b32 s5, s1
	s_cbranch_execnz .LBB537_30
; %bb.24:                               ;   in Loop: Header=BB537_4 Depth=1
	s_or_b32 exec_lo, exec_lo, s5
	s_and_saveexec_b32 s5, s1
	s_cbranch_execnz .LBB537_31
.LBB537_25:                             ;   in Loop: Header=BB537_4 Depth=1
	s_or_b32 exec_lo, exec_lo, s5
                                        ; implicit-def: $vgpr9
	s_and_saveexec_b32 s5, s0
	s_cbranch_execnz .LBB537_32
	s_branch .LBB537_35
.LBB537_26:                             ;   in Loop: Header=BB537_4 Depth=1
	v_add_co_u32 v9, vcc_lo, v5, v1
	v_dual_mov_b32 v12, v8 :: v_dual_mov_b32 v23, v0
	s_wait_alu 0xfffd
	v_add_co_ci_u32_e64 v10, null, v6, v2, vcc_lo
	v_dual_mov_b32 v22, 0 :: v_dual_mov_b32 v11, v7
	s_mov_b32 s42, 0
.LBB537_27:                             ;   Parent Loop BB537_4 Depth=1
                                        ; =>  This Inner Loop Header: Depth=2
	flat_load_u16 v24, v[11:12]
	flat_load_u16 v25, v[9:10]
	v_add_co_u32 v11, vcc_lo, 0x800, v11
	s_wait_alu 0xfffd
	v_add_co_ci_u32_e64 v12, null, 0, v12, vcc_lo
	v_add_co_u32 v9, vcc_lo, v9, s34
	s_wait_alu 0xfffd
	v_add_co_ci_u32_e64 v10, null, s35, v10, vcc_lo
	s_wait_loadcnt_dscnt 0x0
	v_mul_f16_e32 v24, v24, v25
	s_delay_alu instid0(VALU_DEP_1) | instskip(NEXT) | instid1(VALU_DEP_1)
	v_cvt_f32_f16_e32 v24, v24
	v_dual_add_f32 v22, v22, v24 :: v_dual_add_nc_u32 v23, 0x400, v23
	s_delay_alu instid0(VALU_DEP_1) | instskip(SKIP_1) | instid1(SALU_CYCLE_1)
	v_cmp_le_i32_e64 s5, s30, v23
	s_or_b32 s42, s5, s42
	s_and_not1_b32 exec_lo, exec_lo, s42
	s_cbranch_execnz .LBB537_27
; %bb.28:                               ;   in Loop: Header=BB537_4 Depth=1
	s_or_b32 exec_lo, exec_lo, s42
	s_delay_alu instid0(SALU_CYCLE_1)
	s_or_b32 exec_lo, exec_lo, s33
	s_and_saveexec_b32 s5, s4
	s_cbranch_execz .LBB537_19
.LBB537_29:                             ;   in Loop: Header=BB537_4 Depth=1
	v_add_co_u32 v7, vcc_lo, v7, s40
	s_wait_alu 0xfffd
	v_add_co_ci_u32_e64 v8, null, s41, v8, vcc_lo
	v_add_co_u32 v5, vcc_lo, v5, v3
	s_wait_alu 0xfffd
	v_add_co_ci_u32_e64 v6, null, v6, v4, vcc_lo
	flat_load_u16 v7, v[7:8]
	flat_load_u16 v5, v[5:6]
	s_wait_loadcnt_dscnt 0x0
	v_mul_f16_e32 v5, v7, v5
	s_delay_alu instid0(VALU_DEP_1) | instskip(NEXT) | instid1(VALU_DEP_1)
	v_cvt_f32_f16_e32 v5, v5
	v_add_f32_e32 v22, v22, v5
	s_or_b32 exec_lo, exec_lo, s5
	s_and_saveexec_b32 s5, s1
	s_cbranch_execnz .LBB537_20
	s_branch .LBB537_21
.LBB537_30:                             ;   in Loop: Header=BB537_4 Depth=1
	ds_load_b32 v10, v15
	s_or_b32 exec_lo, exec_lo, s5
	s_and_saveexec_b32 s5, s1
	s_cbranch_execz .LBB537_25
.LBB537_31:                             ;   in Loop: Header=BB537_4 Depth=1
	s_wait_dscnt 0x0
	ds_bpermute_b32 v9, v18, v10
	s_wait_dscnt 0x0
	v_add_f32_e32 v9, v10, v9
	ds_bpermute_b32 v5, v5, v9
	s_wait_dscnt 0x0
	v_add_f32_e32 v5, v9, v5
	;; [unrolled: 3-line block ×5, first 2 shown]
	s_or_b32 exec_lo, exec_lo, s5
                                        ; implicit-def: $vgpr9
	s_and_saveexec_b32 s5, s0
	s_cbranch_execz .LBB537_35
.LBB537_32:                             ;   in Loop: Header=BB537_4 Depth=1
	s_wait_dscnt 0x0
	v_mul_f32_e32 v9, v19, v10
	s_cmp_eq_f32 s31, 0
	s_cbranch_scc1 .LBB537_34
; %bb.33:                               ;   in Loop: Header=BB537_4 Depth=1
	v_add_co_u32 v5, vcc_lo, v20, s36
	s_wait_alu 0xfffd
	v_add_co_ci_u32_e64 v6, null, s37, v21, vcc_lo
	flat_load_b32 v5, v[5:6]
	s_wait_loadcnt_dscnt 0x0
	v_fmac_f32_e32 v9, s31, v5
.LBB537_34:                             ;   in Loop: Header=BB537_4 Depth=1
	s_wait_alu 0xfffe
	s_or_b32 s6, s6, exec_lo
.LBB537_35:                             ;   in Loop: Header=BB537_4 Depth=1
	s_or_b32 exec_lo, exec_lo, s5
.LBB537_36:                             ;   in Loop: Header=BB537_4 Depth=1
	s_wait_alu 0xfffe
	s_and_saveexec_b32 s5, s6
	s_cbranch_execz .LBB537_2
; %bb.37:                               ;   in Loop: Header=BB537_4 Depth=1
	v_add_co_u32 v5, vcc_lo, v20, s36
	s_wait_alu 0xfffd
	v_add_co_ci_u32_e64 v6, null, s37, v21, vcc_lo
	flat_store_b32 v[5:6], v9
	s_branch .LBB537_2
.LBB537_38:
	s_endpgm
	.section	.rodata,"a",@progbits
	.p2align	6, 0x0
	.amdhsa_kernel _ZL32rocblas_gemvt_warp_reduce_kernelILb1ELi1024ElPKDF16_PKfKPfEviiT3_lPKT2_lT1_lS9_lSA_lS6_lPT4_lSA_li
		.amdhsa_group_segment_fixed_size 128
		.amdhsa_private_segment_fixed_size 0
		.amdhsa_kernarg_size 140
		.amdhsa_user_sgpr_count 2
		.amdhsa_user_sgpr_dispatch_ptr 0
		.amdhsa_user_sgpr_queue_ptr 0
		.amdhsa_user_sgpr_kernarg_segment_ptr 1
		.amdhsa_user_sgpr_dispatch_id 0
		.amdhsa_user_sgpr_private_segment_size 0
		.amdhsa_wavefront_size32 1
		.amdhsa_uses_dynamic_stack 0
		.amdhsa_enable_private_segment 0
		.amdhsa_system_sgpr_workgroup_id_x 1
		.amdhsa_system_sgpr_workgroup_id_y 0
		.amdhsa_system_sgpr_workgroup_id_z 1
		.amdhsa_system_sgpr_workgroup_info 0
		.amdhsa_system_vgpr_workitem_id 0
		.amdhsa_next_free_vgpr 26
		.amdhsa_next_free_sgpr 46
		.amdhsa_reserve_vcc 1
		.amdhsa_float_round_mode_32 0
		.amdhsa_float_round_mode_16_64 0
		.amdhsa_float_denorm_mode_32 3
		.amdhsa_float_denorm_mode_16_64 3
		.amdhsa_fp16_overflow 0
		.amdhsa_workgroup_processor_mode 1
		.amdhsa_memory_ordered 1
		.amdhsa_forward_progress 1
		.amdhsa_inst_pref_size 13
		.amdhsa_round_robin_scheduling 0
		.amdhsa_exception_fp_ieee_invalid_op 0
		.amdhsa_exception_fp_denorm_src 0
		.amdhsa_exception_fp_ieee_div_zero 0
		.amdhsa_exception_fp_ieee_overflow 0
		.amdhsa_exception_fp_ieee_underflow 0
		.amdhsa_exception_fp_ieee_inexact 0
		.amdhsa_exception_int_div_zero 0
	.end_amdhsa_kernel
	.section	.text._ZL32rocblas_gemvt_warp_reduce_kernelILb1ELi1024ElPKDF16_PKfKPfEviiT3_lPKT2_lT1_lS9_lSA_lS6_lPT4_lSA_li,"axG",@progbits,_ZL32rocblas_gemvt_warp_reduce_kernelILb1ELi1024ElPKDF16_PKfKPfEviiT3_lPKT2_lT1_lS9_lSA_lS6_lPT4_lSA_li,comdat
.Lfunc_end537:
	.size	_ZL32rocblas_gemvt_warp_reduce_kernelILb1ELi1024ElPKDF16_PKfKPfEviiT3_lPKT2_lT1_lS9_lSA_lS6_lPT4_lSA_li, .Lfunc_end537-_ZL32rocblas_gemvt_warp_reduce_kernelILb1ELi1024ElPKDF16_PKfKPfEviiT3_lPKT2_lT1_lS9_lSA_lS6_lPT4_lSA_li
                                        ; -- End function
	.set _ZL32rocblas_gemvt_warp_reduce_kernelILb1ELi1024ElPKDF16_PKfKPfEviiT3_lPKT2_lT1_lS9_lSA_lS6_lPT4_lSA_li.num_vgpr, 26
	.set _ZL32rocblas_gemvt_warp_reduce_kernelILb1ELi1024ElPKDF16_PKfKPfEviiT3_lPKT2_lT1_lS9_lSA_lS6_lPT4_lSA_li.num_agpr, 0
	.set _ZL32rocblas_gemvt_warp_reduce_kernelILb1ELi1024ElPKDF16_PKfKPfEviiT3_lPKT2_lT1_lS9_lSA_lS6_lPT4_lSA_li.numbered_sgpr, 46
	.set _ZL32rocblas_gemvt_warp_reduce_kernelILb1ELi1024ElPKDF16_PKfKPfEviiT3_lPKT2_lT1_lS9_lSA_lS6_lPT4_lSA_li.num_named_barrier, 0
	.set _ZL32rocblas_gemvt_warp_reduce_kernelILb1ELi1024ElPKDF16_PKfKPfEviiT3_lPKT2_lT1_lS9_lSA_lS6_lPT4_lSA_li.private_seg_size, 0
	.set _ZL32rocblas_gemvt_warp_reduce_kernelILb1ELi1024ElPKDF16_PKfKPfEviiT3_lPKT2_lT1_lS9_lSA_lS6_lPT4_lSA_li.uses_vcc, 1
	.set _ZL32rocblas_gemvt_warp_reduce_kernelILb1ELi1024ElPKDF16_PKfKPfEviiT3_lPKT2_lT1_lS9_lSA_lS6_lPT4_lSA_li.uses_flat_scratch, 0
	.set _ZL32rocblas_gemvt_warp_reduce_kernelILb1ELi1024ElPKDF16_PKfKPfEviiT3_lPKT2_lT1_lS9_lSA_lS6_lPT4_lSA_li.has_dyn_sized_stack, 0
	.set _ZL32rocblas_gemvt_warp_reduce_kernelILb1ELi1024ElPKDF16_PKfKPfEviiT3_lPKT2_lT1_lS9_lSA_lS6_lPT4_lSA_li.has_recursion, 0
	.set _ZL32rocblas_gemvt_warp_reduce_kernelILb1ELi1024ElPKDF16_PKfKPfEviiT3_lPKT2_lT1_lS9_lSA_lS6_lPT4_lSA_li.has_indirect_call, 0
	.section	.AMDGPU.csdata,"",@progbits
; Kernel info:
; codeLenInByte = 1664
; TotalNumSgprs: 48
; NumVgprs: 26
; ScratchSize: 0
; MemoryBound: 0
; FloatMode: 240
; IeeeMode: 1
; LDSByteSize: 128 bytes/workgroup (compile time only)
; SGPRBlocks: 0
; VGPRBlocks: 3
; NumSGPRsForWavesPerEU: 48
; NumVGPRsForWavesPerEU: 26
; Occupancy: 16
; WaveLimiterHint : 1
; COMPUTE_PGM_RSRC2:SCRATCH_EN: 0
; COMPUTE_PGM_RSRC2:USER_SGPR: 2
; COMPUTE_PGM_RSRC2:TRAP_HANDLER: 0
; COMPUTE_PGM_RSRC2:TGID_X_EN: 1
; COMPUTE_PGM_RSRC2:TGID_Y_EN: 0
; COMPUTE_PGM_RSRC2:TGID_Z_EN: 1
; COMPUTE_PGM_RSRC2:TIDIG_COMP_CNT: 0
	.section	.text._ZL32rocblas_gemvt_warp_reduce_kernelILb1ELi1024EiPKDF16_fKPfEviiT3_lPKT2_lT1_lS7_lS8_lS4_lPT4_lS8_li,"axG",@progbits,_ZL32rocblas_gemvt_warp_reduce_kernelILb1ELi1024EiPKDF16_fKPfEviiT3_lPKT2_lT1_lS7_lS8_lS4_lPT4_lS8_li,comdat
	.globl	_ZL32rocblas_gemvt_warp_reduce_kernelILb1ELi1024EiPKDF16_fKPfEviiT3_lPKT2_lT1_lS7_lS8_lS4_lPT4_lS8_li ; -- Begin function _ZL32rocblas_gemvt_warp_reduce_kernelILb1ELi1024EiPKDF16_fKPfEviiT3_lPKT2_lT1_lS7_lS8_lS4_lPT4_lS8_li
	.p2align	8
	.type	_ZL32rocblas_gemvt_warp_reduce_kernelILb1ELi1024EiPKDF16_fKPfEviiT3_lPKT2_lT1_lS7_lS8_lS4_lPT4_lS8_li,@function
_ZL32rocblas_gemvt_warp_reduce_kernelILb1ELi1024EiPKDF16_fKPfEviiT3_lPKT2_lT1_lS7_lS8_lS4_lPT4_lS8_li: ; @_ZL32rocblas_gemvt_warp_reduce_kernelILb1ELi1024EiPKDF16_fKPfEviiT3_lPKT2_lT1_lS7_lS8_lS4_lPT4_lS8_li
; %bb.0:
	s_load_b32 s28, s[0:1], 0x88
	s_lshr_b32 s6, ttmp7, 16
	s_wait_kmcnt 0x0
	s_cmp_ge_u32 s6, s28
	s_cbranch_scc1 .LBB538_41
; %bb.1:
	s_clause 0x8
	s_load_b32 s29, s[0:1], 0x8
	s_load_b32 s30, s[0:1], 0x58
	s_load_b128 s[8:11], s[0:1], 0x18
	s_load_b32 s3, s[0:1], 0x28
	s_load_b32 s4, s[0:1], 0x0
	s_load_b128 s[12:15], s[0:1], 0x38
	s_load_b32 s5, s[0:1], 0x48
	s_load_b128 s[16:19], s[0:1], 0x68
	s_load_b32 s20, s[0:1], 0x78
	v_lshrrev_b32_e32 v2, 3, v0
	v_mov_b32_e32 v11, 0
	v_and_b32_e32 v1, 31, v0
	v_mbcnt_lo_u32_b32 v16, -1, 0
	v_cmp_eq_u32_e64 s0, 0, v0
	v_and_b32_e32 v14, 0x7c, v2
	s_mov_b32 s7, 0
	v_lshlrev_b32_e32 v13, 2, v1
	v_lshl_or_b32 v18, v16, 2, 64
	s_wait_kmcnt 0x0
	s_cmp_eq_f32 s29, 0
	v_cmp_gt_i32_e32 vcc_lo, s4, v0
	s_mul_i32 s24, s3, ttmp9
	s_cselect_b32 s31, -1, 0
	s_cmp_neq_f32 s30, 1.0
	s_mul_i32 s22, s20, ttmp9
	v_cndmask_b32_e32 v3, 0, v0, vcc_lo
	v_mul_lo_u32 v15, v0, s5
	s_cselect_b32 s1, -1, 0
	s_cmp_neq_f32 s29, 0
	s_delay_alu instid0(VALU_DEP_2) | instskip(SKIP_1) | instid1(SALU_CYCLE_1)
	v_lshlrev_b32_e32 v17, 1, v3
	s_cselect_b32 s2, -1, 0
	s_or_b32 s33, s2, s1
	s_cmp_neq_f32 s30, 0
	v_cndmask_b32_e64 v12, 0, 1, s2
	v_cmp_eq_u32_e64 s2, 0, v1
	v_cmp_gt_u32_e64 s1, 32, v0
	s_cselect_b32 s34, -1, 0
	s_ashr_i32 s21, s4, 31
	s_ashr_i32 s23, s22, 31
	s_lshr_b32 s21, s21, 22
	s_ashr_i32 s25, s24, 31
	s_add_co_i32 s21, s4, s21
	s_lshl_b32 s35, s5, 10
	s_and_b32 s20, s21, 0xfffffc00
	s_lshl_b64 s[10:11], s[10:11], 1
	v_or_b32_e32 v2, s20, v0
	v_cmp_gt_i32_e64 s3, s20, v0
	s_ashr_i32 s21, s20, 31
	s_lshl_b64 s[14:15], s[14:15], 1
	s_lshl_b64 s[18:19], s[18:19], 2
	v_mul_lo_u32 v1, s5, v2
	v_cmp_gt_i32_e64 s4, s4, v2
	s_lshl_b64 s[22:23], s[22:23], 2
	s_lshl_b64 s[24:25], s[24:25], 1
	s_wait_alu 0xfffe
	s_lshl_b64 s[26:27], s[20:21], 1
	v_ashrrev_i32_e32 v2, 31, v1
	s_delay_alu instid0(VALU_DEP_1)
	v_lshlrev_b64_e32 v[1:2], 1, v[1:2]
	s_branch .LBB538_4
.LBB538_2:                              ;   in Loop: Header=BB538_4 Depth=1
	s_wait_alu 0xfffe
	s_or_b32 exec_lo, exec_lo, s5
.LBB538_3:                              ;   in Loop: Header=BB538_4 Depth=1
	s_add_co_i32 s6, s6, 0x10000
	s_delay_alu instid0(SALU_CYCLE_1)
	s_cmp_lt_u32 s6, s28
	s_cbranch_scc0 .LBB538_41
.LBB538_4:                              ; =>This Loop Header: Depth=1
                                        ;     Child Loop BB538_30 Depth 2
	s_and_not1_b32 vcc_lo, exec_lo, s33
	s_wait_alu 0xfffe
	s_cbranch_vccnz .LBB538_3
; %bb.5:                                ;   in Loop: Header=BB538_4 Depth=1
	s_and_not1_b32 vcc_lo, exec_lo, s31
	s_wait_alu 0xfffe
	s_cbranch_vccnz .LBB538_7
; %bb.6:                                ;   in Loop: Header=BB538_4 Depth=1
	s_mov_b32 s5, 0
	s_branch .LBB538_8
.LBB538_7:                              ;   in Loop: Header=BB538_4 Depth=1
	s_mov_b32 s5, -1
.LBB538_8:                              ;   in Loop: Header=BB538_4 Depth=1
	v_mov_b32_e32 v3, 0
	v_dual_mov_b32 v4, 0 :: v_dual_mov_b32 v5, 0
	v_mov_b32_e32 v6, 0
	s_wait_alu 0xfffe
	s_and_not1_b32 vcc_lo, exec_lo, s5
	s_wait_alu 0xfffe
	s_cbranch_vccnz .LBB538_10
; %bb.9:                                ;   in Loop: Header=BB538_4 Depth=1
	s_lshl_b64 s[36:37], s[6:7], 3
	s_delay_alu instid0(SALU_CYCLE_1)
	s_add_nc_u64 s[36:37], s[8:9], s[36:37]
	global_load_b64 v[5:6], v11, s[36:37]
	s_wait_loadcnt 0x0
	v_add_co_u32 v5, vcc_lo, v5, s10
	s_wait_alu 0xfffd
	v_add_co_ci_u32_e64 v6, null, s11, v6, vcc_lo
.LBB538_10:                             ;   in Loop: Header=BB538_4 Depth=1
	v_cmp_ne_u32_e32 vcc_lo, 1, v12
	s_cbranch_vccnz .LBB538_12
; %bb.11:                               ;   in Loop: Header=BB538_4 Depth=1
	s_lshl_b64 s[36:37], s[6:7], 3
	s_delay_alu instid0(SALU_CYCLE_1)
	s_add_nc_u64 s[36:37], s[12:13], s[36:37]
	global_load_b64 v[3:4], v11, s[36:37]
	s_wait_loadcnt 0x0
	v_add_co_u32 v3, vcc_lo, v3, s14
	s_wait_alu 0xfffd
	v_add_co_ci_u32_e64 v4, null, s15, v4, vcc_lo
.LBB538_12:                             ;   in Loop: Header=BB538_4 Depth=1
	s_lshl_b64 s[36:37], s[6:7], 3
	s_delay_alu instid0(SALU_CYCLE_1)
	s_add_nc_u64 s[36:37], s[16:17], s[36:37]
	s_wait_dscnt 0x0
	global_load_b64 v[7:8], v11, s[36:37]
	s_wait_loadcnt 0x0
	v_add_co_u32 v19, vcc_lo, v7, s18
	s_wait_alu 0xfffd
	v_add_co_ci_u32_e64 v20, null, s19, v8, vcc_lo
	s_and_not1_b32 vcc_lo, exec_lo, s31
	s_wait_alu 0xfffe
	s_cbranch_vccnz .LBB538_16
; %bb.13:                               ;   in Loop: Header=BB538_4 Depth=1
	s_mov_b32 s5, 0
	s_mov_b32 s21, 0
                                        ; implicit-def: $vgpr7
	s_and_saveexec_b32 s36, s0
	s_cbranch_execz .LBB538_17
; %bb.14:                               ;   in Loop: Header=BB538_4 Depth=1
	s_and_not1_b32 vcc_lo, exec_lo, s34
	s_wait_alu 0xfffe
	s_cbranch_vccnz .LBB538_18
; %bb.15:                               ;   in Loop: Header=BB538_4 Depth=1
	v_add_co_u32 v7, vcc_lo, v19, s22
	s_wait_alu 0xfffd
	v_add_co_ci_u32_e64 v8, null, s23, v20, vcc_lo
	flat_load_b32 v7, v[7:8]
	s_wait_loadcnt_dscnt 0x0
	v_mul_f32_e32 v7, s30, v7
	s_branch .LBB538_19
.LBB538_16:                             ;   in Loop: Header=BB538_4 Depth=1
	s_mov_b32 s21, 0
                                        ; implicit-def: $vgpr7
	s_cbranch_execnz .LBB538_20
	s_branch .LBB538_39
.LBB538_17:                             ;   in Loop: Header=BB538_4 Depth=1
	s_or_b32 exec_lo, exec_lo, s36
	s_wait_alu 0xfffe
	s_and_b32 vcc_lo, exec_lo, s5
	s_wait_alu 0xfffe
	s_cbranch_vccnz .LBB538_20
	s_branch .LBB538_39
.LBB538_18:                             ;   in Loop: Header=BB538_4 Depth=1
	v_mov_b32_e32 v7, 0
.LBB538_19:                             ;   in Loop: Header=BB538_4 Depth=1
	s_mov_b32 s21, exec_lo
	s_or_b32 exec_lo, exec_lo, s36
	s_delay_alu instid0(SALU_CYCLE_1)
	s_and_b32 vcc_lo, exec_lo, s5
	s_wait_alu 0xfffe
	s_cbranch_vccz .LBB538_39
.LBB538_20:                             ;   in Loop: Header=BB538_4 Depth=1
	v_add_co_u32 v5, vcc_lo, v5, v17
	s_wait_alu 0xfffd
	v_add_co_ci_u32_e64 v6, null, 0, v6, vcc_lo
	v_mov_b32_e32 v21, 0
	s_delay_alu instid0(VALU_DEP_3) | instskip(SKIP_1) | instid1(VALU_DEP_3)
	v_add_co_u32 v5, vcc_lo, v5, s24
	s_wait_alu 0xfffd
	v_add_co_ci_u32_e64 v6, null, s25, v6, vcc_lo
	s_and_saveexec_b32 s36, s3
	s_cbranch_execnz .LBB538_29
; %bb.21:                               ;   in Loop: Header=BB538_4 Depth=1
	s_or_b32 exec_lo, exec_lo, s36
	s_and_saveexec_b32 s5, s4
	s_cbranch_execnz .LBB538_32
.LBB538_22:                             ;   in Loop: Header=BB538_4 Depth=1
	s_wait_alu 0xfffe
	s_or_b32 exec_lo, exec_lo, s5
	s_and_saveexec_b32 s5, s1
.LBB538_23:                             ;   in Loop: Header=BB538_4 Depth=1
	ds_store_b32 v13, v11
.LBB538_24:                             ;   in Loop: Header=BB538_4 Depth=1
	s_wait_alu 0xfffe
	s_or_b32 exec_lo, exec_lo, s5
	ds_bpermute_b32 v4, v18, v21
	v_cmp_gt_u32_e32 vcc_lo, 24, v16
	s_wait_dscnt 0x0
	s_barrier_signal -1
	s_barrier_wait -1
	global_inv scope:SCOPE_SE
	s_wait_alu 0xfffd
	v_cndmask_b32_e64 v3, 0, 8, vcc_lo
	v_cmp_gt_u32_e32 vcc_lo, 28, v16
	s_delay_alu instid0(VALU_DEP_2)
	v_add_lshl_u32 v3, v3, v16, 2
	v_add_f32_e32 v5, v21, v4
	s_wait_alu 0xfffd
	v_cndmask_b32_e64 v4, 0, 4, vcc_lo
	v_cmp_gt_u32_e32 vcc_lo, 30, v16
	ds_bpermute_b32 v6, v3, v5
	v_add_lshl_u32 v4, v4, v16, 2
	s_wait_dscnt 0x0
	v_add_f32_e32 v6, v5, v6
	s_wait_alu 0xfffd
	v_cndmask_b32_e64 v5, 0, 2, vcc_lo
	v_cmp_ne_u32_e32 vcc_lo, 31, v16
	ds_bpermute_b32 v7, v4, v6
	v_add_lshl_u32 v5, v5, v16, 2
	s_wait_alu 0xfffd
	v_add_co_ci_u32_e64 v8, null, 0, v16, vcc_lo
	s_wait_dscnt 0x0
	v_add_f32_e32 v6, v6, v7
	ds_bpermute_b32 v7, v5, v6
	s_wait_dscnt 0x0
	v_dual_add_f32 v7, v6, v7 :: v_dual_lshlrev_b32 v6, 2, v8
	ds_bpermute_b32 v8, v6, v7
	s_and_saveexec_b32 s5, s2
	s_cbranch_execz .LBB538_26
; %bb.25:                               ;   in Loop: Header=BB538_4 Depth=1
	s_wait_dscnt 0x0
	v_add_f32_e32 v7, v7, v8
	ds_store_b32 v14, v7
.LBB538_26:                             ;   in Loop: Header=BB538_4 Depth=1
	s_wait_alu 0xfffe
	s_or_b32 exec_lo, exec_lo, s5
	s_wait_dscnt 0x0
	v_mov_b32_e32 v8, 0
	s_wait_loadcnt 0x0
	s_barrier_signal -1
	s_barrier_wait -1
	global_inv scope:SCOPE_SE
	s_and_saveexec_b32 s5, s1
	s_cbranch_execnz .LBB538_33
; %bb.27:                               ;   in Loop: Header=BB538_4 Depth=1
	s_wait_alu 0xfffe
	s_or_b32 exec_lo, exec_lo, s5
	s_and_saveexec_b32 s5, s1
	s_cbranch_execnz .LBB538_34
.LBB538_28:                             ;   in Loop: Header=BB538_4 Depth=1
	s_wait_alu 0xfffe
	s_or_b32 exec_lo, exec_lo, s5
                                        ; implicit-def: $vgpr7
	s_and_saveexec_b32 s5, s0
	s_cbranch_execnz .LBB538_35
	s_branch .LBB538_38
.LBB538_29:                             ;   in Loop: Header=BB538_4 Depth=1
	v_dual_mov_b32 v21, 0 :: v_dual_mov_b32 v8, v6
	v_dual_mov_b32 v7, v5 :: v_dual_mov_b32 v22, v0
	v_mov_b32_e32 v9, v15
	s_mov_b32 s37, 0
.LBB538_30:                             ;   Parent Loop BB538_4 Depth=1
                                        ; =>  This Inner Loop Header: Depth=2
	s_delay_alu instid0(VALU_DEP_1) | instskip(NEXT) | instid1(VALU_DEP_3)
	v_ashrrev_i32_e32 v10, 31, v9
	v_add_nc_u32_e32 v22, 0x400, v22
	s_delay_alu instid0(VALU_DEP_2) | instskip(NEXT) | instid1(VALU_DEP_2)
	v_lshlrev_b64_e32 v[23:24], 1, v[9:10]
	v_cmp_le_i32_e64 s5, s20, v22
	v_add_nc_u32_e32 v9, s35, v9
	s_or_b32 s37, s5, s37
	v_add_co_u32 v23, vcc_lo, v3, v23
	s_wait_alu 0xfffd
	v_add_co_ci_u32_e64 v24, null, v4, v24, vcc_lo
	flat_load_u16 v10, v[7:8]
	flat_load_u16 v23, v[23:24]
	v_add_co_u32 v7, vcc_lo, 0x800, v7
	s_wait_alu 0xfffd
	v_add_co_ci_u32_e64 v8, null, 0, v8, vcc_lo
	s_wait_loadcnt_dscnt 0x0
	v_mul_f16_e32 v10, v10, v23
	s_delay_alu instid0(VALU_DEP_1) | instskip(NEXT) | instid1(VALU_DEP_1)
	v_cvt_f32_f16_e32 v10, v10
	v_add_f32_e32 v21, v21, v10
	s_and_not1_b32 exec_lo, exec_lo, s37
	s_cbranch_execnz .LBB538_30
; %bb.31:                               ;   in Loop: Header=BB538_4 Depth=1
	s_or_b32 exec_lo, exec_lo, s37
	s_delay_alu instid0(SALU_CYCLE_1)
	s_or_b32 exec_lo, exec_lo, s36
	s_and_saveexec_b32 s5, s4
	s_cbranch_execz .LBB538_22
.LBB538_32:                             ;   in Loop: Header=BB538_4 Depth=1
	v_add_co_u32 v5, vcc_lo, v5, s26
	s_wait_alu 0xfffd
	v_add_co_ci_u32_e64 v6, null, s27, v6, vcc_lo
	v_add_co_u32 v3, vcc_lo, v3, v1
	s_wait_alu 0xfffd
	v_add_co_ci_u32_e64 v4, null, v4, v2, vcc_lo
	flat_load_u16 v5, v[5:6]
	flat_load_u16 v3, v[3:4]
	s_wait_loadcnt_dscnt 0x0
	v_mul_f16_e32 v3, v5, v3
	s_delay_alu instid0(VALU_DEP_1) | instskip(NEXT) | instid1(VALU_DEP_1)
	v_cvt_f32_f16_e32 v3, v3
	v_add_f32_e32 v21, v21, v3
	s_wait_alu 0xfffe
	s_or_b32 exec_lo, exec_lo, s5
	s_and_saveexec_b32 s5, s1
	s_cbranch_execnz .LBB538_23
	s_branch .LBB538_24
.LBB538_33:                             ;   in Loop: Header=BB538_4 Depth=1
	ds_load_b32 v8, v13
	s_wait_alu 0xfffe
	s_or_b32 exec_lo, exec_lo, s5
	s_and_saveexec_b32 s5, s1
	s_cbranch_execz .LBB538_28
.LBB538_34:                             ;   in Loop: Header=BB538_4 Depth=1
	s_wait_dscnt 0x0
	ds_bpermute_b32 v7, v18, v8
	s_wait_dscnt 0x0
	v_add_f32_e32 v7, v8, v7
	ds_bpermute_b32 v3, v3, v7
	s_wait_dscnt 0x0
	v_add_f32_e32 v3, v7, v3
	;; [unrolled: 3-line block ×5, first 2 shown]
	s_wait_alu 0xfffe
	s_or_b32 exec_lo, exec_lo, s5
                                        ; implicit-def: $vgpr7
	s_and_saveexec_b32 s5, s0
	s_cbranch_execz .LBB538_38
.LBB538_35:                             ;   in Loop: Header=BB538_4 Depth=1
	s_wait_dscnt 0x0
	v_mul_f32_e32 v7, s29, v8
	s_and_not1_b32 vcc_lo, exec_lo, s34
	s_wait_alu 0xfffe
	s_cbranch_vccnz .LBB538_37
; %bb.36:                               ;   in Loop: Header=BB538_4 Depth=1
	v_add_co_u32 v3, vcc_lo, v19, s22
	s_wait_alu 0xfffd
	v_add_co_ci_u32_e64 v4, null, s23, v20, vcc_lo
	flat_load_b32 v3, v[3:4]
	s_wait_loadcnt_dscnt 0x0
	v_fmac_f32_e32 v7, s30, v3
.LBB538_37:                             ;   in Loop: Header=BB538_4 Depth=1
	s_or_b32 s21, s21, exec_lo
.LBB538_38:                             ;   in Loop: Header=BB538_4 Depth=1
	s_wait_alu 0xfffe
	s_or_b32 exec_lo, exec_lo, s5
.LBB538_39:                             ;   in Loop: Header=BB538_4 Depth=1
	s_wait_alu 0xfffe
	s_and_saveexec_b32 s5, s21
	s_cbranch_execz .LBB538_2
; %bb.40:                               ;   in Loop: Header=BB538_4 Depth=1
	v_add_co_u32 v3, vcc_lo, v19, s22
	s_wait_alu 0xfffd
	v_add_co_ci_u32_e64 v4, null, s23, v20, vcc_lo
	flat_store_b32 v[3:4], v7
	s_branch .LBB538_2
.LBB538_41:
	s_endpgm
	.section	.rodata,"a",@progbits
	.p2align	6, 0x0
	.amdhsa_kernel _ZL32rocblas_gemvt_warp_reduce_kernelILb1ELi1024EiPKDF16_fKPfEviiT3_lPKT2_lT1_lS7_lS8_lS4_lPT4_lS8_li
		.amdhsa_group_segment_fixed_size 128
		.amdhsa_private_segment_fixed_size 0
		.amdhsa_kernarg_size 140
		.amdhsa_user_sgpr_count 2
		.amdhsa_user_sgpr_dispatch_ptr 0
		.amdhsa_user_sgpr_queue_ptr 0
		.amdhsa_user_sgpr_kernarg_segment_ptr 1
		.amdhsa_user_sgpr_dispatch_id 0
		.amdhsa_user_sgpr_private_segment_size 0
		.amdhsa_wavefront_size32 1
		.amdhsa_uses_dynamic_stack 0
		.amdhsa_enable_private_segment 0
		.amdhsa_system_sgpr_workgroup_id_x 1
		.amdhsa_system_sgpr_workgroup_id_y 0
		.amdhsa_system_sgpr_workgroup_id_z 1
		.amdhsa_system_sgpr_workgroup_info 0
		.amdhsa_system_vgpr_workitem_id 0
		.amdhsa_next_free_vgpr 25
		.amdhsa_next_free_sgpr 38
		.amdhsa_reserve_vcc 1
		.amdhsa_float_round_mode_32 0
		.amdhsa_float_round_mode_16_64 0
		.amdhsa_float_denorm_mode_32 3
		.amdhsa_float_denorm_mode_16_64 3
		.amdhsa_fp16_overflow 0
		.amdhsa_workgroup_processor_mode 1
		.amdhsa_memory_ordered 1
		.amdhsa_forward_progress 1
		.amdhsa_inst_pref_size 14
		.amdhsa_round_robin_scheduling 0
		.amdhsa_exception_fp_ieee_invalid_op 0
		.amdhsa_exception_fp_denorm_src 0
		.amdhsa_exception_fp_ieee_div_zero 0
		.amdhsa_exception_fp_ieee_overflow 0
		.amdhsa_exception_fp_ieee_underflow 0
		.amdhsa_exception_fp_ieee_inexact 0
		.amdhsa_exception_int_div_zero 0
	.end_amdhsa_kernel
	.section	.text._ZL32rocblas_gemvt_warp_reduce_kernelILb1ELi1024EiPKDF16_fKPfEviiT3_lPKT2_lT1_lS7_lS8_lS4_lPT4_lS8_li,"axG",@progbits,_ZL32rocblas_gemvt_warp_reduce_kernelILb1ELi1024EiPKDF16_fKPfEviiT3_lPKT2_lT1_lS7_lS8_lS4_lPT4_lS8_li,comdat
.Lfunc_end538:
	.size	_ZL32rocblas_gemvt_warp_reduce_kernelILb1ELi1024EiPKDF16_fKPfEviiT3_lPKT2_lT1_lS7_lS8_lS4_lPT4_lS8_li, .Lfunc_end538-_ZL32rocblas_gemvt_warp_reduce_kernelILb1ELi1024EiPKDF16_fKPfEviiT3_lPKT2_lT1_lS7_lS8_lS4_lPT4_lS8_li
                                        ; -- End function
	.set _ZL32rocblas_gemvt_warp_reduce_kernelILb1ELi1024EiPKDF16_fKPfEviiT3_lPKT2_lT1_lS7_lS8_lS4_lPT4_lS8_li.num_vgpr, 25
	.set _ZL32rocblas_gemvt_warp_reduce_kernelILb1ELi1024EiPKDF16_fKPfEviiT3_lPKT2_lT1_lS7_lS8_lS4_lPT4_lS8_li.num_agpr, 0
	.set _ZL32rocblas_gemvt_warp_reduce_kernelILb1ELi1024EiPKDF16_fKPfEviiT3_lPKT2_lT1_lS7_lS8_lS4_lPT4_lS8_li.numbered_sgpr, 38
	.set _ZL32rocblas_gemvt_warp_reduce_kernelILb1ELi1024EiPKDF16_fKPfEviiT3_lPKT2_lT1_lS7_lS8_lS4_lPT4_lS8_li.num_named_barrier, 0
	.set _ZL32rocblas_gemvt_warp_reduce_kernelILb1ELi1024EiPKDF16_fKPfEviiT3_lPKT2_lT1_lS7_lS8_lS4_lPT4_lS8_li.private_seg_size, 0
	.set _ZL32rocblas_gemvt_warp_reduce_kernelILb1ELi1024EiPKDF16_fKPfEviiT3_lPKT2_lT1_lS7_lS8_lS4_lPT4_lS8_li.uses_vcc, 1
	.set _ZL32rocblas_gemvt_warp_reduce_kernelILb1ELi1024EiPKDF16_fKPfEviiT3_lPKT2_lT1_lS7_lS8_lS4_lPT4_lS8_li.uses_flat_scratch, 0
	.set _ZL32rocblas_gemvt_warp_reduce_kernelILb1ELi1024EiPKDF16_fKPfEviiT3_lPKT2_lT1_lS7_lS8_lS4_lPT4_lS8_li.has_dyn_sized_stack, 0
	.set _ZL32rocblas_gemvt_warp_reduce_kernelILb1ELi1024EiPKDF16_fKPfEviiT3_lPKT2_lT1_lS7_lS8_lS4_lPT4_lS8_li.has_recursion, 0
	.set _ZL32rocblas_gemvt_warp_reduce_kernelILb1ELi1024EiPKDF16_fKPfEviiT3_lPKT2_lT1_lS7_lS8_lS4_lPT4_lS8_li.has_indirect_call, 0
	.section	.AMDGPU.csdata,"",@progbits
; Kernel info:
; codeLenInByte = 1680
; TotalNumSgprs: 40
; NumVgprs: 25
; ScratchSize: 0
; MemoryBound: 0
; FloatMode: 240
; IeeeMode: 1
; LDSByteSize: 128 bytes/workgroup (compile time only)
; SGPRBlocks: 0
; VGPRBlocks: 3
; NumSGPRsForWavesPerEU: 40
; NumVGPRsForWavesPerEU: 25
; Occupancy: 16
; WaveLimiterHint : 1
; COMPUTE_PGM_RSRC2:SCRATCH_EN: 0
; COMPUTE_PGM_RSRC2:USER_SGPR: 2
; COMPUTE_PGM_RSRC2:TRAP_HANDLER: 0
; COMPUTE_PGM_RSRC2:TGID_X_EN: 1
; COMPUTE_PGM_RSRC2:TGID_Y_EN: 0
; COMPUTE_PGM_RSRC2:TGID_Z_EN: 1
; COMPUTE_PGM_RSRC2:TIDIG_COMP_CNT: 0
	.section	.text._ZL32rocblas_gemvt_warp_reduce_kernelILb1ELi1024ElPKDF16_fKPfEviiT3_lPKT2_lT1_lS7_lS8_lS4_lPT4_lS8_li,"axG",@progbits,_ZL32rocblas_gemvt_warp_reduce_kernelILb1ELi1024ElPKDF16_fKPfEviiT3_lPKT2_lT1_lS7_lS8_lS4_lPT4_lS8_li,comdat
	.globl	_ZL32rocblas_gemvt_warp_reduce_kernelILb1ELi1024ElPKDF16_fKPfEviiT3_lPKT2_lT1_lS7_lS8_lS4_lPT4_lS8_li ; -- Begin function _ZL32rocblas_gemvt_warp_reduce_kernelILb1ELi1024ElPKDF16_fKPfEviiT3_lPKT2_lT1_lS7_lS8_lS4_lPT4_lS8_li
	.p2align	8
	.type	_ZL32rocblas_gemvt_warp_reduce_kernelILb1ELi1024ElPKDF16_fKPfEviiT3_lPKT2_lT1_lS7_lS8_lS4_lPT4_lS8_li,@function
_ZL32rocblas_gemvt_warp_reduce_kernelILb1ELi1024ElPKDF16_fKPfEviiT3_lPKT2_lT1_lS7_lS8_lS4_lPT4_lS8_li: ; @_ZL32rocblas_gemvt_warp_reduce_kernelILb1ELi1024ElPKDF16_fKPfEviiT3_lPKT2_lT1_lS7_lS8_lS4_lPT4_lS8_li
; %bb.0:
	s_load_b32 s30, s[0:1], 0x88
	s_lshr_b32 s6, ttmp7, 16
	s_wait_kmcnt 0x0
	s_cmp_ge_u32 s6, s30
	s_cbranch_scc1 .LBB539_41
; %bb.1:
	s_clause 0x8
	s_load_b32 s31, s[0:1], 0x8
	s_load_b32 s33, s[0:1], 0x58
	s_load_b64 s[24:25], s[0:1], 0x48
	s_load_b128 s[8:11], s[0:1], 0x38
	s_load_b32 s37, s[0:1], 0x0
	s_load_b128 s[12:15], s[0:1], 0x18
	s_load_b64 s[26:27], s[0:1], 0x28
	s_load_b64 s[28:29], s[0:1], 0x78
	s_load_b128 s[16:19], s[0:1], 0x68
	v_and_b32_e32 v3, 31, v0
	v_lshrrev_b32_e32 v4, 3, v0
	v_mov_b32_e32 v13, 0
	s_mov_b32 s4, ttmp9
	v_mbcnt_lo_u32_b32 v17, -1, 0
	v_lshlrev_b32_e32 v14, 2, v3
	v_and_b32_e32 v16, 0x7c, v4
	v_cmp_eq_u32_e64 s0, 0, v0
	v_cmp_gt_u32_e64 s1, 32, v0
	v_lshl_or_b32 v19, v17, 2, 64
	s_mov_b32 s7, 0
	s_wait_kmcnt 0x0
	s_cmp_eq_f32 s31, 0
	v_mad_co_u64_u32 v[1:2], null, s24, v0, 0
	s_cselect_b32 s34, -1, 0
	s_cmp_neq_f32 s33, 1.0
	v_cmp_gt_i32_e32 vcc_lo, s37, v0
	s_cselect_b32 s2, -1, 0
	s_cmp_neq_f32 s31, 0
	v_cndmask_b32_e32 v5, 0, v0, vcc_lo
	s_cselect_b32 s3, -1, 0
	s_delay_alu instid0(SALU_CYCLE_1)
	s_or_b32 s35, s3, s2
	s_cmp_neq_f32 s33, 0
	v_cndmask_b32_e64 v15, 0, 1, s3
	v_cmp_eq_u32_e64 s2, 0, v3
	v_mad_co_u64_u32 v[2:3], null, s25, v0, v[2:3]
	s_cselect_b32 s36, -1, 0
	s_ashr_i32 s3, s37, 31
	s_ashr_i32 s5, ttmp9, 31
	s_wait_alu 0xfffe
	s_lshr_b32 s3, s3, 22
	s_mul_u64 s[28:29], s[28:29], s[4:5]
	s_wait_alu 0xfffe
	s_add_co_i32 s3, s37, s3
	s_mul_u64 s[26:27], s[26:27], s[4:5]
	s_wait_alu 0xfffe
	s_and_b32 s20, s3, 0xfffffc00
	v_lshlrev_b64_e32 v[1:2], 1, v[1:2]
	v_or_b32_e32 v6, s20, v0
	s_ashr_i32 s21, s20, 31
	v_cmp_gt_i32_e64 s3, s20, v0
	s_wait_alu 0xfffe
	s_mul_i32 s5, s24, s21
	v_lshlrev_b32_e32 v18, 1, v5
	v_mul_lo_u32 v7, s25, v6
	v_mad_co_u64_u32 v[3:4], null, s24, v6, 0
	v_cmp_gt_i32_e64 s4, s37, v6
	s_lshl_b64 s[22:23], s[24:25], 11
	s_lshl_b64 s[14:15], s[14:15], 1
	;; [unrolled: 1-line block ×5, first 2 shown]
	v_add3_u32 v4, v4, s5, v7
	s_lshl_b64 s[26:27], s[26:27], 1
	s_lshl_b64 s[28:29], s[20:21], 1
	s_delay_alu instid0(VALU_DEP_1)
	v_lshlrev_b64_e32 v[3:4], 1, v[3:4]
	s_branch .LBB539_4
.LBB539_2:                              ;   in Loop: Header=BB539_4 Depth=1
	s_wait_alu 0xfffe
	s_or_b32 exec_lo, exec_lo, s5
.LBB539_3:                              ;   in Loop: Header=BB539_4 Depth=1
	s_add_co_i32 s6, s6, 0x10000
	s_delay_alu instid0(SALU_CYCLE_1)
	s_cmp_lt_u32 s6, s30
	s_cbranch_scc0 .LBB539_41
.LBB539_4:                              ; =>This Loop Header: Depth=1
                                        ;     Child Loop BB539_30 Depth 2
	s_and_not1_b32 vcc_lo, exec_lo, s35
	s_wait_alu 0xfffe
	s_cbranch_vccnz .LBB539_3
; %bb.5:                                ;   in Loop: Header=BB539_4 Depth=1
	s_and_not1_b32 vcc_lo, exec_lo, s34
	s_wait_alu 0xfffe
	s_cbranch_vccnz .LBB539_7
; %bb.6:                                ;   in Loop: Header=BB539_4 Depth=1
	s_mov_b32 s5, 0
	s_branch .LBB539_8
.LBB539_7:                              ;   in Loop: Header=BB539_4 Depth=1
	s_mov_b32 s5, -1
.LBB539_8:                              ;   in Loop: Header=BB539_4 Depth=1
	v_mov_b32_e32 v5, 0
	v_dual_mov_b32 v6, 0 :: v_dual_mov_b32 v7, 0
	v_mov_b32_e32 v8, 0
	s_wait_alu 0xfffe
	s_and_not1_b32 vcc_lo, exec_lo, s5
	s_wait_alu 0xfffe
	s_cbranch_vccnz .LBB539_10
; %bb.9:                                ;   in Loop: Header=BB539_4 Depth=1
	s_lshl_b64 s[38:39], s[6:7], 3
	s_delay_alu instid0(SALU_CYCLE_1)
	s_add_nc_u64 s[38:39], s[12:13], s[38:39]
	global_load_b64 v[7:8], v13, s[38:39]
	s_wait_loadcnt 0x0
	v_add_co_u32 v7, vcc_lo, v7, s14
	s_wait_alu 0xfffd
	v_add_co_ci_u32_e64 v8, null, s15, v8, vcc_lo
.LBB539_10:                             ;   in Loop: Header=BB539_4 Depth=1
	v_cmp_ne_u32_e32 vcc_lo, 1, v15
	s_cbranch_vccnz .LBB539_12
; %bb.11:                               ;   in Loop: Header=BB539_4 Depth=1
	s_lshl_b64 s[38:39], s[6:7], 3
	s_delay_alu instid0(SALU_CYCLE_1)
	s_add_nc_u64 s[38:39], s[8:9], s[38:39]
	global_load_b64 v[5:6], v13, s[38:39]
	s_wait_loadcnt 0x0
	v_add_co_u32 v5, vcc_lo, v5, s10
	s_wait_alu 0xfffd
	v_add_co_ci_u32_e64 v6, null, s11, v6, vcc_lo
.LBB539_12:                             ;   in Loop: Header=BB539_4 Depth=1
	s_lshl_b64 s[38:39], s[6:7], 3
	s_delay_alu instid0(SALU_CYCLE_1)
	s_add_nc_u64 s[38:39], s[16:17], s[38:39]
	s_wait_dscnt 0x0
	global_load_b64 v[9:10], v13, s[38:39]
	s_wait_loadcnt 0x0
	v_add_co_u32 v20, vcc_lo, v9, s18
	s_wait_alu 0xfffd
	v_add_co_ci_u32_e64 v21, null, s19, v10, vcc_lo
	s_and_not1_b32 vcc_lo, exec_lo, s34
	s_wait_alu 0xfffe
	s_cbranch_vccnz .LBB539_16
; %bb.13:                               ;   in Loop: Header=BB539_4 Depth=1
	s_mov_b32 s5, 0
	s_mov_b32 s21, 0
                                        ; implicit-def: $vgpr9
	s_and_saveexec_b32 s37, s0
	s_cbranch_execz .LBB539_17
; %bb.14:                               ;   in Loop: Header=BB539_4 Depth=1
	s_and_not1_b32 vcc_lo, exec_lo, s36
	s_wait_alu 0xfffe
	s_cbranch_vccnz .LBB539_18
; %bb.15:                               ;   in Loop: Header=BB539_4 Depth=1
	v_add_co_u32 v9, vcc_lo, v20, s24
	s_wait_alu 0xfffd
	v_add_co_ci_u32_e64 v10, null, s25, v21, vcc_lo
	flat_load_b32 v9, v[9:10]
	s_wait_loadcnt_dscnt 0x0
	v_mul_f32_e32 v9, s33, v9
	s_branch .LBB539_19
.LBB539_16:                             ;   in Loop: Header=BB539_4 Depth=1
	s_mov_b32 s21, 0
                                        ; implicit-def: $vgpr9
	s_cbranch_execnz .LBB539_20
	s_branch .LBB539_39
.LBB539_17:                             ;   in Loop: Header=BB539_4 Depth=1
	s_wait_alu 0xfffe
	s_or_b32 exec_lo, exec_lo, s37
	s_delay_alu instid0(SALU_CYCLE_1)
	s_and_b32 vcc_lo, exec_lo, s5
	s_wait_alu 0xfffe
	s_cbranch_vccnz .LBB539_20
	s_branch .LBB539_39
.LBB539_18:                             ;   in Loop: Header=BB539_4 Depth=1
	v_mov_b32_e32 v9, 0
.LBB539_19:                             ;   in Loop: Header=BB539_4 Depth=1
	s_mov_b32 s21, exec_lo
	s_or_b32 exec_lo, exec_lo, s37
	s_delay_alu instid0(SALU_CYCLE_1)
	s_and_b32 vcc_lo, exec_lo, s5
	s_wait_alu 0xfffe
	s_cbranch_vccz .LBB539_39
.LBB539_20:                             ;   in Loop: Header=BB539_4 Depth=1
	v_add_co_u32 v7, vcc_lo, v7, v18
	s_wait_alu 0xfffd
	v_add_co_ci_u32_e64 v8, null, 0, v8, vcc_lo
	v_mov_b32_e32 v22, 0
	s_delay_alu instid0(VALU_DEP_3) | instskip(SKIP_1) | instid1(VALU_DEP_3)
	v_add_co_u32 v7, vcc_lo, v7, s26
	s_wait_alu 0xfffd
	v_add_co_ci_u32_e64 v8, null, s27, v8, vcc_lo
	s_and_saveexec_b32 s37, s3
	s_cbranch_execnz .LBB539_29
; %bb.21:                               ;   in Loop: Header=BB539_4 Depth=1
	s_wait_alu 0xfffe
	s_or_b32 exec_lo, exec_lo, s37
	s_and_saveexec_b32 s5, s4
	s_cbranch_execnz .LBB539_32
.LBB539_22:                             ;   in Loop: Header=BB539_4 Depth=1
	s_wait_alu 0xfffe
	s_or_b32 exec_lo, exec_lo, s5
	s_and_saveexec_b32 s5, s1
.LBB539_23:                             ;   in Loop: Header=BB539_4 Depth=1
	ds_store_b32 v14, v13
.LBB539_24:                             ;   in Loop: Header=BB539_4 Depth=1
	s_wait_alu 0xfffe
	s_or_b32 exec_lo, exec_lo, s5
	ds_bpermute_b32 v6, v19, v22
	v_cmp_gt_u32_e32 vcc_lo, 24, v17
	s_wait_dscnt 0x0
	s_barrier_signal -1
	s_barrier_wait -1
	global_inv scope:SCOPE_SE
	s_wait_alu 0xfffd
	v_cndmask_b32_e64 v5, 0, 8, vcc_lo
	v_cmp_gt_u32_e32 vcc_lo, 28, v17
	s_delay_alu instid0(VALU_DEP_2)
	v_add_lshl_u32 v5, v5, v17, 2
	v_add_f32_e32 v7, v22, v6
	s_wait_alu 0xfffd
	v_cndmask_b32_e64 v6, 0, 4, vcc_lo
	v_cmp_gt_u32_e32 vcc_lo, 30, v17
	ds_bpermute_b32 v8, v5, v7
	v_add_lshl_u32 v6, v6, v17, 2
	s_wait_dscnt 0x0
	v_add_f32_e32 v8, v7, v8
	s_wait_alu 0xfffd
	v_cndmask_b32_e64 v7, 0, 2, vcc_lo
	v_cmp_ne_u32_e32 vcc_lo, 31, v17
	ds_bpermute_b32 v9, v6, v8
	v_add_lshl_u32 v7, v7, v17, 2
	s_wait_alu 0xfffd
	v_add_co_ci_u32_e64 v10, null, 0, v17, vcc_lo
	s_wait_dscnt 0x0
	v_add_f32_e32 v8, v8, v9
	ds_bpermute_b32 v9, v7, v8
	s_wait_dscnt 0x0
	v_dual_add_f32 v9, v8, v9 :: v_dual_lshlrev_b32 v8, 2, v10
	ds_bpermute_b32 v10, v8, v9
	s_and_saveexec_b32 s5, s2
	s_cbranch_execz .LBB539_26
; %bb.25:                               ;   in Loop: Header=BB539_4 Depth=1
	s_wait_dscnt 0x0
	v_add_f32_e32 v9, v9, v10
	ds_store_b32 v16, v9
.LBB539_26:                             ;   in Loop: Header=BB539_4 Depth=1
	s_wait_alu 0xfffe
	s_or_b32 exec_lo, exec_lo, s5
	s_wait_dscnt 0x0
	v_mov_b32_e32 v10, 0
	s_wait_loadcnt 0x0
	s_barrier_signal -1
	s_barrier_wait -1
	global_inv scope:SCOPE_SE
	s_and_saveexec_b32 s5, s1
	s_cbranch_execnz .LBB539_33
; %bb.27:                               ;   in Loop: Header=BB539_4 Depth=1
	s_wait_alu 0xfffe
	s_or_b32 exec_lo, exec_lo, s5
	s_and_saveexec_b32 s5, s1
	s_cbranch_execnz .LBB539_34
.LBB539_28:                             ;   in Loop: Header=BB539_4 Depth=1
	s_wait_alu 0xfffe
	s_or_b32 exec_lo, exec_lo, s5
                                        ; implicit-def: $vgpr9
	s_and_saveexec_b32 s5, s0
	s_cbranch_execnz .LBB539_35
	s_branch .LBB539_38
.LBB539_29:                             ;   in Loop: Header=BB539_4 Depth=1
	v_add_co_u32 v9, vcc_lo, v5, v1
	v_dual_mov_b32 v12, v8 :: v_dual_mov_b32 v23, v0
	s_wait_alu 0xfffd
	v_add_co_ci_u32_e64 v10, null, v6, v2, vcc_lo
	v_dual_mov_b32 v22, 0 :: v_dual_mov_b32 v11, v7
	s_mov_b32 s38, 0
.LBB539_30:                             ;   Parent Loop BB539_4 Depth=1
                                        ; =>  This Inner Loop Header: Depth=2
	flat_load_u16 v24, v[11:12]
	flat_load_u16 v25, v[9:10]
	v_add_co_u32 v11, vcc_lo, 0x800, v11
	s_wait_alu 0xfffd
	v_add_co_ci_u32_e64 v12, null, 0, v12, vcc_lo
	v_add_co_u32 v9, vcc_lo, v9, s22
	s_wait_alu 0xfffd
	v_add_co_ci_u32_e64 v10, null, s23, v10, vcc_lo
	s_wait_loadcnt_dscnt 0x0
	v_mul_f16_e32 v24, v24, v25
	s_delay_alu instid0(VALU_DEP_1) | instskip(NEXT) | instid1(VALU_DEP_1)
	v_cvt_f32_f16_e32 v24, v24
	v_dual_add_f32 v22, v22, v24 :: v_dual_add_nc_u32 v23, 0x400, v23
	s_delay_alu instid0(VALU_DEP_1) | instskip(SKIP_1) | instid1(SALU_CYCLE_1)
	v_cmp_le_i32_e64 s5, s20, v23
	s_or_b32 s38, s5, s38
	s_and_not1_b32 exec_lo, exec_lo, s38
	s_cbranch_execnz .LBB539_30
; %bb.31:                               ;   in Loop: Header=BB539_4 Depth=1
	s_or_b32 exec_lo, exec_lo, s38
	s_wait_alu 0xfffe
	s_or_b32 exec_lo, exec_lo, s37
	s_and_saveexec_b32 s5, s4
	s_cbranch_execz .LBB539_22
.LBB539_32:                             ;   in Loop: Header=BB539_4 Depth=1
	v_add_co_u32 v7, vcc_lo, v7, s28
	s_wait_alu 0xfffd
	v_add_co_ci_u32_e64 v8, null, s29, v8, vcc_lo
	v_add_co_u32 v5, vcc_lo, v5, v3
	s_wait_alu 0xfffd
	v_add_co_ci_u32_e64 v6, null, v6, v4, vcc_lo
	flat_load_u16 v7, v[7:8]
	flat_load_u16 v5, v[5:6]
	s_wait_loadcnt_dscnt 0x0
	v_mul_f16_e32 v5, v7, v5
	s_delay_alu instid0(VALU_DEP_1) | instskip(NEXT) | instid1(VALU_DEP_1)
	v_cvt_f32_f16_e32 v5, v5
	v_add_f32_e32 v22, v22, v5
	s_wait_alu 0xfffe
	s_or_b32 exec_lo, exec_lo, s5
	s_and_saveexec_b32 s5, s1
	s_cbranch_execnz .LBB539_23
	s_branch .LBB539_24
.LBB539_33:                             ;   in Loop: Header=BB539_4 Depth=1
	ds_load_b32 v10, v14
	s_wait_alu 0xfffe
	s_or_b32 exec_lo, exec_lo, s5
	s_and_saveexec_b32 s5, s1
	s_cbranch_execz .LBB539_28
.LBB539_34:                             ;   in Loop: Header=BB539_4 Depth=1
	s_wait_dscnt 0x0
	ds_bpermute_b32 v9, v19, v10
	s_wait_dscnt 0x0
	v_add_f32_e32 v9, v10, v9
	ds_bpermute_b32 v5, v5, v9
	s_wait_dscnt 0x0
	v_add_f32_e32 v5, v9, v5
	;; [unrolled: 3-line block ×5, first 2 shown]
	s_wait_alu 0xfffe
	s_or_b32 exec_lo, exec_lo, s5
                                        ; implicit-def: $vgpr9
	s_and_saveexec_b32 s5, s0
	s_cbranch_execz .LBB539_38
.LBB539_35:                             ;   in Loop: Header=BB539_4 Depth=1
	s_wait_dscnt 0x0
	v_mul_f32_e32 v9, s31, v10
	s_and_not1_b32 vcc_lo, exec_lo, s36
	s_wait_alu 0xfffe
	s_cbranch_vccnz .LBB539_37
; %bb.36:                               ;   in Loop: Header=BB539_4 Depth=1
	v_add_co_u32 v5, vcc_lo, v20, s24
	s_wait_alu 0xfffd
	v_add_co_ci_u32_e64 v6, null, s25, v21, vcc_lo
	flat_load_b32 v5, v[5:6]
	s_wait_loadcnt_dscnt 0x0
	v_fmac_f32_e32 v9, s33, v5
.LBB539_37:                             ;   in Loop: Header=BB539_4 Depth=1
	s_or_b32 s21, s21, exec_lo
.LBB539_38:                             ;   in Loop: Header=BB539_4 Depth=1
	s_wait_alu 0xfffe
	s_or_b32 exec_lo, exec_lo, s5
.LBB539_39:                             ;   in Loop: Header=BB539_4 Depth=1
	s_wait_alu 0xfffe
	s_and_saveexec_b32 s5, s21
	s_cbranch_execz .LBB539_2
; %bb.40:                               ;   in Loop: Header=BB539_4 Depth=1
	v_add_co_u32 v5, vcc_lo, v20, s24
	s_wait_alu 0xfffd
	v_add_co_ci_u32_e64 v6, null, s25, v21, vcc_lo
	flat_store_b32 v[5:6], v9
	s_branch .LBB539_2
.LBB539_41:
	s_endpgm
	.section	.rodata,"a",@progbits
	.p2align	6, 0x0
	.amdhsa_kernel _ZL32rocblas_gemvt_warp_reduce_kernelILb1ELi1024ElPKDF16_fKPfEviiT3_lPKT2_lT1_lS7_lS8_lS4_lPT4_lS8_li
		.amdhsa_group_segment_fixed_size 128
		.amdhsa_private_segment_fixed_size 0
		.amdhsa_kernarg_size 140
		.amdhsa_user_sgpr_count 2
		.amdhsa_user_sgpr_dispatch_ptr 0
		.amdhsa_user_sgpr_queue_ptr 0
		.amdhsa_user_sgpr_kernarg_segment_ptr 1
		.amdhsa_user_sgpr_dispatch_id 0
		.amdhsa_user_sgpr_private_segment_size 0
		.amdhsa_wavefront_size32 1
		.amdhsa_uses_dynamic_stack 0
		.amdhsa_enable_private_segment 0
		.amdhsa_system_sgpr_workgroup_id_x 1
		.amdhsa_system_sgpr_workgroup_id_y 0
		.amdhsa_system_sgpr_workgroup_id_z 1
		.amdhsa_system_sgpr_workgroup_info 0
		.amdhsa_system_vgpr_workitem_id 0
		.amdhsa_next_free_vgpr 26
		.amdhsa_next_free_sgpr 40
		.amdhsa_reserve_vcc 1
		.amdhsa_float_round_mode_32 0
		.amdhsa_float_round_mode_16_64 0
		.amdhsa_float_denorm_mode_32 3
		.amdhsa_float_denorm_mode_16_64 3
		.amdhsa_fp16_overflow 0
		.amdhsa_workgroup_processor_mode 1
		.amdhsa_memory_ordered 1
		.amdhsa_forward_progress 1
		.amdhsa_inst_pref_size 14
		.amdhsa_round_robin_scheduling 0
		.amdhsa_exception_fp_ieee_invalid_op 0
		.amdhsa_exception_fp_denorm_src 0
		.amdhsa_exception_fp_ieee_div_zero 0
		.amdhsa_exception_fp_ieee_overflow 0
		.amdhsa_exception_fp_ieee_underflow 0
		.amdhsa_exception_fp_ieee_inexact 0
		.amdhsa_exception_int_div_zero 0
	.end_amdhsa_kernel
	.section	.text._ZL32rocblas_gemvt_warp_reduce_kernelILb1ELi1024ElPKDF16_fKPfEviiT3_lPKT2_lT1_lS7_lS8_lS4_lPT4_lS8_li,"axG",@progbits,_ZL32rocblas_gemvt_warp_reduce_kernelILb1ELi1024ElPKDF16_fKPfEviiT3_lPKT2_lT1_lS7_lS8_lS4_lPT4_lS8_li,comdat
.Lfunc_end539:
	.size	_ZL32rocblas_gemvt_warp_reduce_kernelILb1ELi1024ElPKDF16_fKPfEviiT3_lPKT2_lT1_lS7_lS8_lS4_lPT4_lS8_li, .Lfunc_end539-_ZL32rocblas_gemvt_warp_reduce_kernelILb1ELi1024ElPKDF16_fKPfEviiT3_lPKT2_lT1_lS7_lS8_lS4_lPT4_lS8_li
                                        ; -- End function
	.set _ZL32rocblas_gemvt_warp_reduce_kernelILb1ELi1024ElPKDF16_fKPfEviiT3_lPKT2_lT1_lS7_lS8_lS4_lPT4_lS8_li.num_vgpr, 26
	.set _ZL32rocblas_gemvt_warp_reduce_kernelILb1ELi1024ElPKDF16_fKPfEviiT3_lPKT2_lT1_lS7_lS8_lS4_lPT4_lS8_li.num_agpr, 0
	.set _ZL32rocblas_gemvt_warp_reduce_kernelILb1ELi1024ElPKDF16_fKPfEviiT3_lPKT2_lT1_lS7_lS8_lS4_lPT4_lS8_li.numbered_sgpr, 40
	.set _ZL32rocblas_gemvt_warp_reduce_kernelILb1ELi1024ElPKDF16_fKPfEviiT3_lPKT2_lT1_lS7_lS8_lS4_lPT4_lS8_li.num_named_barrier, 0
	.set _ZL32rocblas_gemvt_warp_reduce_kernelILb1ELi1024ElPKDF16_fKPfEviiT3_lPKT2_lT1_lS7_lS8_lS4_lPT4_lS8_li.private_seg_size, 0
	.set _ZL32rocblas_gemvt_warp_reduce_kernelILb1ELi1024ElPKDF16_fKPfEviiT3_lPKT2_lT1_lS7_lS8_lS4_lPT4_lS8_li.uses_vcc, 1
	.set _ZL32rocblas_gemvt_warp_reduce_kernelILb1ELi1024ElPKDF16_fKPfEviiT3_lPKT2_lT1_lS7_lS8_lS4_lPT4_lS8_li.uses_flat_scratch, 0
	.set _ZL32rocblas_gemvt_warp_reduce_kernelILb1ELi1024ElPKDF16_fKPfEviiT3_lPKT2_lT1_lS7_lS8_lS4_lPT4_lS8_li.has_dyn_sized_stack, 0
	.set _ZL32rocblas_gemvt_warp_reduce_kernelILb1ELi1024ElPKDF16_fKPfEviiT3_lPKT2_lT1_lS7_lS8_lS4_lPT4_lS8_li.has_recursion, 0
	.set _ZL32rocblas_gemvt_warp_reduce_kernelILb1ELi1024ElPKDF16_fKPfEviiT3_lPKT2_lT1_lS7_lS8_lS4_lPT4_lS8_li.has_indirect_call, 0
	.section	.AMDGPU.csdata,"",@progbits
; Kernel info:
; codeLenInByte = 1728
; TotalNumSgprs: 42
; NumVgprs: 26
; ScratchSize: 0
; MemoryBound: 0
; FloatMode: 240
; IeeeMode: 1
; LDSByteSize: 128 bytes/workgroup (compile time only)
; SGPRBlocks: 0
; VGPRBlocks: 3
; NumSGPRsForWavesPerEU: 42
; NumVGPRsForWavesPerEU: 26
; Occupancy: 16
; WaveLimiterHint : 1
; COMPUTE_PGM_RSRC2:SCRATCH_EN: 0
; COMPUTE_PGM_RSRC2:USER_SGPR: 2
; COMPUTE_PGM_RSRC2:TRAP_HANDLER: 0
; COMPUTE_PGM_RSRC2:TGID_X_EN: 1
; COMPUTE_PGM_RSRC2:TGID_Y_EN: 0
; COMPUTE_PGM_RSRC2:TGID_Z_EN: 1
; COMPUTE_PGM_RSRC2:TIDIG_COMP_CNT: 0
	.section	.text._ZL34rocblas_gemvn_sm_mn_batched_kernelILi32ELi24E16rocblas_bfloat16PKfS0_EviiT2_lPKT1_lilS6_lilS3_lPT3_lili,"axG",@progbits,_ZL34rocblas_gemvn_sm_mn_batched_kernelILi32ELi24E16rocblas_bfloat16PKfS0_EviiT2_lPKT1_lilS6_lilS3_lPT3_lili,comdat
	.globl	_ZL34rocblas_gemvn_sm_mn_batched_kernelILi32ELi24E16rocblas_bfloat16PKfS0_EviiT2_lPKT1_lilS6_lilS3_lPT3_lili ; -- Begin function _ZL34rocblas_gemvn_sm_mn_batched_kernelILi32ELi24E16rocblas_bfloat16PKfS0_EviiT2_lPKT1_lilS6_lilS3_lPT3_lili
	.p2align	8
	.type	_ZL34rocblas_gemvn_sm_mn_batched_kernelILi32ELi24E16rocblas_bfloat16PKfS0_EviiT2_lPKT1_lilS6_lilS3_lPT3_lili,@function
_ZL34rocblas_gemvn_sm_mn_batched_kernelILi32ELi24E16rocblas_bfloat16PKfS0_EviiT2_lPKT1_lilS6_lilS3_lPT3_lili: ; @_ZL34rocblas_gemvn_sm_mn_batched_kernelILi32ELi24E16rocblas_bfloat16PKfS0_EviiT2_lPKT1_lilS6_lilS3_lPT3_lili
; %bb.0:
	s_endpgm
	.section	.rodata,"a",@progbits
	.p2align	6, 0x0
	.amdhsa_kernel _ZL34rocblas_gemvn_sm_mn_batched_kernelILi32ELi24E16rocblas_bfloat16PKfS0_EviiT2_lPKT1_lilS6_lilS3_lPT3_lili
		.amdhsa_group_segment_fixed_size 0
		.amdhsa_private_segment_fixed_size 0
		.amdhsa_kernarg_size 140
		.amdhsa_user_sgpr_count 2
		.amdhsa_user_sgpr_dispatch_ptr 0
		.amdhsa_user_sgpr_queue_ptr 0
		.amdhsa_user_sgpr_kernarg_segment_ptr 1
		.amdhsa_user_sgpr_dispatch_id 0
		.amdhsa_user_sgpr_private_segment_size 0
		.amdhsa_wavefront_size32 1
		.amdhsa_uses_dynamic_stack 0
		.amdhsa_enable_private_segment 0
		.amdhsa_system_sgpr_workgroup_id_x 1
		.amdhsa_system_sgpr_workgroup_id_y 0
		.amdhsa_system_sgpr_workgroup_id_z 0
		.amdhsa_system_sgpr_workgroup_info 0
		.amdhsa_system_vgpr_workitem_id 0
		.amdhsa_next_free_vgpr 1
		.amdhsa_next_free_sgpr 1
		.amdhsa_reserve_vcc 0
		.amdhsa_float_round_mode_32 0
		.amdhsa_float_round_mode_16_64 0
		.amdhsa_float_denorm_mode_32 3
		.amdhsa_float_denorm_mode_16_64 3
		.amdhsa_fp16_overflow 0
		.amdhsa_workgroup_processor_mode 1
		.amdhsa_memory_ordered 1
		.amdhsa_forward_progress 1
		.amdhsa_inst_pref_size 1
		.amdhsa_round_robin_scheduling 0
		.amdhsa_exception_fp_ieee_invalid_op 0
		.amdhsa_exception_fp_denorm_src 0
		.amdhsa_exception_fp_ieee_div_zero 0
		.amdhsa_exception_fp_ieee_overflow 0
		.amdhsa_exception_fp_ieee_underflow 0
		.amdhsa_exception_fp_ieee_inexact 0
		.amdhsa_exception_int_div_zero 0
	.end_amdhsa_kernel
	.section	.text._ZL34rocblas_gemvn_sm_mn_batched_kernelILi32ELi24E16rocblas_bfloat16PKfS0_EviiT2_lPKT1_lilS6_lilS3_lPT3_lili,"axG",@progbits,_ZL34rocblas_gemvn_sm_mn_batched_kernelILi32ELi24E16rocblas_bfloat16PKfS0_EviiT2_lPKT1_lilS6_lilS3_lPT3_lili,comdat
.Lfunc_end540:
	.size	_ZL34rocblas_gemvn_sm_mn_batched_kernelILi32ELi24E16rocblas_bfloat16PKfS0_EviiT2_lPKT1_lilS6_lilS3_lPT3_lili, .Lfunc_end540-_ZL34rocblas_gemvn_sm_mn_batched_kernelILi32ELi24E16rocblas_bfloat16PKfS0_EviiT2_lPKT1_lilS6_lilS3_lPT3_lili
                                        ; -- End function
	.set _ZL34rocblas_gemvn_sm_mn_batched_kernelILi32ELi24E16rocblas_bfloat16PKfS0_EviiT2_lPKT1_lilS6_lilS3_lPT3_lili.num_vgpr, 0
	.set _ZL34rocblas_gemvn_sm_mn_batched_kernelILi32ELi24E16rocblas_bfloat16PKfS0_EviiT2_lPKT1_lilS6_lilS3_lPT3_lili.num_agpr, 0
	.set _ZL34rocblas_gemvn_sm_mn_batched_kernelILi32ELi24E16rocblas_bfloat16PKfS0_EviiT2_lPKT1_lilS6_lilS3_lPT3_lili.numbered_sgpr, 0
	.set _ZL34rocblas_gemvn_sm_mn_batched_kernelILi32ELi24E16rocblas_bfloat16PKfS0_EviiT2_lPKT1_lilS6_lilS3_lPT3_lili.num_named_barrier, 0
	.set _ZL34rocblas_gemvn_sm_mn_batched_kernelILi32ELi24E16rocblas_bfloat16PKfS0_EviiT2_lPKT1_lilS6_lilS3_lPT3_lili.private_seg_size, 0
	.set _ZL34rocblas_gemvn_sm_mn_batched_kernelILi32ELi24E16rocblas_bfloat16PKfS0_EviiT2_lPKT1_lilS6_lilS3_lPT3_lili.uses_vcc, 0
	.set _ZL34rocblas_gemvn_sm_mn_batched_kernelILi32ELi24E16rocblas_bfloat16PKfS0_EviiT2_lPKT1_lilS6_lilS3_lPT3_lili.uses_flat_scratch, 0
	.set _ZL34rocblas_gemvn_sm_mn_batched_kernelILi32ELi24E16rocblas_bfloat16PKfS0_EviiT2_lPKT1_lilS6_lilS3_lPT3_lili.has_dyn_sized_stack, 0
	.set _ZL34rocblas_gemvn_sm_mn_batched_kernelILi32ELi24E16rocblas_bfloat16PKfS0_EviiT2_lPKT1_lilS6_lilS3_lPT3_lili.has_recursion, 0
	.set _ZL34rocblas_gemvn_sm_mn_batched_kernelILi32ELi24E16rocblas_bfloat16PKfS0_EviiT2_lPKT1_lilS6_lilS3_lPT3_lili.has_indirect_call, 0
	.section	.AMDGPU.csdata,"",@progbits
; Kernel info:
; codeLenInByte = 4
; TotalNumSgprs: 0
; NumVgprs: 0
; ScratchSize: 0
; MemoryBound: 0
; FloatMode: 240
; IeeeMode: 1
; LDSByteSize: 0 bytes/workgroup (compile time only)
; SGPRBlocks: 0
; VGPRBlocks: 0
; NumSGPRsForWavesPerEU: 1
; NumVGPRsForWavesPerEU: 1
; Occupancy: 16
; WaveLimiterHint : 0
; COMPUTE_PGM_RSRC2:SCRATCH_EN: 0
; COMPUTE_PGM_RSRC2:USER_SGPR: 2
; COMPUTE_PGM_RSRC2:TRAP_HANDLER: 0
; COMPUTE_PGM_RSRC2:TGID_X_EN: 1
; COMPUTE_PGM_RSRC2:TGID_Y_EN: 0
; COMPUTE_PGM_RSRC2:TGID_Z_EN: 0
; COMPUTE_PGM_RSRC2:TIDIG_COMP_CNT: 0
	.section	.text._ZL34rocblas_gemvn_sm_mn_batched_kernelILi32ELi24E16rocblas_bfloat16fS0_EviiT2_lPKT1_lilS4_lilS1_lPT3_lili,"axG",@progbits,_ZL34rocblas_gemvn_sm_mn_batched_kernelILi32ELi24E16rocblas_bfloat16fS0_EviiT2_lPKT1_lilS4_lilS1_lPT3_lili,comdat
	.globl	_ZL34rocblas_gemvn_sm_mn_batched_kernelILi32ELi24E16rocblas_bfloat16fS0_EviiT2_lPKT1_lilS4_lilS1_lPT3_lili ; -- Begin function _ZL34rocblas_gemvn_sm_mn_batched_kernelILi32ELi24E16rocblas_bfloat16fS0_EviiT2_lPKT1_lilS4_lilS1_lPT3_lili
	.p2align	8
	.type	_ZL34rocblas_gemvn_sm_mn_batched_kernelILi32ELi24E16rocblas_bfloat16fS0_EviiT2_lPKT1_lilS4_lilS1_lPT3_lili,@function
_ZL34rocblas_gemvn_sm_mn_batched_kernelILi32ELi24E16rocblas_bfloat16fS0_EviiT2_lPKT1_lilS4_lilS1_lPT3_lili: ; @_ZL34rocblas_gemvn_sm_mn_batched_kernelILi32ELi24E16rocblas_bfloat16fS0_EviiT2_lPKT1_lilS4_lilS1_lPT3_lili
; %bb.0:
	s_endpgm
	.section	.rodata,"a",@progbits
	.p2align	6, 0x0
	.amdhsa_kernel _ZL34rocblas_gemvn_sm_mn_batched_kernelILi32ELi24E16rocblas_bfloat16fS0_EviiT2_lPKT1_lilS4_lilS1_lPT3_lili
		.amdhsa_group_segment_fixed_size 0
		.amdhsa_private_segment_fixed_size 0
		.amdhsa_kernarg_size 140
		.amdhsa_user_sgpr_count 2
		.amdhsa_user_sgpr_dispatch_ptr 0
		.amdhsa_user_sgpr_queue_ptr 0
		.amdhsa_user_sgpr_kernarg_segment_ptr 1
		.amdhsa_user_sgpr_dispatch_id 0
		.amdhsa_user_sgpr_private_segment_size 0
		.amdhsa_wavefront_size32 1
		.amdhsa_uses_dynamic_stack 0
		.amdhsa_enable_private_segment 0
		.amdhsa_system_sgpr_workgroup_id_x 1
		.amdhsa_system_sgpr_workgroup_id_y 0
		.amdhsa_system_sgpr_workgroup_id_z 0
		.amdhsa_system_sgpr_workgroup_info 0
		.amdhsa_system_vgpr_workitem_id 0
		.amdhsa_next_free_vgpr 1
		.amdhsa_next_free_sgpr 1
		.amdhsa_reserve_vcc 0
		.amdhsa_float_round_mode_32 0
		.amdhsa_float_round_mode_16_64 0
		.amdhsa_float_denorm_mode_32 3
		.amdhsa_float_denorm_mode_16_64 3
		.amdhsa_fp16_overflow 0
		.amdhsa_workgroup_processor_mode 1
		.amdhsa_memory_ordered 1
		.amdhsa_forward_progress 1
		.amdhsa_inst_pref_size 1
		.amdhsa_round_robin_scheduling 0
		.amdhsa_exception_fp_ieee_invalid_op 0
		.amdhsa_exception_fp_denorm_src 0
		.amdhsa_exception_fp_ieee_div_zero 0
		.amdhsa_exception_fp_ieee_overflow 0
		.amdhsa_exception_fp_ieee_underflow 0
		.amdhsa_exception_fp_ieee_inexact 0
		.amdhsa_exception_int_div_zero 0
	.end_amdhsa_kernel
	.section	.text._ZL34rocblas_gemvn_sm_mn_batched_kernelILi32ELi24E16rocblas_bfloat16fS0_EviiT2_lPKT1_lilS4_lilS1_lPT3_lili,"axG",@progbits,_ZL34rocblas_gemvn_sm_mn_batched_kernelILi32ELi24E16rocblas_bfloat16fS0_EviiT2_lPKT1_lilS4_lilS1_lPT3_lili,comdat
.Lfunc_end541:
	.size	_ZL34rocblas_gemvn_sm_mn_batched_kernelILi32ELi24E16rocblas_bfloat16fS0_EviiT2_lPKT1_lilS4_lilS1_lPT3_lili, .Lfunc_end541-_ZL34rocblas_gemvn_sm_mn_batched_kernelILi32ELi24E16rocblas_bfloat16fS0_EviiT2_lPKT1_lilS4_lilS1_lPT3_lili
                                        ; -- End function
	.set _ZL34rocblas_gemvn_sm_mn_batched_kernelILi32ELi24E16rocblas_bfloat16fS0_EviiT2_lPKT1_lilS4_lilS1_lPT3_lili.num_vgpr, 0
	.set _ZL34rocblas_gemvn_sm_mn_batched_kernelILi32ELi24E16rocblas_bfloat16fS0_EviiT2_lPKT1_lilS4_lilS1_lPT3_lili.num_agpr, 0
	.set _ZL34rocblas_gemvn_sm_mn_batched_kernelILi32ELi24E16rocblas_bfloat16fS0_EviiT2_lPKT1_lilS4_lilS1_lPT3_lili.numbered_sgpr, 0
	.set _ZL34rocblas_gemvn_sm_mn_batched_kernelILi32ELi24E16rocblas_bfloat16fS0_EviiT2_lPKT1_lilS4_lilS1_lPT3_lili.num_named_barrier, 0
	.set _ZL34rocblas_gemvn_sm_mn_batched_kernelILi32ELi24E16rocblas_bfloat16fS0_EviiT2_lPKT1_lilS4_lilS1_lPT3_lili.private_seg_size, 0
	.set _ZL34rocblas_gemvn_sm_mn_batched_kernelILi32ELi24E16rocblas_bfloat16fS0_EviiT2_lPKT1_lilS4_lilS1_lPT3_lili.uses_vcc, 0
	.set _ZL34rocblas_gemvn_sm_mn_batched_kernelILi32ELi24E16rocblas_bfloat16fS0_EviiT2_lPKT1_lilS4_lilS1_lPT3_lili.uses_flat_scratch, 0
	.set _ZL34rocblas_gemvn_sm_mn_batched_kernelILi32ELi24E16rocblas_bfloat16fS0_EviiT2_lPKT1_lilS4_lilS1_lPT3_lili.has_dyn_sized_stack, 0
	.set _ZL34rocblas_gemvn_sm_mn_batched_kernelILi32ELi24E16rocblas_bfloat16fS0_EviiT2_lPKT1_lilS4_lilS1_lPT3_lili.has_recursion, 0
	.set _ZL34rocblas_gemvn_sm_mn_batched_kernelILi32ELi24E16rocblas_bfloat16fS0_EviiT2_lPKT1_lilS4_lilS1_lPT3_lili.has_indirect_call, 0
	.section	.AMDGPU.csdata,"",@progbits
; Kernel info:
; codeLenInByte = 4
; TotalNumSgprs: 0
; NumVgprs: 0
; ScratchSize: 0
; MemoryBound: 0
; FloatMode: 240
; IeeeMode: 1
; LDSByteSize: 0 bytes/workgroup (compile time only)
; SGPRBlocks: 0
; VGPRBlocks: 0
; NumSGPRsForWavesPerEU: 1
; NumVGPRsForWavesPerEU: 1
; Occupancy: 16
; WaveLimiterHint : 0
; COMPUTE_PGM_RSRC2:SCRATCH_EN: 0
; COMPUTE_PGM_RSRC2:USER_SGPR: 2
; COMPUTE_PGM_RSRC2:TRAP_HANDLER: 0
; COMPUTE_PGM_RSRC2:TGID_X_EN: 1
; COMPUTE_PGM_RSRC2:TGID_Y_EN: 0
; COMPUTE_PGM_RSRC2:TGID_Z_EN: 0
; COMPUTE_PGM_RSRC2:TIDIG_COMP_CNT: 0
	.section	.text._ZL20rocblas_gemvn_kernelILi64ELi4Ei16rocblas_bfloat16PKfS0_EviiT3_lPKT2_lT1_lS6_lS7_lS3_lPT4_lS7_li,"axG",@progbits,_ZL20rocblas_gemvn_kernelILi64ELi4Ei16rocblas_bfloat16PKfS0_EviiT3_lPKT2_lT1_lS6_lS7_lS3_lPT4_lS7_li,comdat
	.globl	_ZL20rocblas_gemvn_kernelILi64ELi4Ei16rocblas_bfloat16PKfS0_EviiT3_lPKT2_lT1_lS6_lS7_lS3_lPT4_lS7_li ; -- Begin function _ZL20rocblas_gemvn_kernelILi64ELi4Ei16rocblas_bfloat16PKfS0_EviiT3_lPKT2_lT1_lS6_lS7_lS3_lPT4_lS7_li
	.p2align	8
	.type	_ZL20rocblas_gemvn_kernelILi64ELi4Ei16rocblas_bfloat16PKfS0_EviiT3_lPKT2_lT1_lS6_lS7_lS3_lPT4_lS7_li,@function
_ZL20rocblas_gemvn_kernelILi64ELi4Ei16rocblas_bfloat16PKfS0_EviiT3_lPKT2_lT1_lS6_lS7_lS3_lPT4_lS7_li: ; @_ZL20rocblas_gemvn_kernelILi64ELi4Ei16rocblas_bfloat16PKfS0_EviiT3_lPKT2_lT1_lS6_lS7_lS3_lPT4_lS7_li
; %bb.0:
	s_load_b64 s[2:3], s[0:1], 0x9c
	s_wait_kmcnt 0x0
	s_lshr_b32 s4, s2, 16
	s_and_b32 s2, s2, 0xffff
	s_and_b32 s3, s3, 0xffff
	s_mul_i32 s2, s4, s2
	s_delay_alu instid0(SALU_CYCLE_1) | instskip(NEXT) | instid1(SALU_CYCLE_1)
	s_mul_i32 s2, s2, s3
	s_cmp_lg_u32 s2, 0x100
	s_cbranch_scc1 .LBB542_70
; %bb.1:
	s_load_b32 s31, s[0:1], 0x88
	s_lshr_b32 s34, ttmp7, 16
	s_wait_kmcnt 0x0
	s_cmp_ge_u32 s34, s31
	s_cbranch_scc1 .LBB542_70
; %bb.2:
	s_clause 0x3
	s_load_b96 s[4:6], s[0:1], 0x70
	s_load_b256 s[8:15], s[0:1], 0x8
	s_load_b96 s[28:30], s[0:1], 0x40
	s_load_b64 s[36:37], s[0:1], 0x0
	v_and_b32_e32 v9, 0x3ff, v0
	v_bfe_u32 v8, v0, 10, 10
	s_clause 0x2
	s_load_b32 s33, s[0:1], 0x28
	s_load_b128 s[24:27], s[0:1], 0x30
	s_load_b256 s[16:23], s[0:1], 0x50
	s_lshl_b32 s42, ttmp9, 8
	v_mov_b32_e32 v1, 0
	v_or_b32_e32 v19, s42, v9
	v_lshl_add_u32 v5, v8, 6, v9
	v_lshlrev_b32_e32 v20, 2, v8
	s_load_b64 s[38:39], s[0:1], 0x80
	s_mov_b32 s35, 0
	v_add_nc_u32_e32 v7, 0x80, v19
	v_add_nc_u32_e32 v0, s42, v5
	v_or_b32_e32 v11, s42, v5
	v_add_nc_u32_e32 v6, 64, v19
	v_add_nc_u32_e32 v10, 0xc0, v19
	v_or_b32_e32 v12, 3, v20
	s_wait_kmcnt 0x0
	v_mad_co_u64_u32 v[2:3], null, s6, v0, 0
	s_lshl_b64 s[2:3], s[14:15], 1
	s_ashr_i32 s1, s6, 31
	s_ashr_i32 s7, s37, 31
	s_add_nc_u64 s[12:13], s[12:13], s[2:3]
	v_cmp_gt_i32_e64 s3, s36, v7
	v_mul_lo_u32 v7, s33, v20
	s_lshl_b64 s[4:5], s[4:5], 1
	s_wait_alu 0xfffe
	s_lshr_b32 s2, s7, 28
	v_mad_co_u64_u32 v[3:4], null, s1, v0, v[3:4]
	v_mul_lo_u32 v4, s6, v11
	v_cmp_gt_i32_e64 s6, s36, v11
	v_mul_lo_u32 v11, v8, s33
	s_add_co_i32 s1, s37, s2
	s_add_nc_u64 s[22:23], s[22:23], s[4:5]
	v_cmp_gt_i32_e64 s2, s36, v6
	v_cmp_gt_i32_e64 s4, s36, v10
	v_lshlrev_b32_e32 v6, 2, v9
	v_or_b32_e32 v10, 2, v20
	v_mul_lo_u32 v13, v8, s30
	s_lshl_b64 s[14:15], s[28:29], 1
	s_ashr_i32 s29, s36, 31
	s_mov_b32 s28, s36
	s_wait_alu 0xfffe
	s_and_b32 s43, s1, -16
	s_add_nc_u64 s[14:15], s[26:27], s[14:15]
	v_cmp_gt_i64_e32 vcc_lo, s[28:29], v[0:1]
	v_lshl_add_u32 v0, v8, 10, v6
	v_lshl_add_u32 v21, v8, 8, v6
	v_add3_u32 v22, v7, s33, v9
	v_mad_co_u64_u32 v[6:7], null, s33, v10, v[9:10]
	s_mov_b32 s26, s30
	s_wait_alu 0xfffe
	s_sub_co_i32 s5, s37, s43
	v_mad_co_u64_u32 v[7:8], null, s33, v12, v[9:10]
	v_lshl_add_u32 v23, v11, 2, v9
	v_mad_co_u64_u32 v[8:9], null, s30, v20, s[26:27]
	v_mul_lo_u32 v24, s30, v10
	v_mul_lo_u32 v25, s30, v12
	s_cmp_gt_i32 s5, 0
	v_cmp_gt_u32_e64 s5, 0x100, v5
	v_lshlrev_b64_e32 v[9:10], 1, v[2:3]
	v_cmp_gt_i32_e64 s0, s36, v19
	v_cmp_gt_i32_e64 s1, s43, v20
	v_ashrrev_i32_e32 v5, 31, v4
	v_lshlrev_b32_e32 v26, 2, v13
	s_cselect_b32 s36, -1, 0
	s_and_b32 s44, s5, vcc_lo
	s_lshl_b32 s45, s33, 4
	s_lshl_b32 s46, s30, 4
	s_branch .LBB542_5
.LBB542_3:                              ;   in Loop: Header=BB542_5 Depth=1
	s_wait_alu 0xfffe
	s_or_b32 exec_lo, exec_lo, s7
.LBB542_4:                              ;   in Loop: Header=BB542_5 Depth=1
	s_add_co_i32 s34, s34, 0x10000
	s_delay_alu instid0(SALU_CYCLE_1)
	s_cmp_lt_u32 s34, s31
	s_cbranch_scc0 .LBB542_70
.LBB542_5:                              ; =>This Loop Header: Depth=1
                                        ;     Child Loop BB542_22 Depth 2
	s_mul_u64 s[26:27], s[10:11], s[34:35]
	s_mul_u64 s[28:29], s[20:21], s[34:35]
	s_wait_alu 0xfffe
	s_lshl_b64 s[26:27], s[26:27], 2
	s_lshl_b64 s[28:29], s[28:29], 2
	s_wait_alu 0xfffe
	s_add_nc_u64 s[26:27], s[8:9], s[26:27]
	s_add_nc_u64 s[28:29], s[18:19], s[28:29]
	s_clause 0x1
	global_load_b32 v27, v1, s[26:27]
	global_load_b32 v11, v1, s[28:29]
	s_wait_loadcnt 0x1
	v_cmp_eq_f32_e32 vcc_lo, 0, v27
	s_wait_loadcnt 0x0
	v_cmp_eq_f32_e64 s7, 1.0, v11
	v_readfirstlane_b32 s48, v11
	s_and_b32 s7, vcc_lo, s7
	s_wait_alu 0xfffe
	s_and_b32 vcc_lo, exec_lo, s7
	s_wait_alu 0xfffe
	s_cbranch_vccnz .LBB542_4
; %bb.6:                                ;   in Loop: Header=BB542_5 Depth=1
	v_cmp_neq_f32_e32 vcc_lo, 0, v27
	s_mul_u64 s[26:27], s[38:39], s[34:35]
	s_wait_alu 0xfffe
	s_lshl_b64 s[26:27], s[26:27], 1
	s_wait_alu 0xfffe
	s_add_nc_u64 s[26:27], s[22:23], s[26:27]
	s_cbranch_vccnz .LBB542_14
; %bb.7:                                ;   in Loop: Header=BB542_5 Depth=1
	s_mov_b32 s7, 0
	s_mov_b32 s47, 0
                                        ; implicit-def: $vgpr13
	s_and_saveexec_b32 s28, s44
	s_cbranch_execz .LBB542_15
; %bb.8:                                ;   in Loop: Header=BB542_5 Depth=1
	s_cmp_eq_f32 s48, 0
	s_cbranch_scc1 .LBB542_54
; %bb.9:                                ;   in Loop: Header=BB542_5 Depth=1
	s_wait_alu 0xfffe
	v_add_co_u32 v11, vcc_lo, s26, v9
	s_wait_alu 0xfffd
	v_add_co_ci_u32_e64 v12, null, s27, v10, vcc_lo
	global_load_u16 v11, v[11:12], off
	s_wait_loadcnt 0x0
	v_lshlrev_b32_e32 v11, 16, v11
	s_delay_alu instid0(VALU_DEP_1) | instskip(NEXT) | instid1(VALU_DEP_1)
	v_mul_f32_e32 v11, s48, v11
	v_and_b32_e32 v12, 0x7f800000, v11
	s_delay_alu instid0(VALU_DEP_1)
	v_cmp_ne_u32_e32 vcc_lo, 0x7f800000, v12
                                        ; implicit-def: $vgpr12
	s_and_saveexec_b32 s29, vcc_lo
	s_wait_alu 0xfffe
	s_xor_b32 s29, exec_lo, s29
; %bb.10:                               ;   in Loop: Header=BB542_5 Depth=1
	v_bfe_u32 v12, v11, 16, 1
	s_delay_alu instid0(VALU_DEP_1)
	v_add3_u32 v12, v11, v12, 0x7fff
                                        ; implicit-def: $vgpr11
; %bb.11:                               ;   in Loop: Header=BB542_5 Depth=1
	s_wait_alu 0xfffe
	s_and_not1_saveexec_b32 s29, s29
; %bb.12:                               ;   in Loop: Header=BB542_5 Depth=1
	v_and_b32_e32 v12, 0xffff, v11
	v_or_b32_e32 v13, 0x10000, v11
	s_delay_alu instid0(VALU_DEP_2) | instskip(SKIP_1) | instid1(VALU_DEP_2)
	v_cmp_eq_u32_e32 vcc_lo, 0, v12
	s_wait_alu 0xfffd
	v_cndmask_b32_e32 v12, v13, v11, vcc_lo
; %bb.13:                               ;   in Loop: Header=BB542_5 Depth=1
	s_wait_alu 0xfffe
	s_or_b32 exec_lo, exec_lo, s29
	s_delay_alu instid0(VALU_DEP_1) | instskip(SKIP_2) | instid1(SALU_CYCLE_1)
	v_lshrrev_b32_e32 v13, 16, v12
	s_mov_b32 s47, exec_lo
	s_or_b32 exec_lo, exec_lo, s28
	s_and_b32 vcc_lo, exec_lo, s7
	s_wait_alu 0xfffe
	s_cbranch_vccnz .LBB542_16
	s_branch .LBB542_55
.LBB542_14:                             ;   in Loop: Header=BB542_5 Depth=1
	s_mov_b32 s47, 0
                                        ; implicit-def: $vgpr13
	s_cbranch_execnz .LBB542_16
	s_branch .LBB542_55
.LBB542_15:                             ;   in Loop: Header=BB542_5 Depth=1
	s_wait_alu 0xfffe
	s_or_b32 exec_lo, exec_lo, s28
	s_delay_alu instid0(SALU_CYCLE_1)
	s_and_b32 vcc_lo, exec_lo, s7
	s_wait_alu 0xfffe
	s_cbranch_vccz .LBB542_55
.LBB542_16:                             ;   in Loop: Header=BB542_5 Depth=1
	s_mul_u64 s[28:29], s[24:25], s[34:35]
	s_mul_u64 s[40:41], s[16:17], s[34:35]
	v_dual_mov_b32 v28, 0 :: v_dual_mov_b32 v29, 0
	v_dual_mov_b32 v32, v20 :: v_dual_mov_b32 v31, 0
	v_mov_b32_e32 v30, 0
	s_wait_alu 0xfffe
	s_lshl_b64 s[28:29], s[28:29], 1
	s_lshl_b64 s[40:41], s[40:41], 1
	s_wait_alu 0xfffe
	s_add_nc_u64 s[28:29], s[12:13], s[28:29]
	s_add_nc_u64 s[40:41], s[14:15], s[40:41]
	s_and_saveexec_b32 s7, s1
	s_cbranch_execz .LBB542_28
; %bb.17:                               ;   in Loop: Header=BB542_5 Depth=1
	v_dual_mov_b32 v28, 0 :: v_dual_mov_b32 v33, v23
	v_dual_mov_b32 v34, v7 :: v_dual_mov_b32 v35, v6
	v_dual_mov_b32 v36, v22 :: v_dual_mov_b32 v29, 0
	v_dual_mov_b32 v32, v20 :: v_dual_mov_b32 v31, 0
	v_mov_b32_e32 v30, 0
	s_mov_b32 s49, 0
	s_mov_b32 s50, 0
	s_branch .LBB542_22
.LBB542_18:                             ;   in Loop: Header=BB542_22 Depth=2
	s_or_b32 exec_lo, exec_lo, s54
	s_wait_loadcnt 0x3
	v_lshlrev_b32_e32 v11, 16, v52
	s_wait_loadcnt 0x2
	v_lshlrev_b32_e32 v12, 16, v51
	s_wait_loadcnt 0x1
	s_delay_alu instid0(VALU_DEP_2) | instskip(NEXT) | instid1(VALU_DEP_1)
	v_dual_fmac_f32 v30, v44, v11 :: v_dual_lshlrev_b32 v11, 16, v50
	v_fmac_f32_e32 v30, v40, v12
	s_wait_loadcnt 0x0
	s_delay_alu instid0(VALU_DEP_1) | instskip(NEXT) | instid1(VALU_DEP_1)
	v_dual_fmac_f32 v30, v42, v11 :: v_dual_lshlrev_b32 v11, 16, v49
	v_fmac_f32_e32 v30, v38, v11
.LBB542_19:                             ;   in Loop: Header=BB542_22 Depth=2
	s_or_b32 exec_lo, exec_lo, s53
	s_wait_loadcnt 0x3
	v_lshlrev_b32_e32 v11, 16, v48
	s_wait_loadcnt 0x2
	v_lshlrev_b32_e32 v12, 16, v47
	s_delay_alu instid0(VALU_DEP_2) | instskip(SKIP_2) | instid1(VALU_DEP_2)
	v_fmac_f32_e32 v29, v44, v11
	s_wait_loadcnt 0x1
	v_lshlrev_b32_e32 v11, 16, v46
	v_fmac_f32_e32 v29, v40, v12
	s_delay_alu instid0(VALU_DEP_1) | instskip(SKIP_2) | instid1(VALU_DEP_1)
	v_fmac_f32_e32 v29, v42, v11
	s_wait_loadcnt 0x0
	v_lshlrev_b32_e32 v11, 16, v45
	v_fmac_f32_e32 v29, v38, v11
.LBB542_20:                             ;   in Loop: Header=BB542_22 Depth=2
	s_or_b32 exec_lo, exec_lo, s52
	s_wait_loadcnt 0x2
	v_lshlrev_b32_e32 v12, 16, v41
	v_lshlrev_b32_e32 v11, 16, v43
	s_delay_alu instid0(VALU_DEP_1) | instskip(SKIP_1) | instid1(VALU_DEP_1)
	v_fmac_f32_e32 v28, v44, v11
	s_wait_loadcnt 0x1
	v_dual_fmac_f32 v28, v40, v12 :: v_dual_lshlrev_b32 v11, 16, v39
	s_wait_loadcnt 0x0
	s_delay_alu instid0(VALU_DEP_1) | instskip(NEXT) | instid1(VALU_DEP_1)
	v_dual_fmac_f32 v28, v42, v11 :: v_dual_lshlrev_b32 v11, 16, v37
	v_fmac_f32_e32 v28, v38, v11
.LBB542_21:                             ;   in Loop: Header=BB542_22 Depth=2
	s_wait_alu 0xfffe
	s_or_b32 exec_lo, exec_lo, s51
	v_add_nc_u32_e32 v32, 16, v32
	v_add_nc_u32_e32 v36, s45, v36
	;; [unrolled: 1-line block ×5, first 2 shown]
	v_cmp_le_i32_e32 vcc_lo, s43, v32
	s_add_co_i32 s50, s50, s46
	s_or_b32 s49, vcc_lo, s49
	s_wait_alu 0xfffe
	s_and_not1_b32 exec_lo, exec_lo, s49
	s_cbranch_execz .LBB542_27
.LBB542_22:                             ;   Parent Loop BB542_5 Depth=1
                                        ; =>  This Inner Loop Header: Depth=2
	s_and_saveexec_b32 s51, s0
	s_cbranch_execz .LBB542_21
; %bb.23:                               ;   in Loop: Header=BB542_22 Depth=2
	s_wait_alu 0xfffe
	v_add_nc_u32_e32 v11, s50, v26
	v_add_nc_u32_e32 v13, s50, v8
	;; [unrolled: 1-line block ×5, first 2 shown]
	v_ashrrev_i32_e32 v12, 31, v11
	v_ashrrev_i32_e32 v14, 31, v13
	;; [unrolled: 1-line block ×5, first 2 shown]
	v_lshlrev_b64_e32 v[11:12], 1, v[11:12]
	v_lshlrev_b64_e32 v[13:14], 1, v[13:14]
	;; [unrolled: 1-line block ×4, first 2 shown]
	v_add_nc_u32_e32 v39, s42, v36
	v_add_nc_u32_e32 v41, s42, v35
	v_add_co_u32 v11, vcc_lo, s40, v11
	s_wait_alu 0xfffd
	v_add_co_ci_u32_e64 v12, null, s41, v12, vcc_lo
	v_add_co_u32 v13, vcc_lo, s40, v13
	s_wait_alu 0xfffd
	v_add_co_ci_u32_e64 v14, null, s41, v14, vcc_lo
	;; [unrolled: 3-line block ×4, first 2 shown]
	v_lshlrev_b64_e32 v[37:38], 1, v[37:38]
	s_clause 0x3
	global_load_u16 v44, v[11:12], off
	global_load_u16 v45, v[13:14], off
	;; [unrolled: 1-line block ×4, first 2 shown]
	v_add_nc_u32_e32 v15, s42, v34
	v_ashrrev_i32_e32 v40, 31, v39
	v_ashrrev_i32_e32 v42, 31, v41
	v_add_co_u32 v11, vcc_lo, s28, v37
	s_delay_alu instid0(VALU_DEP_4) | instskip(NEXT) | instid1(VALU_DEP_4)
	v_ashrrev_i32_e32 v16, 31, v15
	v_lshlrev_b64_e32 v[13:14], 1, v[39:40]
	s_wait_alu 0xfffd
	v_add_co_ci_u32_e64 v12, null, s29, v38, vcc_lo
	v_lshlrev_b64_e32 v[37:38], 1, v[41:42]
	v_lshlrev_b64_e32 v[15:16], 1, v[15:16]
	s_delay_alu instid0(VALU_DEP_4) | instskip(SKIP_2) | instid1(VALU_DEP_4)
	v_add_co_u32 v17, vcc_lo, s28, v13
	s_wait_alu 0xfffd
	v_add_co_ci_u32_e64 v18, null, s29, v14, vcc_lo
	v_add_co_u32 v13, vcc_lo, s28, v37
	s_wait_alu 0xfffd
	v_add_co_ci_u32_e64 v14, null, s29, v38, vcc_lo
	;; [unrolled: 3-line block ×3, first 2 shown]
	s_clause 0x3
	global_load_u16 v43, v[11:12], off
	global_load_u16 v41, v[17:18], off
	global_load_u16 v39, v[13:14], off
	global_load_u16 v37, v[15:16], off
	s_wait_loadcnt 0x7
	v_lshlrev_b32_e32 v44, 16, v44
	s_wait_loadcnt 0x6
	v_lshlrev_b32_e32 v40, 16, v45
	s_wait_loadcnt 0x5
	v_lshlrev_b32_e32 v42, 16, v46
	s_wait_loadcnt 0x4
	v_lshlrev_b32_e32 v38, 16, v47
	s_and_saveexec_b32 s52, s2
	s_cbranch_execz .LBB542_20
; %bb.24:                               ;   in Loop: Header=BB542_22 Depth=2
	s_clause 0x3
	global_load_u16 v48, v[11:12], off offset:128
	global_load_u16 v47, v[17:18], off offset:128
	global_load_u16 v46, v[13:14], off offset:128
	global_load_u16 v45, v[15:16], off offset:128
	s_and_saveexec_b32 s53, s3
	s_cbranch_execz .LBB542_19
; %bb.25:                               ;   in Loop: Header=BB542_22 Depth=2
	s_clause 0x3
	global_load_u16 v52, v[11:12], off offset:256
	global_load_u16 v51, v[17:18], off offset:256
	global_load_u16 v50, v[13:14], off offset:256
	global_load_u16 v49, v[15:16], off offset:256
	;; [unrolled: 8-line block ×3, first 2 shown]
	s_wait_loadcnt 0x3
	v_lshlrev_b32_e32 v11, 16, v11
	s_wait_loadcnt 0x2
	s_delay_alu instid0(VALU_DEP_1) | instskip(SKIP_3) | instid1(VALU_DEP_2)
	v_dual_fmac_f32 v31, v44, v11 :: v_dual_lshlrev_b32 v12, 16, v12
	s_wait_loadcnt 0x1
	v_lshlrev_b32_e32 v11, 16, v13
	s_wait_loadcnt 0x0
	v_dual_fmac_f32 v31, v40, v12 :: v_dual_lshlrev_b32 v12, 16, v14
	s_delay_alu instid0(VALU_DEP_1) | instskip(NEXT) | instid1(VALU_DEP_1)
	v_fmac_f32_e32 v31, v42, v11
	v_fmac_f32_e32 v31, v38, v12
	s_branch .LBB542_18
.LBB542_27:                             ;   in Loop: Header=BB542_5 Depth=1
	s_or_b32 exec_lo, exec_lo, s49
.LBB542_28:                             ;   in Loop: Header=BB542_5 Depth=1
	s_wait_alu 0xfffe
	s_or_b32 exec_lo, exec_lo, s7
	s_delay_alu instid0(SALU_CYCLE_1)
	s_and_not1_b32 vcc_lo, exec_lo, s36
	s_wait_alu 0xfffe
	s_cbranch_vccnz .LBB542_46
; %bb.29:                               ;   in Loop: Header=BB542_5 Depth=1
	v_cmp_gt_i32_e32 vcc_lo, s37, v32
	v_dual_mov_b32 v34, 0 :: v_dual_mov_b32 v33, 0
	v_or_b32_e32 v11, 1, v32
	v_dual_mov_b32 v36, 0 :: v_dual_mov_b32 v35, 0
	s_and_saveexec_b32 s49, vcc_lo
	s_cbranch_execz .LBB542_37
; %bb.30:                               ;   in Loop: Header=BB542_5 Depth=1
	v_mul_lo_u32 v12, v32, s30
	v_dual_mov_b32 v35, 0 :: v_dual_mov_b32 v34, 0
	v_mov_b32_e32 v33, 0
	s_mov_b32 s50, exec_lo
	s_delay_alu instid0(VALU_DEP_3) | instskip(NEXT) | instid1(VALU_DEP_1)
	v_ashrrev_i32_e32 v13, 31, v12
	v_lshlrev_b64_e32 v[12:13], 1, v[12:13]
	s_delay_alu instid0(VALU_DEP_1) | instskip(SKIP_1) | instid1(VALU_DEP_2)
	v_add_co_u32 v12, s7, s40, v12
	s_wait_alu 0xf1ff
	v_add_co_ci_u32_e64 v13, null, s41, v13, s7
	global_load_u16 v12, v[12:13], off
	v_cmpx_gt_i32_e64 s37, v11
	s_cbranch_execz .LBB542_36
; %bb.31:                               ;   in Loop: Header=BB542_5 Depth=1
	v_mul_lo_u32 v13, v11, s30
	v_dual_mov_b32 v33, 0 :: v_dual_mov_b32 v34, 0
	s_mov_b32 s51, exec_lo
	s_delay_alu instid0(VALU_DEP_2) | instskip(NEXT) | instid1(VALU_DEP_1)
	v_ashrrev_i32_e32 v14, 31, v13
	v_lshlrev_b64_e32 v[13:14], 1, v[13:14]
	s_delay_alu instid0(VALU_DEP_1) | instskip(SKIP_1) | instid1(VALU_DEP_2)
	v_add_co_u32 v13, s7, s40, v13
	s_wait_alu 0xf1ff
	v_add_co_ci_u32_e64 v14, null, s41, v14, s7
	global_load_u16 v13, v[13:14], off
	v_or_b32_e32 v14, 2, v32
	s_delay_alu instid0(VALU_DEP_1)
	v_cmpx_gt_i32_e64 s37, v14
	s_cbranch_execz .LBB542_35
; %bb.32:                               ;   in Loop: Header=BB542_5 Depth=1
	v_mul_lo_u32 v14, v14, s30
	v_mov_b32_e32 v33, 0
	s_mov_b32 s52, exec_lo
	s_delay_alu instid0(VALU_DEP_2) | instskip(NEXT) | instid1(VALU_DEP_1)
	v_ashrrev_i32_e32 v15, 31, v14
	v_lshlrev_b64_e32 v[14:15], 1, v[14:15]
	s_delay_alu instid0(VALU_DEP_1) | instskip(SKIP_1) | instid1(VALU_DEP_2)
	v_add_co_u32 v14, s7, s40, v14
	s_wait_alu 0xf1ff
	v_add_co_ci_u32_e64 v15, null, s41, v15, s7
	global_load_u16 v14, v[14:15], off
	v_or_b32_e32 v15, 3, v32
	s_delay_alu instid0(VALU_DEP_1)
	v_cmpx_gt_i32_e64 s37, v15
	s_cbranch_execz .LBB542_34
; %bb.33:                               ;   in Loop: Header=BB542_5 Depth=1
	v_mul_lo_u32 v15, v15, s30
	s_delay_alu instid0(VALU_DEP_1) | instskip(NEXT) | instid1(VALU_DEP_1)
	v_ashrrev_i32_e32 v16, 31, v15
	v_lshlrev_b64_e32 v[15:16], 1, v[15:16]
	s_delay_alu instid0(VALU_DEP_1) | instskip(SKIP_1) | instid1(VALU_DEP_2)
	v_add_co_u32 v15, s7, s40, v15
	s_wait_alu 0xf1ff
	v_add_co_ci_u32_e64 v16, null, s41, v16, s7
	global_load_u16 v15, v[15:16], off
	s_wait_loadcnt 0x0
	v_lshlrev_b32_e32 v33, 16, v15
.LBB542_34:                             ;   in Loop: Header=BB542_5 Depth=1
	s_or_b32 exec_lo, exec_lo, s52
	s_wait_loadcnt 0x0
	v_lshlrev_b32_e32 v34, 16, v14
.LBB542_35:                             ;   in Loop: Header=BB542_5 Depth=1
	s_wait_alu 0xfffe
	s_or_b32 exec_lo, exec_lo, s51
	s_wait_loadcnt 0x0
	v_lshlrev_b32_e32 v35, 16, v13
.LBB542_36:                             ;   in Loop: Header=BB542_5 Depth=1
	s_wait_alu 0xfffe
	s_or_b32 exec_lo, exec_lo, s50
	s_wait_loadcnt 0x0
	v_lshlrev_b32_e32 v36, 16, v12
.LBB542_37:                             ;   in Loop: Header=BB542_5 Depth=1
	s_wait_alu 0xfffe
	s_or_b32 exec_lo, exec_lo, s49
	s_and_saveexec_b32 s7, s0
	s_cbranch_execz .LBB542_45
; %bb.38:                               ;   in Loop: Header=BB542_5 Depth=1
	v_mul_lo_u32 v13, v32, s33
	v_or_b32_e32 v12, 2, v32
	v_mul_lo_u32 v15, v11, s33
	v_or_b32_e32 v14, 3, v32
	s_delay_alu instid0(VALU_DEP_3) | instskip(NEXT) | instid1(VALU_DEP_2)
	v_mul_lo_u32 v16, v12, s33
	v_mul_lo_u32 v17, v14, s33
	v_cndmask_b32_e32 v13, 0, v13, vcc_lo
	v_cmp_gt_i32_e32 vcc_lo, s37, v11
	s_wait_alu 0xfffd
	v_cndmask_b32_e32 v15, 0, v15, vcc_lo
	v_cmp_gt_i32_e32 vcc_lo, s37, v12
	s_wait_alu 0xfffd
	;; [unrolled: 3-line block ×3, first 2 shown]
	v_dual_cndmask_b32 v14, 0, v17 :: v_dual_add_nc_u32 v11, v13, v19
	v_add_nc_u32_e32 v13, v15, v19
	v_add_nc_u32_e32 v15, v12, v19
	s_delay_alu instid0(VALU_DEP_3) | instskip(NEXT) | instid1(VALU_DEP_4)
	v_ashrrev_i32_e32 v12, 31, v11
	v_add_nc_u32_e32 v17, v14, v19
	s_delay_alu instid0(VALU_DEP_4) | instskip(NEXT) | instid1(VALU_DEP_4)
	v_ashrrev_i32_e32 v14, 31, v13
	v_ashrrev_i32_e32 v16, 31, v15
	s_delay_alu instid0(VALU_DEP_4) | instskip(NEXT) | instid1(VALU_DEP_4)
	v_lshlrev_b64_e32 v[11:12], 1, v[11:12]
	v_ashrrev_i32_e32 v18, 31, v17
	s_delay_alu instid0(VALU_DEP_4) | instskip(NEXT) | instid1(VALU_DEP_4)
	v_lshlrev_b64_e32 v[13:14], 1, v[13:14]
	v_lshlrev_b64_e32 v[37:38], 1, v[15:16]
	s_delay_alu instid0(VALU_DEP_4) | instskip(NEXT) | instid1(VALU_DEP_4)
	v_add_co_u32 v15, vcc_lo, s28, v11
	v_lshlrev_b64_e32 v[39:40], 1, v[17:18]
	s_wait_alu 0xfffd
	v_add_co_ci_u32_e64 v16, null, s29, v12, vcc_lo
	v_add_co_u32 v17, vcc_lo, s28, v13
	s_wait_alu 0xfffd
	v_add_co_ci_u32_e64 v18, null, s29, v14, vcc_lo
	v_add_co_u32 v11, vcc_lo, s28, v37
	;; [unrolled: 3-line block ×3, first 2 shown]
	s_wait_alu 0xfffd
	v_add_co_ci_u32_e64 v14, null, s29, v40, vcc_lo
	s_clause 0x3
	global_load_u16 v39, v[15:16], off
	global_load_u16 v38, v[17:18], off
	;; [unrolled: 1-line block ×4, first 2 shown]
	s_and_saveexec_b32 s28, s2
	s_cbranch_execz .LBB542_44
; %bb.39:                               ;   in Loop: Header=BB542_5 Depth=1
	s_clause 0x3
	global_load_u16 v43, v[15:16], off offset:128
	global_load_u16 v42, v[17:18], off offset:128
	global_load_u16 v41, v[11:12], off offset:128
	global_load_u16 v40, v[13:14], off offset:128
	s_and_saveexec_b32 s29, s3
	s_cbranch_execz .LBB542_43
; %bb.40:                               ;   in Loop: Header=BB542_5 Depth=1
	s_clause 0x3
	global_load_u16 v47, v[15:16], off offset:256
	global_load_u16 v46, v[17:18], off offset:256
	global_load_u16 v45, v[11:12], off offset:256
	global_load_u16 v44, v[13:14], off offset:256
	;; [unrolled: 8-line block ×3, first 2 shown]
	s_wait_loadcnt 0x3
	v_lshlrev_b32_e32 v13, 16, v15
	s_wait_loadcnt 0x2
	v_lshlrev_b32_e32 v14, 16, v16
	;; [unrolled: 2-line block ×3, first 2 shown]
	s_wait_loadcnt 0x0
	v_dual_fmac_f32 v31, v36, v13 :: v_dual_lshlrev_b32 v12, 16, v12
	s_delay_alu instid0(VALU_DEP_1) | instskip(NEXT) | instid1(VALU_DEP_1)
	v_fmac_f32_e32 v31, v35, v14
	v_fmac_f32_e32 v31, v34, v11
	s_delay_alu instid0(VALU_DEP_1)
	v_fmac_f32_e32 v31, v33, v12
.LBB542_42:                             ;   in Loop: Header=BB542_5 Depth=1
	s_wait_alu 0xfffe
	s_or_b32 exec_lo, exec_lo, s40
	s_wait_loadcnt 0x2
	v_lshlrev_b32_e32 v12, 16, v46
	v_lshlrev_b32_e32 v11, 16, v47
	s_wait_loadcnt 0x1
	s_delay_alu instid0(VALU_DEP_1) | instskip(NEXT) | instid1(VALU_DEP_1)
	v_dual_fmac_f32 v30, v36, v11 :: v_dual_lshlrev_b32 v11, 16, v45
	v_fmac_f32_e32 v30, v35, v12
	s_wait_loadcnt 0x0
	s_delay_alu instid0(VALU_DEP_1) | instskip(NEXT) | instid1(VALU_DEP_1)
	v_dual_fmac_f32 v30, v34, v11 :: v_dual_lshlrev_b32 v11, 16, v44
	v_fmac_f32_e32 v30, v33, v11
.LBB542_43:                             ;   in Loop: Header=BB542_5 Depth=1
	s_wait_alu 0xfffe
	s_or_b32 exec_lo, exec_lo, s29
	s_wait_loadcnt 0x3
	v_lshlrev_b32_e32 v11, 16, v43
	s_wait_loadcnt 0x2
	s_delay_alu instid0(VALU_DEP_1) | instskip(SKIP_2) | instid1(VALU_DEP_2)
	v_dual_fmac_f32 v29, v36, v11 :: v_dual_lshlrev_b32 v12, 16, v42
	s_wait_loadcnt 0x1
	v_lshlrev_b32_e32 v11, 16, v41
	v_fmac_f32_e32 v29, v35, v12
	s_delay_alu instid0(VALU_DEP_1) | instskip(SKIP_2) | instid1(VALU_DEP_1)
	v_fmac_f32_e32 v29, v34, v11
	s_wait_loadcnt 0x0
	v_lshlrev_b32_e32 v11, 16, v40
	v_fmac_f32_e32 v29, v33, v11
.LBB542_44:                             ;   in Loop: Header=BB542_5 Depth=1
	s_wait_alu 0xfffe
	s_or_b32 exec_lo, exec_lo, s28
	s_wait_loadcnt 0x2
	v_lshlrev_b32_e32 v12, 16, v38
	v_lshlrev_b32_e32 v11, 16, v39
	s_wait_loadcnt 0x1
	s_delay_alu instid0(VALU_DEP_1) | instskip(NEXT) | instid1(VALU_DEP_1)
	v_dual_fmac_f32 v28, v36, v11 :: v_dual_lshlrev_b32 v11, 16, v37
	v_fmac_f32_e32 v28, v35, v12
	s_wait_loadcnt 0x0
	s_delay_alu instid0(VALU_DEP_1) | instskip(NEXT) | instid1(VALU_DEP_1)
	v_dual_fmac_f32 v28, v34, v11 :: v_dual_lshlrev_b32 v11, 16, v32
	v_fmac_f32_e32 v28, v33, v11
.LBB542_45:                             ;   in Loop: Header=BB542_5 Depth=1
	s_wait_alu 0xfffe
	s_or_b32 exec_lo, exec_lo, s7
.LBB542_46:                             ;   in Loop: Header=BB542_5 Depth=1
	ds_store_2addr_stride64_b32 v0, v28, v29 offset1:1
	ds_store_2addr_stride64_b32 v0, v30, v31 offset0:2 offset1:3
	s_wait_dscnt 0x0
	s_barrier_signal -1
	s_barrier_wait -1
	global_inv scope:SCOPE_SE
                                        ; implicit-def: $vgpr13
	s_and_saveexec_b32 s7, s5
	s_cbranch_execz .LBB542_68
; %bb.47:                               ;   in Loop: Header=BB542_5 Depth=1
	ds_load_2addr_stride64_b32 v[11:12], v21 offset1:4
	ds_load_2addr_stride64_b32 v[13:14], v21 offset0:8 offset1:12
	s_mov_b32 s29, s47
	s_wait_dscnt 0x1
	v_add_f32_e32 v11, v11, v12
	s_wait_dscnt 0x0
	s_delay_alu instid0(VALU_DEP_1) | instskip(NEXT) | instid1(VALU_DEP_1)
	v_add_f32_e32 v11, v13, v11
                                        ; implicit-def: $vgpr13
	v_add_f32_e32 v11, v14, v11
	ds_store_b32 v21, v11
	s_and_saveexec_b32 s28, s6
	s_cbranch_execz .LBB542_67
; %bb.48:                               ;   in Loop: Header=BB542_5 Depth=1
	v_mul_f32_e32 v11, v27, v11
	s_cmp_eq_f32 s48, 0
	s_cbranch_scc0 .LBB542_56
; %bb.49:                               ;   in Loop: Header=BB542_5 Depth=1
	s_delay_alu instid0(VALU_DEP_1) | instskip(NEXT) | instid1(VALU_DEP_1)
	v_and_b32_e32 v12, 0x7f800000, v11
	v_cmp_ne_u32_e32 vcc_lo, 0x7f800000, v12
                                        ; implicit-def: $vgpr12
	s_and_saveexec_b32 s29, vcc_lo
	s_wait_alu 0xfffe
	s_xor_b32 s29, exec_lo, s29
; %bb.50:                               ;   in Loop: Header=BB542_5 Depth=1
	v_bfe_u32 v12, v11, 16, 1
	s_delay_alu instid0(VALU_DEP_1)
	v_add3_u32 v12, v11, v12, 0x7fff
; %bb.51:                               ;   in Loop: Header=BB542_5 Depth=1
	s_wait_alu 0xfffe
	s_and_not1_saveexec_b32 s29, s29
; %bb.52:                               ;   in Loop: Header=BB542_5 Depth=1
	v_and_b32_e32 v12, 0xffff, v11
	v_or_b32_e32 v13, 0x10000, v11
	s_delay_alu instid0(VALU_DEP_2) | instskip(SKIP_1) | instid1(VALU_DEP_2)
	v_cmp_eq_u32_e32 vcc_lo, 0, v12
	s_wait_alu 0xfffd
	v_cndmask_b32_e32 v12, v13, v11, vcc_lo
; %bb.53:                               ;   in Loop: Header=BB542_5 Depth=1
	s_wait_alu 0xfffe
	s_or_b32 exec_lo, exec_lo, s29
	s_cbranch_execz .LBB542_57
	s_branch .LBB542_66
.LBB542_54:                             ;   in Loop: Header=BB542_5 Depth=1
	v_mov_b32_e32 v13, 0
	s_mov_b32 s47, exec_lo
	s_wait_alu 0xfffe
	s_or_b32 exec_lo, exec_lo, s28
	s_delay_alu instid0(SALU_CYCLE_1)
	s_and_b32 vcc_lo, exec_lo, s7
	s_wait_alu 0xfffe
	s_cbranch_vccnz .LBB542_16
.LBB542_55:                             ;   in Loop: Header=BB542_5 Depth=1
	v_dual_mov_b32 v12, v3 :: v_dual_mov_b32 v11, v2
	s_and_saveexec_b32 s7, s47
	s_cbranch_execz .LBB542_3
	s_branch .LBB542_69
.LBB542_56:                             ;   in Loop: Header=BB542_5 Depth=1
                                        ; implicit-def: $vgpr12
.LBB542_57:                             ;   in Loop: Header=BB542_5 Depth=1
	v_lshlrev_b64_e32 v[12:13], 1, v[4:5]
	s_delay_alu instid0(VALU_DEP_1) | instskip(SKIP_1) | instid1(VALU_DEP_2)
	v_add_co_u32 v12, vcc_lo, s26, v12
	s_wait_alu 0xfffd
	v_add_co_ci_u32_e64 v13, null, s27, v13, vcc_lo
	global_load_u16 v12, v[12:13], off
	s_wait_loadcnt 0x0
	v_lshlrev_b32_e32 v12, 16, v12
	s_delay_alu instid0(VALU_DEP_1) | instskip(NEXT) | instid1(VALU_DEP_1)
	v_mul_f32_e32 v12, s48, v12
	v_and_b32_e32 v13, 0x7f800000, v12
	s_delay_alu instid0(VALU_DEP_1)
	v_cmp_ne_u32_e32 vcc_lo, 0x7f800000, v13
                                        ; implicit-def: $vgpr13
	s_and_saveexec_b32 s29, vcc_lo
	s_wait_alu 0xfffe
	s_xor_b32 s29, exec_lo, s29
; %bb.58:                               ;   in Loop: Header=BB542_5 Depth=1
	v_bfe_u32 v13, v12, 16, 1
	s_delay_alu instid0(VALU_DEP_1)
	v_add3_u32 v13, v12, v13, 0x7fff
                                        ; implicit-def: $vgpr12
; %bb.59:                               ;   in Loop: Header=BB542_5 Depth=1
	s_wait_alu 0xfffe
	s_and_not1_saveexec_b32 s29, s29
; %bb.60:                               ;   in Loop: Header=BB542_5 Depth=1
	v_and_b32_e32 v13, 0xffff, v12
	v_or_b32_e32 v14, 0x10000, v12
	s_delay_alu instid0(VALU_DEP_2) | instskip(SKIP_1) | instid1(VALU_DEP_2)
	v_cmp_eq_u32_e32 vcc_lo, 0, v13
	s_wait_alu 0xfffd
	v_cndmask_b32_e32 v13, v14, v12, vcc_lo
; %bb.61:                               ;   in Loop: Header=BB542_5 Depth=1
	s_wait_alu 0xfffe
	s_or_b32 exec_lo, exec_lo, s29
	s_delay_alu instid0(VALU_DEP_1) | instskip(NEXT) | instid1(VALU_DEP_1)
	v_and_b32_e32 v12, 0xffff0000, v13
	v_add_f32_e32 v11, v11, v12
	s_delay_alu instid0(VALU_DEP_1) | instskip(NEXT) | instid1(VALU_DEP_1)
	v_and_b32_e32 v12, 0x7f800000, v11
	v_cmp_ne_u32_e32 vcc_lo, 0x7f800000, v12
                                        ; implicit-def: $vgpr12
	s_and_saveexec_b32 s29, vcc_lo
	s_wait_alu 0xfffe
	s_xor_b32 s29, exec_lo, s29
; %bb.62:                               ;   in Loop: Header=BB542_5 Depth=1
	v_bfe_u32 v12, v11, 16, 1
	s_delay_alu instid0(VALU_DEP_1)
	v_add3_u32 v12, v11, v12, 0x7fff
                                        ; implicit-def: $vgpr11
; %bb.63:                               ;   in Loop: Header=BB542_5 Depth=1
	s_wait_alu 0xfffe
	s_and_not1_saveexec_b32 s29, s29
; %bb.64:                               ;   in Loop: Header=BB542_5 Depth=1
	v_and_b32_e32 v12, 0xffff, v11
	v_or_b32_e32 v13, 0x10000, v11
	s_delay_alu instid0(VALU_DEP_2) | instskip(SKIP_1) | instid1(VALU_DEP_2)
	v_cmp_eq_u32_e32 vcc_lo, 0, v12
	s_wait_alu 0xfffd
	v_cndmask_b32_e32 v12, v13, v11, vcc_lo
; %bb.65:                               ;   in Loop: Header=BB542_5 Depth=1
	s_wait_alu 0xfffe
	s_or_b32 exec_lo, exec_lo, s29
.LBB542_66:                             ;   in Loop: Header=BB542_5 Depth=1
	s_delay_alu instid0(VALU_DEP_1)
	v_lshrrev_b32_e32 v13, 16, v12
	s_or_b32 s29, s47, exec_lo
.LBB542_67:                             ;   in Loop: Header=BB542_5 Depth=1
	s_wait_alu 0xfffe
	s_or_b32 exec_lo, exec_lo, s28
	s_delay_alu instid0(SALU_CYCLE_1)
	s_and_not1_b32 s28, s47, exec_lo
	s_and_b32 s29, s29, exec_lo
	s_wait_alu 0xfffe
	s_or_b32 s47, s28, s29
.LBB542_68:                             ;   in Loop: Header=BB542_5 Depth=1
	s_wait_alu 0xfffe
	s_or_b32 exec_lo, exec_lo, s7
	v_dual_mov_b32 v12, v5 :: v_dual_mov_b32 v11, v4
	s_and_saveexec_b32 s7, s47
	s_cbranch_execz .LBB542_3
.LBB542_69:                             ;   in Loop: Header=BB542_5 Depth=1
	s_delay_alu instid0(VALU_DEP_1) | instskip(SKIP_1) | instid1(VALU_DEP_1)
	v_lshlrev_b64_e32 v[11:12], 1, v[11:12]
	s_wait_alu 0xfffe
	v_add_co_u32 v11, vcc_lo, s26, v11
	s_wait_alu 0xfffd
	s_delay_alu instid0(VALU_DEP_2)
	v_add_co_ci_u32_e64 v12, null, s27, v12, vcc_lo
	global_store_b16 v[11:12], v13, off
	s_branch .LBB542_3
.LBB542_70:
	s_endpgm
	.section	.rodata,"a",@progbits
	.p2align	6, 0x0
	.amdhsa_kernel _ZL20rocblas_gemvn_kernelILi64ELi4Ei16rocblas_bfloat16PKfS0_EviiT3_lPKT2_lT1_lS6_lS7_lS3_lPT4_lS7_li
		.amdhsa_group_segment_fixed_size 4096
		.amdhsa_private_segment_fixed_size 0
		.amdhsa_kernarg_size 400
		.amdhsa_user_sgpr_count 2
		.amdhsa_user_sgpr_dispatch_ptr 0
		.amdhsa_user_sgpr_queue_ptr 0
		.amdhsa_user_sgpr_kernarg_segment_ptr 1
		.amdhsa_user_sgpr_dispatch_id 0
		.amdhsa_user_sgpr_private_segment_size 0
		.amdhsa_wavefront_size32 1
		.amdhsa_uses_dynamic_stack 0
		.amdhsa_enable_private_segment 0
		.amdhsa_system_sgpr_workgroup_id_x 1
		.amdhsa_system_sgpr_workgroup_id_y 0
		.amdhsa_system_sgpr_workgroup_id_z 1
		.amdhsa_system_sgpr_workgroup_info 0
		.amdhsa_system_vgpr_workitem_id 1
		.amdhsa_next_free_vgpr 53
		.amdhsa_next_free_sgpr 55
		.amdhsa_reserve_vcc 1
		.amdhsa_float_round_mode_32 0
		.amdhsa_float_round_mode_16_64 0
		.amdhsa_float_denorm_mode_32 3
		.amdhsa_float_denorm_mode_16_64 3
		.amdhsa_fp16_overflow 0
		.amdhsa_workgroup_processor_mode 1
		.amdhsa_memory_ordered 1
		.amdhsa_forward_progress 1
		.amdhsa_inst_pref_size 30
		.amdhsa_round_robin_scheduling 0
		.amdhsa_exception_fp_ieee_invalid_op 0
		.amdhsa_exception_fp_denorm_src 0
		.amdhsa_exception_fp_ieee_div_zero 0
		.amdhsa_exception_fp_ieee_overflow 0
		.amdhsa_exception_fp_ieee_underflow 0
		.amdhsa_exception_fp_ieee_inexact 0
		.amdhsa_exception_int_div_zero 0
	.end_amdhsa_kernel
	.section	.text._ZL20rocblas_gemvn_kernelILi64ELi4Ei16rocblas_bfloat16PKfS0_EviiT3_lPKT2_lT1_lS6_lS7_lS3_lPT4_lS7_li,"axG",@progbits,_ZL20rocblas_gemvn_kernelILi64ELi4Ei16rocblas_bfloat16PKfS0_EviiT3_lPKT2_lT1_lS6_lS7_lS3_lPT4_lS7_li,comdat
.Lfunc_end542:
	.size	_ZL20rocblas_gemvn_kernelILi64ELi4Ei16rocblas_bfloat16PKfS0_EviiT3_lPKT2_lT1_lS6_lS7_lS3_lPT4_lS7_li, .Lfunc_end542-_ZL20rocblas_gemvn_kernelILi64ELi4Ei16rocblas_bfloat16PKfS0_EviiT3_lPKT2_lT1_lS6_lS7_lS3_lPT4_lS7_li
                                        ; -- End function
	.set _ZL20rocblas_gemvn_kernelILi64ELi4Ei16rocblas_bfloat16PKfS0_EviiT3_lPKT2_lT1_lS6_lS7_lS3_lPT4_lS7_li.num_vgpr, 53
	.set _ZL20rocblas_gemvn_kernelILi64ELi4Ei16rocblas_bfloat16PKfS0_EviiT3_lPKT2_lT1_lS6_lS7_lS3_lPT4_lS7_li.num_agpr, 0
	.set _ZL20rocblas_gemvn_kernelILi64ELi4Ei16rocblas_bfloat16PKfS0_EviiT3_lPKT2_lT1_lS6_lS7_lS3_lPT4_lS7_li.numbered_sgpr, 55
	.set _ZL20rocblas_gemvn_kernelILi64ELi4Ei16rocblas_bfloat16PKfS0_EviiT3_lPKT2_lT1_lS6_lS7_lS3_lPT4_lS7_li.num_named_barrier, 0
	.set _ZL20rocblas_gemvn_kernelILi64ELi4Ei16rocblas_bfloat16PKfS0_EviiT3_lPKT2_lT1_lS6_lS7_lS3_lPT4_lS7_li.private_seg_size, 0
	.set _ZL20rocblas_gemvn_kernelILi64ELi4Ei16rocblas_bfloat16PKfS0_EviiT3_lPKT2_lT1_lS6_lS7_lS3_lPT4_lS7_li.uses_vcc, 1
	.set _ZL20rocblas_gemvn_kernelILi64ELi4Ei16rocblas_bfloat16PKfS0_EviiT3_lPKT2_lT1_lS6_lS7_lS3_lPT4_lS7_li.uses_flat_scratch, 0
	.set _ZL20rocblas_gemvn_kernelILi64ELi4Ei16rocblas_bfloat16PKfS0_EviiT3_lPKT2_lT1_lS6_lS7_lS3_lPT4_lS7_li.has_dyn_sized_stack, 0
	.set _ZL20rocblas_gemvn_kernelILi64ELi4Ei16rocblas_bfloat16PKfS0_EviiT3_lPKT2_lT1_lS6_lS7_lS3_lPT4_lS7_li.has_recursion, 0
	.set _ZL20rocblas_gemvn_kernelILi64ELi4Ei16rocblas_bfloat16PKfS0_EviiT3_lPKT2_lT1_lS6_lS7_lS3_lPT4_lS7_li.has_indirect_call, 0
	.section	.AMDGPU.csdata,"",@progbits
; Kernel info:
; codeLenInByte = 3764
; TotalNumSgprs: 57
; NumVgprs: 53
; ScratchSize: 0
; MemoryBound: 0
; FloatMode: 240
; IeeeMode: 1
; LDSByteSize: 4096 bytes/workgroup (compile time only)
; SGPRBlocks: 0
; VGPRBlocks: 6
; NumSGPRsForWavesPerEU: 57
; NumVGPRsForWavesPerEU: 53
; Occupancy: 16
; WaveLimiterHint : 1
; COMPUTE_PGM_RSRC2:SCRATCH_EN: 0
; COMPUTE_PGM_RSRC2:USER_SGPR: 2
; COMPUTE_PGM_RSRC2:TRAP_HANDLER: 0
; COMPUTE_PGM_RSRC2:TGID_X_EN: 1
; COMPUTE_PGM_RSRC2:TGID_Y_EN: 0
; COMPUTE_PGM_RSRC2:TGID_Z_EN: 1
; COMPUTE_PGM_RSRC2:TIDIG_COMP_CNT: 1
	.section	.text._ZL20rocblas_gemvn_kernelILi64ELi4El16rocblas_bfloat16PKfS0_EviiT3_lPKT2_lT1_lS6_lS7_lS3_lPT4_lS7_li,"axG",@progbits,_ZL20rocblas_gemvn_kernelILi64ELi4El16rocblas_bfloat16PKfS0_EviiT3_lPKT2_lT1_lS6_lS7_lS3_lPT4_lS7_li,comdat
	.globl	_ZL20rocblas_gemvn_kernelILi64ELi4El16rocblas_bfloat16PKfS0_EviiT3_lPKT2_lT1_lS6_lS7_lS3_lPT4_lS7_li ; -- Begin function _ZL20rocblas_gemvn_kernelILi64ELi4El16rocblas_bfloat16PKfS0_EviiT3_lPKT2_lT1_lS6_lS7_lS3_lPT4_lS7_li
	.p2align	8
	.type	_ZL20rocblas_gemvn_kernelILi64ELi4El16rocblas_bfloat16PKfS0_EviiT3_lPKT2_lT1_lS6_lS7_lS3_lPT4_lS7_li,@function
_ZL20rocblas_gemvn_kernelILi64ELi4El16rocblas_bfloat16PKfS0_EviiT3_lPKT2_lT1_lS6_lS7_lS3_lPT4_lS7_li: ; @_ZL20rocblas_gemvn_kernelILi64ELi4El16rocblas_bfloat16PKfS0_EviiT3_lPKT2_lT1_lS6_lS7_lS3_lPT4_lS7_li
; %bb.0:
	s_load_b64 s[2:3], s[0:1], 0x9c
	s_wait_kmcnt 0x0
	s_lshr_b32 s4, s2, 16
	s_and_b32 s2, s2, 0xffff
	s_and_b32 s3, s3, 0xffff
	s_mul_i32 s2, s4, s2
	s_delay_alu instid0(SALU_CYCLE_1) | instskip(NEXT) | instid1(SALU_CYCLE_1)
	s_mul_i32 s2, s2, s3
	s_cmp_lg_u32 s2, 0x100
	s_cbranch_scc1 .LBB543_70
; %bb.1:
	s_load_b32 s33, s[0:1], 0x88
	s_lshr_b32 s10, ttmp7, 16
	s_wait_kmcnt 0x0
	s_cmp_ge_u32 s10, s33
	s_cbranch_scc1 .LBB543_70
; %bb.2:
	s_clause 0x2
	s_load_b512 s[12:27], s[0:1], 0x8
	s_load_b512 s[36:51], s[0:1], 0x48
	s_load_b64 s[8:9], s[0:1], 0x0
	v_and_b32_e32 v5, 0x3ff, v0
	v_bfe_u32 v17, v0, 10, 10
	s_lshl_b32 s34, ttmp9, 8
	v_mov_b32_e32 v1, 0
	s_mov_b32 s11, 0
	v_or_b32_e32 v6, s34, v5
	v_lshlrev_b32_e32 v18, 2, v17
	v_lshl_add_u32 v10, v17, 6, v5
	s_delay_alu instid0(VALU_DEP_3) | instskip(SKIP_1) | instid1(VALU_DEP_4)
	v_add_nc_u32_e32 v8, 0x80, v6
	v_add_nc_u32_e32 v9, 0xc0, v6
	v_or_b32_e32 v20, 3, v18
	s_delay_alu instid0(VALU_DEP_4)
	v_add_nc_u32_e32 v0, s34, v10
	v_or_b32_e32 v21, s34, v10
	v_or_b32_e32 v24, 2, v18
	v_ashrrev_i32_e32 v7, 31, v6
	s_wait_kmcnt 0x0
	s_lshl_b64 s[4:5], s[18:19], 1
	s_lshl_b64 s[18:19], s[26:27], 1
	s_ashr_i32 s28, s9, 31
	s_add_nc_u64 s[16:17], s[16:17], s[4:5]
	s_lshr_b32 s4, s28, 28
	s_lshl_b64 s[6:7], s[46:47], 1
	s_add_co_i32 s4, s9, s4
	s_ashr_i32 s31, s8, 31
	s_and_b32 s52, s4, -16
	v_cmp_gt_i32_e64 s2, s8, v8
	s_sub_co_i32 s5, s9, s52
	v_cmp_gt_i32_e64 s3, s8, v9
	s_cmp_gt_i32 s5, 0
	v_mad_co_u64_u32 v[8:9], null, s36, v17, 0
	v_cmp_gt_u32_e64 s5, 0x100, v10
	v_mad_co_u64_u32 v[10:11], null, s20, v20, 0
	s_mov_b32 s30, s8
	s_add_nc_u64 s[28:29], s[44:45], s[6:7]
	s_cselect_b32 s53, -1, 0
	v_mul_lo_u32 v22, s49, v21
	s_ashr_i32 s6, s34, 31
	v_mad_co_u64_u32 v[28:29], null, s36, v24, 0
	v_mad_co_u64_u32 v[12:13], null, s37, v17, v[9:10]
	v_mov_b32_e32 v9, v11
	v_mad_co_u64_u32 v[13:14], null, s36, v20, 0
	v_mad_co_u64_u32 v[2:3], null, s48, v0, 0
	s_delay_alu instid0(VALU_DEP_3) | instskip(SKIP_1) | instid1(VALU_DEP_4)
	v_mad_co_u64_u32 v[15:16], null, s21, v20, v[9:10]
	v_dual_mov_b32 v9, v12 :: v_dual_add_nc_u32 v4, 64, v6
	v_mov_b32_e32 v12, v14
	v_cmp_gt_i64_e32 vcc_lo, s[30:31], v[0:1]
	s_mul_i32 s7, s48, s6
	s_delay_alu instid0(VALU_DEP_3)
	v_cmp_gt_i32_e64 s1, s8, v4
	v_mad_co_u64_u32 v[3:4], null, s49, v0, v[3:4]
	v_lshlrev_b64_e32 v[8:9], 3, v[8:9]
	v_dual_mov_b32 v11, v15 :: v_dual_lshlrev_b32 v4, 2, v5
	v_mad_co_u64_u32 v[14:15], null, s37, v20, v[12:13]
	v_mad_co_u64_u32 v[15:16], null, s20, v17, 0
	s_delay_alu instid0(VALU_DEP_3)
	v_lshl_add_u32 v0, v17, 10, v4
	v_lshl_add_u32 v19, v17, 8, v4
	v_mad_co_u64_u32 v[4:5], null, s48, v21, 0
	s_and_b32 s54, s5, vcc_lo
	v_add_co_u32 v20, vcc_lo, s24, v8
	v_cmp_gt_i32_e64 s6, s8, v21
	v_add_co_ci_u32_e64 v21, null, s25, v9, vcc_lo
	v_lshlrev_b64_e32 v[8:9], 1, v[10:11]
	v_mad_co_u64_u32 v[11:12], null, s20, v24, 0
	v_mov_b32_e32 v10, v16
	v_add3_u32 v5, v5, s7, v22
	v_mad_co_u64_u32 v[30:31], null, s36, v18, s[36:37]
	v_add_co_u32 v22, vcc_lo, s16, v8
	s_delay_alu instid0(VALU_DEP_4)
	v_mad_co_u64_u32 v[16:17], null, s21, v17, v[10:11]
	s_wait_alu 0xfffd
	v_add_co_ci_u32_e64 v23, null, s17, v9, vcc_lo
	v_lshlrev_b64_e32 v[9:10], 1, v[13:14]
	v_mov_b32_e32 v8, v12
	v_mov_b32_e32 v12, v29
	v_mad_co_u64_u32 v[32:33], null, s20, v18, s[20:21]
	v_cmp_gt_i32_e64 s0, s8, v6
	s_delay_alu instid0(VALU_DEP_4)
	v_mad_co_u64_u32 v[13:14], null, s21, v24, v[8:9]
	v_mov_b32_e32 v8, v31
	v_lshlrev_b64_e32 v[6:7], 1, v[6:7]
	v_cmp_gt_i32_e64 s4, s52, v18
	s_add_nc_u64 s[26:27], s[24:25], s[18:19]
	s_lshl_b64 s[30:31], s[38:39], 1
	s_lshl_b64 s[34:35], s[22:23], 1
	v_mad_co_u64_u32 v[26:27], null, s37, v24, v[12:13]
	v_add_co_u32 v24, vcc_lo, s24, v9
	s_wait_alu 0xfffd
	v_add_co_ci_u32_e64 v25, null, s25, v10, vcc_lo
	v_lshlrev_b64_e32 v[9:10], 3, v[15:16]
	s_delay_alu instid0(VALU_DEP_4) | instskip(SKIP_1) | instid1(VALU_DEP_2)
	v_dual_mov_b32 v12, v13 :: v_dual_mov_b32 v29, v26
	s_lshl_b64 s[44:45], s[20:21], 5
	v_add_co_u32 v26, vcc_lo, s16, v9
	v_mad_co_u64_u32 v[13:14], null, s37, v18, v[8:9]
	s_wait_alu 0xfffd
	v_add_co_ci_u32_e64 v27, null, s17, v10, vcc_lo
	v_lshlrev_b64_e32 v[9:10], 1, v[11:12]
	v_mov_b32_e32 v8, v33
	v_lshlrev_b64_e32 v[14:15], 1, v[28:29]
	v_mov_b32_e32 v31, v13
	s_delay_alu instid0(VALU_DEP_3) | instskip(SKIP_1) | instid1(VALU_DEP_3)
	v_mad_co_u64_u32 v[11:12], null, s21, v18, v[8:9]
	v_add_co_u32 v28, vcc_lo, s16, v9
	v_lshlrev_b64_e32 v[8:9], 1, v[30:31]
	s_wait_alu 0xfffd
	v_add_co_ci_u32_e64 v29, null, s17, v10, vcc_lo
	v_add_co_u32 v30, vcc_lo, s24, v14
	v_mov_b32_e32 v33, v11
	s_wait_alu 0xfffd
	v_add_co_ci_u32_e64 v31, null, s25, v15, vcc_lo
	s_delay_alu instid0(VALU_DEP_2) | instskip(SKIP_4) | instid1(VALU_DEP_4)
	v_lshlrev_b64_e32 v[10:11], 1, v[32:33]
	v_add_co_u32 v32, vcc_lo, s24, v8
	s_wait_alu 0xfffd
	v_add_co_ci_u32_e64 v33, null, s25, v9, vcc_lo
	v_lshlrev_b64_e32 v[8:9], 1, v[2:3]
	v_add_co_u32 v34, vcc_lo, s16, v10
	s_wait_alu 0xfffd
	v_add_co_ci_u32_e64 v35, null, s17, v11, vcc_lo
	s_lshl_b64 s[24:25], s[36:37], 5
	s_branch .LBB543_5
.LBB543_3:                              ;   in Loop: Header=BB543_5 Depth=1
	s_wait_alu 0xfffe
	s_or_b32 exec_lo, exec_lo, s7
.LBB543_4:                              ;   in Loop: Header=BB543_5 Depth=1
	s_add_co_i32 s10, s10, 0x10000
	s_delay_alu instid0(SALU_CYCLE_1)
	s_cmp_lt_u32 s10, s33
	s_cbranch_scc0 .LBB543_70
.LBB543_5:                              ; =>This Loop Header: Depth=1
                                        ;     Child Loop BB543_22 Depth 2
	s_mul_u64 s[46:47], s[14:15], s[10:11]
	s_mul_u64 s[48:49], s[42:43], s[10:11]
	s_wait_alu 0xfffe
	s_lshl_b64 s[46:47], s[46:47], 2
	s_lshl_b64 s[48:49], s[48:49], 2
	s_wait_alu 0xfffe
	s_add_nc_u64 s[46:47], s[12:13], s[46:47]
	s_add_nc_u64 s[48:49], s[40:41], s[48:49]
	s_clause 0x1
	global_load_b32 v36, v1, s[46:47]
	global_load_b32 v10, v1, s[48:49]
	s_wait_loadcnt 0x1
	v_cmp_eq_f32_e32 vcc_lo, 0, v36
	s_wait_loadcnt 0x0
	v_cmp_eq_f32_e64 s7, 1.0, v10
	v_readfirstlane_b32 s56, v10
	s_and_b32 s7, vcc_lo, s7
	s_wait_alu 0xfffe
	s_and_b32 vcc_lo, exec_lo, s7
	s_wait_alu 0xfffe
	s_cbranch_vccnz .LBB543_4
; %bb.6:                                ;   in Loop: Header=BB543_5 Depth=1
	v_cmp_neq_f32_e32 vcc_lo, 0, v36
	s_mul_u64 s[46:47], s[50:51], s[10:11]
	s_wait_alu 0xfffe
	s_lshl_b64 s[46:47], s[46:47], 1
	s_wait_alu 0xfffe
	s_add_nc_u64 s[46:47], s[28:29], s[46:47]
	s_cbranch_vccnz .LBB543_14
; %bb.7:                                ;   in Loop: Header=BB543_5 Depth=1
	s_mov_b32 s7, 0
	s_mov_b32 s55, 0
                                        ; implicit-def: $vgpr12
	s_and_saveexec_b32 s8, s54
	s_cbranch_execz .LBB543_15
; %bb.8:                                ;   in Loop: Header=BB543_5 Depth=1
	s_cmp_eq_f32 s56, 0
	s_cbranch_scc1 .LBB543_54
; %bb.9:                                ;   in Loop: Header=BB543_5 Depth=1
	s_wait_alu 0xfffe
	v_add_co_u32 v10, vcc_lo, s46, v8
	s_wait_alu 0xfffd
	v_add_co_ci_u32_e64 v11, null, s47, v9, vcc_lo
	global_load_u16 v10, v[10:11], off
	s_wait_loadcnt 0x0
	v_lshlrev_b32_e32 v10, 16, v10
	s_delay_alu instid0(VALU_DEP_1) | instskip(NEXT) | instid1(VALU_DEP_1)
	v_mul_f32_e32 v10, s56, v10
	v_and_b32_e32 v11, 0x7f800000, v10
	s_delay_alu instid0(VALU_DEP_1)
	v_cmp_ne_u32_e32 vcc_lo, 0x7f800000, v11
                                        ; implicit-def: $vgpr11
	s_and_saveexec_b32 s48, vcc_lo
	s_wait_alu 0xfffe
	s_xor_b32 s48, exec_lo, s48
; %bb.10:                               ;   in Loop: Header=BB543_5 Depth=1
	v_bfe_u32 v11, v10, 16, 1
	s_delay_alu instid0(VALU_DEP_1)
	v_add3_u32 v11, v10, v11, 0x7fff
                                        ; implicit-def: $vgpr10
; %bb.11:                               ;   in Loop: Header=BB543_5 Depth=1
	s_wait_alu 0xfffe
	s_and_not1_saveexec_b32 s48, s48
; %bb.12:                               ;   in Loop: Header=BB543_5 Depth=1
	v_and_b32_e32 v11, 0xffff, v10
	v_or_b32_e32 v12, 0x10000, v10
	s_delay_alu instid0(VALU_DEP_2) | instskip(SKIP_1) | instid1(VALU_DEP_2)
	v_cmp_eq_u32_e32 vcc_lo, 0, v11
	s_wait_alu 0xfffd
	v_cndmask_b32_e32 v11, v12, v10, vcc_lo
; %bb.13:                               ;   in Loop: Header=BB543_5 Depth=1
	s_wait_alu 0xfffe
	s_or_b32 exec_lo, exec_lo, s48
	s_delay_alu instid0(VALU_DEP_1) | instskip(SKIP_2) | instid1(SALU_CYCLE_1)
	v_lshrrev_b32_e32 v12, 16, v11
	s_mov_b32 s55, exec_lo
	s_or_b32 exec_lo, exec_lo, s8
	s_and_b32 vcc_lo, exec_lo, s7
	s_wait_alu 0xfffe
	s_cbranch_vccnz .LBB543_16
	s_branch .LBB543_55
.LBB543_14:                             ;   in Loop: Header=BB543_5 Depth=1
	s_mov_b32 s55, 0
                                        ; implicit-def: $vgpr12
	s_cbranch_execnz .LBB543_16
	s_branch .LBB543_55
.LBB543_15:                             ;   in Loop: Header=BB543_5 Depth=1
	s_wait_alu 0xfffe
	s_or_b32 exec_lo, exec_lo, s8
	s_delay_alu instid0(SALU_CYCLE_1)
	s_and_b32 vcc_lo, exec_lo, s7
	s_wait_alu 0xfffe
	s_cbranch_vccz .LBB543_55
.LBB543_16:                             ;   in Loop: Header=BB543_5 Depth=1
	v_dual_mov_b32 v37, 0 :: v_dual_mov_b32 v38, 0
	v_dual_mov_b32 v41, v18 :: v_dual_mov_b32 v40, 0
	v_mov_b32_e32 v39, 0
	s_and_saveexec_b32 s8, s4
	s_cbranch_execz .LBB543_28
; %bb.17:                               ;   in Loop: Header=BB543_5 Depth=1
	s_mul_u64 s[48:49], s[30:31], s[10:11]
	s_mul_u64 s[58:59], s[34:35], s[10:11]
	s_wait_alu 0xfffe
	v_add_co_u32 v42, vcc_lo, v20, s48
	s_wait_alu 0xfffd
	v_add_co_ci_u32_e64 v43, null, s49, v21, vcc_lo
	v_add_co_u32 v44, vcc_lo, v22, s58
	s_wait_alu 0xfffd
	v_add_co_ci_u32_e64 v45, null, s59, v23, vcc_lo
	;; [unrolled: 3-line block ×8, first 2 shown]
	v_dual_mov_b32 v37, 0 :: v_dual_mov_b32 v38, 0
	v_dual_mov_b32 v41, v18 :: v_dual_mov_b32 v40, 0
	v_mov_b32_e32 v39, 0
	s_mov_b32 s48, 0
	s_branch .LBB543_22
.LBB543_18:                             ;   in Loop: Header=BB543_22 Depth=2
	s_wait_alu 0xfffe
	s_or_b32 exec_lo, exec_lo, s58
	s_wait_loadcnt 0x2
	v_lshlrev_b32_e32 v11, 16, v72
	v_lshlrev_b32_e32 v10, 16, v73
	s_wait_loadcnt 0x1
	s_delay_alu instid0(VALU_DEP_1) | instskip(NEXT) | instid1(VALU_DEP_1)
	v_dual_fmac_f32 v39, v65, v10 :: v_dual_lshlrev_b32 v10, 16, v71
	v_fmac_f32_e32 v39, v61, v11
	s_delay_alu instid0(VALU_DEP_1) | instskip(SKIP_2) | instid1(VALU_DEP_1)
	v_fmac_f32_e32 v39, v63, v10
	s_wait_loadcnt 0x0
	v_lshlrev_b32_e32 v10, 16, v70
	v_fmac_f32_e32 v39, v59, v10
.LBB543_19:                             ;   in Loop: Header=BB543_22 Depth=2
	s_wait_alu 0xfffe
	s_or_b32 exec_lo, exec_lo, s57
	s_wait_loadcnt 0x3
	v_lshlrev_b32_e32 v10, 16, v69
	s_wait_loadcnt 0x2
	s_delay_alu instid0(VALU_DEP_1) | instskip(SKIP_2) | instid1(VALU_DEP_2)
	v_dual_fmac_f32 v38, v65, v10 :: v_dual_lshlrev_b32 v11, 16, v68
	s_wait_loadcnt 0x1
	v_lshlrev_b32_e32 v10, 16, v67
	v_fmac_f32_e32 v38, v61, v11
	s_delay_alu instid0(VALU_DEP_1) | instskip(SKIP_2) | instid1(VALU_DEP_1)
	v_fmac_f32_e32 v38, v63, v10
	s_wait_loadcnt 0x0
	v_lshlrev_b32_e32 v10, 16, v66
	v_fmac_f32_e32 v38, v59, v10
.LBB543_20:                             ;   in Loop: Header=BB543_22 Depth=2
	s_wait_alu 0xfffe
	s_or_b32 exec_lo, exec_lo, s49
	s_wait_loadcnt 0x2
	v_lshlrev_b32_e32 v11, 16, v62
	v_lshlrev_b32_e32 v10, 16, v64
	s_wait_loadcnt 0x1
	s_delay_alu instid0(VALU_DEP_1) | instskip(NEXT) | instid1(VALU_DEP_1)
	v_dual_fmac_f32 v37, v65, v10 :: v_dual_lshlrev_b32 v10, 16, v60
	v_fmac_f32_e32 v37, v61, v11
	s_delay_alu instid0(VALU_DEP_1) | instskip(SKIP_2) | instid1(VALU_DEP_1)
	v_fmac_f32_e32 v37, v63, v10
	s_wait_loadcnt 0x0
	v_lshlrev_b32_e32 v10, 16, v58
	v_fmac_f32_e32 v37, v59, v10
.LBB543_21:                             ;   in Loop: Header=BB543_22 Depth=2
	s_wait_alu 0xfffe
	s_or_b32 exec_lo, exec_lo, s7
	v_add_co_u32 v42, vcc_lo, v42, s24
	s_wait_alu 0xfffd
	v_add_co_ci_u32_e64 v43, null, s25, v43, vcc_lo
	v_add_co_u32 v44, vcc_lo, v44, s44
	s_wait_alu 0xfffd
	v_add_co_ci_u32_e64 v45, null, s45, v45, vcc_lo
	;; [unrolled: 3-line block ×4, first 2 shown]
	v_add_co_u32 v50, vcc_lo, v50, s44
	v_add_nc_u32_e32 v41, 16, v41
	s_wait_alu 0xfffd
	v_add_co_ci_u32_e64 v51, null, s45, v51, vcc_lo
	v_add_co_u32 v52, vcc_lo, v52, s24
	s_wait_alu 0xfffd
	v_add_co_ci_u32_e64 v53, null, s25, v53, vcc_lo
	v_add_co_u32 v54, vcc_lo, v54, s24
	s_wait_alu 0xfffd
	v_add_co_ci_u32_e64 v55, null, s25, v55, vcc_lo
	v_cmp_le_i32_e32 vcc_lo, s52, v41
	v_add_co_u32 v56, s7, v56, s44
	s_wait_alu 0xf1ff
	v_add_co_ci_u32_e64 v57, null, s45, v57, s7
	s_or_b32 s48, vcc_lo, s48
	s_wait_alu 0xfffe
	s_and_not1_b32 exec_lo, exec_lo, s48
	s_cbranch_execz .LBB543_27
.LBB543_22:                             ;   Parent Loop BB543_5 Depth=1
                                        ; =>  This Inner Loop Header: Depth=2
	s_and_saveexec_b32 s7, s0
	s_cbranch_execz .LBB543_21
; %bb.23:                               ;   in Loop: Header=BB543_22 Depth=2
	v_add_co_u32 v10, vcc_lo, v42, s18
	s_wait_alu 0xfffd
	v_add_co_ci_u32_e64 v11, null, s19, v43, vcc_lo
	v_add_co_u32 v12, vcc_lo, v54, s18
	s_wait_alu 0xfffd
	v_add_co_ci_u32_e64 v13, null, s19, v55, vcc_lo
	;; [unrolled: 3-line block ×4, first 2 shown]
	global_load_u16 v59, v[10:11], off
	global_load_u16 v61, v[12:13], off
	global_load_u16 v63, v[14:15], off
	global_load_u16 v66, v[16:17], off
	v_add_co_u32 v10, vcc_lo, v48, v6
	s_wait_alu 0xfffd
	v_add_co_ci_u32_e64 v11, null, v49, v7, vcc_lo
	v_add_co_u32 v14, vcc_lo, v56, v6
	s_wait_alu 0xfffd
	v_add_co_ci_u32_e64 v15, null, v57, v7, vcc_lo
	;; [unrolled: 3-line block ×4, first 2 shown]
	global_load_u16 v64, v[10:11], off
	global_load_u16 v62, v[14:15], off
	;; [unrolled: 1-line block ×4, first 2 shown]
	s_wait_loadcnt 0x7
	v_lshlrev_b32_e32 v65, 16, v59
	s_wait_loadcnt 0x6
	v_lshlrev_b32_e32 v61, 16, v61
	;; [unrolled: 2-line block ×4, first 2 shown]
	s_and_saveexec_b32 s49, s1
	s_cbranch_execz .LBB543_20
; %bb.24:                               ;   in Loop: Header=BB543_22 Depth=2
	global_load_u16 v69, v[10:11], off offset:128
	global_load_u16 v68, v[14:15], off offset:128
	global_load_u16 v67, v[12:13], off offset:128
	global_load_u16 v66, v[16:17], off offset:128
	s_and_saveexec_b32 s57, s2
	s_cbranch_execz .LBB543_19
; %bb.25:                               ;   in Loop: Header=BB543_22 Depth=2
	global_load_u16 v73, v[10:11], off offset:256
	global_load_u16 v72, v[14:15], off offset:256
	global_load_u16 v71, v[12:13], off offset:256
	global_load_u16 v70, v[16:17], off offset:256
	;; [unrolled: 7-line block ×3, first 2 shown]
	s_wait_loadcnt 0x3
	v_lshlrev_b32_e32 v10, 16, v10
	s_wait_loadcnt 0x2
	s_delay_alu instid0(VALU_DEP_1) | instskip(SKIP_3) | instid1(VALU_DEP_2)
	v_dual_fmac_f32 v40, v65, v10 :: v_dual_lshlrev_b32 v11, 16, v11
	s_wait_loadcnt 0x1
	v_lshlrev_b32_e32 v10, 16, v12
	s_wait_loadcnt 0x0
	v_dual_fmac_f32 v40, v61, v11 :: v_dual_lshlrev_b32 v11, 16, v13
	s_delay_alu instid0(VALU_DEP_1) | instskip(NEXT) | instid1(VALU_DEP_1)
	v_fmac_f32_e32 v40, v63, v10
	v_fmac_f32_e32 v40, v59, v11
	s_branch .LBB543_18
.LBB543_27:                             ;   in Loop: Header=BB543_5 Depth=1
	s_or_b32 exec_lo, exec_lo, s48
.LBB543_28:                             ;   in Loop: Header=BB543_5 Depth=1
	s_wait_alu 0xfffe
	s_or_b32 exec_lo, exec_lo, s8
	s_delay_alu instid0(SALU_CYCLE_1)
	s_and_not1_b32 vcc_lo, exec_lo, s53
	s_wait_alu 0xfffe
	s_cbranch_vccnz .LBB543_46
; %bb.29:                               ;   in Loop: Header=BB543_5 Depth=1
	v_cmp_gt_i32_e32 vcc_lo, s9, v41
	v_dual_mov_b32 v43, 0 :: v_dual_mov_b32 v42, 0
	v_or_b32_e32 v10, 1, v41
	v_dual_mov_b32 v45, 0 :: v_dual_mov_b32 v44, 0
	s_and_saveexec_b32 s8, vcc_lo
	s_cbranch_execz .LBB543_37
; %bb.30:                               ;   in Loop: Header=BB543_5 Depth=1
	v_mad_co_u64_u32 v[11:12], null, s36, v41, 0
	s_mul_u64 s[48:49], s[38:39], s[10:11]
	v_dual_mov_b32 v44, 0 :: v_dual_mov_b32 v43, 0
	s_wait_alu 0xfffe
	s_lshl_b64 s[48:49], s[48:49], 1
	v_mov_b32_e32 v42, 0
	s_wait_alu 0xfffe
	s_add_nc_u64 s[48:49], s[26:27], s[48:49]
	v_mad_co_u64_u32 v[12:13], null, s37, v41, v[12:13]
	s_mov_b32 s57, exec_lo
	v_lshlrev_b64_e32 v[11:12], 1, v[11:12]
	s_wait_alu 0xfffe
	s_delay_alu instid0(VALU_DEP_1) | instskip(SKIP_1) | instid1(VALU_DEP_2)
	v_add_co_u32 v11, s7, s48, v11
	s_wait_alu 0xf1ff
	v_add_co_ci_u32_e64 v12, null, s49, v12, s7
	global_load_u16 v11, v[11:12], off
	v_cmpx_gt_i32_e64 s9, v10
	s_cbranch_execz .LBB543_36
; %bb.31:                               ;   in Loop: Header=BB543_5 Depth=1
	v_mad_co_u64_u32 v[12:13], null, s36, v10, 0
	v_dual_mov_b32 v42, 0 :: v_dual_mov_b32 v43, 0
	s_mov_b32 s58, exec_lo
	s_delay_alu instid0(VALU_DEP_2) | instskip(NEXT) | instid1(VALU_DEP_1)
	v_mad_co_u64_u32 v[13:14], null, s37, v10, v[13:14]
	v_lshlrev_b64_e32 v[12:13], 1, v[12:13]
	s_delay_alu instid0(VALU_DEP_1) | instskip(SKIP_1) | instid1(VALU_DEP_2)
	v_add_co_u32 v12, s7, s48, v12
	s_wait_alu 0xf1ff
	v_add_co_ci_u32_e64 v13, null, s49, v13, s7
	global_load_u16 v12, v[12:13], off
	v_or_b32_e32 v13, 2, v41
	s_delay_alu instid0(VALU_DEP_1)
	v_cmpx_gt_i32_e64 s9, v13
	s_cbranch_execz .LBB543_35
; %bb.32:                               ;   in Loop: Header=BB543_5 Depth=1
	v_mad_co_u64_u32 v[14:15], null, s36, v13, 0
	v_mov_b32_e32 v42, 0
	s_mov_b32 s59, exec_lo
	s_delay_alu instid0(VALU_DEP_2) | instskip(NEXT) | instid1(VALU_DEP_1)
	v_mad_co_u64_u32 v[15:16], null, s37, v13, v[15:16]
	v_lshlrev_b64_e32 v[13:14], 1, v[14:15]
	s_delay_alu instid0(VALU_DEP_1) | instskip(SKIP_1) | instid1(VALU_DEP_2)
	v_add_co_u32 v13, s7, s48, v13
	s_wait_alu 0xf1ff
	v_add_co_ci_u32_e64 v14, null, s49, v14, s7
	global_load_u16 v13, v[13:14], off
	v_or_b32_e32 v14, 3, v41
	s_delay_alu instid0(VALU_DEP_1)
	v_cmpx_gt_i32_e64 s9, v14
	s_cbranch_execz .LBB543_34
; %bb.33:                               ;   in Loop: Header=BB543_5 Depth=1
	v_mad_co_u64_u32 v[15:16], null, s36, v14, 0
	s_delay_alu instid0(VALU_DEP_1) | instskip(NEXT) | instid1(VALU_DEP_1)
	v_mad_co_u64_u32 v[16:17], null, s37, v14, v[16:17]
	v_lshlrev_b64_e32 v[14:15], 1, v[15:16]
	s_delay_alu instid0(VALU_DEP_1) | instskip(SKIP_1) | instid1(VALU_DEP_2)
	v_add_co_u32 v14, s7, s48, v14
	s_wait_alu 0xf1ff
	v_add_co_ci_u32_e64 v15, null, s49, v15, s7
	global_load_u16 v14, v[14:15], off
	s_wait_loadcnt 0x0
	v_lshlrev_b32_e32 v42, 16, v14
.LBB543_34:                             ;   in Loop: Header=BB543_5 Depth=1
	s_wait_alu 0xfffe
	s_or_b32 exec_lo, exec_lo, s59
	s_wait_loadcnt 0x0
	v_lshlrev_b32_e32 v43, 16, v13
.LBB543_35:                             ;   in Loop: Header=BB543_5 Depth=1
	s_wait_alu 0xfffe
	s_or_b32 exec_lo, exec_lo, s58
	s_wait_loadcnt 0x0
	v_lshlrev_b32_e32 v44, 16, v12
.LBB543_36:                             ;   in Loop: Header=BB543_5 Depth=1
	s_or_b32 exec_lo, exec_lo, s57
	s_wait_loadcnt 0x0
	v_lshlrev_b32_e32 v45, 16, v11
.LBB543_37:                             ;   in Loop: Header=BB543_5 Depth=1
	s_wait_alu 0xfffe
	s_or_b32 exec_lo, exec_lo, s8
	s_and_saveexec_b32 s48, s0
	s_cbranch_execz .LBB543_45
; %bb.38:                               ;   in Loop: Header=BB543_5 Depth=1
	v_mad_co_u64_u32 v[11:12], null, s20, v41, 0
	v_mad_co_u64_u32 v[13:14], null, s20, v10, 0
	v_or_b32_e32 v50, 2, v41
	v_or_b32_e32 v51, 3, v41
	s_mul_u64 s[58:59], s[22:23], s[10:11]
	s_wait_alu 0xfffe
	s_lshl_b64 s[58:59], s[58:59], 1
	v_cmp_gt_i32_e64 s7, s9, v50
	s_delay_alu instid0(VALU_DEP_4) | instskip(SKIP_4) | instid1(VALU_DEP_2)
	v_mad_co_u64_u32 v[15:16], null, s21, v41, v[12:13]
	v_mad_co_u64_u32 v[16:17], null, s20, v50, 0
	;; [unrolled: 1-line block ×3, first 2 shown]
	s_wait_alu 0xfffe
	s_add_nc_u64 s[58:59], s[16:17], s[58:59]
	v_dual_cndmask_b32 v12, 0, v15 :: v_dual_mov_b32 v15, v17
	s_delay_alu instid0(VALU_DEP_2) | instskip(NEXT) | instid1(VALU_DEP_2)
	v_mov_b32_e32 v17, v47
	v_mad_co_u64_u32 v[48:49], null, s21, v10, v[14:15]
	v_cndmask_b32_e32 v11, 0, v11, vcc_lo
	v_cmp_gt_i32_e32 vcc_lo, s9, v10
	s_wait_alu 0xfffd
	s_delay_alu instid0(VALU_DEP_3) | instskip(NEXT) | instid1(VALU_DEP_3)
	v_dual_cndmask_b32 v13, 0, v13 :: v_dual_cndmask_b32 v14, 0, v48
	v_lshlrev_b64_e32 v[11:12], 1, v[11:12]
	s_wait_alu 0xfffe
	s_delay_alu instid0(VALU_DEP_1) | instskip(SKIP_1) | instid1(VALU_DEP_2)
	v_add_co_u32 v10, s8, s58, v11
	s_wait_alu 0xf1ff
	v_add_co_ci_u32_e64 v11, null, s59, v12, s8
	v_lshlrev_b64_e32 v[12:13], 1, v[13:14]
	s_delay_alu instid0(VALU_DEP_3) | instskip(SKIP_1) | instid1(VALU_DEP_3)
	v_add_co_u32 v10, vcc_lo, v10, v6
	s_wait_alu 0xfffd
	v_add_co_ci_u32_e64 v11, null, v11, v7, vcc_lo
	v_cmp_gt_i32_e32 vcc_lo, s9, v51
	v_cndmask_b32_e64 v14, 0, v16, s7
	s_wait_alu 0xfffd
	v_cndmask_b32_e32 v46, 0, v46, vcc_lo
	v_mad_co_u64_u32 v[49:50], null, s21, v50, v[15:16]
	v_mad_co_u64_u32 v[16:17], null, s21, v51, v[17:18]
	s_delay_alu instid0(VALU_DEP_2) | instskip(SKIP_1) | instid1(VALU_DEP_3)
	v_cndmask_b32_e64 v15, 0, v49, s7
	v_add_co_u32 v12, s7, s58, v12
	v_cndmask_b32_e32 v47, 0, v16, vcc_lo
	s_wait_alu 0xf1ff
	v_add_co_ci_u32_e64 v13, null, s59, v13, s7
	v_lshlrev_b64_e32 v[14:15], 1, v[14:15]
	v_add_co_u32 v12, vcc_lo, v12, v6
	v_lshlrev_b64_e32 v[16:17], 1, v[46:47]
	s_wait_alu 0xfffd
	v_add_co_ci_u32_e64 v13, null, v13, v7, vcc_lo
	s_delay_alu instid0(VALU_DEP_4)
	v_add_co_u32 v14, vcc_lo, s58, v14
	s_wait_alu 0xfffd
	v_add_co_ci_u32_e64 v15, null, s59, v15, vcc_lo
	v_add_co_u32 v16, vcc_lo, s58, v16
	s_wait_alu 0xfffd
	v_add_co_ci_u32_e64 v17, null, s59, v17, vcc_lo
	;; [unrolled: 3-line block ×4, first 2 shown]
	s_clause 0x3
	global_load_u16 v48, v[10:11], off
	global_load_u16 v47, v[12:13], off
	;; [unrolled: 1-line block ×4, first 2 shown]
	s_and_saveexec_b32 s7, s1
	s_cbranch_execz .LBB543_44
; %bb.39:                               ;   in Loop: Header=BB543_5 Depth=1
	s_clause 0x3
	global_load_u16 v52, v[10:11], off offset:128
	global_load_u16 v51, v[12:13], off offset:128
	global_load_u16 v50, v[14:15], off offset:128
	global_load_u16 v49, v[16:17], off offset:128
	s_and_saveexec_b32 s8, s2
	s_cbranch_execz .LBB543_43
; %bb.40:                               ;   in Loop: Header=BB543_5 Depth=1
	s_clause 0x3
	global_load_u16 v56, v[10:11], off offset:256
	global_load_u16 v55, v[12:13], off offset:256
	global_load_u16 v54, v[14:15], off offset:256
	global_load_u16 v53, v[16:17], off offset:256
	;; [unrolled: 8-line block ×3, first 2 shown]
	s_wait_loadcnt 0x3
	v_lshlrev_b32_e32 v10, 16, v10
	s_wait_loadcnt 0x2
	s_delay_alu instid0(VALU_DEP_1) | instskip(SKIP_3) | instid1(VALU_DEP_2)
	v_dual_fmac_f32 v40, v45, v10 :: v_dual_lshlrev_b32 v11, 16, v11
	s_wait_loadcnt 0x1
	v_lshlrev_b32_e32 v10, 16, v12
	s_wait_loadcnt 0x0
	v_dual_fmac_f32 v40, v44, v11 :: v_dual_lshlrev_b32 v11, 16, v13
	s_delay_alu instid0(VALU_DEP_1) | instskip(NEXT) | instid1(VALU_DEP_1)
	v_fmac_f32_e32 v40, v43, v10
	v_fmac_f32_e32 v40, v42, v11
.LBB543_42:                             ;   in Loop: Header=BB543_5 Depth=1
	s_wait_alu 0xfffe
	s_or_b32 exec_lo, exec_lo, s49
	s_wait_loadcnt 0x2
	v_lshlrev_b32_e32 v11, 16, v55
	v_lshlrev_b32_e32 v10, 16, v56
	s_delay_alu instid0(VALU_DEP_1) | instskip(SKIP_1) | instid1(VALU_DEP_1)
	v_fmac_f32_e32 v39, v45, v10
	s_wait_loadcnt 0x1
	v_dual_fmac_f32 v39, v44, v11 :: v_dual_lshlrev_b32 v10, 16, v54
	s_wait_loadcnt 0x0
	s_delay_alu instid0(VALU_DEP_1) | instskip(NEXT) | instid1(VALU_DEP_1)
	v_dual_fmac_f32 v39, v43, v10 :: v_dual_lshlrev_b32 v10, 16, v53
	v_fmac_f32_e32 v39, v42, v10
.LBB543_43:                             ;   in Loop: Header=BB543_5 Depth=1
	s_wait_alu 0xfffe
	s_or_b32 exec_lo, exec_lo, s8
	s_wait_loadcnt 0x3
	v_lshlrev_b32_e32 v10, 16, v52
	s_wait_loadcnt 0x2
	s_delay_alu instid0(VALU_DEP_1) | instskip(SKIP_2) | instid1(VALU_DEP_2)
	v_dual_fmac_f32 v38, v45, v10 :: v_dual_lshlrev_b32 v11, 16, v51
	s_wait_loadcnt 0x1
	v_lshlrev_b32_e32 v10, 16, v50
	v_fmac_f32_e32 v38, v44, v11
	s_delay_alu instid0(VALU_DEP_1) | instskip(SKIP_2) | instid1(VALU_DEP_1)
	v_fmac_f32_e32 v38, v43, v10
	s_wait_loadcnt 0x0
	v_lshlrev_b32_e32 v10, 16, v49
	v_fmac_f32_e32 v38, v42, v10
.LBB543_44:                             ;   in Loop: Header=BB543_5 Depth=1
	s_wait_alu 0xfffe
	s_or_b32 exec_lo, exec_lo, s7
	s_wait_loadcnt 0x2
	v_lshlrev_b32_e32 v11, 16, v47
	v_lshlrev_b32_e32 v10, 16, v48
	s_delay_alu instid0(VALU_DEP_1) | instskip(SKIP_1) | instid1(VALU_DEP_1)
	v_fmac_f32_e32 v37, v45, v10
	s_wait_loadcnt 0x1
	v_dual_fmac_f32 v37, v44, v11 :: v_dual_lshlrev_b32 v10, 16, v46
	s_wait_loadcnt 0x0
	s_delay_alu instid0(VALU_DEP_1) | instskip(NEXT) | instid1(VALU_DEP_1)
	v_dual_fmac_f32 v37, v43, v10 :: v_dual_lshlrev_b32 v10, 16, v41
	v_fmac_f32_e32 v37, v42, v10
.LBB543_45:                             ;   in Loop: Header=BB543_5 Depth=1
	s_wait_alu 0xfffe
	s_or_b32 exec_lo, exec_lo, s48
.LBB543_46:                             ;   in Loop: Header=BB543_5 Depth=1
	ds_store_2addr_stride64_b32 v0, v37, v38 offset1:1
	ds_store_2addr_stride64_b32 v0, v39, v40 offset0:2 offset1:3
	s_wait_dscnt 0x0
	s_barrier_signal -1
	s_barrier_wait -1
	global_inv scope:SCOPE_SE
                                        ; implicit-def: $vgpr12
	s_and_saveexec_b32 s7, s5
	s_cbranch_execz .LBB543_68
; %bb.47:                               ;   in Loop: Header=BB543_5 Depth=1
	ds_load_2addr_stride64_b32 v[10:11], v19 offset1:4
	ds_load_2addr_stride64_b32 v[12:13], v19 offset0:8 offset1:12
	s_mov_b32 s48, s55
	s_wait_dscnt 0x1
	v_add_f32_e32 v10, v10, v11
	s_wait_dscnt 0x0
	s_delay_alu instid0(VALU_DEP_1) | instskip(NEXT) | instid1(VALU_DEP_1)
	v_add_f32_e32 v10, v12, v10
                                        ; implicit-def: $vgpr12
	v_add_f32_e32 v10, v13, v10
	ds_store_b32 v19, v10
	s_and_saveexec_b32 s8, s6
	s_cbranch_execz .LBB543_67
; %bb.48:                               ;   in Loop: Header=BB543_5 Depth=1
	v_mul_f32_e32 v10, v36, v10
	s_cmp_eq_f32 s56, 0
	s_cbranch_scc0 .LBB543_56
; %bb.49:                               ;   in Loop: Header=BB543_5 Depth=1
	s_delay_alu instid0(VALU_DEP_1) | instskip(NEXT) | instid1(VALU_DEP_1)
	v_and_b32_e32 v11, 0x7f800000, v10
	v_cmp_ne_u32_e32 vcc_lo, 0x7f800000, v11
                                        ; implicit-def: $vgpr11
	s_and_saveexec_b32 s48, vcc_lo
	s_wait_alu 0xfffe
	s_xor_b32 s48, exec_lo, s48
; %bb.50:                               ;   in Loop: Header=BB543_5 Depth=1
	v_bfe_u32 v11, v10, 16, 1
	s_delay_alu instid0(VALU_DEP_1)
	v_add3_u32 v11, v10, v11, 0x7fff
; %bb.51:                               ;   in Loop: Header=BB543_5 Depth=1
	s_wait_alu 0xfffe
	s_and_not1_saveexec_b32 s48, s48
; %bb.52:                               ;   in Loop: Header=BB543_5 Depth=1
	v_and_b32_e32 v11, 0xffff, v10
	v_or_b32_e32 v12, 0x10000, v10
	s_delay_alu instid0(VALU_DEP_2) | instskip(SKIP_1) | instid1(VALU_DEP_2)
	v_cmp_eq_u32_e32 vcc_lo, 0, v11
	s_wait_alu 0xfffd
	v_cndmask_b32_e32 v11, v12, v10, vcc_lo
; %bb.53:                               ;   in Loop: Header=BB543_5 Depth=1
	s_wait_alu 0xfffe
	s_or_b32 exec_lo, exec_lo, s48
	s_cbranch_execz .LBB543_57
	s_branch .LBB543_66
.LBB543_54:                             ;   in Loop: Header=BB543_5 Depth=1
	v_mov_b32_e32 v12, 0
	s_mov_b32 s55, exec_lo
	s_wait_alu 0xfffe
	s_or_b32 exec_lo, exec_lo, s8
	s_delay_alu instid0(SALU_CYCLE_1)
	s_and_b32 vcc_lo, exec_lo, s7
	s_wait_alu 0xfffe
	s_cbranch_vccnz .LBB543_16
.LBB543_55:                             ;   in Loop: Header=BB543_5 Depth=1
	v_dual_mov_b32 v11, v3 :: v_dual_mov_b32 v10, v2
	s_and_saveexec_b32 s7, s55
	s_cbranch_execz .LBB543_3
	s_branch .LBB543_69
.LBB543_56:                             ;   in Loop: Header=BB543_5 Depth=1
                                        ; implicit-def: $vgpr11
.LBB543_57:                             ;   in Loop: Header=BB543_5 Depth=1
	v_lshlrev_b64_e32 v[11:12], 1, v[4:5]
	s_delay_alu instid0(VALU_DEP_1) | instskip(SKIP_1) | instid1(VALU_DEP_2)
	v_add_co_u32 v11, vcc_lo, s46, v11
	s_wait_alu 0xfffd
	v_add_co_ci_u32_e64 v12, null, s47, v12, vcc_lo
	global_load_u16 v11, v[11:12], off
	s_wait_loadcnt 0x0
	v_lshlrev_b32_e32 v11, 16, v11
	s_delay_alu instid0(VALU_DEP_1) | instskip(NEXT) | instid1(VALU_DEP_1)
	v_mul_f32_e32 v11, s56, v11
	v_and_b32_e32 v12, 0x7f800000, v11
	s_delay_alu instid0(VALU_DEP_1)
	v_cmp_ne_u32_e32 vcc_lo, 0x7f800000, v12
                                        ; implicit-def: $vgpr12
	s_and_saveexec_b32 s48, vcc_lo
	s_wait_alu 0xfffe
	s_xor_b32 s48, exec_lo, s48
; %bb.58:                               ;   in Loop: Header=BB543_5 Depth=1
	v_bfe_u32 v12, v11, 16, 1
	s_delay_alu instid0(VALU_DEP_1)
	v_add3_u32 v12, v11, v12, 0x7fff
                                        ; implicit-def: $vgpr11
; %bb.59:                               ;   in Loop: Header=BB543_5 Depth=1
	s_wait_alu 0xfffe
	s_and_not1_saveexec_b32 s48, s48
; %bb.60:                               ;   in Loop: Header=BB543_5 Depth=1
	v_and_b32_e32 v12, 0xffff, v11
	v_or_b32_e32 v13, 0x10000, v11
	s_delay_alu instid0(VALU_DEP_2) | instskip(SKIP_1) | instid1(VALU_DEP_2)
	v_cmp_eq_u32_e32 vcc_lo, 0, v12
	s_wait_alu 0xfffd
	v_cndmask_b32_e32 v12, v13, v11, vcc_lo
; %bb.61:                               ;   in Loop: Header=BB543_5 Depth=1
	s_wait_alu 0xfffe
	s_or_b32 exec_lo, exec_lo, s48
	s_delay_alu instid0(VALU_DEP_1) | instskip(NEXT) | instid1(VALU_DEP_1)
	v_and_b32_e32 v11, 0xffff0000, v12
	v_add_f32_e32 v10, v10, v11
	s_delay_alu instid0(VALU_DEP_1) | instskip(NEXT) | instid1(VALU_DEP_1)
	v_and_b32_e32 v11, 0x7f800000, v10
	v_cmp_ne_u32_e32 vcc_lo, 0x7f800000, v11
                                        ; implicit-def: $vgpr11
	s_and_saveexec_b32 s48, vcc_lo
	s_wait_alu 0xfffe
	s_xor_b32 s48, exec_lo, s48
; %bb.62:                               ;   in Loop: Header=BB543_5 Depth=1
	v_bfe_u32 v11, v10, 16, 1
	s_delay_alu instid0(VALU_DEP_1)
	v_add3_u32 v11, v10, v11, 0x7fff
                                        ; implicit-def: $vgpr10
; %bb.63:                               ;   in Loop: Header=BB543_5 Depth=1
	s_wait_alu 0xfffe
	s_and_not1_saveexec_b32 s48, s48
; %bb.64:                               ;   in Loop: Header=BB543_5 Depth=1
	v_and_b32_e32 v11, 0xffff, v10
	v_or_b32_e32 v12, 0x10000, v10
	s_delay_alu instid0(VALU_DEP_2) | instskip(SKIP_1) | instid1(VALU_DEP_2)
	v_cmp_eq_u32_e32 vcc_lo, 0, v11
	s_wait_alu 0xfffd
	v_cndmask_b32_e32 v11, v12, v10, vcc_lo
; %bb.65:                               ;   in Loop: Header=BB543_5 Depth=1
	s_wait_alu 0xfffe
	s_or_b32 exec_lo, exec_lo, s48
.LBB543_66:                             ;   in Loop: Header=BB543_5 Depth=1
	s_delay_alu instid0(VALU_DEP_1)
	v_lshrrev_b32_e32 v12, 16, v11
	s_or_b32 s48, s55, exec_lo
.LBB543_67:                             ;   in Loop: Header=BB543_5 Depth=1
	s_wait_alu 0xfffe
	s_or_b32 exec_lo, exec_lo, s8
	s_delay_alu instid0(SALU_CYCLE_1)
	s_and_not1_b32 s8, s55, exec_lo
	s_and_b32 s48, s48, exec_lo
	s_wait_alu 0xfffe
	s_or_b32 s55, s8, s48
.LBB543_68:                             ;   in Loop: Header=BB543_5 Depth=1
	s_wait_alu 0xfffe
	s_or_b32 exec_lo, exec_lo, s7
	v_dual_mov_b32 v11, v5 :: v_dual_mov_b32 v10, v4
	s_and_saveexec_b32 s7, s55
	s_cbranch_execz .LBB543_3
.LBB543_69:                             ;   in Loop: Header=BB543_5 Depth=1
	s_delay_alu instid0(VALU_DEP_1) | instskip(SKIP_1) | instid1(VALU_DEP_1)
	v_lshlrev_b64_e32 v[10:11], 1, v[10:11]
	s_wait_alu 0xfffe
	v_add_co_u32 v10, vcc_lo, s46, v10
	s_wait_alu 0xfffd
	s_delay_alu instid0(VALU_DEP_2)
	v_add_co_ci_u32_e64 v11, null, s47, v11, vcc_lo
	global_store_b16 v[10:11], v12, off
	s_branch .LBB543_3
.LBB543_70:
	s_endpgm
	.section	.rodata,"a",@progbits
	.p2align	6, 0x0
	.amdhsa_kernel _ZL20rocblas_gemvn_kernelILi64ELi4El16rocblas_bfloat16PKfS0_EviiT3_lPKT2_lT1_lS6_lS7_lS3_lPT4_lS7_li
		.amdhsa_group_segment_fixed_size 4096
		.amdhsa_private_segment_fixed_size 0
		.amdhsa_kernarg_size 400
		.amdhsa_user_sgpr_count 2
		.amdhsa_user_sgpr_dispatch_ptr 0
		.amdhsa_user_sgpr_queue_ptr 0
		.amdhsa_user_sgpr_kernarg_segment_ptr 1
		.amdhsa_user_sgpr_dispatch_id 0
		.amdhsa_user_sgpr_private_segment_size 0
		.amdhsa_wavefront_size32 1
		.amdhsa_uses_dynamic_stack 0
		.amdhsa_enable_private_segment 0
		.amdhsa_system_sgpr_workgroup_id_x 1
		.amdhsa_system_sgpr_workgroup_id_y 0
		.amdhsa_system_sgpr_workgroup_id_z 1
		.amdhsa_system_sgpr_workgroup_info 0
		.amdhsa_system_vgpr_workitem_id 1
		.amdhsa_next_free_vgpr 74
		.amdhsa_next_free_sgpr 60
		.amdhsa_reserve_vcc 1
		.amdhsa_float_round_mode_32 0
		.amdhsa_float_round_mode_16_64 0
		.amdhsa_float_denorm_mode_32 3
		.amdhsa_float_denorm_mode_16_64 3
		.amdhsa_fp16_overflow 0
		.amdhsa_workgroup_processor_mode 1
		.amdhsa_memory_ordered 1
		.amdhsa_forward_progress 1
		.amdhsa_inst_pref_size 35
		.amdhsa_round_robin_scheduling 0
		.amdhsa_exception_fp_ieee_invalid_op 0
		.amdhsa_exception_fp_denorm_src 0
		.amdhsa_exception_fp_ieee_div_zero 0
		.amdhsa_exception_fp_ieee_overflow 0
		.amdhsa_exception_fp_ieee_underflow 0
		.amdhsa_exception_fp_ieee_inexact 0
		.amdhsa_exception_int_div_zero 0
	.end_amdhsa_kernel
	.section	.text._ZL20rocblas_gemvn_kernelILi64ELi4El16rocblas_bfloat16PKfS0_EviiT3_lPKT2_lT1_lS6_lS7_lS3_lPT4_lS7_li,"axG",@progbits,_ZL20rocblas_gemvn_kernelILi64ELi4El16rocblas_bfloat16PKfS0_EviiT3_lPKT2_lT1_lS6_lS7_lS3_lPT4_lS7_li,comdat
.Lfunc_end543:
	.size	_ZL20rocblas_gemvn_kernelILi64ELi4El16rocblas_bfloat16PKfS0_EviiT3_lPKT2_lT1_lS6_lS7_lS3_lPT4_lS7_li, .Lfunc_end543-_ZL20rocblas_gemvn_kernelILi64ELi4El16rocblas_bfloat16PKfS0_EviiT3_lPKT2_lT1_lS6_lS7_lS3_lPT4_lS7_li
                                        ; -- End function
	.set _ZL20rocblas_gemvn_kernelILi64ELi4El16rocblas_bfloat16PKfS0_EviiT3_lPKT2_lT1_lS6_lS7_lS3_lPT4_lS7_li.num_vgpr, 74
	.set _ZL20rocblas_gemvn_kernelILi64ELi4El16rocblas_bfloat16PKfS0_EviiT3_lPKT2_lT1_lS6_lS7_lS3_lPT4_lS7_li.num_agpr, 0
	.set _ZL20rocblas_gemvn_kernelILi64ELi4El16rocblas_bfloat16PKfS0_EviiT3_lPKT2_lT1_lS6_lS7_lS3_lPT4_lS7_li.numbered_sgpr, 60
	.set _ZL20rocblas_gemvn_kernelILi64ELi4El16rocblas_bfloat16PKfS0_EviiT3_lPKT2_lT1_lS6_lS7_lS3_lPT4_lS7_li.num_named_barrier, 0
	.set _ZL20rocblas_gemvn_kernelILi64ELi4El16rocblas_bfloat16PKfS0_EviiT3_lPKT2_lT1_lS6_lS7_lS3_lPT4_lS7_li.private_seg_size, 0
	.set _ZL20rocblas_gemvn_kernelILi64ELi4El16rocblas_bfloat16PKfS0_EviiT3_lPKT2_lT1_lS6_lS7_lS3_lPT4_lS7_li.uses_vcc, 1
	.set _ZL20rocblas_gemvn_kernelILi64ELi4El16rocblas_bfloat16PKfS0_EviiT3_lPKT2_lT1_lS6_lS7_lS3_lPT4_lS7_li.uses_flat_scratch, 0
	.set _ZL20rocblas_gemvn_kernelILi64ELi4El16rocblas_bfloat16PKfS0_EviiT3_lPKT2_lT1_lS6_lS7_lS3_lPT4_lS7_li.has_dyn_sized_stack, 0
	.set _ZL20rocblas_gemvn_kernelILi64ELi4El16rocblas_bfloat16PKfS0_EviiT3_lPKT2_lT1_lS6_lS7_lS3_lPT4_lS7_li.has_recursion, 0
	.set _ZL20rocblas_gemvn_kernelILi64ELi4El16rocblas_bfloat16PKfS0_EviiT3_lPKT2_lT1_lS6_lS7_lS3_lPT4_lS7_li.has_indirect_call, 0
	.section	.AMDGPU.csdata,"",@progbits
; Kernel info:
; codeLenInByte = 4376
; TotalNumSgprs: 62
; NumVgprs: 74
; ScratchSize: 0
; MemoryBound: 0
; FloatMode: 240
; IeeeMode: 1
; LDSByteSize: 4096 bytes/workgroup (compile time only)
; SGPRBlocks: 0
; VGPRBlocks: 9
; NumSGPRsForWavesPerEU: 62
; NumVGPRsForWavesPerEU: 74
; Occupancy: 16
; WaveLimiterHint : 1
; COMPUTE_PGM_RSRC2:SCRATCH_EN: 0
; COMPUTE_PGM_RSRC2:USER_SGPR: 2
; COMPUTE_PGM_RSRC2:TRAP_HANDLER: 0
; COMPUTE_PGM_RSRC2:TGID_X_EN: 1
; COMPUTE_PGM_RSRC2:TGID_Y_EN: 0
; COMPUTE_PGM_RSRC2:TGID_Z_EN: 1
; COMPUTE_PGM_RSRC2:TIDIG_COMP_CNT: 1
	.section	.text._ZL20rocblas_gemvn_kernelILi64ELi4Ei16rocblas_bfloat16fS0_EviiT3_lPKT2_lT1_lS4_lS5_lS1_lPT4_lS5_li,"axG",@progbits,_ZL20rocblas_gemvn_kernelILi64ELi4Ei16rocblas_bfloat16fS0_EviiT3_lPKT2_lT1_lS4_lS5_lS1_lPT4_lS5_li,comdat
	.globl	_ZL20rocblas_gemvn_kernelILi64ELi4Ei16rocblas_bfloat16fS0_EviiT3_lPKT2_lT1_lS4_lS5_lS1_lPT4_lS5_li ; -- Begin function _ZL20rocblas_gemvn_kernelILi64ELi4Ei16rocblas_bfloat16fS0_EviiT3_lPKT2_lT1_lS4_lS5_lS1_lPT4_lS5_li
	.p2align	8
	.type	_ZL20rocblas_gemvn_kernelILi64ELi4Ei16rocblas_bfloat16fS0_EviiT3_lPKT2_lT1_lS4_lS5_lS1_lPT4_lS5_li,@function
_ZL20rocblas_gemvn_kernelILi64ELi4Ei16rocblas_bfloat16fS0_EviiT3_lPKT2_lT1_lS4_lS5_lS1_lPT4_lS5_li: ; @_ZL20rocblas_gemvn_kernelILi64ELi4Ei16rocblas_bfloat16fS0_EviiT3_lPKT2_lT1_lS4_lS5_lS1_lPT4_lS5_li
; %bb.0:
	s_load_b64 s[2:3], s[0:1], 0x9c
	s_wait_kmcnt 0x0
	s_lshr_b32 s4, s2, 16
	s_and_b32 s2, s2, 0xffff
	s_and_b32 s3, s3, 0xffff
	s_mul_i32 s2, s4, s2
	s_delay_alu instid0(SALU_CYCLE_1) | instskip(NEXT) | instid1(SALU_CYCLE_1)
	s_mul_i32 s2, s2, s3
	s_cmp_lg_u32 s2, 0x100
	s_cbranch_scc1 .LBB544_70
; %bb.1:
	s_load_b32 s19, s[0:1], 0x88
	s_lshr_b32 s28, ttmp7, 16
	s_wait_kmcnt 0x0
	s_cmp_ge_u32 s28, s19
	s_cbranch_scc1 .LBB544_70
; %bb.2:
	s_clause 0x8
	s_load_b128 s[4:7], s[0:1], 0x18
	s_load_b96 s[16:18], s[0:1], 0x40
	s_load_b128 s[12:15], s[0:1], 0x68
	s_load_b32 s34, s[0:1], 0x78
	s_load_b96 s[20:22], s[0:1], 0x0
	s_load_b96 s[24:26], s[0:1], 0x50
	s_load_b32 s23, s[0:1], 0x28
	s_load_b128 s[8:11], s[0:1], 0x30
	s_load_b64 s[30:31], s[0:1], 0x80
	v_dual_mov_b32 v4, 0 :: v_dual_and_b32 v7, 0x3ff, v0
	v_bfe_u32 v6, v0, 10, 10
	s_mov_b32 s29, 0
	s_delay_alu instid0(VALU_DEP_1)
	v_lshl_add_u32 v5, v6, 6, v7
	v_lshlrev_b32_e32 v17, 2, v6
	s_wait_kmcnt 0x0
	s_lshl_b64 s[0:1], s[6:7], 1
	s_lshl_b64 s[2:3], s[16:17], 1
	;; [unrolled: 1-line block ×3, first 2 shown]
	s_ashr_i32 s35, s34, 31
	s_cmp_eq_f32 s22, 0
	s_add_nc_u64 s[14:15], s[4:5], s[0:1]
	s_mov_b32 s16, s20
	s_add_nc_u64 s[10:11], s[10:11], s[2:3]
	s_cselect_b32 s27, -1, 0
	s_cmp_neq_f32 s22, 0
	s_add_nc_u64 s[12:13], s[12:13], s[6:7]
	s_cselect_b32 s36, -1, 0
	s_cmp_neq_f32 s26, 1.0
	s_cselect_b32 s0, -1, 0
	s_lshl_b32 s33, ttmp9, 8
	s_ashr_i32 s17, s20, 31
	v_add_nc_u32_e32 v3, s33, v5
	v_or_b32_e32 v9, s33, v5
	v_or_b32_e32 v18, s33, v7
	s_or_b32 s38, s36, s0
	s_cmp_neq_f32 s26, 0
	v_mad_co_u64_u32 v[0:1], null, s34, v3, 0
	v_mul_lo_u32 v2, s34, v9
	v_cmp_gt_i64_e32 vcc_lo, s[16:17], v[3:4]
	v_add_nc_u32_e32 v4, 64, v18
	s_cselect_b32 s39, -1, 0
	s_cmp_eq_f32 s26, 0
	v_add_nc_u32_e32 v10, 0x80, v18
	v_add_nc_u32_e32 v11, 0xc0, v18
	v_cmp_gt_i32_e64 s1, s20, v4
	v_mad_co_u64_u32 v[3:4], null, s35, v3, v[1:2]
	v_lshlrev_b32_e32 v8, 2, v7
	s_cselect_b32 s40, -1, 0
	s_ashr_i32 s2, s21, 31
	v_mul_lo_u32 v4, s23, v17
	s_lshr_b32 s2, s2, 28
	v_cmp_gt_i32_e64 s6, s20, v9
	s_add_co_i32 s3, s21, s2
	v_mul_lo_u32 v9, v6, s23
	v_mov_b32_e32 v1, v3
	v_lshl_add_u32 v19, v6, 10, v8
	v_lshl_add_u32 v20, v6, 8, v8
	v_or_b32_e32 v8, 2, v17
	v_cmp_gt_i32_e64 s2, s20, v10
	s_and_b32 s41, s3, -16
	v_or_b32_e32 v10, 3, v17
	v_cmp_gt_i32_e64 s3, s20, v11
	v_mul_lo_u32 v11, v6, s18
	s_sub_co_i32 s5, s21, s41
	v_add3_u32 v21, v4, s23, v7
	s_cmp_gt_i32 s5, 0
	v_cmp_gt_u32_e64 s5, 0x100, v5
	v_mad_co_u64_u32 v[4:5], null, s23, v8, v[7:8]
	s_mov_b32 s16, s18
	v_mad_co_u64_u32 v[5:6], null, s23, v10, v[7:8]
	v_lshl_add_u32 v22, v9, 2, v7
	s_wait_alu 0xfffe
	v_mad_co_u64_u32 v[6:7], null, s18, v17, s[16:17]
	v_mul_lo_u32 v23, s18, v8
	v_mul_lo_u32 v24, s18, v10
	v_lshlrev_b64_e32 v[7:8], 1, v[0:1]
	v_cmp_gt_i32_e64 s0, s20, v18
	v_cmp_gt_i32_e64 s4, s41, v17
	v_ashrrev_i32_e32 v3, 31, v2
	v_lshlrev_b32_e32 v25, 2, v11
	s_cselect_b32 s20, -1, 0
	s_and_b32 s42, s5, vcc_lo
	s_lshl_b32 s43, s23, 4
	s_lshl_b32 s44, s18, 4
	s_branch .LBB544_5
.LBB544_3:                              ;   in Loop: Header=BB544_5 Depth=1
	s_wait_alu 0xfffe
	s_or_b32 exec_lo, exec_lo, s7
.LBB544_4:                              ;   in Loop: Header=BB544_5 Depth=1
	s_add_co_i32 s28, s28, 0x10000
	s_delay_alu instid0(SALU_CYCLE_1)
	s_cmp_lt_u32 s28, s19
	s_cbranch_scc0 .LBB544_70
.LBB544_5:                              ; =>This Loop Header: Depth=1
                                        ;     Child Loop BB544_22 Depth 2
	s_and_not1_b32 vcc_lo, exec_lo, s38
	s_wait_alu 0xfffe
	s_cbranch_vccnz .LBB544_4
; %bb.6:                                ;   in Loop: Header=BB544_5 Depth=1
	s_mul_u64 s[16:17], s[30:31], s[28:29]
	s_and_not1_b32 vcc_lo, exec_lo, s27
	s_wait_alu 0xfffe
	s_lshl_b64 s[16:17], s[16:17], 1
	s_wait_alu 0xfffe
	s_add_nc_u64 s[16:17], s[12:13], s[16:17]
	s_cbranch_vccnz .LBB544_14
; %bb.7:                                ;   in Loop: Header=BB544_5 Depth=1
	s_mov_b32 s7, 0
	s_mov_b32 s45, 0
                                        ; implicit-def: $vgpr11
	s_and_saveexec_b32 s34, s42
	s_cbranch_execz .LBB544_15
; %bb.8:                                ;   in Loop: Header=BB544_5 Depth=1
	s_and_not1_b32 vcc_lo, exec_lo, s39
	s_wait_alu 0xfffe
	s_cbranch_vccnz .LBB544_67
; %bb.9:                                ;   in Loop: Header=BB544_5 Depth=1
	v_add_co_u32 v9, vcc_lo, s16, v7
	s_wait_alu 0xfffd
	v_add_co_ci_u32_e64 v10, null, s17, v8, vcc_lo
	global_load_u16 v9, v[9:10], off
	s_wait_loadcnt 0x0
	v_lshlrev_b32_e32 v9, 16, v9
	s_delay_alu instid0(VALU_DEP_1) | instskip(NEXT) | instid1(VALU_DEP_1)
	v_mul_f32_e32 v9, s26, v9
	v_and_b32_e32 v10, 0x7f800000, v9
	s_delay_alu instid0(VALU_DEP_1)
	v_cmp_ne_u32_e32 vcc_lo, 0x7f800000, v10
                                        ; implicit-def: $vgpr10
	s_and_saveexec_b32 s35, vcc_lo
	s_wait_alu 0xfffe
	s_xor_b32 s35, exec_lo, s35
; %bb.10:                               ;   in Loop: Header=BB544_5 Depth=1
	v_bfe_u32 v10, v9, 16, 1
	s_delay_alu instid0(VALU_DEP_1)
	v_add3_u32 v10, v9, v10, 0x7fff
                                        ; implicit-def: $vgpr9
; %bb.11:                               ;   in Loop: Header=BB544_5 Depth=1
	s_wait_alu 0xfffe
	s_and_not1_saveexec_b32 s35, s35
; %bb.12:                               ;   in Loop: Header=BB544_5 Depth=1
	v_and_b32_e32 v10, 0xffff, v9
	v_or_b32_e32 v11, 0x10000, v9
	s_delay_alu instid0(VALU_DEP_2) | instskip(SKIP_1) | instid1(VALU_DEP_2)
	v_cmp_eq_u32_e32 vcc_lo, 0, v10
	s_wait_alu 0xfffd
	v_cndmask_b32_e32 v10, v11, v9, vcc_lo
; %bb.13:                               ;   in Loop: Header=BB544_5 Depth=1
	s_wait_alu 0xfffe
	s_or_b32 exec_lo, exec_lo, s35
	s_delay_alu instid0(VALU_DEP_1) | instskip(SKIP_2) | instid1(SALU_CYCLE_1)
	v_lshrrev_b32_e32 v11, 16, v10
	s_mov_b32 s45, exec_lo
	s_or_b32 exec_lo, exec_lo, s34
	s_and_b32 vcc_lo, exec_lo, s7
	s_wait_alu 0xfffe
	s_cbranch_vccnz .LBB544_16
	s_branch .LBB544_68
.LBB544_14:                             ;   in Loop: Header=BB544_5 Depth=1
	s_mov_b32 s45, 0
                                        ; implicit-def: $vgpr11
	s_cbranch_execnz .LBB544_16
	s_branch .LBB544_68
.LBB544_15:                             ;   in Loop: Header=BB544_5 Depth=1
	s_wait_alu 0xfffe
	s_or_b32 exec_lo, exec_lo, s34
	s_delay_alu instid0(SALU_CYCLE_1)
	s_and_b32 vcc_lo, exec_lo, s7
	s_wait_alu 0xfffe
	s_cbranch_vccz .LBB544_68
.LBB544_16:                             ;   in Loop: Header=BB544_5 Depth=1
	s_mul_u64 s[34:35], s[8:9], s[28:29]
	s_mul_u64 s[36:37], s[24:25], s[28:29]
	v_dual_mov_b32 v26, 0 :: v_dual_mov_b32 v27, 0
	v_dual_mov_b32 v30, v17 :: v_dual_mov_b32 v29, 0
	v_mov_b32_e32 v28, 0
	s_wait_alu 0xfffe
	s_lshl_b64 s[34:35], s[34:35], 1
	s_lshl_b64 s[36:37], s[36:37], 1
	s_wait_alu 0xfffe
	s_add_nc_u64 s[34:35], s[14:15], s[34:35]
	s_add_nc_u64 s[36:37], s[10:11], s[36:37]
	s_and_saveexec_b32 s7, s4
	s_cbranch_execz .LBB544_28
; %bb.17:                               ;   in Loop: Header=BB544_5 Depth=1
	v_dual_mov_b32 v26, 0 :: v_dual_mov_b32 v31, v22
	v_dual_mov_b32 v32, v5 :: v_dual_mov_b32 v33, v4
	;; [unrolled: 1-line block ×4, first 2 shown]
	v_mov_b32_e32 v28, 0
	s_mov_b32 s46, 0
	s_mov_b32 s47, 0
	s_branch .LBB544_22
.LBB544_18:                             ;   in Loop: Header=BB544_22 Depth=2
	s_or_b32 exec_lo, exec_lo, s51
	s_wait_loadcnt 0x3
	v_lshlrev_b32_e32 v9, 16, v50
	s_wait_loadcnt 0x2
	v_lshlrev_b32_e32 v10, 16, v49
	s_wait_loadcnt 0x1
	s_delay_alu instid0(VALU_DEP_2) | instskip(NEXT) | instid1(VALU_DEP_1)
	v_dual_fmac_f32 v28, v42, v9 :: v_dual_lshlrev_b32 v9, 16, v48
	v_fmac_f32_e32 v28, v38, v10
	s_wait_loadcnt 0x0
	s_delay_alu instid0(VALU_DEP_1) | instskip(NEXT) | instid1(VALU_DEP_1)
	v_dual_fmac_f32 v28, v40, v9 :: v_dual_lshlrev_b32 v9, 16, v47
	v_fmac_f32_e32 v28, v36, v9
.LBB544_19:                             ;   in Loop: Header=BB544_22 Depth=2
	s_or_b32 exec_lo, exec_lo, s50
	s_wait_loadcnt 0x3
	v_lshlrev_b32_e32 v9, 16, v46
	s_wait_loadcnt 0x2
	v_lshlrev_b32_e32 v10, 16, v45
	s_delay_alu instid0(VALU_DEP_2) | instskip(SKIP_2) | instid1(VALU_DEP_2)
	v_fmac_f32_e32 v27, v42, v9
	s_wait_loadcnt 0x1
	v_lshlrev_b32_e32 v9, 16, v44
	v_fmac_f32_e32 v27, v38, v10
	s_delay_alu instid0(VALU_DEP_1) | instskip(SKIP_2) | instid1(VALU_DEP_1)
	v_fmac_f32_e32 v27, v40, v9
	s_wait_loadcnt 0x0
	v_lshlrev_b32_e32 v9, 16, v43
	v_fmac_f32_e32 v27, v36, v9
.LBB544_20:                             ;   in Loop: Header=BB544_22 Depth=2
	s_or_b32 exec_lo, exec_lo, s49
	s_wait_loadcnt 0x2
	v_lshlrev_b32_e32 v10, 16, v39
	v_lshlrev_b32_e32 v9, 16, v41
	s_delay_alu instid0(VALU_DEP_1) | instskip(SKIP_1) | instid1(VALU_DEP_1)
	v_fmac_f32_e32 v26, v42, v9
	s_wait_loadcnt 0x1
	v_dual_fmac_f32 v26, v38, v10 :: v_dual_lshlrev_b32 v9, 16, v37
	s_wait_loadcnt 0x0
	s_delay_alu instid0(VALU_DEP_1) | instskip(NEXT) | instid1(VALU_DEP_1)
	v_dual_fmac_f32 v26, v40, v9 :: v_dual_lshlrev_b32 v9, 16, v35
	v_fmac_f32_e32 v26, v36, v9
.LBB544_21:                             ;   in Loop: Header=BB544_22 Depth=2
	s_or_b32 exec_lo, exec_lo, s48
	v_add_nc_u32_e32 v30, 16, v30
	v_add_nc_u32_e32 v34, s43, v34
	;; [unrolled: 1-line block ×5, first 2 shown]
	v_cmp_le_i32_e32 vcc_lo, s41, v30
	s_wait_alu 0xfffe
	s_add_co_i32 s47, s47, s44
	s_or_b32 s46, vcc_lo, s46
	s_wait_alu 0xfffe
	s_and_not1_b32 exec_lo, exec_lo, s46
	s_cbranch_execz .LBB544_27
.LBB544_22:                             ;   Parent Loop BB544_5 Depth=1
                                        ; =>  This Inner Loop Header: Depth=2
	s_and_saveexec_b32 s48, s0
	s_cbranch_execz .LBB544_21
; %bb.23:                               ;   in Loop: Header=BB544_22 Depth=2
	s_wait_alu 0xfffe
	v_add_nc_u32_e32 v9, s47, v25
	v_add_nc_u32_e32 v11, s47, v6
	;; [unrolled: 1-line block ×5, first 2 shown]
	v_ashrrev_i32_e32 v10, 31, v9
	v_ashrrev_i32_e32 v12, 31, v11
	v_ashrrev_i32_e32 v14, 31, v13
	v_ashrrev_i32_e32 v16, 31, v15
	v_ashrrev_i32_e32 v36, 31, v35
	v_lshlrev_b64_e32 v[9:10], 1, v[9:10]
	v_lshlrev_b64_e32 v[11:12], 1, v[11:12]
	;; [unrolled: 1-line block ×4, first 2 shown]
	v_add_nc_u32_e32 v37, s33, v34
	v_add_nc_u32_e32 v39, s33, v33
	v_add_co_u32 v9, vcc_lo, s36, v9
	s_wait_alu 0xfffd
	v_add_co_ci_u32_e64 v10, null, s37, v10, vcc_lo
	v_add_co_u32 v11, vcc_lo, s36, v11
	s_wait_alu 0xfffd
	v_add_co_ci_u32_e64 v12, null, s37, v12, vcc_lo
	;; [unrolled: 3-line block ×4, first 2 shown]
	v_lshlrev_b64_e32 v[35:36], 1, v[35:36]
	s_clause 0x3
	global_load_u16 v42, v[9:10], off
	global_load_u16 v43, v[11:12], off
	;; [unrolled: 1-line block ×4, first 2 shown]
	v_add_nc_u32_e32 v13, s33, v32
	v_ashrrev_i32_e32 v38, 31, v37
	v_ashrrev_i32_e32 v40, 31, v39
	v_add_co_u32 v9, vcc_lo, s34, v35
	s_delay_alu instid0(VALU_DEP_4) | instskip(NEXT) | instid1(VALU_DEP_4)
	v_ashrrev_i32_e32 v14, 31, v13
	v_lshlrev_b64_e32 v[11:12], 1, v[37:38]
	s_wait_alu 0xfffd
	v_add_co_ci_u32_e64 v10, null, s35, v36, vcc_lo
	v_lshlrev_b64_e32 v[35:36], 1, v[39:40]
	v_lshlrev_b64_e32 v[13:14], 1, v[13:14]
	s_delay_alu instid0(VALU_DEP_4) | instskip(SKIP_2) | instid1(VALU_DEP_4)
	v_add_co_u32 v15, vcc_lo, s34, v11
	s_wait_alu 0xfffd
	v_add_co_ci_u32_e64 v16, null, s35, v12, vcc_lo
	v_add_co_u32 v11, vcc_lo, s34, v35
	s_wait_alu 0xfffd
	v_add_co_ci_u32_e64 v12, null, s35, v36, vcc_lo
	;; [unrolled: 3-line block ×3, first 2 shown]
	s_clause 0x3
	global_load_u16 v41, v[9:10], off
	global_load_u16 v39, v[15:16], off
	;; [unrolled: 1-line block ×4, first 2 shown]
	s_wait_loadcnt 0x7
	v_lshlrev_b32_e32 v42, 16, v42
	s_wait_loadcnt 0x6
	v_lshlrev_b32_e32 v38, 16, v43
	;; [unrolled: 2-line block ×4, first 2 shown]
	s_and_saveexec_b32 s49, s1
	s_cbranch_execz .LBB544_20
; %bb.24:                               ;   in Loop: Header=BB544_22 Depth=2
	s_clause 0x3
	global_load_u16 v46, v[9:10], off offset:128
	global_load_u16 v45, v[15:16], off offset:128
	global_load_u16 v44, v[11:12], off offset:128
	global_load_u16 v43, v[13:14], off offset:128
	s_and_saveexec_b32 s50, s2
	s_cbranch_execz .LBB544_19
; %bb.25:                               ;   in Loop: Header=BB544_22 Depth=2
	s_clause 0x3
	global_load_u16 v50, v[9:10], off offset:256
	global_load_u16 v49, v[15:16], off offset:256
	global_load_u16 v48, v[11:12], off offset:256
	global_load_u16 v47, v[13:14], off offset:256
	;; [unrolled: 8-line block ×3, first 2 shown]
	s_wait_loadcnt 0x3
	v_lshlrev_b32_e32 v9, 16, v9
	s_wait_loadcnt 0x2
	s_delay_alu instid0(VALU_DEP_1) | instskip(SKIP_3) | instid1(VALU_DEP_2)
	v_dual_fmac_f32 v29, v42, v9 :: v_dual_lshlrev_b32 v10, 16, v10
	s_wait_loadcnt 0x1
	v_lshlrev_b32_e32 v9, 16, v11
	s_wait_loadcnt 0x0
	v_dual_fmac_f32 v29, v38, v10 :: v_dual_lshlrev_b32 v10, 16, v12
	s_delay_alu instid0(VALU_DEP_1) | instskip(NEXT) | instid1(VALU_DEP_1)
	v_fmac_f32_e32 v29, v40, v9
	v_fmac_f32_e32 v29, v36, v10
	s_branch .LBB544_18
.LBB544_27:                             ;   in Loop: Header=BB544_5 Depth=1
	s_or_b32 exec_lo, exec_lo, s46
.LBB544_28:                             ;   in Loop: Header=BB544_5 Depth=1
	s_wait_alu 0xfffe
	s_or_b32 exec_lo, exec_lo, s7
	s_delay_alu instid0(SALU_CYCLE_1)
	s_and_not1_b32 vcc_lo, exec_lo, s20
	s_wait_alu 0xfffe
	s_cbranch_vccnz .LBB544_46
; %bb.29:                               ;   in Loop: Header=BB544_5 Depth=1
	v_cmp_gt_i32_e32 vcc_lo, s21, v30
	v_dual_mov_b32 v32, 0 :: v_dual_mov_b32 v31, 0
	v_or_b32_e32 v9, 1, v30
	v_dual_mov_b32 v34, 0 :: v_dual_mov_b32 v33, 0
	s_and_saveexec_b32 s46, vcc_lo
	s_cbranch_execz .LBB544_37
; %bb.30:                               ;   in Loop: Header=BB544_5 Depth=1
	v_mul_lo_u32 v10, v30, s18
	v_dual_mov_b32 v33, 0 :: v_dual_mov_b32 v32, 0
	v_mov_b32_e32 v31, 0
	s_mov_b32 s47, exec_lo
	s_delay_alu instid0(VALU_DEP_3) | instskip(NEXT) | instid1(VALU_DEP_1)
	v_ashrrev_i32_e32 v11, 31, v10
	v_lshlrev_b64_e32 v[10:11], 1, v[10:11]
	s_delay_alu instid0(VALU_DEP_1) | instskip(SKIP_1) | instid1(VALU_DEP_2)
	v_add_co_u32 v10, s7, s36, v10
	s_wait_alu 0xf1ff
	v_add_co_ci_u32_e64 v11, null, s37, v11, s7
	global_load_u16 v10, v[10:11], off
	v_cmpx_gt_i32_e64 s21, v9
	s_cbranch_execz .LBB544_36
; %bb.31:                               ;   in Loop: Header=BB544_5 Depth=1
	v_mul_lo_u32 v11, v9, s18
	v_dual_mov_b32 v31, 0 :: v_dual_mov_b32 v32, 0
	s_mov_b32 s48, exec_lo
	s_delay_alu instid0(VALU_DEP_2) | instskip(NEXT) | instid1(VALU_DEP_1)
	v_ashrrev_i32_e32 v12, 31, v11
	v_lshlrev_b64_e32 v[11:12], 1, v[11:12]
	s_delay_alu instid0(VALU_DEP_1) | instskip(SKIP_1) | instid1(VALU_DEP_2)
	v_add_co_u32 v11, s7, s36, v11
	s_wait_alu 0xf1ff
	v_add_co_ci_u32_e64 v12, null, s37, v12, s7
	global_load_u16 v11, v[11:12], off
	v_or_b32_e32 v12, 2, v30
	s_delay_alu instid0(VALU_DEP_1)
	v_cmpx_gt_i32_e64 s21, v12
	s_cbranch_execz .LBB544_35
; %bb.32:                               ;   in Loop: Header=BB544_5 Depth=1
	v_mul_lo_u32 v12, v12, s18
	v_mov_b32_e32 v31, 0
	s_mov_b32 s49, exec_lo
	s_delay_alu instid0(VALU_DEP_2) | instskip(NEXT) | instid1(VALU_DEP_1)
	v_ashrrev_i32_e32 v13, 31, v12
	v_lshlrev_b64_e32 v[12:13], 1, v[12:13]
	s_delay_alu instid0(VALU_DEP_1) | instskip(SKIP_1) | instid1(VALU_DEP_2)
	v_add_co_u32 v12, s7, s36, v12
	s_wait_alu 0xf1ff
	v_add_co_ci_u32_e64 v13, null, s37, v13, s7
	global_load_u16 v12, v[12:13], off
	v_or_b32_e32 v13, 3, v30
	s_delay_alu instid0(VALU_DEP_1)
	v_cmpx_gt_i32_e64 s21, v13
	s_cbranch_execz .LBB544_34
; %bb.33:                               ;   in Loop: Header=BB544_5 Depth=1
	v_mul_lo_u32 v13, v13, s18
	s_delay_alu instid0(VALU_DEP_1) | instskip(NEXT) | instid1(VALU_DEP_1)
	v_ashrrev_i32_e32 v14, 31, v13
	v_lshlrev_b64_e32 v[13:14], 1, v[13:14]
	s_delay_alu instid0(VALU_DEP_1) | instskip(SKIP_1) | instid1(VALU_DEP_2)
	v_add_co_u32 v13, s7, s36, v13
	s_wait_alu 0xf1ff
	v_add_co_ci_u32_e64 v14, null, s37, v14, s7
	global_load_u16 v13, v[13:14], off
	s_wait_loadcnt 0x0
	v_lshlrev_b32_e32 v31, 16, v13
.LBB544_34:                             ;   in Loop: Header=BB544_5 Depth=1
	s_or_b32 exec_lo, exec_lo, s49
	s_wait_loadcnt 0x0
	v_lshlrev_b32_e32 v32, 16, v12
.LBB544_35:                             ;   in Loop: Header=BB544_5 Depth=1
	s_or_b32 exec_lo, exec_lo, s48
	s_wait_loadcnt 0x0
	v_lshlrev_b32_e32 v33, 16, v11
.LBB544_36:                             ;   in Loop: Header=BB544_5 Depth=1
	s_wait_alu 0xfffe
	s_or_b32 exec_lo, exec_lo, s47
	s_wait_loadcnt 0x0
	v_lshlrev_b32_e32 v34, 16, v10
.LBB544_37:                             ;   in Loop: Header=BB544_5 Depth=1
	s_wait_alu 0xfffe
	s_or_b32 exec_lo, exec_lo, s46
	s_and_saveexec_b32 s7, s0
	s_cbranch_execz .LBB544_45
; %bb.38:                               ;   in Loop: Header=BB544_5 Depth=1
	v_mul_lo_u32 v11, v30, s23
	v_or_b32_e32 v10, 2, v30
	v_mul_lo_u32 v13, v9, s23
	v_or_b32_e32 v12, 3, v30
	s_delay_alu instid0(VALU_DEP_3) | instskip(NEXT) | instid1(VALU_DEP_2)
	v_mul_lo_u32 v14, v10, s23
	v_mul_lo_u32 v15, v12, s23
	v_cndmask_b32_e32 v11, 0, v11, vcc_lo
	v_cmp_gt_i32_e32 vcc_lo, s21, v9
	s_wait_alu 0xfffd
	v_cndmask_b32_e32 v13, 0, v13, vcc_lo
	v_cmp_gt_i32_e32 vcc_lo, s21, v10
	s_wait_alu 0xfffd
	v_cndmask_b32_e32 v10, 0, v14, vcc_lo
	v_cmp_gt_i32_e32 vcc_lo, s21, v12
	s_wait_alu 0xfffd
	v_dual_cndmask_b32 v12, 0, v15 :: v_dual_add_nc_u32 v9, v11, v18
	v_add_nc_u32_e32 v11, v13, v18
	v_add_nc_u32_e32 v13, v10, v18
	s_delay_alu instid0(VALU_DEP_3) | instskip(NEXT) | instid1(VALU_DEP_4)
	v_ashrrev_i32_e32 v10, 31, v9
	v_add_nc_u32_e32 v15, v12, v18
	s_delay_alu instid0(VALU_DEP_4) | instskip(NEXT) | instid1(VALU_DEP_4)
	v_ashrrev_i32_e32 v12, 31, v11
	v_ashrrev_i32_e32 v14, 31, v13
	s_delay_alu instid0(VALU_DEP_4) | instskip(NEXT) | instid1(VALU_DEP_4)
	v_lshlrev_b64_e32 v[9:10], 1, v[9:10]
	v_ashrrev_i32_e32 v16, 31, v15
	s_delay_alu instid0(VALU_DEP_4) | instskip(NEXT) | instid1(VALU_DEP_4)
	v_lshlrev_b64_e32 v[11:12], 1, v[11:12]
	v_lshlrev_b64_e32 v[35:36], 1, v[13:14]
	s_delay_alu instid0(VALU_DEP_4) | instskip(NEXT) | instid1(VALU_DEP_4)
	v_add_co_u32 v13, vcc_lo, s34, v9
	v_lshlrev_b64_e32 v[37:38], 1, v[15:16]
	s_wait_alu 0xfffd
	v_add_co_ci_u32_e64 v14, null, s35, v10, vcc_lo
	v_add_co_u32 v15, vcc_lo, s34, v11
	s_wait_alu 0xfffd
	v_add_co_ci_u32_e64 v16, null, s35, v12, vcc_lo
	v_add_co_u32 v9, vcc_lo, s34, v35
	;; [unrolled: 3-line block ×3, first 2 shown]
	s_wait_alu 0xfffd
	v_add_co_ci_u32_e64 v12, null, s35, v38, vcc_lo
	s_clause 0x3
	global_load_u16 v37, v[13:14], off
	global_load_u16 v36, v[15:16], off
	;; [unrolled: 1-line block ×4, first 2 shown]
	s_and_saveexec_b32 s34, s1
	s_cbranch_execz .LBB544_44
; %bb.39:                               ;   in Loop: Header=BB544_5 Depth=1
	s_clause 0x3
	global_load_u16 v41, v[13:14], off offset:128
	global_load_u16 v40, v[15:16], off offset:128
	global_load_u16 v39, v[9:10], off offset:128
	global_load_u16 v38, v[11:12], off offset:128
	s_and_saveexec_b32 s35, s2
	s_cbranch_execz .LBB544_43
; %bb.40:                               ;   in Loop: Header=BB544_5 Depth=1
	s_clause 0x3
	global_load_u16 v45, v[13:14], off offset:256
	global_load_u16 v44, v[15:16], off offset:256
	global_load_u16 v43, v[9:10], off offset:256
	global_load_u16 v42, v[11:12], off offset:256
	;; [unrolled: 8-line block ×3, first 2 shown]
	s_wait_loadcnt 0x3
	v_lshlrev_b32_e32 v11, 16, v13
	s_wait_loadcnt 0x2
	v_lshlrev_b32_e32 v12, 16, v14
	;; [unrolled: 2-line block ×3, first 2 shown]
	s_wait_loadcnt 0x0
	v_dual_fmac_f32 v29, v34, v11 :: v_dual_lshlrev_b32 v10, 16, v10
	s_delay_alu instid0(VALU_DEP_1) | instskip(NEXT) | instid1(VALU_DEP_1)
	v_fmac_f32_e32 v29, v33, v12
	v_fmac_f32_e32 v29, v32, v9
	s_delay_alu instid0(VALU_DEP_1)
	v_fmac_f32_e32 v29, v31, v10
.LBB544_42:                             ;   in Loop: Header=BB544_5 Depth=1
	s_wait_alu 0xfffe
	s_or_b32 exec_lo, exec_lo, s36
	s_wait_loadcnt 0x2
	v_lshlrev_b32_e32 v10, 16, v44
	v_lshlrev_b32_e32 v9, 16, v45
	s_wait_loadcnt 0x1
	s_delay_alu instid0(VALU_DEP_1) | instskip(NEXT) | instid1(VALU_DEP_1)
	v_dual_fmac_f32 v28, v34, v9 :: v_dual_lshlrev_b32 v9, 16, v43
	v_fmac_f32_e32 v28, v33, v10
	s_wait_loadcnt 0x0
	s_delay_alu instid0(VALU_DEP_1) | instskip(NEXT) | instid1(VALU_DEP_1)
	v_dual_fmac_f32 v28, v32, v9 :: v_dual_lshlrev_b32 v9, 16, v42
	v_fmac_f32_e32 v28, v31, v9
.LBB544_43:                             ;   in Loop: Header=BB544_5 Depth=1
	s_wait_alu 0xfffe
	s_or_b32 exec_lo, exec_lo, s35
	s_wait_loadcnt 0x3
	v_lshlrev_b32_e32 v9, 16, v41
	s_wait_loadcnt 0x2
	s_delay_alu instid0(VALU_DEP_1) | instskip(SKIP_2) | instid1(VALU_DEP_2)
	v_dual_fmac_f32 v27, v34, v9 :: v_dual_lshlrev_b32 v10, 16, v40
	s_wait_loadcnt 0x1
	v_lshlrev_b32_e32 v9, 16, v39
	v_fmac_f32_e32 v27, v33, v10
	s_delay_alu instid0(VALU_DEP_1) | instskip(SKIP_2) | instid1(VALU_DEP_1)
	v_fmac_f32_e32 v27, v32, v9
	s_wait_loadcnt 0x0
	v_lshlrev_b32_e32 v9, 16, v38
	v_fmac_f32_e32 v27, v31, v9
.LBB544_44:                             ;   in Loop: Header=BB544_5 Depth=1
	s_wait_alu 0xfffe
	s_or_b32 exec_lo, exec_lo, s34
	s_wait_loadcnt 0x2
	v_lshlrev_b32_e32 v10, 16, v36
	v_lshlrev_b32_e32 v9, 16, v37
	s_wait_loadcnt 0x1
	s_delay_alu instid0(VALU_DEP_1) | instskip(NEXT) | instid1(VALU_DEP_1)
	v_dual_fmac_f32 v26, v34, v9 :: v_dual_lshlrev_b32 v9, 16, v35
	v_fmac_f32_e32 v26, v33, v10
	s_wait_loadcnt 0x0
	s_delay_alu instid0(VALU_DEP_1) | instskip(NEXT) | instid1(VALU_DEP_1)
	v_dual_fmac_f32 v26, v32, v9 :: v_dual_lshlrev_b32 v9, 16, v30
	v_fmac_f32_e32 v26, v31, v9
.LBB544_45:                             ;   in Loop: Header=BB544_5 Depth=1
	s_wait_alu 0xfffe
	s_or_b32 exec_lo, exec_lo, s7
.LBB544_46:                             ;   in Loop: Header=BB544_5 Depth=1
	ds_store_2addr_stride64_b32 v19, v26, v27 offset1:1
	ds_store_2addr_stride64_b32 v19, v28, v29 offset0:2 offset1:3
	s_wait_dscnt 0x0
	s_barrier_signal -1
	s_barrier_wait -1
	global_inv scope:SCOPE_SE
                                        ; implicit-def: $vgpr11
	s_and_saveexec_b32 s7, s5
	s_cbranch_execz .LBB544_66
; %bb.47:                               ;   in Loop: Header=BB544_5 Depth=1
	ds_load_2addr_stride64_b32 v[9:10], v20 offset1:4
	ds_load_2addr_stride64_b32 v[11:12], v20 offset0:8 offset1:12
	s_mov_b32 s35, s45
	s_wait_dscnt 0x1
	v_add_f32_e32 v9, v9, v10
	s_wait_dscnt 0x0
	s_delay_alu instid0(VALU_DEP_1) | instskip(NEXT) | instid1(VALU_DEP_1)
	v_add_f32_e32 v9, v11, v9
                                        ; implicit-def: $vgpr11
	v_add_f32_e32 v9, v12, v9
	ds_store_b32 v20, v9
	s_and_saveexec_b32 s34, s6
	s_cbranch_execz .LBB544_65
; %bb.48:                               ;   in Loop: Header=BB544_5 Depth=1
	v_mul_f32_e32 v9, s22, v9
	s_and_b32 vcc_lo, exec_lo, s40
	s_mov_b32 s35, -1
                                        ; implicit-def: $vgpr10
	s_wait_alu 0xfffe
	s_cbranch_vccz .LBB544_54
; %bb.49:                               ;   in Loop: Header=BB544_5 Depth=1
	v_and_b32_e32 v10, 0x7f800000, v9
	s_delay_alu instid0(VALU_DEP_1)
	v_cmp_ne_u32_e32 vcc_lo, 0x7f800000, v10
                                        ; implicit-def: $vgpr10
	s_and_saveexec_b32 s35, vcc_lo
	s_wait_alu 0xfffe
	s_xor_b32 s35, exec_lo, s35
; %bb.50:                               ;   in Loop: Header=BB544_5 Depth=1
	v_bfe_u32 v10, v9, 16, 1
	s_delay_alu instid0(VALU_DEP_1)
	v_add3_u32 v10, v9, v10, 0x7fff
; %bb.51:                               ;   in Loop: Header=BB544_5 Depth=1
	s_wait_alu 0xfffe
	s_and_not1_saveexec_b32 s35, s35
; %bb.52:                               ;   in Loop: Header=BB544_5 Depth=1
	v_and_b32_e32 v10, 0xffff, v9
	v_or_b32_e32 v11, 0x10000, v9
	s_delay_alu instid0(VALU_DEP_2) | instskip(SKIP_1) | instid1(VALU_DEP_2)
	v_cmp_eq_u32_e32 vcc_lo, 0, v10
	s_wait_alu 0xfffd
	v_cndmask_b32_e32 v10, v11, v9, vcc_lo
; %bb.53:                               ;   in Loop: Header=BB544_5 Depth=1
	s_wait_alu 0xfffe
	s_or_b32 exec_lo, exec_lo, s35
	s_mov_b32 s35, 0
.LBB544_54:                             ;   in Loop: Header=BB544_5 Depth=1
	s_wait_alu 0xfffe
	s_and_not1_b32 vcc_lo, exec_lo, s35
	s_wait_alu 0xfffe
	s_cbranch_vccnz .LBB544_64
; %bb.55:                               ;   in Loop: Header=BB544_5 Depth=1
	v_lshlrev_b64_e32 v[10:11], 1, v[2:3]
	s_delay_alu instid0(VALU_DEP_1) | instskip(SKIP_1) | instid1(VALU_DEP_2)
	v_add_co_u32 v10, vcc_lo, s16, v10
	s_wait_alu 0xfffd
	v_add_co_ci_u32_e64 v11, null, s17, v11, vcc_lo
	global_load_u16 v10, v[10:11], off
	s_wait_loadcnt 0x0
	v_lshlrev_b32_e32 v10, 16, v10
	s_delay_alu instid0(VALU_DEP_1) | instskip(NEXT) | instid1(VALU_DEP_1)
	v_mul_f32_e32 v10, s26, v10
	v_and_b32_e32 v11, 0x7f800000, v10
	s_delay_alu instid0(VALU_DEP_1)
	v_cmp_ne_u32_e32 vcc_lo, 0x7f800000, v11
                                        ; implicit-def: $vgpr11
	s_and_saveexec_b32 s35, vcc_lo
	s_wait_alu 0xfffe
	s_xor_b32 s35, exec_lo, s35
; %bb.56:                               ;   in Loop: Header=BB544_5 Depth=1
	v_bfe_u32 v11, v10, 16, 1
	s_delay_alu instid0(VALU_DEP_1)
	v_add3_u32 v11, v10, v11, 0x7fff
                                        ; implicit-def: $vgpr10
; %bb.57:                               ;   in Loop: Header=BB544_5 Depth=1
	s_wait_alu 0xfffe
	s_and_not1_saveexec_b32 s35, s35
; %bb.58:                               ;   in Loop: Header=BB544_5 Depth=1
	v_and_b32_e32 v11, 0xffff, v10
	v_or_b32_e32 v12, 0x10000, v10
	s_delay_alu instid0(VALU_DEP_2) | instskip(SKIP_1) | instid1(VALU_DEP_2)
	v_cmp_eq_u32_e32 vcc_lo, 0, v11
	s_wait_alu 0xfffd
	v_cndmask_b32_e32 v11, v12, v10, vcc_lo
; %bb.59:                               ;   in Loop: Header=BB544_5 Depth=1
	s_wait_alu 0xfffe
	s_or_b32 exec_lo, exec_lo, s35
	s_delay_alu instid0(VALU_DEP_1) | instskip(NEXT) | instid1(VALU_DEP_1)
	v_and_b32_e32 v10, 0xffff0000, v11
	v_add_f32_e32 v9, v9, v10
	s_delay_alu instid0(VALU_DEP_1) | instskip(NEXT) | instid1(VALU_DEP_1)
	v_and_b32_e32 v10, 0x7f800000, v9
	v_cmp_ne_u32_e32 vcc_lo, 0x7f800000, v10
                                        ; implicit-def: $vgpr10
	s_and_saveexec_b32 s35, vcc_lo
	s_wait_alu 0xfffe
	s_xor_b32 s35, exec_lo, s35
; %bb.60:                               ;   in Loop: Header=BB544_5 Depth=1
	v_bfe_u32 v10, v9, 16, 1
	s_delay_alu instid0(VALU_DEP_1)
	v_add3_u32 v10, v9, v10, 0x7fff
                                        ; implicit-def: $vgpr9
; %bb.61:                               ;   in Loop: Header=BB544_5 Depth=1
	s_wait_alu 0xfffe
	s_and_not1_saveexec_b32 s35, s35
; %bb.62:                               ;   in Loop: Header=BB544_5 Depth=1
	v_and_b32_e32 v10, 0xffff, v9
	v_or_b32_e32 v11, 0x10000, v9
	s_delay_alu instid0(VALU_DEP_2) | instskip(SKIP_1) | instid1(VALU_DEP_2)
	v_cmp_eq_u32_e32 vcc_lo, 0, v10
	s_wait_alu 0xfffd
	v_cndmask_b32_e32 v10, v11, v9, vcc_lo
; %bb.63:                               ;   in Loop: Header=BB544_5 Depth=1
	s_wait_alu 0xfffe
	s_or_b32 exec_lo, exec_lo, s35
.LBB544_64:                             ;   in Loop: Header=BB544_5 Depth=1
	s_delay_alu instid0(VALU_DEP_1)
	v_lshrrev_b32_e32 v11, 16, v10
	s_or_b32 s35, s45, exec_lo
.LBB544_65:                             ;   in Loop: Header=BB544_5 Depth=1
	s_wait_alu 0xfffe
	s_or_b32 exec_lo, exec_lo, s34
	s_delay_alu instid0(SALU_CYCLE_1)
	s_and_not1_b32 s34, s45, exec_lo
	s_and_b32 s35, s35, exec_lo
	s_wait_alu 0xfffe
	s_or_b32 s45, s34, s35
.LBB544_66:                             ;   in Loop: Header=BB544_5 Depth=1
	s_wait_alu 0xfffe
	s_or_b32 exec_lo, exec_lo, s7
	v_dual_mov_b32 v10, v3 :: v_dual_mov_b32 v9, v2
	s_and_saveexec_b32 s7, s45
	s_cbranch_execz .LBB544_3
	s_branch .LBB544_69
.LBB544_67:                             ;   in Loop: Header=BB544_5 Depth=1
	v_mov_b32_e32 v11, 0
	s_mov_b32 s45, exec_lo
	s_or_b32 exec_lo, exec_lo, s34
	s_delay_alu instid0(SALU_CYCLE_1)
	s_and_b32 vcc_lo, exec_lo, s7
	s_wait_alu 0xfffe
	s_cbranch_vccnz .LBB544_16
.LBB544_68:                             ;   in Loop: Header=BB544_5 Depth=1
	v_dual_mov_b32 v10, v1 :: v_dual_mov_b32 v9, v0
	s_and_saveexec_b32 s7, s45
	s_cbranch_execz .LBB544_3
.LBB544_69:                             ;   in Loop: Header=BB544_5 Depth=1
	s_delay_alu instid0(VALU_DEP_1) | instskip(SKIP_1) | instid1(VALU_DEP_1)
	v_lshlrev_b64_e32 v[9:10], 1, v[9:10]
	s_wait_alu 0xfffe
	v_add_co_u32 v9, vcc_lo, s16, v9
	s_wait_alu 0xfffd
	s_delay_alu instid0(VALU_DEP_2)
	v_add_co_ci_u32_e64 v10, null, s17, v10, vcc_lo
	global_store_b16 v[9:10], v11, off
	s_branch .LBB544_3
.LBB544_70:
	s_endpgm
	.section	.rodata,"a",@progbits
	.p2align	6, 0x0
	.amdhsa_kernel _ZL20rocblas_gemvn_kernelILi64ELi4Ei16rocblas_bfloat16fS0_EviiT3_lPKT2_lT1_lS4_lS5_lS1_lPT4_lS5_li
		.amdhsa_group_segment_fixed_size 4096
		.amdhsa_private_segment_fixed_size 0
		.amdhsa_kernarg_size 400
		.amdhsa_user_sgpr_count 2
		.amdhsa_user_sgpr_dispatch_ptr 0
		.amdhsa_user_sgpr_queue_ptr 0
		.amdhsa_user_sgpr_kernarg_segment_ptr 1
		.amdhsa_user_sgpr_dispatch_id 0
		.amdhsa_user_sgpr_private_segment_size 0
		.amdhsa_wavefront_size32 1
		.amdhsa_uses_dynamic_stack 0
		.amdhsa_enable_private_segment 0
		.amdhsa_system_sgpr_workgroup_id_x 1
		.amdhsa_system_sgpr_workgroup_id_y 0
		.amdhsa_system_sgpr_workgroup_id_z 1
		.amdhsa_system_sgpr_workgroup_info 0
		.amdhsa_system_vgpr_workitem_id 1
		.amdhsa_next_free_vgpr 51
		.amdhsa_next_free_sgpr 52
		.amdhsa_reserve_vcc 1
		.amdhsa_float_round_mode_32 0
		.amdhsa_float_round_mode_16_64 0
		.amdhsa_float_denorm_mode_32 3
		.amdhsa_float_denorm_mode_16_64 3
		.amdhsa_fp16_overflow 0
		.amdhsa_workgroup_processor_mode 1
		.amdhsa_memory_ordered 1
		.amdhsa_forward_progress 1
		.amdhsa_inst_pref_size 30
		.amdhsa_round_robin_scheduling 0
		.amdhsa_exception_fp_ieee_invalid_op 0
		.amdhsa_exception_fp_denorm_src 0
		.amdhsa_exception_fp_ieee_div_zero 0
		.amdhsa_exception_fp_ieee_overflow 0
		.amdhsa_exception_fp_ieee_underflow 0
		.amdhsa_exception_fp_ieee_inexact 0
		.amdhsa_exception_int_div_zero 0
	.end_amdhsa_kernel
	.section	.text._ZL20rocblas_gemvn_kernelILi64ELi4Ei16rocblas_bfloat16fS0_EviiT3_lPKT2_lT1_lS4_lS5_lS1_lPT4_lS5_li,"axG",@progbits,_ZL20rocblas_gemvn_kernelILi64ELi4Ei16rocblas_bfloat16fS0_EviiT3_lPKT2_lT1_lS4_lS5_lS1_lPT4_lS5_li,comdat
.Lfunc_end544:
	.size	_ZL20rocblas_gemvn_kernelILi64ELi4Ei16rocblas_bfloat16fS0_EviiT3_lPKT2_lT1_lS4_lS5_lS1_lPT4_lS5_li, .Lfunc_end544-_ZL20rocblas_gemvn_kernelILi64ELi4Ei16rocblas_bfloat16fS0_EviiT3_lPKT2_lT1_lS4_lS5_lS1_lPT4_lS5_li
                                        ; -- End function
	.set _ZL20rocblas_gemvn_kernelILi64ELi4Ei16rocblas_bfloat16fS0_EviiT3_lPKT2_lT1_lS4_lS5_lS1_lPT4_lS5_li.num_vgpr, 51
	.set _ZL20rocblas_gemvn_kernelILi64ELi4Ei16rocblas_bfloat16fS0_EviiT3_lPKT2_lT1_lS4_lS5_lS1_lPT4_lS5_li.num_agpr, 0
	.set _ZL20rocblas_gemvn_kernelILi64ELi4Ei16rocblas_bfloat16fS0_EviiT3_lPKT2_lT1_lS4_lS5_lS1_lPT4_lS5_li.numbered_sgpr, 52
	.set _ZL20rocblas_gemvn_kernelILi64ELi4Ei16rocblas_bfloat16fS0_EviiT3_lPKT2_lT1_lS4_lS5_lS1_lPT4_lS5_li.num_named_barrier, 0
	.set _ZL20rocblas_gemvn_kernelILi64ELi4Ei16rocblas_bfloat16fS0_EviiT3_lPKT2_lT1_lS4_lS5_lS1_lPT4_lS5_li.private_seg_size, 0
	.set _ZL20rocblas_gemvn_kernelILi64ELi4Ei16rocblas_bfloat16fS0_EviiT3_lPKT2_lT1_lS4_lS5_lS1_lPT4_lS5_li.uses_vcc, 1
	.set _ZL20rocblas_gemvn_kernelILi64ELi4Ei16rocblas_bfloat16fS0_EviiT3_lPKT2_lT1_lS4_lS5_lS1_lPT4_lS5_li.uses_flat_scratch, 0
	.set _ZL20rocblas_gemvn_kernelILi64ELi4Ei16rocblas_bfloat16fS0_EviiT3_lPKT2_lT1_lS4_lS5_lS1_lPT4_lS5_li.has_dyn_sized_stack, 0
	.set _ZL20rocblas_gemvn_kernelILi64ELi4Ei16rocblas_bfloat16fS0_EviiT3_lPKT2_lT1_lS4_lS5_lS1_lPT4_lS5_li.has_recursion, 0
	.set _ZL20rocblas_gemvn_kernelILi64ELi4Ei16rocblas_bfloat16fS0_EviiT3_lPKT2_lT1_lS4_lS5_lS1_lPT4_lS5_li.has_indirect_call, 0
	.section	.AMDGPU.csdata,"",@progbits
; Kernel info:
; codeLenInByte = 3732
; TotalNumSgprs: 54
; NumVgprs: 51
; ScratchSize: 0
; MemoryBound: 0
; FloatMode: 240
; IeeeMode: 1
; LDSByteSize: 4096 bytes/workgroup (compile time only)
; SGPRBlocks: 0
; VGPRBlocks: 6
; NumSGPRsForWavesPerEU: 54
; NumVGPRsForWavesPerEU: 51
; Occupancy: 16
; WaveLimiterHint : 1
; COMPUTE_PGM_RSRC2:SCRATCH_EN: 0
; COMPUTE_PGM_RSRC2:USER_SGPR: 2
; COMPUTE_PGM_RSRC2:TRAP_HANDLER: 0
; COMPUTE_PGM_RSRC2:TGID_X_EN: 1
; COMPUTE_PGM_RSRC2:TGID_Y_EN: 0
; COMPUTE_PGM_RSRC2:TGID_Z_EN: 1
; COMPUTE_PGM_RSRC2:TIDIG_COMP_CNT: 1
	.section	.text._ZL20rocblas_gemvn_kernelILi64ELi4El16rocblas_bfloat16fS0_EviiT3_lPKT2_lT1_lS4_lS5_lS1_lPT4_lS5_li,"axG",@progbits,_ZL20rocblas_gemvn_kernelILi64ELi4El16rocblas_bfloat16fS0_EviiT3_lPKT2_lT1_lS4_lS5_lS1_lPT4_lS5_li,comdat
	.globl	_ZL20rocblas_gemvn_kernelILi64ELi4El16rocblas_bfloat16fS0_EviiT3_lPKT2_lT1_lS4_lS5_lS1_lPT4_lS5_li ; -- Begin function _ZL20rocblas_gemvn_kernelILi64ELi4El16rocblas_bfloat16fS0_EviiT3_lPKT2_lT1_lS4_lS5_lS1_lPT4_lS5_li
	.p2align	8
	.type	_ZL20rocblas_gemvn_kernelILi64ELi4El16rocblas_bfloat16fS0_EviiT3_lPKT2_lT1_lS4_lS5_lS1_lPT4_lS5_li,@function
_ZL20rocblas_gemvn_kernelILi64ELi4El16rocblas_bfloat16fS0_EviiT3_lPKT2_lT1_lS4_lS5_lS1_lPT4_lS5_li: ; @_ZL20rocblas_gemvn_kernelILi64ELi4El16rocblas_bfloat16fS0_EviiT3_lPKT2_lT1_lS4_lS5_lS1_lPT4_lS5_li
; %bb.0:
	s_load_b64 s[2:3], s[0:1], 0x9c
	s_wait_kmcnt 0x0
	s_lshr_b32 s4, s2, 16
	s_and_b32 s2, s2, 0xffff
	s_and_b32 s3, s3, 0xffff
	s_mul_i32 s2, s4, s2
	s_delay_alu instid0(SALU_CYCLE_1) | instskip(NEXT) | instid1(SALU_CYCLE_1)
	s_mul_i32 s2, s2, s3
	s_cmp_lg_u32 s2, 0x100
	s_cbranch_scc1 .LBB545_70
; %bb.1:
	s_load_b32 s33, s[0:1], 0x88
	s_lshr_b32 s34, ttmp7, 16
	s_wait_kmcnt 0x0
	s_cmp_ge_u32 s34, s33
	s_cbranch_scc1 .LBB545_70
; %bb.2:
	s_clause 0x3
	s_load_b512 s[8:23], s[0:1], 0x18
	s_load_b256 s[24:31], s[0:1], 0x68
	s_load_b96 s[36:38], s[0:1], 0x0
	s_load_b32 s39, s[0:1], 0x58
	v_and_b32_e32 v1, 0x3ff, v0
	v_bfe_u32 v15, v0, 10, 10
	v_mov_b32_e32 v3, 0
	s_mov_b32 s35, 0
	s_delay_alu instid0(VALU_DEP_2) | instskip(NEXT) | instid1(VALU_DEP_1)
	v_lshlrev_b32_e32 v16, 2, v15
	v_or_b32_e32 v19, 3, v16
	v_or_b32_e32 v23, 2, v16
	s_wait_kmcnt 0x0
	s_lshl_b64 s[2:3], s[10:11], 1
	s_lshl_b64 s[10:11], s[18:19], 1
	;; [unrolled: 1-line block ×3, first 2 shown]
	s_cmp_eq_f32 s38, 0
	s_add_nc_u64 s[18:19], s[8:9], s[2:3]
	v_mad_co_u64_u32 v[4:5], null, s20, v15, 0
	s_cselect_b32 s46, -1, 0
	s_cmp_neq_f32 s38, 0
	s_add_nc_u64 s[24:25], s[24:25], s[4:5]
	s_mov_b32 s6, s36
	v_mad_co_u64_u32 v[27:28], null, s20, v23, 0
	s_cselect_b32 s1, -1, 0
	s_cmp_neq_f32 s39, 1.0
	v_mad_co_u64_u32 v[29:30], null, s20, v16, s[20:21]
	v_mad_co_u64_u32 v[31:32], null, s12, v16, s[12:13]
	s_cselect_b32 s2, -1, 0
	s_lshl_b32 s8, ttmp9, 8
	s_ashr_i32 s7, s36, 31
	s_or_b32 s47, s1, s2
	s_cmp_neq_f32 s39, 0
	v_or_b32_e32 v6, s8, v1
	s_add_nc_u64 s[26:27], s[16:17], s[10:11]
	s_cselect_b32 s48, -1, 0
	s_cmp_eq_f32 s39, 0
	s_delay_alu instid0(VALU_DEP_1)
	v_add_nc_u32_e32 v8, 0x80, v6
	v_add_nc_u32_e32 v9, 0xc0, v6
	v_ashrrev_i32_e32 v7, 31, v6
	s_cselect_b32 s49, -1, 0
	s_ashr_i32 s2, s37, 31
	v_cmp_gt_i32_e64 s1, s36, v6
	s_lshr_b32 s3, s2, 28
	v_cmp_gt_i32_e64 s4, s36, v9
	s_add_co_i32 s3, s37, s3
	s_delay_alu instid0(SALU_CYCLE_1) | instskip(SKIP_4) | instid1(SALU_CYCLE_1)
	s_and_b32 s50, s3, -16
	v_cmp_gt_i32_e64 s3, s36, v8
	v_mad_co_u64_u32 v[8:9], null, s12, v19, 0
	v_lshlrev_b32_e32 v10, 2, v1
	s_sub_co_i32 s5, s37, s50
	s_cmp_gt_i32 s5, 0
	v_cmp_gt_i32_e64 s5, s50, v16
	s_delay_alu instid0(VALU_DEP_2)
	v_lshl_add_u32 v17, v15, 10, v10
	v_lshl_add_u32 v18, v15, 8, v10
	v_mad_co_u64_u32 v[10:11], null, s21, v15, v[5:6]
	v_mad_co_u64_u32 v[11:12], null, s20, v19, 0
	v_mov_b32_e32 v5, v9
	s_cselect_b32 s51, -1, 0
	s_lshl_b64 s[40:41], s[14:15], 1
	s_lshl_b64 s[42:43], s[12:13], 5
	s_delay_alu instid0(VALU_DEP_1) | instskip(NEXT) | instid1(VALU_DEP_3)
	v_mad_co_u64_u32 v[13:14], null, s13, v19, v[5:6]
	v_dual_mov_b32 v5, v10 :: v_dual_mov_b32 v10, v12
	v_lshl_add_u32 v0, v15, 6, v1
	s_delay_alu instid0(VALU_DEP_2) | instskip(NEXT) | instid1(VALU_DEP_2)
	v_lshlrev_b64_e32 v[4:5], 3, v[4:5]
	v_dual_mov_b32 v9, v13 :: v_dual_add_nc_u32 v2, s8, v0
	v_cmp_gt_u32_e64 s0, 0x100, v0
	v_or_b32_e32 v20, s8, v0
	v_mad_co_u64_u32 v[12:13], null, s21, v19, v[10:11]
	s_delay_alu instid0(VALU_DEP_4)
	v_mad_co_u64_u32 v[0:1], null, s28, v2, 0
	v_cmp_gt_i64_e32 vcc_lo, s[6:7], v[2:3]
	v_mad_co_u64_u32 v[13:14], null, s12, v15, 0
	v_add_nc_u32_e32 v3, 64, v6
	s_ashr_i32 s6, s8, 31
	v_mul_lo_u32 v21, s29, v20
	v_mad_co_u64_u32 v[1:2], null, s29, v2, v[1:2]
	s_delay_alu instid0(VALU_DEP_3)
	v_cmp_gt_i32_e64 s2, s36, v3
	v_mad_co_u64_u32 v[2:3], null, s28, v20, 0
	s_wait_alu 0xfffe
	s_mul_i32 s7, s28, s6
	v_cmp_gt_i32_e64 s6, s36, v20
	s_and_b32 s36, s0, vcc_lo
	v_add_co_u32 v19, vcc_lo, s16, v4
	s_delay_alu instid0(VALU_DEP_1)
	v_add_co_ci_u32_e64 v20, null, s17, v5, vcc_lo
	v_lshlrev_b64_e32 v[4:5], 1, v[6:7]
	v_lshlrev_b64_e32 v[6:7], 1, v[8:9]
	v_mad_co_u64_u32 v[9:10], null, s12, v23, 0
	v_mov_b32_e32 v8, v14
	s_wait_alu 0xfffe
	v_add3_u32 v3, v3, s7, v21
	s_lshl_b64 s[28:29], s[22:23], 1
	v_add_co_u32 v21, vcc_lo, s18, v6
	s_wait_alu 0xfffd
	v_add_co_ci_u32_e64 v22, null, s19, v7, vcc_lo
	v_mad_co_u64_u32 v[14:15], null, s13, v15, v[8:9]
	v_lshlrev_b64_e32 v[7:8], 1, v[11:12]
	v_mov_b32_e32 v6, v10
	v_mov_b32_e32 v10, v28
	s_delay_alu instid0(VALU_DEP_2) | instskip(SKIP_1) | instid1(VALU_DEP_2)
	v_mad_co_u64_u32 v[11:12], null, s13, v23, v[6:7]
	v_mov_b32_e32 v6, v30
	v_mad_co_u64_u32 v[25:26], null, s21, v23, v[10:11]
	v_add_co_u32 v23, vcc_lo, s16, v7
	s_wait_alu 0xfffd
	v_add_co_ci_u32_e64 v24, null, s17, v8, vcc_lo
	v_lshlrev_b64_e32 v[7:8], 3, v[13:14]
	v_mov_b32_e32 v10, v11
	v_mov_b32_e32 v28, v25
	s_delay_alu instid0(VALU_DEP_3)
	v_add_co_u32 v25, vcc_lo, s18, v7
	v_mad_co_u64_u32 v[11:12], null, s21, v16, v[6:7]
	s_wait_alu 0xfffd
	v_add_co_ci_u32_e64 v26, null, s19, v8, vcc_lo
	v_lshlrev_b64_e32 v[7:8], 1, v[9:10]
	v_mov_b32_e32 v6, v32
	v_lshlrev_b64_e32 v[12:13], 1, v[27:28]
	v_mov_b32_e32 v30, v11
	s_delay_alu instid0(VALU_DEP_3) | instskip(SKIP_1) | instid1(VALU_DEP_3)
	v_mad_co_u64_u32 v[9:10], null, s13, v16, v[6:7]
	v_add_co_u32 v27, vcc_lo, s18, v7
	v_lshlrev_b64_e32 v[6:7], 1, v[29:30]
	s_wait_alu 0xfffd
	v_add_co_ci_u32_e64 v28, null, s19, v8, vcc_lo
	v_add_co_u32 v29, vcc_lo, s16, v12
	v_mov_b32_e32 v32, v9
	s_wait_alu 0xfffd
	v_add_co_ci_u32_e64 v30, null, s17, v13, vcc_lo
	s_delay_alu instid0(VALU_DEP_2) | instskip(SKIP_4) | instid1(VALU_DEP_4)
	v_lshlrev_b64_e32 v[8:9], 1, v[31:32]
	v_add_co_u32 v31, vcc_lo, s16, v6
	s_wait_alu 0xfffd
	v_add_co_ci_u32_e64 v32, null, s17, v7, vcc_lo
	v_lshlrev_b64_e32 v[6:7], 1, v[0:1]
	v_add_co_u32 v33, vcc_lo, s18, v8
	s_wait_alu 0xfffd
	v_add_co_ci_u32_e64 v34, null, s19, v9, vcc_lo
	s_lshl_b64 s[16:17], s[20:21], 5
	s_branch .LBB545_5
.LBB545_3:                              ;   in Loop: Header=BB545_5 Depth=1
	s_wait_alu 0xfffe
	s_or_b32 exec_lo, exec_lo, s7
.LBB545_4:                              ;   in Loop: Header=BB545_5 Depth=1
	s_add_co_i32 s34, s34, 0x10000
	s_delay_alu instid0(SALU_CYCLE_1)
	s_cmp_lt_u32 s34, s33
	s_cbranch_scc0 .LBB545_70
.LBB545_5:                              ; =>This Loop Header: Depth=1
                                        ;     Child Loop BB545_22 Depth 2
	s_and_not1_b32 vcc_lo, exec_lo, s47
	s_wait_alu 0xfffe
	s_cbranch_vccnz .LBB545_4
; %bb.6:                                ;   in Loop: Header=BB545_5 Depth=1
	s_mul_u64 s[8:9], s[30:31], s[34:35]
	s_and_not1_b32 vcc_lo, exec_lo, s46
	s_wait_alu 0xfffe
	s_lshl_b64 s[8:9], s[8:9], 1
	s_wait_alu 0xfffe
	s_add_nc_u64 s[44:45], s[24:25], s[8:9]
	s_cbranch_vccnz .LBB545_14
; %bb.7:                                ;   in Loop: Header=BB545_5 Depth=1
	s_mov_b32 s7, 0
	s_mov_b32 s52, 0
                                        ; implicit-def: $vgpr10
	s_and_saveexec_b32 s8, s36
	s_cbranch_execz .LBB545_15
; %bb.8:                                ;   in Loop: Header=BB545_5 Depth=1
	s_and_not1_b32 vcc_lo, exec_lo, s48
	s_wait_alu 0xfffe
	s_cbranch_vccnz .LBB545_67
; %bb.9:                                ;   in Loop: Header=BB545_5 Depth=1
	v_add_co_u32 v8, vcc_lo, s44, v6
	s_wait_alu 0xfffd
	v_add_co_ci_u32_e64 v9, null, s45, v7, vcc_lo
	global_load_u16 v8, v[8:9], off
	s_wait_loadcnt 0x0
	v_lshlrev_b32_e32 v8, 16, v8
	s_delay_alu instid0(VALU_DEP_1) | instskip(NEXT) | instid1(VALU_DEP_1)
	v_mul_f32_e32 v8, s39, v8
	v_and_b32_e32 v9, 0x7f800000, v8
	s_delay_alu instid0(VALU_DEP_1)
	v_cmp_ne_u32_e32 vcc_lo, 0x7f800000, v9
                                        ; implicit-def: $vgpr9
	s_and_saveexec_b32 s9, vcc_lo
	s_wait_alu 0xfffe
	s_xor_b32 s9, exec_lo, s9
; %bb.10:                               ;   in Loop: Header=BB545_5 Depth=1
	v_bfe_u32 v9, v8, 16, 1
	s_delay_alu instid0(VALU_DEP_1)
	v_add3_u32 v9, v8, v9, 0x7fff
                                        ; implicit-def: $vgpr8
; %bb.11:                               ;   in Loop: Header=BB545_5 Depth=1
	s_wait_alu 0xfffe
	s_and_not1_saveexec_b32 s9, s9
; %bb.12:                               ;   in Loop: Header=BB545_5 Depth=1
	v_and_b32_e32 v9, 0xffff, v8
	v_or_b32_e32 v10, 0x10000, v8
	s_delay_alu instid0(VALU_DEP_2) | instskip(SKIP_1) | instid1(VALU_DEP_2)
	v_cmp_eq_u32_e32 vcc_lo, 0, v9
	s_wait_alu 0xfffd
	v_cndmask_b32_e32 v9, v10, v8, vcc_lo
; %bb.13:                               ;   in Loop: Header=BB545_5 Depth=1
	s_wait_alu 0xfffe
	s_or_b32 exec_lo, exec_lo, s9
	s_delay_alu instid0(VALU_DEP_1) | instskip(SKIP_2) | instid1(SALU_CYCLE_1)
	v_lshrrev_b32_e32 v10, 16, v9
	s_mov_b32 s52, exec_lo
	s_or_b32 exec_lo, exec_lo, s8
	s_and_b32 vcc_lo, exec_lo, s7
	s_wait_alu 0xfffe
	s_cbranch_vccnz .LBB545_16
	s_branch .LBB545_68
.LBB545_14:                             ;   in Loop: Header=BB545_5 Depth=1
	s_mov_b32 s52, 0
                                        ; implicit-def: $vgpr10
	s_cbranch_execnz .LBB545_16
	s_branch .LBB545_68
.LBB545_15:                             ;   in Loop: Header=BB545_5 Depth=1
	s_wait_alu 0xfffe
	s_or_b32 exec_lo, exec_lo, s8
	s_delay_alu instid0(SALU_CYCLE_1)
	s_and_b32 vcc_lo, exec_lo, s7
	s_wait_alu 0xfffe
	s_cbranch_vccz .LBB545_68
.LBB545_16:                             ;   in Loop: Header=BB545_5 Depth=1
	v_dual_mov_b32 v35, 0 :: v_dual_mov_b32 v36, 0
	v_dual_mov_b32 v39, v16 :: v_dual_mov_b32 v38, 0
	v_mov_b32_e32 v37, 0
	s_and_saveexec_b32 s8, s5
	s_cbranch_execz .LBB545_28
; %bb.17:                               ;   in Loop: Header=BB545_5 Depth=1
	s_mul_u64 s[54:55], s[28:29], s[34:35]
	s_mul_u64 s[56:57], s[40:41], s[34:35]
	s_wait_alu 0xfffe
	v_add_co_u32 v40, vcc_lo, v19, s54
	s_wait_alu 0xfffd
	v_add_co_ci_u32_e64 v41, null, s55, v20, vcc_lo
	v_add_co_u32 v42, vcc_lo, v21, s56
	s_wait_alu 0xfffd
	v_add_co_ci_u32_e64 v43, null, s57, v22, vcc_lo
	;; [unrolled: 3-line block ×8, first 2 shown]
	v_dual_mov_b32 v35, 0 :: v_dual_mov_b32 v36, 0
	v_dual_mov_b32 v39, v16 :: v_dual_mov_b32 v38, 0
	v_mov_b32_e32 v37, 0
	s_mov_b32 s9, 0
	s_branch .LBB545_22
.LBB545_18:                             ;   in Loop: Header=BB545_22 Depth=2
	s_wait_alu 0xfffe
	s_or_b32 exec_lo, exec_lo, s55
	s_wait_loadcnt 0x2
	v_lshlrev_b32_e32 v9, 16, v70
	v_lshlrev_b32_e32 v8, 16, v71
	s_wait_loadcnt 0x1
	s_delay_alu instid0(VALU_DEP_1) | instskip(NEXT) | instid1(VALU_DEP_1)
	v_dual_fmac_f32 v37, v63, v8 :: v_dual_lshlrev_b32 v8, 16, v69
	v_fmac_f32_e32 v37, v59, v9
	s_delay_alu instid0(VALU_DEP_1) | instskip(SKIP_2) | instid1(VALU_DEP_1)
	v_fmac_f32_e32 v37, v61, v8
	s_wait_loadcnt 0x0
	v_lshlrev_b32_e32 v8, 16, v68
	v_fmac_f32_e32 v37, v57, v8
.LBB545_19:                             ;   in Loop: Header=BB545_22 Depth=2
	s_wait_alu 0xfffe
	s_or_b32 exec_lo, exec_lo, s54
	s_wait_loadcnt 0x3
	v_lshlrev_b32_e32 v8, 16, v67
	s_wait_loadcnt 0x2
	s_delay_alu instid0(VALU_DEP_1) | instskip(SKIP_2) | instid1(VALU_DEP_2)
	v_dual_fmac_f32 v36, v63, v8 :: v_dual_lshlrev_b32 v9, 16, v66
	s_wait_loadcnt 0x1
	v_lshlrev_b32_e32 v8, 16, v65
	v_fmac_f32_e32 v36, v59, v9
	s_delay_alu instid0(VALU_DEP_1) | instskip(SKIP_2) | instid1(VALU_DEP_1)
	v_fmac_f32_e32 v36, v61, v8
	s_wait_loadcnt 0x0
	v_lshlrev_b32_e32 v8, 16, v64
	v_fmac_f32_e32 v36, v57, v8
.LBB545_20:                             ;   in Loop: Header=BB545_22 Depth=2
	s_or_b32 exec_lo, exec_lo, s53
	s_wait_loadcnt 0x2
	v_lshlrev_b32_e32 v9, 16, v60
	v_lshlrev_b32_e32 v8, 16, v62
	s_wait_loadcnt 0x1
	s_delay_alu instid0(VALU_DEP_1) | instskip(NEXT) | instid1(VALU_DEP_1)
	v_dual_fmac_f32 v35, v63, v8 :: v_dual_lshlrev_b32 v8, 16, v58
	v_fmac_f32_e32 v35, v59, v9
	s_delay_alu instid0(VALU_DEP_1) | instskip(SKIP_2) | instid1(VALU_DEP_1)
	v_fmac_f32_e32 v35, v61, v8
	s_wait_loadcnt 0x0
	v_lshlrev_b32_e32 v8, 16, v56
	v_fmac_f32_e32 v35, v57, v8
.LBB545_21:                             ;   in Loop: Header=BB545_22 Depth=2
	s_wait_alu 0xfffe
	s_or_b32 exec_lo, exec_lo, s7
	v_add_co_u32 v40, vcc_lo, v40, s16
	s_wait_alu 0xfffd
	v_add_co_ci_u32_e64 v41, null, s17, v41, vcc_lo
	v_add_co_u32 v42, vcc_lo, v42, s42
	s_wait_alu 0xfffd
	v_add_co_ci_u32_e64 v43, null, s43, v43, vcc_lo
	;; [unrolled: 3-line block ×4, first 2 shown]
	v_add_co_u32 v48, vcc_lo, v48, s42
	v_add_nc_u32_e32 v39, 16, v39
	s_wait_alu 0xfffd
	v_add_co_ci_u32_e64 v49, null, s43, v49, vcc_lo
	v_add_co_u32 v50, vcc_lo, v50, s16
	s_wait_alu 0xfffd
	v_add_co_ci_u32_e64 v51, null, s17, v51, vcc_lo
	v_add_co_u32 v52, vcc_lo, v52, s16
	s_wait_alu 0xfffd
	v_add_co_ci_u32_e64 v53, null, s17, v53, vcc_lo
	v_cmp_le_i32_e32 vcc_lo, s50, v39
	v_add_co_u32 v54, s7, v54, s42
	s_wait_alu 0xf1ff
	v_add_co_ci_u32_e64 v55, null, s43, v55, s7
	s_or_b32 s9, vcc_lo, s9
	s_wait_alu 0xfffe
	s_and_not1_b32 exec_lo, exec_lo, s9
	s_cbranch_execz .LBB545_27
.LBB545_22:                             ;   Parent Loop BB545_5 Depth=1
                                        ; =>  This Inner Loop Header: Depth=2
	s_and_saveexec_b32 s7, s1
	s_cbranch_execz .LBB545_21
; %bb.23:                               ;   in Loop: Header=BB545_22 Depth=2
	v_add_co_u32 v8, vcc_lo, v40, s10
	s_wait_alu 0xfffd
	v_add_co_ci_u32_e64 v9, null, s11, v41, vcc_lo
	v_add_co_u32 v10, vcc_lo, v52, s10
	s_wait_alu 0xfffd
	v_add_co_ci_u32_e64 v11, null, s11, v53, vcc_lo
	;; [unrolled: 3-line block ×4, first 2 shown]
	global_load_u16 v57, v[8:9], off
	global_load_u16 v59, v[10:11], off
	;; [unrolled: 1-line block ×4, first 2 shown]
	v_add_co_u32 v8, vcc_lo, v46, v4
	s_wait_alu 0xfffd
	v_add_co_ci_u32_e64 v9, null, v47, v5, vcc_lo
	v_add_co_u32 v12, vcc_lo, v54, v4
	s_wait_alu 0xfffd
	v_add_co_ci_u32_e64 v13, null, v55, v5, vcc_lo
	;; [unrolled: 3-line block ×4, first 2 shown]
	global_load_u16 v62, v[8:9], off
	global_load_u16 v60, v[12:13], off
	;; [unrolled: 1-line block ×4, first 2 shown]
	s_wait_loadcnt 0x7
	v_lshlrev_b32_e32 v63, 16, v57
	s_wait_loadcnt 0x6
	v_lshlrev_b32_e32 v59, 16, v59
	;; [unrolled: 2-line block ×4, first 2 shown]
	s_and_saveexec_b32 s53, s2
	s_cbranch_execz .LBB545_20
; %bb.24:                               ;   in Loop: Header=BB545_22 Depth=2
	global_load_u16 v67, v[8:9], off offset:128
	global_load_u16 v66, v[12:13], off offset:128
	global_load_u16 v65, v[10:11], off offset:128
	global_load_u16 v64, v[14:15], off offset:128
	s_and_saveexec_b32 s54, s3
	s_cbranch_execz .LBB545_19
; %bb.25:                               ;   in Loop: Header=BB545_22 Depth=2
	global_load_u16 v71, v[8:9], off offset:256
	global_load_u16 v70, v[12:13], off offset:256
	global_load_u16 v69, v[10:11], off offset:256
	global_load_u16 v68, v[14:15], off offset:256
	;; [unrolled: 7-line block ×3, first 2 shown]
	s_wait_loadcnt 0x3
	v_lshlrev_b32_e32 v8, 16, v8
	s_wait_loadcnt 0x2
	s_delay_alu instid0(VALU_DEP_1) | instskip(SKIP_3) | instid1(VALU_DEP_2)
	v_dual_fmac_f32 v38, v63, v8 :: v_dual_lshlrev_b32 v9, 16, v9
	s_wait_loadcnt 0x1
	v_lshlrev_b32_e32 v8, 16, v10
	s_wait_loadcnt 0x0
	v_dual_fmac_f32 v38, v59, v9 :: v_dual_lshlrev_b32 v9, 16, v11
	s_delay_alu instid0(VALU_DEP_1) | instskip(NEXT) | instid1(VALU_DEP_1)
	v_fmac_f32_e32 v38, v61, v8
	v_fmac_f32_e32 v38, v57, v9
	s_branch .LBB545_18
.LBB545_27:                             ;   in Loop: Header=BB545_5 Depth=1
	s_or_b32 exec_lo, exec_lo, s9
.LBB545_28:                             ;   in Loop: Header=BB545_5 Depth=1
	s_wait_alu 0xfffe
	s_or_b32 exec_lo, exec_lo, s8
	s_delay_alu instid0(SALU_CYCLE_1)
	s_and_not1_b32 vcc_lo, exec_lo, s51
	s_wait_alu 0xfffe
	s_cbranch_vccnz .LBB545_46
; %bb.29:                               ;   in Loop: Header=BB545_5 Depth=1
	v_cmp_gt_i32_e32 vcc_lo, s37, v39
	v_dual_mov_b32 v41, 0 :: v_dual_mov_b32 v40, 0
	v_or_b32_e32 v8, 1, v39
	v_dual_mov_b32 v43, 0 :: v_dual_mov_b32 v42, 0
	s_and_saveexec_b32 s53, vcc_lo
	s_cbranch_execz .LBB545_37
; %bb.30:                               ;   in Loop: Header=BB545_5 Depth=1
	v_mad_co_u64_u32 v[9:10], null, s20, v39, 0
	s_mul_u64 s[8:9], s[22:23], s[34:35]
	v_dual_mov_b32 v42, 0 :: v_dual_mov_b32 v41, 0
	s_wait_alu 0xfffe
	s_lshl_b64 s[8:9], s[8:9], 1
	v_mov_b32_e32 v40, 0
	s_wait_alu 0xfffe
	s_add_nc_u64 s[8:9], s[26:27], s[8:9]
	v_mad_co_u64_u32 v[10:11], null, s21, v39, v[10:11]
	s_mov_b32 s54, exec_lo
	v_lshlrev_b64_e32 v[9:10], 1, v[9:10]
	s_wait_alu 0xfffe
	s_delay_alu instid0(VALU_DEP_1) | instskip(SKIP_1) | instid1(VALU_DEP_2)
	v_add_co_u32 v9, s7, s8, v9
	s_wait_alu 0xf1ff
	v_add_co_ci_u32_e64 v10, null, s9, v10, s7
	global_load_u16 v9, v[9:10], off
	v_cmpx_gt_i32_e64 s37, v8
	s_cbranch_execz .LBB545_36
; %bb.31:                               ;   in Loop: Header=BB545_5 Depth=1
	v_mad_co_u64_u32 v[10:11], null, s20, v8, 0
	v_dual_mov_b32 v40, 0 :: v_dual_mov_b32 v41, 0
	s_mov_b32 s55, exec_lo
	s_delay_alu instid0(VALU_DEP_2) | instskip(NEXT) | instid1(VALU_DEP_1)
	v_mad_co_u64_u32 v[11:12], null, s21, v8, v[11:12]
	v_lshlrev_b64_e32 v[10:11], 1, v[10:11]
	s_delay_alu instid0(VALU_DEP_1) | instskip(SKIP_1) | instid1(VALU_DEP_2)
	v_add_co_u32 v10, s7, s8, v10
	s_wait_alu 0xf1ff
	v_add_co_ci_u32_e64 v11, null, s9, v11, s7
	global_load_u16 v10, v[10:11], off
	v_or_b32_e32 v11, 2, v39
	s_delay_alu instid0(VALU_DEP_1)
	v_cmpx_gt_i32_e64 s37, v11
	s_cbranch_execz .LBB545_35
; %bb.32:                               ;   in Loop: Header=BB545_5 Depth=1
	v_mad_co_u64_u32 v[12:13], null, s20, v11, 0
	v_mov_b32_e32 v40, 0
	s_mov_b32 s56, exec_lo
	s_delay_alu instid0(VALU_DEP_2) | instskip(NEXT) | instid1(VALU_DEP_1)
	v_mad_co_u64_u32 v[13:14], null, s21, v11, v[13:14]
	v_lshlrev_b64_e32 v[11:12], 1, v[12:13]
	s_delay_alu instid0(VALU_DEP_1) | instskip(SKIP_1) | instid1(VALU_DEP_2)
	v_add_co_u32 v11, s7, s8, v11
	s_wait_alu 0xf1ff
	v_add_co_ci_u32_e64 v12, null, s9, v12, s7
	global_load_u16 v11, v[11:12], off
	v_or_b32_e32 v12, 3, v39
	s_delay_alu instid0(VALU_DEP_1)
	v_cmpx_gt_i32_e64 s37, v12
	s_cbranch_execz .LBB545_34
; %bb.33:                               ;   in Loop: Header=BB545_5 Depth=1
	v_mad_co_u64_u32 v[13:14], null, s20, v12, 0
	s_delay_alu instid0(VALU_DEP_1) | instskip(NEXT) | instid1(VALU_DEP_1)
	v_mad_co_u64_u32 v[14:15], null, s21, v12, v[14:15]
	v_lshlrev_b64_e32 v[12:13], 1, v[13:14]
	s_delay_alu instid0(VALU_DEP_1) | instskip(SKIP_1) | instid1(VALU_DEP_2)
	v_add_co_u32 v12, s7, s8, v12
	s_wait_alu 0xf1ff
	v_add_co_ci_u32_e64 v13, null, s9, v13, s7
	global_load_u16 v12, v[12:13], off
	s_wait_loadcnt 0x0
	v_lshlrev_b32_e32 v40, 16, v12
.LBB545_34:                             ;   in Loop: Header=BB545_5 Depth=1
	s_wait_alu 0xfffe
	s_or_b32 exec_lo, exec_lo, s56
	s_wait_loadcnt 0x0
	v_lshlrev_b32_e32 v41, 16, v11
.LBB545_35:                             ;   in Loop: Header=BB545_5 Depth=1
	s_wait_alu 0xfffe
	s_or_b32 exec_lo, exec_lo, s55
	s_wait_loadcnt 0x0
	v_lshlrev_b32_e32 v42, 16, v10
.LBB545_36:                             ;   in Loop: Header=BB545_5 Depth=1
	s_or_b32 exec_lo, exec_lo, s54
	s_wait_loadcnt 0x0
	v_lshlrev_b32_e32 v43, 16, v9
.LBB545_37:                             ;   in Loop: Header=BB545_5 Depth=1
	s_or_b32 exec_lo, exec_lo, s53
	s_and_saveexec_b32 s9, s1
	s_cbranch_execz .LBB545_45
; %bb.38:                               ;   in Loop: Header=BB545_5 Depth=1
	v_mad_co_u64_u32 v[9:10], null, s12, v39, 0
	v_mad_co_u64_u32 v[11:12], null, s12, v8, 0
	v_or_b32_e32 v48, 2, v39
	v_or_b32_e32 v49, 3, v39
	s_mul_u64 s[54:55], s[14:15], s[34:35]
	s_wait_alu 0xfffe
	s_lshl_b64 s[54:55], s[54:55], 1
	v_cmp_gt_i32_e64 s7, s37, v48
	s_delay_alu instid0(VALU_DEP_4) | instskip(SKIP_4) | instid1(VALU_DEP_2)
	v_mad_co_u64_u32 v[13:14], null, s13, v39, v[10:11]
	v_mad_co_u64_u32 v[14:15], null, s12, v48, 0
	;; [unrolled: 1-line block ×3, first 2 shown]
	s_wait_alu 0xfffe
	s_add_nc_u64 s[54:55], s[18:19], s[54:55]
	v_dual_cndmask_b32 v10, 0, v13 :: v_dual_mov_b32 v13, v15
	s_delay_alu instid0(VALU_DEP_2) | instskip(NEXT) | instid1(VALU_DEP_2)
	v_mov_b32_e32 v15, v45
	v_mad_co_u64_u32 v[46:47], null, s13, v8, v[12:13]
	v_cndmask_b32_e32 v9, 0, v9, vcc_lo
	v_cmp_gt_i32_e32 vcc_lo, s37, v8
	s_wait_alu 0xfffd
	s_delay_alu instid0(VALU_DEP_3) | instskip(NEXT) | instid1(VALU_DEP_3)
	v_dual_cndmask_b32 v11, 0, v11 :: v_dual_cndmask_b32 v12, 0, v46
	v_lshlrev_b64_e32 v[9:10], 1, v[9:10]
	s_wait_alu 0xfffe
	s_delay_alu instid0(VALU_DEP_1) | instskip(SKIP_1) | instid1(VALU_DEP_2)
	v_add_co_u32 v8, s8, s54, v9
	s_wait_alu 0xf1ff
	v_add_co_ci_u32_e64 v9, null, s55, v10, s8
	v_lshlrev_b64_e32 v[10:11], 1, v[11:12]
	s_delay_alu instid0(VALU_DEP_3) | instskip(SKIP_1) | instid1(VALU_DEP_3)
	v_add_co_u32 v8, vcc_lo, v8, v4
	s_wait_alu 0xfffd
	v_add_co_ci_u32_e64 v9, null, v9, v5, vcc_lo
	v_cmp_gt_i32_e32 vcc_lo, s37, v49
	v_cndmask_b32_e64 v12, 0, v14, s7
	s_wait_alu 0xfffd
	v_cndmask_b32_e32 v44, 0, v44, vcc_lo
	v_mad_co_u64_u32 v[47:48], null, s13, v48, v[13:14]
	v_mad_co_u64_u32 v[14:15], null, s13, v49, v[15:16]
	s_delay_alu instid0(VALU_DEP_2) | instskip(SKIP_1) | instid1(VALU_DEP_3)
	v_cndmask_b32_e64 v13, 0, v47, s7
	v_add_co_u32 v10, s7, s54, v10
	v_cndmask_b32_e32 v45, 0, v14, vcc_lo
	s_wait_alu 0xf1ff
	v_add_co_ci_u32_e64 v11, null, s55, v11, s7
	v_lshlrev_b64_e32 v[12:13], 1, v[12:13]
	v_add_co_u32 v10, vcc_lo, v10, v4
	v_lshlrev_b64_e32 v[14:15], 1, v[44:45]
	s_wait_alu 0xfffd
	v_add_co_ci_u32_e64 v11, null, v11, v5, vcc_lo
	s_delay_alu instid0(VALU_DEP_4)
	v_add_co_u32 v12, vcc_lo, s54, v12
	s_wait_alu 0xfffd
	v_add_co_ci_u32_e64 v13, null, s55, v13, vcc_lo
	v_add_co_u32 v14, vcc_lo, s54, v14
	s_wait_alu 0xfffd
	v_add_co_ci_u32_e64 v15, null, s55, v15, vcc_lo
	;; [unrolled: 3-line block ×4, first 2 shown]
	s_clause 0x3
	global_load_u16 v46, v[8:9], off
	global_load_u16 v45, v[10:11], off
	;; [unrolled: 1-line block ×4, first 2 shown]
	s_and_saveexec_b32 s7, s2
	s_cbranch_execz .LBB545_44
; %bb.39:                               ;   in Loop: Header=BB545_5 Depth=1
	s_clause 0x3
	global_load_u16 v50, v[8:9], off offset:128
	global_load_u16 v49, v[10:11], off offset:128
	global_load_u16 v48, v[12:13], off offset:128
	global_load_u16 v47, v[14:15], off offset:128
	s_and_saveexec_b32 s8, s3
	s_cbranch_execz .LBB545_43
; %bb.40:                               ;   in Loop: Header=BB545_5 Depth=1
	s_clause 0x3
	global_load_u16 v54, v[8:9], off offset:256
	global_load_u16 v53, v[10:11], off offset:256
	global_load_u16 v52, v[12:13], off offset:256
	global_load_u16 v51, v[14:15], off offset:256
	;; [unrolled: 8-line block ×3, first 2 shown]
	s_wait_loadcnt 0x3
	v_lshlrev_b32_e32 v8, 16, v8
	s_wait_loadcnt 0x2
	s_delay_alu instid0(VALU_DEP_1) | instskip(SKIP_3) | instid1(VALU_DEP_2)
	v_dual_fmac_f32 v38, v43, v8 :: v_dual_lshlrev_b32 v9, 16, v9
	s_wait_loadcnt 0x1
	v_lshlrev_b32_e32 v8, 16, v10
	s_wait_loadcnt 0x0
	v_dual_fmac_f32 v38, v42, v9 :: v_dual_lshlrev_b32 v9, 16, v11
	s_delay_alu instid0(VALU_DEP_1) | instskip(NEXT) | instid1(VALU_DEP_1)
	v_fmac_f32_e32 v38, v41, v8
	v_fmac_f32_e32 v38, v40, v9
.LBB545_42:                             ;   in Loop: Header=BB545_5 Depth=1
	s_or_b32 exec_lo, exec_lo, s53
	s_wait_loadcnt 0x2
	v_lshlrev_b32_e32 v9, 16, v53
	v_lshlrev_b32_e32 v8, 16, v54
	s_delay_alu instid0(VALU_DEP_1) | instskip(SKIP_1) | instid1(VALU_DEP_1)
	v_fmac_f32_e32 v37, v43, v8
	s_wait_loadcnt 0x1
	v_dual_fmac_f32 v37, v42, v9 :: v_dual_lshlrev_b32 v8, 16, v52
	s_wait_loadcnt 0x0
	s_delay_alu instid0(VALU_DEP_1) | instskip(NEXT) | instid1(VALU_DEP_1)
	v_dual_fmac_f32 v37, v41, v8 :: v_dual_lshlrev_b32 v8, 16, v51
	v_fmac_f32_e32 v37, v40, v8
.LBB545_43:                             ;   in Loop: Header=BB545_5 Depth=1
	s_wait_alu 0xfffe
	s_or_b32 exec_lo, exec_lo, s8
	s_wait_loadcnt 0x3
	v_lshlrev_b32_e32 v8, 16, v50
	s_wait_loadcnt 0x2
	s_delay_alu instid0(VALU_DEP_1) | instskip(SKIP_2) | instid1(VALU_DEP_2)
	v_dual_fmac_f32 v36, v43, v8 :: v_dual_lshlrev_b32 v9, 16, v49
	s_wait_loadcnt 0x1
	v_lshlrev_b32_e32 v8, 16, v48
	v_fmac_f32_e32 v36, v42, v9
	s_delay_alu instid0(VALU_DEP_1) | instskip(SKIP_2) | instid1(VALU_DEP_1)
	v_fmac_f32_e32 v36, v41, v8
	s_wait_loadcnt 0x0
	v_lshlrev_b32_e32 v8, 16, v47
	v_fmac_f32_e32 v36, v40, v8
.LBB545_44:                             ;   in Loop: Header=BB545_5 Depth=1
	s_wait_alu 0xfffe
	s_or_b32 exec_lo, exec_lo, s7
	s_wait_loadcnt 0x2
	v_lshlrev_b32_e32 v9, 16, v45
	v_lshlrev_b32_e32 v8, 16, v46
	s_delay_alu instid0(VALU_DEP_1) | instskip(SKIP_1) | instid1(VALU_DEP_1)
	v_fmac_f32_e32 v35, v43, v8
	s_wait_loadcnt 0x1
	v_dual_fmac_f32 v35, v42, v9 :: v_dual_lshlrev_b32 v8, 16, v44
	s_wait_loadcnt 0x0
	s_delay_alu instid0(VALU_DEP_1) | instskip(NEXT) | instid1(VALU_DEP_1)
	v_dual_fmac_f32 v35, v41, v8 :: v_dual_lshlrev_b32 v8, 16, v39
	v_fmac_f32_e32 v35, v40, v8
.LBB545_45:                             ;   in Loop: Header=BB545_5 Depth=1
	s_wait_alu 0xfffe
	s_or_b32 exec_lo, exec_lo, s9
.LBB545_46:                             ;   in Loop: Header=BB545_5 Depth=1
	ds_store_2addr_stride64_b32 v17, v35, v36 offset1:1
	ds_store_2addr_stride64_b32 v17, v37, v38 offset0:2 offset1:3
	s_wait_dscnt 0x0
	s_barrier_signal -1
	s_barrier_wait -1
	global_inv scope:SCOPE_SE
                                        ; implicit-def: $vgpr10
	s_and_saveexec_b32 s7, s0
	s_cbranch_execz .LBB545_66
; %bb.47:                               ;   in Loop: Header=BB545_5 Depth=1
	ds_load_2addr_stride64_b32 v[8:9], v18 offset1:4
	ds_load_2addr_stride64_b32 v[10:11], v18 offset0:8 offset1:12
	s_mov_b32 s9, s52
	s_wait_dscnt 0x1
	v_add_f32_e32 v8, v8, v9
	s_wait_dscnt 0x0
	s_delay_alu instid0(VALU_DEP_1) | instskip(NEXT) | instid1(VALU_DEP_1)
	v_add_f32_e32 v8, v10, v8
                                        ; implicit-def: $vgpr10
	v_add_f32_e32 v8, v11, v8
	ds_store_b32 v18, v8
	s_and_saveexec_b32 s8, s6
	s_cbranch_execz .LBB545_65
; %bb.48:                               ;   in Loop: Header=BB545_5 Depth=1
	v_mul_f32_e32 v8, s38, v8
	s_and_b32 vcc_lo, exec_lo, s49
	s_mov_b32 s9, -1
                                        ; implicit-def: $vgpr9
	s_wait_alu 0xfffe
	s_cbranch_vccz .LBB545_54
; %bb.49:                               ;   in Loop: Header=BB545_5 Depth=1
	v_and_b32_e32 v9, 0x7f800000, v8
	s_delay_alu instid0(VALU_DEP_1)
	v_cmp_ne_u32_e32 vcc_lo, 0x7f800000, v9
                                        ; implicit-def: $vgpr9
	s_and_saveexec_b32 s9, vcc_lo
	s_wait_alu 0xfffe
	s_xor_b32 s9, exec_lo, s9
; %bb.50:                               ;   in Loop: Header=BB545_5 Depth=1
	v_bfe_u32 v9, v8, 16, 1
	s_delay_alu instid0(VALU_DEP_1)
	v_add3_u32 v9, v8, v9, 0x7fff
; %bb.51:                               ;   in Loop: Header=BB545_5 Depth=1
	s_wait_alu 0xfffe
	s_and_not1_saveexec_b32 s9, s9
; %bb.52:                               ;   in Loop: Header=BB545_5 Depth=1
	v_and_b32_e32 v9, 0xffff, v8
	v_or_b32_e32 v10, 0x10000, v8
	s_delay_alu instid0(VALU_DEP_2) | instskip(SKIP_1) | instid1(VALU_DEP_2)
	v_cmp_eq_u32_e32 vcc_lo, 0, v9
	s_wait_alu 0xfffd
	v_cndmask_b32_e32 v9, v10, v8, vcc_lo
; %bb.53:                               ;   in Loop: Header=BB545_5 Depth=1
	s_wait_alu 0xfffe
	s_or_b32 exec_lo, exec_lo, s9
	s_mov_b32 s9, 0
.LBB545_54:                             ;   in Loop: Header=BB545_5 Depth=1
	s_wait_alu 0xfffe
	s_and_not1_b32 vcc_lo, exec_lo, s9
	s_wait_alu 0xfffe
	s_cbranch_vccnz .LBB545_64
; %bb.55:                               ;   in Loop: Header=BB545_5 Depth=1
	v_lshlrev_b64_e32 v[9:10], 1, v[2:3]
	s_delay_alu instid0(VALU_DEP_1) | instskip(SKIP_1) | instid1(VALU_DEP_2)
	v_add_co_u32 v9, vcc_lo, s44, v9
	s_wait_alu 0xfffd
	v_add_co_ci_u32_e64 v10, null, s45, v10, vcc_lo
	global_load_u16 v9, v[9:10], off
	s_wait_loadcnt 0x0
	v_lshlrev_b32_e32 v9, 16, v9
	s_delay_alu instid0(VALU_DEP_1) | instskip(NEXT) | instid1(VALU_DEP_1)
	v_mul_f32_e32 v9, s39, v9
	v_and_b32_e32 v10, 0x7f800000, v9
	s_delay_alu instid0(VALU_DEP_1)
	v_cmp_ne_u32_e32 vcc_lo, 0x7f800000, v10
                                        ; implicit-def: $vgpr10
	s_and_saveexec_b32 s9, vcc_lo
	s_wait_alu 0xfffe
	s_xor_b32 s9, exec_lo, s9
; %bb.56:                               ;   in Loop: Header=BB545_5 Depth=1
	v_bfe_u32 v10, v9, 16, 1
	s_delay_alu instid0(VALU_DEP_1)
	v_add3_u32 v10, v9, v10, 0x7fff
                                        ; implicit-def: $vgpr9
; %bb.57:                               ;   in Loop: Header=BB545_5 Depth=1
	s_wait_alu 0xfffe
	s_and_not1_saveexec_b32 s9, s9
; %bb.58:                               ;   in Loop: Header=BB545_5 Depth=1
	v_and_b32_e32 v10, 0xffff, v9
	v_or_b32_e32 v11, 0x10000, v9
	s_delay_alu instid0(VALU_DEP_2) | instskip(SKIP_1) | instid1(VALU_DEP_2)
	v_cmp_eq_u32_e32 vcc_lo, 0, v10
	s_wait_alu 0xfffd
	v_cndmask_b32_e32 v10, v11, v9, vcc_lo
; %bb.59:                               ;   in Loop: Header=BB545_5 Depth=1
	s_wait_alu 0xfffe
	s_or_b32 exec_lo, exec_lo, s9
	s_delay_alu instid0(VALU_DEP_1) | instskip(NEXT) | instid1(VALU_DEP_1)
	v_and_b32_e32 v9, 0xffff0000, v10
	v_add_f32_e32 v8, v8, v9
	s_delay_alu instid0(VALU_DEP_1) | instskip(NEXT) | instid1(VALU_DEP_1)
	v_and_b32_e32 v9, 0x7f800000, v8
	v_cmp_ne_u32_e32 vcc_lo, 0x7f800000, v9
                                        ; implicit-def: $vgpr9
	s_and_saveexec_b32 s9, vcc_lo
	s_wait_alu 0xfffe
	s_xor_b32 s9, exec_lo, s9
; %bb.60:                               ;   in Loop: Header=BB545_5 Depth=1
	v_bfe_u32 v9, v8, 16, 1
	s_delay_alu instid0(VALU_DEP_1)
	v_add3_u32 v9, v8, v9, 0x7fff
                                        ; implicit-def: $vgpr8
; %bb.61:                               ;   in Loop: Header=BB545_5 Depth=1
	s_wait_alu 0xfffe
	s_and_not1_saveexec_b32 s9, s9
; %bb.62:                               ;   in Loop: Header=BB545_5 Depth=1
	v_and_b32_e32 v9, 0xffff, v8
	v_or_b32_e32 v10, 0x10000, v8
	s_delay_alu instid0(VALU_DEP_2) | instskip(SKIP_1) | instid1(VALU_DEP_2)
	v_cmp_eq_u32_e32 vcc_lo, 0, v9
	s_wait_alu 0xfffd
	v_cndmask_b32_e32 v9, v10, v8, vcc_lo
; %bb.63:                               ;   in Loop: Header=BB545_5 Depth=1
	s_wait_alu 0xfffe
	s_or_b32 exec_lo, exec_lo, s9
.LBB545_64:                             ;   in Loop: Header=BB545_5 Depth=1
	s_delay_alu instid0(VALU_DEP_1)
	v_lshrrev_b32_e32 v10, 16, v9
	s_or_b32 s9, s52, exec_lo
.LBB545_65:                             ;   in Loop: Header=BB545_5 Depth=1
	s_wait_alu 0xfffe
	s_or_b32 exec_lo, exec_lo, s8
	s_delay_alu instid0(SALU_CYCLE_1)
	s_and_not1_b32 s8, s52, exec_lo
	s_and_b32 s9, s9, exec_lo
	s_wait_alu 0xfffe
	s_or_b32 s52, s8, s9
.LBB545_66:                             ;   in Loop: Header=BB545_5 Depth=1
	s_wait_alu 0xfffe
	s_or_b32 exec_lo, exec_lo, s7
	v_dual_mov_b32 v9, v3 :: v_dual_mov_b32 v8, v2
	s_and_saveexec_b32 s7, s52
	s_cbranch_execz .LBB545_3
	s_branch .LBB545_69
.LBB545_67:                             ;   in Loop: Header=BB545_5 Depth=1
	v_mov_b32_e32 v10, 0
	s_mov_b32 s52, exec_lo
	s_or_b32 exec_lo, exec_lo, s8
	s_delay_alu instid0(SALU_CYCLE_1)
	s_and_b32 vcc_lo, exec_lo, s7
	s_wait_alu 0xfffe
	s_cbranch_vccnz .LBB545_16
.LBB545_68:                             ;   in Loop: Header=BB545_5 Depth=1
	v_dual_mov_b32 v9, v1 :: v_dual_mov_b32 v8, v0
	s_and_saveexec_b32 s7, s52
	s_cbranch_execz .LBB545_3
.LBB545_69:                             ;   in Loop: Header=BB545_5 Depth=1
	s_delay_alu instid0(VALU_DEP_1) | instskip(SKIP_1) | instid1(VALU_DEP_1)
	v_lshlrev_b64_e32 v[8:9], 1, v[8:9]
	s_wait_alu 0xfffe
	v_add_co_u32 v8, vcc_lo, s44, v8
	s_wait_alu 0xfffd
	s_delay_alu instid0(VALU_DEP_2)
	v_add_co_ci_u32_e64 v9, null, s45, v9, vcc_lo
	global_store_b16 v[8:9], v10, off
	s_branch .LBB545_3
.LBB545_70:
	s_endpgm
	.section	.rodata,"a",@progbits
	.p2align	6, 0x0
	.amdhsa_kernel _ZL20rocblas_gemvn_kernelILi64ELi4El16rocblas_bfloat16fS0_EviiT3_lPKT2_lT1_lS4_lS5_lS1_lPT4_lS5_li
		.amdhsa_group_segment_fixed_size 4096
		.amdhsa_private_segment_fixed_size 0
		.amdhsa_kernarg_size 400
		.amdhsa_user_sgpr_count 2
		.amdhsa_user_sgpr_dispatch_ptr 0
		.amdhsa_user_sgpr_queue_ptr 0
		.amdhsa_user_sgpr_kernarg_segment_ptr 1
		.amdhsa_user_sgpr_dispatch_id 0
		.amdhsa_user_sgpr_private_segment_size 0
		.amdhsa_wavefront_size32 1
		.amdhsa_uses_dynamic_stack 0
		.amdhsa_enable_private_segment 0
		.amdhsa_system_sgpr_workgroup_id_x 1
		.amdhsa_system_sgpr_workgroup_id_y 0
		.amdhsa_system_sgpr_workgroup_id_z 1
		.amdhsa_system_sgpr_workgroup_info 0
		.amdhsa_system_vgpr_workitem_id 1
		.amdhsa_next_free_vgpr 72
		.amdhsa_next_free_sgpr 58
		.amdhsa_reserve_vcc 1
		.amdhsa_float_round_mode_32 0
		.amdhsa_float_round_mode_16_64 0
		.amdhsa_float_denorm_mode_32 3
		.amdhsa_float_denorm_mode_16_64 3
		.amdhsa_fp16_overflow 0
		.amdhsa_workgroup_processor_mode 1
		.amdhsa_memory_ordered 1
		.amdhsa_forward_progress 1
		.amdhsa_inst_pref_size 35
		.amdhsa_round_robin_scheduling 0
		.amdhsa_exception_fp_ieee_invalid_op 0
		.amdhsa_exception_fp_denorm_src 0
		.amdhsa_exception_fp_ieee_div_zero 0
		.amdhsa_exception_fp_ieee_overflow 0
		.amdhsa_exception_fp_ieee_underflow 0
		.amdhsa_exception_fp_ieee_inexact 0
		.amdhsa_exception_int_div_zero 0
	.end_amdhsa_kernel
	.section	.text._ZL20rocblas_gemvn_kernelILi64ELi4El16rocblas_bfloat16fS0_EviiT3_lPKT2_lT1_lS4_lS5_lS1_lPT4_lS5_li,"axG",@progbits,_ZL20rocblas_gemvn_kernelILi64ELi4El16rocblas_bfloat16fS0_EviiT3_lPKT2_lT1_lS4_lS5_lS1_lPT4_lS5_li,comdat
.Lfunc_end545:
	.size	_ZL20rocblas_gemvn_kernelILi64ELi4El16rocblas_bfloat16fS0_EviiT3_lPKT2_lT1_lS4_lS5_lS1_lPT4_lS5_li, .Lfunc_end545-_ZL20rocblas_gemvn_kernelILi64ELi4El16rocblas_bfloat16fS0_EviiT3_lPKT2_lT1_lS4_lS5_lS1_lPT4_lS5_li
                                        ; -- End function
	.set _ZL20rocblas_gemvn_kernelILi64ELi4El16rocblas_bfloat16fS0_EviiT3_lPKT2_lT1_lS4_lS5_lS1_lPT4_lS5_li.num_vgpr, 72
	.set _ZL20rocblas_gemvn_kernelILi64ELi4El16rocblas_bfloat16fS0_EviiT3_lPKT2_lT1_lS4_lS5_lS1_lPT4_lS5_li.num_agpr, 0
	.set _ZL20rocblas_gemvn_kernelILi64ELi4El16rocblas_bfloat16fS0_EviiT3_lPKT2_lT1_lS4_lS5_lS1_lPT4_lS5_li.numbered_sgpr, 58
	.set _ZL20rocblas_gemvn_kernelILi64ELi4El16rocblas_bfloat16fS0_EviiT3_lPKT2_lT1_lS4_lS5_lS1_lPT4_lS5_li.num_named_barrier, 0
	.set _ZL20rocblas_gemvn_kernelILi64ELi4El16rocblas_bfloat16fS0_EviiT3_lPKT2_lT1_lS4_lS5_lS1_lPT4_lS5_li.private_seg_size, 0
	.set _ZL20rocblas_gemvn_kernelILi64ELi4El16rocblas_bfloat16fS0_EviiT3_lPKT2_lT1_lS4_lS5_lS1_lPT4_lS5_li.uses_vcc, 1
	.set _ZL20rocblas_gemvn_kernelILi64ELi4El16rocblas_bfloat16fS0_EviiT3_lPKT2_lT1_lS4_lS5_lS1_lPT4_lS5_li.uses_flat_scratch, 0
	.set _ZL20rocblas_gemvn_kernelILi64ELi4El16rocblas_bfloat16fS0_EviiT3_lPKT2_lT1_lS4_lS5_lS1_lPT4_lS5_li.has_dyn_sized_stack, 0
	.set _ZL20rocblas_gemvn_kernelILi64ELi4El16rocblas_bfloat16fS0_EviiT3_lPKT2_lT1_lS4_lS5_lS1_lPT4_lS5_li.has_recursion, 0
	.set _ZL20rocblas_gemvn_kernelILi64ELi4El16rocblas_bfloat16fS0_EviiT3_lPKT2_lT1_lS4_lS5_lS1_lPT4_lS5_li.has_indirect_call, 0
	.section	.AMDGPU.csdata,"",@progbits
; Kernel info:
; codeLenInByte = 4360
; TotalNumSgprs: 60
; NumVgprs: 72
; ScratchSize: 0
; MemoryBound: 0
; FloatMode: 240
; IeeeMode: 1
; LDSByteSize: 4096 bytes/workgroup (compile time only)
; SGPRBlocks: 0
; VGPRBlocks: 8
; NumSGPRsForWavesPerEU: 60
; NumVGPRsForWavesPerEU: 72
; Occupancy: 16
; WaveLimiterHint : 1
; COMPUTE_PGM_RSRC2:SCRATCH_EN: 0
; COMPUTE_PGM_RSRC2:USER_SGPR: 2
; COMPUTE_PGM_RSRC2:TRAP_HANDLER: 0
; COMPUTE_PGM_RSRC2:TGID_X_EN: 1
; COMPUTE_PGM_RSRC2:TGID_Y_EN: 0
; COMPUTE_PGM_RSRC2:TGID_Z_EN: 1
; COMPUTE_PGM_RSRC2:TIDIG_COMP_CNT: 1
	.section	.text._ZL20rocblas_gemvn_kernelILi32ELi16Ei16rocblas_bfloat16PKfS0_EviiT3_lPKT2_lT1_lS6_lS7_lS3_lPT4_lS7_li,"axG",@progbits,_ZL20rocblas_gemvn_kernelILi32ELi16Ei16rocblas_bfloat16PKfS0_EviiT3_lPKT2_lT1_lS6_lS7_lS3_lPT4_lS7_li,comdat
	.globl	_ZL20rocblas_gemvn_kernelILi32ELi16Ei16rocblas_bfloat16PKfS0_EviiT3_lPKT2_lT1_lS6_lS7_lS3_lPT4_lS7_li ; -- Begin function _ZL20rocblas_gemvn_kernelILi32ELi16Ei16rocblas_bfloat16PKfS0_EviiT3_lPKT2_lT1_lS6_lS7_lS3_lPT4_lS7_li
	.p2align	8
	.type	_ZL20rocblas_gemvn_kernelILi32ELi16Ei16rocblas_bfloat16PKfS0_EviiT3_lPKT2_lT1_lS6_lS7_lS3_lPT4_lS7_li,@function
_ZL20rocblas_gemvn_kernelILi32ELi16Ei16rocblas_bfloat16PKfS0_EviiT3_lPKT2_lT1_lS6_lS7_lS3_lPT4_lS7_li: ; @_ZL20rocblas_gemvn_kernelILi32ELi16Ei16rocblas_bfloat16PKfS0_EviiT3_lPKT2_lT1_lS6_lS7_lS3_lPT4_lS7_li
; %bb.0:
	s_load_b64 s[2:3], s[0:1], 0x9c
	s_wait_kmcnt 0x0
	s_lshr_b32 s4, s2, 16
	s_and_b32 s2, s2, 0xffff
	s_and_b32 s3, s3, 0xffff
	s_mul_i32 s2, s4, s2
	s_delay_alu instid0(SALU_CYCLE_1) | instskip(NEXT) | instid1(SALU_CYCLE_1)
	s_mul_i32 s2, s2, s3
	s_cmp_lg_u32 s2, 0x200
	s_cbranch_scc1 .LBB546_70
; %bb.1:
	s_load_b32 s31, s[0:1], 0x88
	s_lshr_b32 s34, ttmp7, 16
	s_wait_kmcnt 0x0
	s_cmp_ge_u32 s34, s31
	s_cbranch_scc1 .LBB546_70
; %bb.2:
	s_clause 0x3
	s_load_b96 s[4:6], s[0:1], 0x70
	s_load_b256 s[8:15], s[0:1], 0x8
	s_load_b96 s[28:30], s[0:1], 0x40
	s_load_b64 s[36:37], s[0:1], 0x0
	v_and_b32_e32 v9, 0x3ff, v0
	v_bfe_u32 v8, v0, 10, 10
	s_clause 0x2
	s_load_b32 s33, s[0:1], 0x28
	s_load_b128 s[24:27], s[0:1], 0x30
	s_load_b256 s[16:23], s[0:1], 0x50
	s_lshl_b32 s42, ttmp9, 7
	v_mov_b32_e32 v1, 0
	v_add_nc_u32_e32 v21, s42, v9
	v_lshl_add_u32 v5, v8, 5, v9
	v_lshlrev_b32_e32 v22, 2, v8
	s_load_b64 s[38:39], s[0:1], 0x80
	s_mov_b32 s35, 0
	v_add_nc_u32_e32 v7, 64, v21
	v_add_nc_u32_e32 v0, s42, v5
	v_or_b32_e32 v11, s42, v5
	v_add_nc_u32_e32 v6, 32, v21
	v_add_nc_u32_e32 v10, 0x60, v21
	v_or_b32_e32 v12, 3, v22
	s_wait_kmcnt 0x0
	v_mad_co_u64_u32 v[2:3], null, s6, v0, 0
	s_ashr_i32 s1, s6, 31
	s_lshl_b64 s[2:3], s[14:15], 1
	s_ashr_i32 s7, s37, 31
	s_add_nc_u64 s[12:13], s[12:13], s[2:3]
	s_wait_alu 0xfffe
	s_lshr_b32 s2, s7, 26
	v_cmp_gt_i32_e64 s3, s36, v7
	v_mad_co_u64_u32 v[3:4], null, s1, v0, v[3:4]
	v_mul_lo_u32 v4, s6, v11
	v_mul_lo_u32 v7, s33, v22
	s_lshl_b64 s[4:5], s[4:5], 1
	s_add_co_i32 s43, s37, s2
	v_cmp_gt_i32_e64 s6, s36, v11
	v_mul_lo_u32 v11, v8, s33
	s_add_nc_u64 s[22:23], s[22:23], s[4:5]
	s_wait_alu 0xfffe
	s_and_not1_b32 s43, s43, 63
	v_cmp_gt_i32_e64 s2, s36, v6
	v_cmp_gt_i32_e64 s4, s36, v10
	v_lshlrev_b32_e32 v6, 2, v9
	v_or_b32_e32 v10, 2, v22
	s_wait_alu 0xfffe
	s_sub_co_i32 s5, s37, s43
	v_mul_lo_u32 v13, v8, s30
	s_lshl_b64 s[14:15], s[28:29], 1
	s_ashr_i32 s29, s36, 31
	s_mov_b32 s28, s36
	s_cmp_gt_i32 s5, 0
	v_cmp_gt_u32_e64 s5, 0x80, v5
	v_ashrrev_i32_e32 v5, 31, v4
	s_add_nc_u64 s[14:15], s[26:27], s[14:15]
	v_cmp_gt_i64_e32 vcc_lo, s[28:29], v[0:1]
	v_lshl_add_u32 v0, v8, 9, v6
	v_lshl_add_u32 v23, v8, 7, v6
	v_add3_u32 v24, v7, s33, v9
	v_mad_co_u64_u32 v[6:7], null, s33, v10, v[9:10]
	s_mov_b32 s26, s30
	v_mad_co_u64_u32 v[7:8], null, s33, v12, v[9:10]
	v_lshl_add_u32 v25, v11, 2, v9
	v_mad_co_u64_u32 v[8:9], null, s30, v22, s[26:27]
	v_mul_lo_u32 v26, s30, v10
	v_mul_lo_u32 v27, s30, v12
	v_lshlrev_b64_e32 v[9:10], 1, v[2:3]
	v_lshlrev_b64_e32 v[11:12], 1, v[4:5]
	v_cmp_gt_i32_e64 s0, s36, v21
	v_cmp_gt_i32_e64 s1, s43, v22
	v_lshlrev_b32_e32 v28, 2, v13
	s_cselect_b32 s36, -1, 0
	s_and_b32 s44, s5, vcc_lo
	s_lshl_b32 s45, s33, 6
	s_lshl_b32 s46, s30, 6
	s_branch .LBB546_5
.LBB546_3:                              ;   in Loop: Header=BB546_5 Depth=1
	s_wait_alu 0xfffe
	s_or_b32 exec_lo, exec_lo, s7
.LBB546_4:                              ;   in Loop: Header=BB546_5 Depth=1
	s_add_co_i32 s34, s34, 0x10000
	s_delay_alu instid0(SALU_CYCLE_1)
	s_cmp_lt_u32 s34, s31
	s_cbranch_scc0 .LBB546_70
.LBB546_5:                              ; =>This Loop Header: Depth=1
                                        ;     Child Loop BB546_22 Depth 2
	s_mul_u64 s[26:27], s[10:11], s[34:35]
	s_mul_u64 s[28:29], s[20:21], s[34:35]
	s_wait_alu 0xfffe
	s_lshl_b64 s[26:27], s[26:27], 2
	s_lshl_b64 s[28:29], s[28:29], 2
	s_wait_alu 0xfffe
	s_add_nc_u64 s[26:27], s[8:9], s[26:27]
	s_add_nc_u64 s[28:29], s[18:19], s[28:29]
	s_clause 0x1
	global_load_b32 v29, v1, s[26:27]
	global_load_b32 v13, v1, s[28:29]
	s_wait_loadcnt 0x1
	v_cmp_eq_f32_e32 vcc_lo, 0, v29
	s_wait_loadcnt 0x0
	v_cmp_eq_f32_e64 s7, 1.0, v13
	v_readfirstlane_b32 s48, v13
	s_and_b32 s7, vcc_lo, s7
	s_wait_alu 0xfffe
	s_and_b32 vcc_lo, exec_lo, s7
	s_wait_alu 0xfffe
	s_cbranch_vccnz .LBB546_4
; %bb.6:                                ;   in Loop: Header=BB546_5 Depth=1
	v_cmp_neq_f32_e32 vcc_lo, 0, v29
	s_mul_u64 s[26:27], s[38:39], s[34:35]
	s_wait_alu 0xfffe
	s_lshl_b64 s[26:27], s[26:27], 1
	s_wait_alu 0xfffe
	s_add_nc_u64 s[26:27], s[22:23], s[26:27]
	s_cbranch_vccnz .LBB546_14
; %bb.7:                                ;   in Loop: Header=BB546_5 Depth=1
	s_mov_b32 s7, 0
	s_mov_b32 s47, 0
                                        ; implicit-def: $vgpr15
	s_and_saveexec_b32 s28, s44
	s_cbranch_execz .LBB546_15
; %bb.8:                                ;   in Loop: Header=BB546_5 Depth=1
	s_cmp_eq_f32 s48, 0
	s_cbranch_scc1 .LBB546_54
; %bb.9:                                ;   in Loop: Header=BB546_5 Depth=1
	s_wait_alu 0xfffe
	v_add_co_u32 v13, vcc_lo, s26, v9
	s_wait_alu 0xfffd
	v_add_co_ci_u32_e64 v14, null, s27, v10, vcc_lo
	global_load_u16 v13, v[13:14], off
	s_wait_loadcnt 0x0
	v_lshlrev_b32_e32 v13, 16, v13
	s_delay_alu instid0(VALU_DEP_1) | instskip(NEXT) | instid1(VALU_DEP_1)
	v_mul_f32_e32 v13, s48, v13
	v_and_b32_e32 v14, 0x7f800000, v13
	s_delay_alu instid0(VALU_DEP_1)
	v_cmp_ne_u32_e32 vcc_lo, 0x7f800000, v14
                                        ; implicit-def: $vgpr14
	s_and_saveexec_b32 s29, vcc_lo
	s_wait_alu 0xfffe
	s_xor_b32 s29, exec_lo, s29
; %bb.10:                               ;   in Loop: Header=BB546_5 Depth=1
	v_bfe_u32 v14, v13, 16, 1
	s_delay_alu instid0(VALU_DEP_1)
	v_add3_u32 v14, v13, v14, 0x7fff
                                        ; implicit-def: $vgpr13
; %bb.11:                               ;   in Loop: Header=BB546_5 Depth=1
	s_wait_alu 0xfffe
	s_and_not1_saveexec_b32 s29, s29
; %bb.12:                               ;   in Loop: Header=BB546_5 Depth=1
	v_and_b32_e32 v14, 0xffff, v13
	v_or_b32_e32 v15, 0x10000, v13
	s_delay_alu instid0(VALU_DEP_2) | instskip(SKIP_1) | instid1(VALU_DEP_2)
	v_cmp_eq_u32_e32 vcc_lo, 0, v14
	s_wait_alu 0xfffd
	v_cndmask_b32_e32 v14, v15, v13, vcc_lo
; %bb.13:                               ;   in Loop: Header=BB546_5 Depth=1
	s_wait_alu 0xfffe
	s_or_b32 exec_lo, exec_lo, s29
	s_delay_alu instid0(VALU_DEP_1) | instskip(SKIP_2) | instid1(SALU_CYCLE_1)
	v_lshrrev_b32_e32 v15, 16, v14
	s_mov_b32 s47, exec_lo
	s_or_b32 exec_lo, exec_lo, s28
	s_and_b32 vcc_lo, exec_lo, s7
	s_wait_alu 0xfffe
	s_cbranch_vccnz .LBB546_16
	s_branch .LBB546_55
.LBB546_14:                             ;   in Loop: Header=BB546_5 Depth=1
	s_mov_b32 s47, 0
                                        ; implicit-def: $vgpr15
	s_cbranch_execnz .LBB546_16
	s_branch .LBB546_55
.LBB546_15:                             ;   in Loop: Header=BB546_5 Depth=1
	s_wait_alu 0xfffe
	s_or_b32 exec_lo, exec_lo, s28
	s_delay_alu instid0(SALU_CYCLE_1)
	s_and_b32 vcc_lo, exec_lo, s7
	s_wait_alu 0xfffe
	s_cbranch_vccz .LBB546_55
.LBB546_16:                             ;   in Loop: Header=BB546_5 Depth=1
	s_mul_u64 s[28:29], s[24:25], s[34:35]
	s_mul_u64 s[40:41], s[16:17], s[34:35]
	v_dual_mov_b32 v30, 0 :: v_dual_mov_b32 v31, 0
	v_dual_mov_b32 v34, v22 :: v_dual_mov_b32 v33, 0
	v_mov_b32_e32 v32, 0
	s_wait_alu 0xfffe
	s_lshl_b64 s[28:29], s[28:29], 1
	s_lshl_b64 s[40:41], s[40:41], 1
	s_wait_alu 0xfffe
	s_add_nc_u64 s[28:29], s[12:13], s[28:29]
	s_add_nc_u64 s[40:41], s[14:15], s[40:41]
	s_and_saveexec_b32 s7, s1
	s_cbranch_execz .LBB546_28
; %bb.17:                               ;   in Loop: Header=BB546_5 Depth=1
	v_dual_mov_b32 v30, 0 :: v_dual_mov_b32 v35, v25
	v_dual_mov_b32 v36, v7 :: v_dual_mov_b32 v37, v6
	;; [unrolled: 1-line block ×4, first 2 shown]
	v_mov_b32_e32 v32, 0
	s_mov_b32 s49, 0
	s_mov_b32 s50, 0
	s_branch .LBB546_22
.LBB546_18:                             ;   in Loop: Header=BB546_22 Depth=2
	s_or_b32 exec_lo, exec_lo, s54
	s_wait_loadcnt 0x3
	v_lshlrev_b32_e32 v13, 16, v54
	s_wait_loadcnt 0x2
	v_lshlrev_b32_e32 v14, 16, v53
	s_wait_loadcnt 0x1
	s_delay_alu instid0(VALU_DEP_2) | instskip(NEXT) | instid1(VALU_DEP_1)
	v_dual_fmac_f32 v32, v46, v13 :: v_dual_lshlrev_b32 v13, 16, v52
	v_fmac_f32_e32 v32, v42, v14
	s_wait_loadcnt 0x0
	s_delay_alu instid0(VALU_DEP_1) | instskip(NEXT) | instid1(VALU_DEP_1)
	v_dual_fmac_f32 v32, v44, v13 :: v_dual_lshlrev_b32 v13, 16, v51
	v_fmac_f32_e32 v32, v40, v13
.LBB546_19:                             ;   in Loop: Header=BB546_22 Depth=2
	s_or_b32 exec_lo, exec_lo, s53
	s_wait_loadcnt 0x3
	v_lshlrev_b32_e32 v13, 16, v50
	s_wait_loadcnt 0x2
	v_lshlrev_b32_e32 v14, 16, v49
	s_delay_alu instid0(VALU_DEP_2) | instskip(SKIP_2) | instid1(VALU_DEP_2)
	v_fmac_f32_e32 v31, v46, v13
	s_wait_loadcnt 0x1
	v_lshlrev_b32_e32 v13, 16, v48
	v_fmac_f32_e32 v31, v42, v14
	s_delay_alu instid0(VALU_DEP_1) | instskip(SKIP_2) | instid1(VALU_DEP_1)
	v_fmac_f32_e32 v31, v44, v13
	s_wait_loadcnt 0x0
	v_lshlrev_b32_e32 v13, 16, v47
	v_fmac_f32_e32 v31, v40, v13
.LBB546_20:                             ;   in Loop: Header=BB546_22 Depth=2
	s_or_b32 exec_lo, exec_lo, s52
	s_wait_loadcnt 0x2
	v_lshlrev_b32_e32 v14, 16, v43
	v_lshlrev_b32_e32 v13, 16, v45
	s_delay_alu instid0(VALU_DEP_1) | instskip(SKIP_1) | instid1(VALU_DEP_1)
	v_fmac_f32_e32 v30, v46, v13
	s_wait_loadcnt 0x1
	v_dual_fmac_f32 v30, v42, v14 :: v_dual_lshlrev_b32 v13, 16, v41
	s_wait_loadcnt 0x0
	s_delay_alu instid0(VALU_DEP_1) | instskip(NEXT) | instid1(VALU_DEP_1)
	v_dual_fmac_f32 v30, v44, v13 :: v_dual_lshlrev_b32 v13, 16, v39
	v_fmac_f32_e32 v30, v40, v13
.LBB546_21:                             ;   in Loop: Header=BB546_22 Depth=2
	s_wait_alu 0xfffe
	s_or_b32 exec_lo, exec_lo, s51
	v_add_nc_u32_e32 v34, 64, v34
	v_add_nc_u32_e32 v38, s45, v38
	;; [unrolled: 1-line block ×5, first 2 shown]
	v_cmp_le_i32_e32 vcc_lo, s43, v34
	s_add_co_i32 s50, s50, s46
	s_or_b32 s49, vcc_lo, s49
	s_wait_alu 0xfffe
	s_and_not1_b32 exec_lo, exec_lo, s49
	s_cbranch_execz .LBB546_27
.LBB546_22:                             ;   Parent Loop BB546_5 Depth=1
                                        ; =>  This Inner Loop Header: Depth=2
	s_and_saveexec_b32 s51, s0
	s_cbranch_execz .LBB546_21
; %bb.23:                               ;   in Loop: Header=BB546_22 Depth=2
	s_wait_alu 0xfffe
	v_add_nc_u32_e32 v13, s50, v28
	v_add_nc_u32_e32 v15, s50, v8
	v_add_nc_u32_e32 v17, s50, v26
	v_add_nc_u32_e32 v19, s50, v27
	v_add_nc_u32_e32 v39, s42, v35
	v_ashrrev_i32_e32 v14, 31, v13
	v_ashrrev_i32_e32 v16, 31, v15
	;; [unrolled: 1-line block ×5, first 2 shown]
	v_lshlrev_b64_e32 v[13:14], 1, v[13:14]
	v_lshlrev_b64_e32 v[15:16], 1, v[15:16]
	;; [unrolled: 1-line block ×4, first 2 shown]
	v_add_nc_u32_e32 v41, s42, v38
	v_add_nc_u32_e32 v43, s42, v37
	v_add_co_u32 v13, vcc_lo, s40, v13
	s_wait_alu 0xfffd
	v_add_co_ci_u32_e64 v14, null, s41, v14, vcc_lo
	v_add_co_u32 v15, vcc_lo, s40, v15
	s_wait_alu 0xfffd
	v_add_co_ci_u32_e64 v16, null, s41, v16, vcc_lo
	;; [unrolled: 3-line block ×4, first 2 shown]
	v_lshlrev_b64_e32 v[39:40], 1, v[39:40]
	s_clause 0x3
	global_load_u16 v46, v[13:14], off
	global_load_u16 v47, v[15:16], off
	;; [unrolled: 1-line block ×4, first 2 shown]
	v_add_nc_u32_e32 v17, s42, v36
	v_ashrrev_i32_e32 v42, 31, v41
	v_ashrrev_i32_e32 v44, 31, v43
	v_add_co_u32 v13, vcc_lo, s28, v39
	s_delay_alu instid0(VALU_DEP_4) | instskip(NEXT) | instid1(VALU_DEP_4)
	v_ashrrev_i32_e32 v18, 31, v17
	v_lshlrev_b64_e32 v[15:16], 1, v[41:42]
	s_wait_alu 0xfffd
	v_add_co_ci_u32_e64 v14, null, s29, v40, vcc_lo
	v_lshlrev_b64_e32 v[39:40], 1, v[43:44]
	v_lshlrev_b64_e32 v[17:18], 1, v[17:18]
	s_delay_alu instid0(VALU_DEP_4) | instskip(SKIP_2) | instid1(VALU_DEP_4)
	v_add_co_u32 v19, vcc_lo, s28, v15
	s_wait_alu 0xfffd
	v_add_co_ci_u32_e64 v20, null, s29, v16, vcc_lo
	v_add_co_u32 v15, vcc_lo, s28, v39
	s_wait_alu 0xfffd
	v_add_co_ci_u32_e64 v16, null, s29, v40, vcc_lo
	;; [unrolled: 3-line block ×3, first 2 shown]
	s_clause 0x3
	global_load_u16 v45, v[13:14], off
	global_load_u16 v43, v[19:20], off
	;; [unrolled: 1-line block ×4, first 2 shown]
	s_wait_loadcnt 0x7
	v_lshlrev_b32_e32 v46, 16, v46
	s_wait_loadcnt 0x6
	v_lshlrev_b32_e32 v42, 16, v47
	;; [unrolled: 2-line block ×4, first 2 shown]
	s_and_saveexec_b32 s52, s2
	s_cbranch_execz .LBB546_20
; %bb.24:                               ;   in Loop: Header=BB546_22 Depth=2
	s_clause 0x3
	global_load_u16 v50, v[13:14], off offset:64
	global_load_u16 v49, v[19:20], off offset:64
	global_load_u16 v48, v[15:16], off offset:64
	global_load_u16 v47, v[17:18], off offset:64
	s_and_saveexec_b32 s53, s3
	s_cbranch_execz .LBB546_19
; %bb.25:                               ;   in Loop: Header=BB546_22 Depth=2
	s_clause 0x3
	global_load_u16 v54, v[13:14], off offset:128
	global_load_u16 v53, v[19:20], off offset:128
	global_load_u16 v52, v[15:16], off offset:128
	global_load_u16 v51, v[17:18], off offset:128
	;; [unrolled: 8-line block ×3, first 2 shown]
	s_wait_loadcnt 0x3
	v_lshlrev_b32_e32 v13, 16, v13
	s_wait_loadcnt 0x2
	s_delay_alu instid0(VALU_DEP_1) | instskip(SKIP_3) | instid1(VALU_DEP_2)
	v_dual_fmac_f32 v33, v46, v13 :: v_dual_lshlrev_b32 v14, 16, v14
	s_wait_loadcnt 0x1
	v_lshlrev_b32_e32 v13, 16, v15
	s_wait_loadcnt 0x0
	v_dual_fmac_f32 v33, v42, v14 :: v_dual_lshlrev_b32 v14, 16, v16
	s_delay_alu instid0(VALU_DEP_1) | instskip(NEXT) | instid1(VALU_DEP_1)
	v_fmac_f32_e32 v33, v44, v13
	v_fmac_f32_e32 v33, v40, v14
	s_branch .LBB546_18
.LBB546_27:                             ;   in Loop: Header=BB546_5 Depth=1
	s_or_b32 exec_lo, exec_lo, s49
.LBB546_28:                             ;   in Loop: Header=BB546_5 Depth=1
	s_wait_alu 0xfffe
	s_or_b32 exec_lo, exec_lo, s7
	s_delay_alu instid0(SALU_CYCLE_1)
	s_and_not1_b32 vcc_lo, exec_lo, s36
	s_wait_alu 0xfffe
	s_cbranch_vccnz .LBB546_46
; %bb.29:                               ;   in Loop: Header=BB546_5 Depth=1
	v_cmp_gt_i32_e32 vcc_lo, s37, v34
	v_dual_mov_b32 v36, 0 :: v_dual_mov_b32 v35, 0
	v_or_b32_e32 v13, 1, v34
	v_dual_mov_b32 v38, 0 :: v_dual_mov_b32 v37, 0
	s_and_saveexec_b32 s49, vcc_lo
	s_cbranch_execz .LBB546_37
; %bb.30:                               ;   in Loop: Header=BB546_5 Depth=1
	v_mul_lo_u32 v14, v34, s30
	v_dual_mov_b32 v37, 0 :: v_dual_mov_b32 v36, 0
	v_mov_b32_e32 v35, 0
	s_mov_b32 s50, exec_lo
	s_delay_alu instid0(VALU_DEP_3) | instskip(NEXT) | instid1(VALU_DEP_1)
	v_ashrrev_i32_e32 v15, 31, v14
	v_lshlrev_b64_e32 v[14:15], 1, v[14:15]
	s_delay_alu instid0(VALU_DEP_1) | instskip(SKIP_1) | instid1(VALU_DEP_2)
	v_add_co_u32 v14, s7, s40, v14
	s_wait_alu 0xf1ff
	v_add_co_ci_u32_e64 v15, null, s41, v15, s7
	global_load_u16 v14, v[14:15], off
	v_cmpx_gt_i32_e64 s37, v13
	s_cbranch_execz .LBB546_36
; %bb.31:                               ;   in Loop: Header=BB546_5 Depth=1
	v_mul_lo_u32 v15, v13, s30
	v_dual_mov_b32 v35, 0 :: v_dual_mov_b32 v36, 0
	s_mov_b32 s51, exec_lo
	s_delay_alu instid0(VALU_DEP_2) | instskip(NEXT) | instid1(VALU_DEP_1)
	v_ashrrev_i32_e32 v16, 31, v15
	v_lshlrev_b64_e32 v[15:16], 1, v[15:16]
	s_delay_alu instid0(VALU_DEP_1) | instskip(SKIP_1) | instid1(VALU_DEP_2)
	v_add_co_u32 v15, s7, s40, v15
	s_wait_alu 0xf1ff
	v_add_co_ci_u32_e64 v16, null, s41, v16, s7
	global_load_u16 v15, v[15:16], off
	v_or_b32_e32 v16, 2, v34
	s_delay_alu instid0(VALU_DEP_1)
	v_cmpx_gt_i32_e64 s37, v16
	s_cbranch_execz .LBB546_35
; %bb.32:                               ;   in Loop: Header=BB546_5 Depth=1
	v_mul_lo_u32 v16, v16, s30
	v_mov_b32_e32 v35, 0
	s_mov_b32 s52, exec_lo
	s_delay_alu instid0(VALU_DEP_2) | instskip(NEXT) | instid1(VALU_DEP_1)
	v_ashrrev_i32_e32 v17, 31, v16
	v_lshlrev_b64_e32 v[16:17], 1, v[16:17]
	s_delay_alu instid0(VALU_DEP_1) | instskip(SKIP_1) | instid1(VALU_DEP_2)
	v_add_co_u32 v16, s7, s40, v16
	s_wait_alu 0xf1ff
	v_add_co_ci_u32_e64 v17, null, s41, v17, s7
	global_load_u16 v16, v[16:17], off
	v_or_b32_e32 v17, 3, v34
	s_delay_alu instid0(VALU_DEP_1)
	v_cmpx_gt_i32_e64 s37, v17
	s_cbranch_execz .LBB546_34
; %bb.33:                               ;   in Loop: Header=BB546_5 Depth=1
	v_mul_lo_u32 v17, v17, s30
	s_delay_alu instid0(VALU_DEP_1) | instskip(NEXT) | instid1(VALU_DEP_1)
	v_ashrrev_i32_e32 v18, 31, v17
	v_lshlrev_b64_e32 v[17:18], 1, v[17:18]
	s_delay_alu instid0(VALU_DEP_1) | instskip(SKIP_1) | instid1(VALU_DEP_2)
	v_add_co_u32 v17, s7, s40, v17
	s_wait_alu 0xf1ff
	v_add_co_ci_u32_e64 v18, null, s41, v18, s7
	global_load_u16 v17, v[17:18], off
	s_wait_loadcnt 0x0
	v_lshlrev_b32_e32 v35, 16, v17
.LBB546_34:                             ;   in Loop: Header=BB546_5 Depth=1
	s_or_b32 exec_lo, exec_lo, s52
	s_wait_loadcnt 0x0
	v_lshlrev_b32_e32 v36, 16, v16
.LBB546_35:                             ;   in Loop: Header=BB546_5 Depth=1
	s_wait_alu 0xfffe
	s_or_b32 exec_lo, exec_lo, s51
	s_wait_loadcnt 0x0
	v_lshlrev_b32_e32 v37, 16, v15
.LBB546_36:                             ;   in Loop: Header=BB546_5 Depth=1
	s_wait_alu 0xfffe
	s_or_b32 exec_lo, exec_lo, s50
	s_wait_loadcnt 0x0
	v_lshlrev_b32_e32 v38, 16, v14
.LBB546_37:                             ;   in Loop: Header=BB546_5 Depth=1
	s_wait_alu 0xfffe
	s_or_b32 exec_lo, exec_lo, s49
	s_and_saveexec_b32 s7, s0
	s_cbranch_execz .LBB546_45
; %bb.38:                               ;   in Loop: Header=BB546_5 Depth=1
	v_mul_lo_u32 v15, v34, s33
	v_or_b32_e32 v14, 2, v34
	v_mul_lo_u32 v17, v13, s33
	v_or_b32_e32 v16, 3, v34
	s_delay_alu instid0(VALU_DEP_3) | instskip(NEXT) | instid1(VALU_DEP_2)
	v_mul_lo_u32 v18, v14, s33
	v_mul_lo_u32 v19, v16, s33
	v_cndmask_b32_e32 v15, 0, v15, vcc_lo
	v_cmp_gt_i32_e32 vcc_lo, s37, v13
	s_wait_alu 0xfffd
	v_cndmask_b32_e32 v17, 0, v17, vcc_lo
	v_cmp_gt_i32_e32 vcc_lo, s37, v14
	s_wait_alu 0xfffd
	;; [unrolled: 3-line block ×3, first 2 shown]
	v_dual_cndmask_b32 v16, 0, v19 :: v_dual_add_nc_u32 v13, v15, v21
	v_add_nc_u32_e32 v15, v17, v21
	v_add_nc_u32_e32 v17, v14, v21
	s_delay_alu instid0(VALU_DEP_3) | instskip(NEXT) | instid1(VALU_DEP_4)
	v_ashrrev_i32_e32 v14, 31, v13
	v_add_nc_u32_e32 v19, v16, v21
	s_delay_alu instid0(VALU_DEP_4) | instskip(NEXT) | instid1(VALU_DEP_4)
	v_ashrrev_i32_e32 v16, 31, v15
	v_ashrrev_i32_e32 v18, 31, v17
	s_delay_alu instid0(VALU_DEP_4) | instskip(NEXT) | instid1(VALU_DEP_4)
	v_lshlrev_b64_e32 v[13:14], 1, v[13:14]
	v_ashrrev_i32_e32 v20, 31, v19
	s_delay_alu instid0(VALU_DEP_4) | instskip(NEXT) | instid1(VALU_DEP_4)
	v_lshlrev_b64_e32 v[15:16], 1, v[15:16]
	v_lshlrev_b64_e32 v[39:40], 1, v[17:18]
	s_delay_alu instid0(VALU_DEP_4) | instskip(NEXT) | instid1(VALU_DEP_4)
	v_add_co_u32 v17, vcc_lo, s28, v13
	v_lshlrev_b64_e32 v[41:42], 1, v[19:20]
	s_wait_alu 0xfffd
	v_add_co_ci_u32_e64 v18, null, s29, v14, vcc_lo
	v_add_co_u32 v19, vcc_lo, s28, v15
	s_wait_alu 0xfffd
	v_add_co_ci_u32_e64 v20, null, s29, v16, vcc_lo
	v_add_co_u32 v13, vcc_lo, s28, v39
	;; [unrolled: 3-line block ×3, first 2 shown]
	s_wait_alu 0xfffd
	v_add_co_ci_u32_e64 v16, null, s29, v42, vcc_lo
	s_clause 0x3
	global_load_u16 v41, v[17:18], off
	global_load_u16 v40, v[19:20], off
	global_load_u16 v39, v[13:14], off
	global_load_u16 v34, v[15:16], off
	s_and_saveexec_b32 s28, s2
	s_cbranch_execz .LBB546_44
; %bb.39:                               ;   in Loop: Header=BB546_5 Depth=1
	s_clause 0x3
	global_load_u16 v45, v[17:18], off offset:64
	global_load_u16 v44, v[19:20], off offset:64
	global_load_u16 v43, v[13:14], off offset:64
	global_load_u16 v42, v[15:16], off offset:64
	s_and_saveexec_b32 s29, s3
	s_cbranch_execz .LBB546_43
; %bb.40:                               ;   in Loop: Header=BB546_5 Depth=1
	s_clause 0x3
	global_load_u16 v49, v[17:18], off offset:128
	global_load_u16 v48, v[19:20], off offset:128
	global_load_u16 v47, v[13:14], off offset:128
	global_load_u16 v46, v[15:16], off offset:128
	;; [unrolled: 8-line block ×3, first 2 shown]
	s_wait_loadcnt 0x3
	v_lshlrev_b32_e32 v15, 16, v17
	s_wait_loadcnt 0x2
	v_lshlrev_b32_e32 v16, 16, v18
	;; [unrolled: 2-line block ×3, first 2 shown]
	s_wait_loadcnt 0x0
	v_dual_fmac_f32 v33, v38, v15 :: v_dual_lshlrev_b32 v14, 16, v14
	s_delay_alu instid0(VALU_DEP_1) | instskip(NEXT) | instid1(VALU_DEP_1)
	v_fmac_f32_e32 v33, v37, v16
	v_fmac_f32_e32 v33, v36, v13
	s_delay_alu instid0(VALU_DEP_1)
	v_fmac_f32_e32 v33, v35, v14
.LBB546_42:                             ;   in Loop: Header=BB546_5 Depth=1
	s_wait_alu 0xfffe
	s_or_b32 exec_lo, exec_lo, s40
	s_wait_loadcnt 0x2
	v_lshlrev_b32_e32 v14, 16, v48
	v_lshlrev_b32_e32 v13, 16, v49
	s_wait_loadcnt 0x1
	s_delay_alu instid0(VALU_DEP_1) | instskip(NEXT) | instid1(VALU_DEP_1)
	v_dual_fmac_f32 v32, v38, v13 :: v_dual_lshlrev_b32 v13, 16, v47
	v_fmac_f32_e32 v32, v37, v14
	s_wait_loadcnt 0x0
	s_delay_alu instid0(VALU_DEP_1) | instskip(NEXT) | instid1(VALU_DEP_1)
	v_dual_fmac_f32 v32, v36, v13 :: v_dual_lshlrev_b32 v13, 16, v46
	v_fmac_f32_e32 v32, v35, v13
.LBB546_43:                             ;   in Loop: Header=BB546_5 Depth=1
	s_wait_alu 0xfffe
	s_or_b32 exec_lo, exec_lo, s29
	s_wait_loadcnt 0x3
	v_lshlrev_b32_e32 v13, 16, v45
	s_wait_loadcnt 0x2
	s_delay_alu instid0(VALU_DEP_1) | instskip(SKIP_2) | instid1(VALU_DEP_2)
	v_dual_fmac_f32 v31, v38, v13 :: v_dual_lshlrev_b32 v14, 16, v44
	s_wait_loadcnt 0x1
	v_lshlrev_b32_e32 v13, 16, v43
	v_fmac_f32_e32 v31, v37, v14
	s_delay_alu instid0(VALU_DEP_1) | instskip(SKIP_2) | instid1(VALU_DEP_1)
	v_fmac_f32_e32 v31, v36, v13
	s_wait_loadcnt 0x0
	v_lshlrev_b32_e32 v13, 16, v42
	v_fmac_f32_e32 v31, v35, v13
.LBB546_44:                             ;   in Loop: Header=BB546_5 Depth=1
	s_wait_alu 0xfffe
	s_or_b32 exec_lo, exec_lo, s28
	s_wait_loadcnt 0x2
	v_lshlrev_b32_e32 v14, 16, v40
	v_lshlrev_b32_e32 v13, 16, v41
	s_wait_loadcnt 0x1
	s_delay_alu instid0(VALU_DEP_1) | instskip(NEXT) | instid1(VALU_DEP_1)
	v_dual_fmac_f32 v30, v38, v13 :: v_dual_lshlrev_b32 v13, 16, v39
	v_fmac_f32_e32 v30, v37, v14
	s_wait_loadcnt 0x0
	s_delay_alu instid0(VALU_DEP_1) | instskip(NEXT) | instid1(VALU_DEP_1)
	v_dual_fmac_f32 v30, v36, v13 :: v_dual_lshlrev_b32 v13, 16, v34
	v_fmac_f32_e32 v30, v35, v13
.LBB546_45:                             ;   in Loop: Header=BB546_5 Depth=1
	s_wait_alu 0xfffe
	s_or_b32 exec_lo, exec_lo, s7
.LBB546_46:                             ;   in Loop: Header=BB546_5 Depth=1
	ds_store_2addr_b32 v0, v30, v31 offset1:32
	ds_store_2addr_b32 v0, v32, v33 offset0:64 offset1:96
	s_wait_dscnt 0x0
	s_barrier_signal -1
	s_barrier_wait -1
	global_inv scope:SCOPE_SE
                                        ; implicit-def: $vgpr15
	s_and_saveexec_b32 s7, s5
	s_cbranch_execz .LBB546_68
; %bb.47:                               ;   in Loop: Header=BB546_5 Depth=1
	ds_load_2addr_stride64_b32 v[13:14], v23 offset1:2
	ds_load_2addr_stride64_b32 v[15:16], v23 offset0:4 offset1:6
	ds_load_2addr_stride64_b32 v[17:18], v23 offset0:8 offset1:10
	s_mov_b32 s29, s47
	s_wait_dscnt 0x2
	v_add_f32_e32 v19, v13, v14
	ds_load_2addr_stride64_b32 v[13:14], v23 offset0:12 offset1:14
	s_wait_dscnt 0x2
	v_add_f32_e32 v15, v15, v19
	s_delay_alu instid0(VALU_DEP_1) | instskip(SKIP_3) | instid1(VALU_DEP_1)
	v_add_f32_e32 v19, v16, v15
	ds_load_2addr_stride64_b32 v[15:16], v23 offset0:16 offset1:18
	s_wait_dscnt 0x2
	v_add_f32_e32 v17, v17, v19
	v_add_f32_e32 v19, v18, v17
	ds_load_2addr_stride64_b32 v[17:18], v23 offset0:20 offset1:22
	s_wait_dscnt 0x2
	v_add_f32_e32 v13, v13, v19
	s_delay_alu instid0(VALU_DEP_1) | instskip(SKIP_1) | instid1(VALU_DEP_1)
	v_add_f32_e32 v13, v14, v13
	s_wait_dscnt 0x1
	v_add_f32_e32 v15, v15, v13
	ds_load_2addr_stride64_b32 v[13:14], v23 offset0:24 offset1:26
	v_add_f32_e32 v15, v16, v15
	s_wait_dscnt 0x1
	s_delay_alu instid0(VALU_DEP_1) | instskip(SKIP_3) | instid1(VALU_DEP_1)
	v_add_f32_e32 v17, v17, v15
	ds_load_2addr_stride64_b32 v[15:16], v23 offset0:28 offset1:30
	v_add_f32_e32 v17, v18, v17
	s_wait_dscnt 0x1
	v_add_f32_e32 v13, v13, v17
	s_delay_alu instid0(VALU_DEP_1) | instskip(SKIP_1) | instid1(VALU_DEP_1)
	v_add_f32_e32 v13, v14, v13
	s_wait_dscnt 0x0
	v_add_f32_e32 v13, v15, v13
                                        ; implicit-def: $vgpr15
	s_delay_alu instid0(VALU_DEP_1)
	v_add_f32_e32 v13, v16, v13
	ds_store_b32 v23, v13
	s_and_saveexec_b32 s28, s6
	s_cbranch_execz .LBB546_67
; %bb.48:                               ;   in Loop: Header=BB546_5 Depth=1
	v_mul_f32_e32 v13, v29, v13
	s_cmp_eq_f32 s48, 0
	s_cbranch_scc0 .LBB546_56
; %bb.49:                               ;   in Loop: Header=BB546_5 Depth=1
	s_delay_alu instid0(VALU_DEP_1) | instskip(NEXT) | instid1(VALU_DEP_1)
	v_and_b32_e32 v14, 0x7f800000, v13
	v_cmp_ne_u32_e32 vcc_lo, 0x7f800000, v14
                                        ; implicit-def: $vgpr14
	s_and_saveexec_b32 s29, vcc_lo
	s_wait_alu 0xfffe
	s_xor_b32 s29, exec_lo, s29
; %bb.50:                               ;   in Loop: Header=BB546_5 Depth=1
	v_bfe_u32 v14, v13, 16, 1
	s_delay_alu instid0(VALU_DEP_1)
	v_add3_u32 v14, v13, v14, 0x7fff
; %bb.51:                               ;   in Loop: Header=BB546_5 Depth=1
	s_wait_alu 0xfffe
	s_and_not1_saveexec_b32 s29, s29
; %bb.52:                               ;   in Loop: Header=BB546_5 Depth=1
	v_and_b32_e32 v14, 0xffff, v13
	v_or_b32_e32 v15, 0x10000, v13
	s_delay_alu instid0(VALU_DEP_2) | instskip(SKIP_1) | instid1(VALU_DEP_2)
	v_cmp_eq_u32_e32 vcc_lo, 0, v14
	s_wait_alu 0xfffd
	v_cndmask_b32_e32 v14, v15, v13, vcc_lo
; %bb.53:                               ;   in Loop: Header=BB546_5 Depth=1
	s_wait_alu 0xfffe
	s_or_b32 exec_lo, exec_lo, s29
	s_cbranch_execz .LBB546_57
	s_branch .LBB546_66
.LBB546_54:                             ;   in Loop: Header=BB546_5 Depth=1
	v_mov_b32_e32 v15, 0
	s_mov_b32 s47, exec_lo
	s_wait_alu 0xfffe
	s_or_b32 exec_lo, exec_lo, s28
	s_delay_alu instid0(SALU_CYCLE_1)
	s_and_b32 vcc_lo, exec_lo, s7
	s_wait_alu 0xfffe
	s_cbranch_vccnz .LBB546_16
.LBB546_55:                             ;   in Loop: Header=BB546_5 Depth=1
	v_dual_mov_b32 v14, v3 :: v_dual_mov_b32 v13, v2
	s_and_saveexec_b32 s7, s47
	s_cbranch_execz .LBB546_3
	s_branch .LBB546_69
.LBB546_56:                             ;   in Loop: Header=BB546_5 Depth=1
                                        ; implicit-def: $vgpr14
.LBB546_57:                             ;   in Loop: Header=BB546_5 Depth=1
	v_add_co_u32 v14, vcc_lo, s26, v11
	s_wait_alu 0xfffd
	v_add_co_ci_u32_e64 v15, null, s27, v12, vcc_lo
	global_load_u16 v14, v[14:15], off
	s_wait_loadcnt 0x0
	v_lshlrev_b32_e32 v14, 16, v14
	s_delay_alu instid0(VALU_DEP_1) | instskip(NEXT) | instid1(VALU_DEP_1)
	v_mul_f32_e32 v14, s48, v14
	v_and_b32_e32 v15, 0x7f800000, v14
	s_delay_alu instid0(VALU_DEP_1)
	v_cmp_ne_u32_e32 vcc_lo, 0x7f800000, v15
                                        ; implicit-def: $vgpr15
	s_and_saveexec_b32 s29, vcc_lo
	s_wait_alu 0xfffe
	s_xor_b32 s29, exec_lo, s29
; %bb.58:                               ;   in Loop: Header=BB546_5 Depth=1
	v_bfe_u32 v15, v14, 16, 1
	s_delay_alu instid0(VALU_DEP_1)
	v_add3_u32 v15, v14, v15, 0x7fff
                                        ; implicit-def: $vgpr14
; %bb.59:                               ;   in Loop: Header=BB546_5 Depth=1
	s_wait_alu 0xfffe
	s_and_not1_saveexec_b32 s29, s29
; %bb.60:                               ;   in Loop: Header=BB546_5 Depth=1
	v_and_b32_e32 v15, 0xffff, v14
	v_or_b32_e32 v16, 0x10000, v14
	s_delay_alu instid0(VALU_DEP_2) | instskip(SKIP_1) | instid1(VALU_DEP_2)
	v_cmp_eq_u32_e32 vcc_lo, 0, v15
	s_wait_alu 0xfffd
	v_cndmask_b32_e32 v15, v16, v14, vcc_lo
; %bb.61:                               ;   in Loop: Header=BB546_5 Depth=1
	s_wait_alu 0xfffe
	s_or_b32 exec_lo, exec_lo, s29
	s_delay_alu instid0(VALU_DEP_1) | instskip(NEXT) | instid1(VALU_DEP_1)
	v_and_b32_e32 v14, 0xffff0000, v15
	v_add_f32_e32 v13, v13, v14
	s_delay_alu instid0(VALU_DEP_1) | instskip(NEXT) | instid1(VALU_DEP_1)
	v_and_b32_e32 v14, 0x7f800000, v13
	v_cmp_ne_u32_e32 vcc_lo, 0x7f800000, v14
                                        ; implicit-def: $vgpr14
	s_and_saveexec_b32 s29, vcc_lo
	s_wait_alu 0xfffe
	s_xor_b32 s29, exec_lo, s29
; %bb.62:                               ;   in Loop: Header=BB546_5 Depth=1
	v_bfe_u32 v14, v13, 16, 1
	s_delay_alu instid0(VALU_DEP_1)
	v_add3_u32 v14, v13, v14, 0x7fff
                                        ; implicit-def: $vgpr13
; %bb.63:                               ;   in Loop: Header=BB546_5 Depth=1
	s_wait_alu 0xfffe
	s_and_not1_saveexec_b32 s29, s29
; %bb.64:                               ;   in Loop: Header=BB546_5 Depth=1
	v_and_b32_e32 v14, 0xffff, v13
	v_or_b32_e32 v15, 0x10000, v13
	s_delay_alu instid0(VALU_DEP_2) | instskip(SKIP_1) | instid1(VALU_DEP_2)
	v_cmp_eq_u32_e32 vcc_lo, 0, v14
	s_wait_alu 0xfffd
	v_cndmask_b32_e32 v14, v15, v13, vcc_lo
; %bb.65:                               ;   in Loop: Header=BB546_5 Depth=1
	s_wait_alu 0xfffe
	s_or_b32 exec_lo, exec_lo, s29
.LBB546_66:                             ;   in Loop: Header=BB546_5 Depth=1
	s_delay_alu instid0(VALU_DEP_1)
	v_lshrrev_b32_e32 v15, 16, v14
	s_or_b32 s29, s47, exec_lo
.LBB546_67:                             ;   in Loop: Header=BB546_5 Depth=1
	s_wait_alu 0xfffe
	s_or_b32 exec_lo, exec_lo, s28
	s_delay_alu instid0(SALU_CYCLE_1)
	s_and_not1_b32 s28, s47, exec_lo
	s_and_b32 s29, s29, exec_lo
	s_wait_alu 0xfffe
	s_or_b32 s47, s28, s29
.LBB546_68:                             ;   in Loop: Header=BB546_5 Depth=1
	s_wait_alu 0xfffe
	s_or_b32 exec_lo, exec_lo, s7
	v_dual_mov_b32 v14, v5 :: v_dual_mov_b32 v13, v4
	s_and_saveexec_b32 s7, s47
	s_cbranch_execz .LBB546_3
.LBB546_69:                             ;   in Loop: Header=BB546_5 Depth=1
	s_delay_alu instid0(VALU_DEP_1) | instskip(SKIP_1) | instid1(VALU_DEP_1)
	v_lshlrev_b64_e32 v[13:14], 1, v[13:14]
	s_wait_alu 0xfffe
	v_add_co_u32 v13, vcc_lo, s26, v13
	s_wait_alu 0xfffd
	s_delay_alu instid0(VALU_DEP_2)
	v_add_co_ci_u32_e64 v14, null, s27, v14, vcc_lo
	global_store_b16 v[13:14], v15, off
	s_branch .LBB546_3
.LBB546_70:
	s_endpgm
	.section	.rodata,"a",@progbits
	.p2align	6, 0x0
	.amdhsa_kernel _ZL20rocblas_gemvn_kernelILi32ELi16Ei16rocblas_bfloat16PKfS0_EviiT3_lPKT2_lT1_lS6_lS7_lS3_lPT4_lS7_li
		.amdhsa_group_segment_fixed_size 8192
		.amdhsa_private_segment_fixed_size 0
		.amdhsa_kernarg_size 400
		.amdhsa_user_sgpr_count 2
		.amdhsa_user_sgpr_dispatch_ptr 0
		.amdhsa_user_sgpr_queue_ptr 0
		.amdhsa_user_sgpr_kernarg_segment_ptr 1
		.amdhsa_user_sgpr_dispatch_id 0
		.amdhsa_user_sgpr_private_segment_size 0
		.amdhsa_wavefront_size32 1
		.amdhsa_uses_dynamic_stack 0
		.amdhsa_enable_private_segment 0
		.amdhsa_system_sgpr_workgroup_id_x 1
		.amdhsa_system_sgpr_workgroup_id_y 0
		.amdhsa_system_sgpr_workgroup_id_z 1
		.amdhsa_system_sgpr_workgroup_info 0
		.amdhsa_system_vgpr_workitem_id 1
		.amdhsa_next_free_vgpr 55
		.amdhsa_next_free_sgpr 55
		.amdhsa_reserve_vcc 1
		.amdhsa_float_round_mode_32 0
		.amdhsa_float_round_mode_16_64 0
		.amdhsa_float_denorm_mode_32 3
		.amdhsa_float_denorm_mode_16_64 3
		.amdhsa_fp16_overflow 0
		.amdhsa_workgroup_processor_mode 1
		.amdhsa_memory_ordered 1
		.amdhsa_forward_progress 1
		.amdhsa_inst_pref_size 31
		.amdhsa_round_robin_scheduling 0
		.amdhsa_exception_fp_ieee_invalid_op 0
		.amdhsa_exception_fp_denorm_src 0
		.amdhsa_exception_fp_ieee_div_zero 0
		.amdhsa_exception_fp_ieee_overflow 0
		.amdhsa_exception_fp_ieee_underflow 0
		.amdhsa_exception_fp_ieee_inexact 0
		.amdhsa_exception_int_div_zero 0
	.end_amdhsa_kernel
	.section	.text._ZL20rocblas_gemvn_kernelILi32ELi16Ei16rocblas_bfloat16PKfS0_EviiT3_lPKT2_lT1_lS6_lS7_lS3_lPT4_lS7_li,"axG",@progbits,_ZL20rocblas_gemvn_kernelILi32ELi16Ei16rocblas_bfloat16PKfS0_EviiT3_lPKT2_lT1_lS6_lS7_lS3_lPT4_lS7_li,comdat
.Lfunc_end546:
	.size	_ZL20rocblas_gemvn_kernelILi32ELi16Ei16rocblas_bfloat16PKfS0_EviiT3_lPKT2_lT1_lS6_lS7_lS3_lPT4_lS7_li, .Lfunc_end546-_ZL20rocblas_gemvn_kernelILi32ELi16Ei16rocblas_bfloat16PKfS0_EviiT3_lPKT2_lT1_lS6_lS7_lS3_lPT4_lS7_li
                                        ; -- End function
	.set _ZL20rocblas_gemvn_kernelILi32ELi16Ei16rocblas_bfloat16PKfS0_EviiT3_lPKT2_lT1_lS6_lS7_lS3_lPT4_lS7_li.num_vgpr, 55
	.set _ZL20rocblas_gemvn_kernelILi32ELi16Ei16rocblas_bfloat16PKfS0_EviiT3_lPKT2_lT1_lS6_lS7_lS3_lPT4_lS7_li.num_agpr, 0
	.set _ZL20rocblas_gemvn_kernelILi32ELi16Ei16rocblas_bfloat16PKfS0_EviiT3_lPKT2_lT1_lS6_lS7_lS3_lPT4_lS7_li.numbered_sgpr, 55
	.set _ZL20rocblas_gemvn_kernelILi32ELi16Ei16rocblas_bfloat16PKfS0_EviiT3_lPKT2_lT1_lS6_lS7_lS3_lPT4_lS7_li.num_named_barrier, 0
	.set _ZL20rocblas_gemvn_kernelILi32ELi16Ei16rocblas_bfloat16PKfS0_EviiT3_lPKT2_lT1_lS6_lS7_lS3_lPT4_lS7_li.private_seg_size, 0
	.set _ZL20rocblas_gemvn_kernelILi32ELi16Ei16rocblas_bfloat16PKfS0_EviiT3_lPKT2_lT1_lS6_lS7_lS3_lPT4_lS7_li.uses_vcc, 1
	.set _ZL20rocblas_gemvn_kernelILi32ELi16Ei16rocblas_bfloat16PKfS0_EviiT3_lPKT2_lT1_lS6_lS7_lS3_lPT4_lS7_li.uses_flat_scratch, 0
	.set _ZL20rocblas_gemvn_kernelILi32ELi16Ei16rocblas_bfloat16PKfS0_EviiT3_lPKT2_lT1_lS6_lS7_lS3_lPT4_lS7_li.has_dyn_sized_stack, 0
	.set _ZL20rocblas_gemvn_kernelILi32ELi16Ei16rocblas_bfloat16PKfS0_EviiT3_lPKT2_lT1_lS6_lS7_lS3_lPT4_lS7_li.has_recursion, 0
	.set _ZL20rocblas_gemvn_kernelILi32ELi16Ei16rocblas_bfloat16PKfS0_EviiT3_lPKT2_lT1_lS6_lS7_lS3_lPT4_lS7_li.has_indirect_call, 0
	.section	.AMDGPU.csdata,"",@progbits
; Kernel info:
; codeLenInByte = 3892
; TotalNumSgprs: 57
; NumVgprs: 55
; ScratchSize: 0
; MemoryBound: 0
; FloatMode: 240
; IeeeMode: 1
; LDSByteSize: 8192 bytes/workgroup (compile time only)
; SGPRBlocks: 0
; VGPRBlocks: 6
; NumSGPRsForWavesPerEU: 57
; NumVGPRsForWavesPerEU: 55
; Occupancy: 16
; WaveLimiterHint : 1
; COMPUTE_PGM_RSRC2:SCRATCH_EN: 0
; COMPUTE_PGM_RSRC2:USER_SGPR: 2
; COMPUTE_PGM_RSRC2:TRAP_HANDLER: 0
; COMPUTE_PGM_RSRC2:TGID_X_EN: 1
; COMPUTE_PGM_RSRC2:TGID_Y_EN: 0
; COMPUTE_PGM_RSRC2:TGID_Z_EN: 1
; COMPUTE_PGM_RSRC2:TIDIG_COMP_CNT: 1
	.section	.text._ZL20rocblas_gemvn_kernelILi32ELi16El16rocblas_bfloat16PKfS0_EviiT3_lPKT2_lT1_lS6_lS7_lS3_lPT4_lS7_li,"axG",@progbits,_ZL20rocblas_gemvn_kernelILi32ELi16El16rocblas_bfloat16PKfS0_EviiT3_lPKT2_lT1_lS6_lS7_lS3_lPT4_lS7_li,comdat
	.globl	_ZL20rocblas_gemvn_kernelILi32ELi16El16rocblas_bfloat16PKfS0_EviiT3_lPKT2_lT1_lS6_lS7_lS3_lPT4_lS7_li ; -- Begin function _ZL20rocblas_gemvn_kernelILi32ELi16El16rocblas_bfloat16PKfS0_EviiT3_lPKT2_lT1_lS6_lS7_lS3_lPT4_lS7_li
	.p2align	8
	.type	_ZL20rocblas_gemvn_kernelILi32ELi16El16rocblas_bfloat16PKfS0_EviiT3_lPKT2_lT1_lS6_lS7_lS3_lPT4_lS7_li,@function
_ZL20rocblas_gemvn_kernelILi32ELi16El16rocblas_bfloat16PKfS0_EviiT3_lPKT2_lT1_lS6_lS7_lS3_lPT4_lS7_li: ; @_ZL20rocblas_gemvn_kernelILi32ELi16El16rocblas_bfloat16PKfS0_EviiT3_lPKT2_lT1_lS6_lS7_lS3_lPT4_lS7_li
; %bb.0:
	s_load_b64 s[2:3], s[0:1], 0x9c
	s_wait_kmcnt 0x0
	s_lshr_b32 s4, s2, 16
	s_and_b32 s2, s2, 0xffff
	s_and_b32 s3, s3, 0xffff
	s_mul_i32 s2, s4, s2
	s_delay_alu instid0(SALU_CYCLE_1) | instskip(NEXT) | instid1(SALU_CYCLE_1)
	s_mul_i32 s2, s2, s3
	s_cmp_lg_u32 s2, 0x200
	s_cbranch_scc1 .LBB547_70
; %bb.1:
	s_load_b32 s33, s[0:1], 0x88
	s_lshr_b32 s10, ttmp7, 16
	s_wait_kmcnt 0x0
	s_cmp_ge_u32 s10, s33
	s_cbranch_scc1 .LBB547_70
; %bb.2:
	s_clause 0x2
	s_load_b512 s[12:27], s[0:1], 0x8
	s_load_b512 s[36:51], s[0:1], 0x48
	s_load_b64 s[8:9], s[0:1], 0x0
	v_and_b32_e32 v5, 0x3ff, v0
	v_bfe_u32 v17, v0, 10, 10
	s_lshl_b32 s34, ttmp9, 7
	s_mov_b32 s11, 0
	s_delay_alu instid0(VALU_DEP_2) | instskip(NEXT) | instid1(VALU_DEP_2)
	v_dual_mov_b32 v1, 0 :: v_dual_add_nc_u32 v6, s34, v5
	v_lshlrev_b32_e32 v18, 2, v17
	v_lshl_add_u32 v10, v17, 5, v5
	s_delay_alu instid0(VALU_DEP_3) | instskip(SKIP_1) | instid1(VALU_DEP_4)
	v_add_nc_u32_e32 v8, 64, v6
	v_add_nc_u32_e32 v9, 0x60, v6
	v_or_b32_e32 v20, 3, v18
	s_delay_alu instid0(VALU_DEP_4)
	v_add_nc_u32_e32 v0, s34, v10
	v_or_b32_e32 v21, s34, v10
	v_ashrrev_i32_e32 v7, 31, v6
	s_wait_kmcnt 0x0
	s_lshl_b64 s[4:5], s[18:19], 1
	s_lshl_b64 s[18:19], s[26:27], 1
	s_ashr_i32 s28, s9, 31
	s_add_nc_u64 s[16:17], s[16:17], s[4:5]
	s_lshr_b32 s4, s28, 26
	s_lshl_b64 s[6:7], s[46:47], 1
	s_add_co_i32 s52, s9, s4
	s_ashr_i32 s31, s8, 31
	s_and_not1_b32 s52, s52, 63
	v_cmp_gt_i32_e64 s2, s8, v8
	s_sub_co_i32 s5, s9, s52
	v_cmp_gt_i32_e64 s3, s8, v9
	s_cmp_gt_i32 s5, 0
	v_mad_co_u64_u32 v[8:9], null, s36, v17, 0
	v_cmp_gt_u32_e64 s5, 0x80, v10
	v_mad_co_u64_u32 v[10:11], null, s20, v20, 0
	s_mov_b32 s30, s8
	s_add_nc_u64 s[28:29], s[44:45], s[6:7]
	s_cselect_b32 s53, -1, 0
	v_mul_lo_u32 v22, s49, v21
	s_ashr_i32 s6, s34, 31
	v_cmp_gt_i32_e64 s0, s8, v6
	v_mad_co_u64_u32 v[12:13], null, s37, v17, v[9:10]
	v_mov_b32_e32 v9, v11
	v_mad_co_u64_u32 v[13:14], null, s36, v20, 0
	v_or_b32_e32 v24, 2, v18
	s_mul_i32 s7, s48, s6
	s_delay_alu instid0(VALU_DEP_3)
	v_mad_co_u64_u32 v[15:16], null, s21, v20, v[9:10]
	v_mov_b32_e32 v9, v12
	v_mad_co_u64_u32 v[2:3], null, s48, v0, 0
	v_add_nc_u32_e32 v4, 32, v6
	v_mov_b32_e32 v12, v14
	v_cmp_gt_i64_e32 vcc_lo, s[30:31], v[0:1]
	v_lshlrev_b64_e32 v[8:9], 3, v[8:9]
	v_mov_b32_e32 v11, v15
	v_cmp_gt_i32_e64 s1, s8, v4
	v_mad_co_u64_u32 v[3:4], null, s49, v0, v[3:4]
	v_lshlrev_b32_e32 v4, 2, v5
	v_mad_co_u64_u32 v[14:15], null, s37, v20, v[12:13]
	v_mad_co_u64_u32 v[15:16], null, s20, v17, 0
	s_delay_alu instid0(VALU_DEP_3)
	v_lshl_add_u32 v0, v17, 9, v4
	v_lshl_add_u32 v19, v17, 7, v4
	v_mad_co_u64_u32 v[4:5], null, s48, v21, 0
	s_and_b32 s54, s5, vcc_lo
	v_add_co_u32 v20, vcc_lo, s24, v8
	v_cmp_gt_i32_e64 s6, s8, v21
	v_add_co_ci_u32_e64 v21, null, s25, v9, vcc_lo
	v_lshlrev_b64_e32 v[8:9], 1, v[10:11]
	v_mad_co_u64_u32 v[11:12], null, s20, v24, 0
	v_mov_b32_e32 v10, v16
	v_add3_u32 v5, v5, s7, v22
	v_mad_co_u64_u32 v[28:29], null, s36, v24, 0
	v_add_co_u32 v22, vcc_lo, s16, v8
	s_delay_alu instid0(VALU_DEP_4)
	v_mad_co_u64_u32 v[16:17], null, s21, v17, v[10:11]
	s_wait_alu 0xfffd
	v_add_co_ci_u32_e64 v23, null, s17, v9, vcc_lo
	v_lshlrev_b64_e32 v[9:10], 1, v[13:14]
	v_mov_b32_e32 v8, v12
	v_mov_b32_e32 v12, v29
	v_mad_co_u64_u32 v[30:31], null, s36, v18, s[36:37]
	v_mad_co_u64_u32 v[32:33], null, s20, v18, s[20:21]
	s_delay_alu instid0(VALU_DEP_4)
	v_mad_co_u64_u32 v[13:14], null, s21, v24, v[8:9]
	v_lshlrev_b64_e32 v[6:7], 1, v[6:7]
	v_cmp_gt_i32_e64 s4, s52, v18
	v_mov_b32_e32 v8, v31
	s_add_nc_u64 s[26:27], s[24:25], s[18:19]
	s_lshl_b64 s[30:31], s[38:39], 1
	s_lshl_b64 s[34:35], s[22:23], 1
	v_mad_co_u64_u32 v[26:27], null, s37, v24, v[12:13]
	v_add_co_u32 v24, vcc_lo, s24, v9
	s_wait_alu 0xfffd
	v_add_co_ci_u32_e64 v25, null, s25, v10, vcc_lo
	v_lshlrev_b64_e32 v[9:10], 3, v[15:16]
	s_delay_alu instid0(VALU_DEP_4) | instskip(SKIP_1) | instid1(VALU_DEP_2)
	v_dual_mov_b32 v12, v13 :: v_dual_mov_b32 v29, v26
	s_lshl_b64 s[44:45], s[20:21], 7
	v_add_co_u32 v26, vcc_lo, s16, v9
	v_mad_co_u64_u32 v[13:14], null, s37, v18, v[8:9]
	s_wait_alu 0xfffd
	v_add_co_ci_u32_e64 v27, null, s17, v10, vcc_lo
	v_lshlrev_b64_e32 v[9:10], 1, v[11:12]
	v_mov_b32_e32 v8, v33
	v_lshlrev_b64_e32 v[14:15], 1, v[28:29]
	v_mov_b32_e32 v31, v13
	s_delay_alu instid0(VALU_DEP_3) | instskip(SKIP_1) | instid1(VALU_DEP_3)
	v_mad_co_u64_u32 v[11:12], null, s21, v18, v[8:9]
	v_add_co_u32 v28, vcc_lo, s16, v9
	v_lshlrev_b64_e32 v[8:9], 1, v[30:31]
	s_wait_alu 0xfffd
	v_add_co_ci_u32_e64 v29, null, s17, v10, vcc_lo
	v_add_co_u32 v30, vcc_lo, s24, v14
	v_mov_b32_e32 v33, v11
	s_wait_alu 0xfffd
	v_add_co_ci_u32_e64 v31, null, s25, v15, vcc_lo
	s_delay_alu instid0(VALU_DEP_2) | instskip(SKIP_4) | instid1(VALU_DEP_4)
	v_lshlrev_b64_e32 v[10:11], 1, v[32:33]
	v_add_co_u32 v32, vcc_lo, s24, v8
	s_wait_alu 0xfffd
	v_add_co_ci_u32_e64 v33, null, s25, v9, vcc_lo
	v_lshlrev_b64_e32 v[8:9], 1, v[2:3]
	v_add_co_u32 v34, vcc_lo, s16, v10
	s_wait_alu 0xfffd
	v_add_co_ci_u32_e64 v35, null, s17, v11, vcc_lo
	s_lshl_b64 s[24:25], s[36:37], 7
	s_branch .LBB547_5
.LBB547_3:                              ;   in Loop: Header=BB547_5 Depth=1
	s_wait_alu 0xfffe
	s_or_b32 exec_lo, exec_lo, s7
.LBB547_4:                              ;   in Loop: Header=BB547_5 Depth=1
	s_add_co_i32 s10, s10, 0x10000
	s_delay_alu instid0(SALU_CYCLE_1)
	s_cmp_lt_u32 s10, s33
	s_cbranch_scc0 .LBB547_70
.LBB547_5:                              ; =>This Loop Header: Depth=1
                                        ;     Child Loop BB547_22 Depth 2
	s_mul_u64 s[46:47], s[14:15], s[10:11]
	s_mul_u64 s[48:49], s[42:43], s[10:11]
	s_wait_alu 0xfffe
	s_lshl_b64 s[46:47], s[46:47], 2
	s_lshl_b64 s[48:49], s[48:49], 2
	s_wait_alu 0xfffe
	s_add_nc_u64 s[46:47], s[12:13], s[46:47]
	s_add_nc_u64 s[48:49], s[40:41], s[48:49]
	s_clause 0x1
	global_load_b32 v36, v1, s[46:47]
	global_load_b32 v10, v1, s[48:49]
	s_wait_loadcnt 0x1
	v_cmp_eq_f32_e32 vcc_lo, 0, v36
	s_wait_loadcnt 0x0
	v_cmp_eq_f32_e64 s7, 1.0, v10
	v_readfirstlane_b32 s56, v10
	s_and_b32 s7, vcc_lo, s7
	s_wait_alu 0xfffe
	s_and_b32 vcc_lo, exec_lo, s7
	s_wait_alu 0xfffe
	s_cbranch_vccnz .LBB547_4
; %bb.6:                                ;   in Loop: Header=BB547_5 Depth=1
	v_cmp_neq_f32_e32 vcc_lo, 0, v36
	s_mul_u64 s[46:47], s[50:51], s[10:11]
	s_wait_alu 0xfffe
	s_lshl_b64 s[46:47], s[46:47], 1
	s_wait_alu 0xfffe
	s_add_nc_u64 s[46:47], s[28:29], s[46:47]
	s_cbranch_vccnz .LBB547_14
; %bb.7:                                ;   in Loop: Header=BB547_5 Depth=1
	s_mov_b32 s7, 0
	s_mov_b32 s55, 0
                                        ; implicit-def: $vgpr12
	s_and_saveexec_b32 s8, s54
	s_cbranch_execz .LBB547_15
; %bb.8:                                ;   in Loop: Header=BB547_5 Depth=1
	s_cmp_eq_f32 s56, 0
	s_cbranch_scc1 .LBB547_54
; %bb.9:                                ;   in Loop: Header=BB547_5 Depth=1
	s_wait_alu 0xfffe
	v_add_co_u32 v10, vcc_lo, s46, v8
	s_wait_alu 0xfffd
	v_add_co_ci_u32_e64 v11, null, s47, v9, vcc_lo
	global_load_u16 v10, v[10:11], off
	s_wait_loadcnt 0x0
	v_lshlrev_b32_e32 v10, 16, v10
	s_delay_alu instid0(VALU_DEP_1) | instskip(NEXT) | instid1(VALU_DEP_1)
	v_mul_f32_e32 v10, s56, v10
	v_and_b32_e32 v11, 0x7f800000, v10
	s_delay_alu instid0(VALU_DEP_1)
	v_cmp_ne_u32_e32 vcc_lo, 0x7f800000, v11
                                        ; implicit-def: $vgpr11
	s_and_saveexec_b32 s48, vcc_lo
	s_wait_alu 0xfffe
	s_xor_b32 s48, exec_lo, s48
; %bb.10:                               ;   in Loop: Header=BB547_5 Depth=1
	v_bfe_u32 v11, v10, 16, 1
	s_delay_alu instid0(VALU_DEP_1)
	v_add3_u32 v11, v10, v11, 0x7fff
                                        ; implicit-def: $vgpr10
; %bb.11:                               ;   in Loop: Header=BB547_5 Depth=1
	s_wait_alu 0xfffe
	s_and_not1_saveexec_b32 s48, s48
; %bb.12:                               ;   in Loop: Header=BB547_5 Depth=1
	v_and_b32_e32 v11, 0xffff, v10
	v_or_b32_e32 v12, 0x10000, v10
	s_delay_alu instid0(VALU_DEP_2) | instskip(SKIP_1) | instid1(VALU_DEP_2)
	v_cmp_eq_u32_e32 vcc_lo, 0, v11
	s_wait_alu 0xfffd
	v_cndmask_b32_e32 v11, v12, v10, vcc_lo
; %bb.13:                               ;   in Loop: Header=BB547_5 Depth=1
	s_wait_alu 0xfffe
	s_or_b32 exec_lo, exec_lo, s48
	s_delay_alu instid0(VALU_DEP_1) | instskip(SKIP_2) | instid1(SALU_CYCLE_1)
	v_lshrrev_b32_e32 v12, 16, v11
	s_mov_b32 s55, exec_lo
	s_or_b32 exec_lo, exec_lo, s8
	s_and_b32 vcc_lo, exec_lo, s7
	s_wait_alu 0xfffe
	s_cbranch_vccnz .LBB547_16
	s_branch .LBB547_55
.LBB547_14:                             ;   in Loop: Header=BB547_5 Depth=1
	s_mov_b32 s55, 0
                                        ; implicit-def: $vgpr12
	s_cbranch_execnz .LBB547_16
	s_branch .LBB547_55
.LBB547_15:                             ;   in Loop: Header=BB547_5 Depth=1
	s_wait_alu 0xfffe
	s_or_b32 exec_lo, exec_lo, s8
	s_delay_alu instid0(SALU_CYCLE_1)
	s_and_b32 vcc_lo, exec_lo, s7
	s_wait_alu 0xfffe
	s_cbranch_vccz .LBB547_55
.LBB547_16:                             ;   in Loop: Header=BB547_5 Depth=1
	v_dual_mov_b32 v37, 0 :: v_dual_mov_b32 v38, 0
	v_dual_mov_b32 v41, v18 :: v_dual_mov_b32 v40, 0
	v_mov_b32_e32 v39, 0
	s_and_saveexec_b32 s8, s4
	s_cbranch_execz .LBB547_28
; %bb.17:                               ;   in Loop: Header=BB547_5 Depth=1
	s_mul_u64 s[48:49], s[30:31], s[10:11]
	s_mul_u64 s[58:59], s[34:35], s[10:11]
	s_wait_alu 0xfffe
	v_add_co_u32 v42, vcc_lo, v20, s48
	s_wait_alu 0xfffd
	v_add_co_ci_u32_e64 v43, null, s49, v21, vcc_lo
	v_add_co_u32 v44, vcc_lo, v22, s58
	s_wait_alu 0xfffd
	v_add_co_ci_u32_e64 v45, null, s59, v23, vcc_lo
	;; [unrolled: 3-line block ×8, first 2 shown]
	v_dual_mov_b32 v37, 0 :: v_dual_mov_b32 v38, 0
	v_dual_mov_b32 v41, v18 :: v_dual_mov_b32 v40, 0
	v_mov_b32_e32 v39, 0
	s_mov_b32 s48, 0
	s_branch .LBB547_22
.LBB547_18:                             ;   in Loop: Header=BB547_22 Depth=2
	s_wait_alu 0xfffe
	s_or_b32 exec_lo, exec_lo, s58
	s_wait_loadcnt 0x2
	v_lshlrev_b32_e32 v11, 16, v72
	v_lshlrev_b32_e32 v10, 16, v73
	s_wait_loadcnt 0x1
	s_delay_alu instid0(VALU_DEP_1) | instskip(NEXT) | instid1(VALU_DEP_1)
	v_dual_fmac_f32 v39, v65, v10 :: v_dual_lshlrev_b32 v10, 16, v71
	v_fmac_f32_e32 v39, v61, v11
	s_delay_alu instid0(VALU_DEP_1) | instskip(SKIP_2) | instid1(VALU_DEP_1)
	v_fmac_f32_e32 v39, v63, v10
	s_wait_loadcnt 0x0
	v_lshlrev_b32_e32 v10, 16, v70
	v_fmac_f32_e32 v39, v59, v10
.LBB547_19:                             ;   in Loop: Header=BB547_22 Depth=2
	s_wait_alu 0xfffe
	s_or_b32 exec_lo, exec_lo, s57
	s_wait_loadcnt 0x3
	v_lshlrev_b32_e32 v10, 16, v69
	s_wait_loadcnt 0x2
	s_delay_alu instid0(VALU_DEP_1) | instskip(SKIP_2) | instid1(VALU_DEP_2)
	v_dual_fmac_f32 v38, v65, v10 :: v_dual_lshlrev_b32 v11, 16, v68
	s_wait_loadcnt 0x1
	v_lshlrev_b32_e32 v10, 16, v67
	v_fmac_f32_e32 v38, v61, v11
	s_delay_alu instid0(VALU_DEP_1) | instskip(SKIP_2) | instid1(VALU_DEP_1)
	v_fmac_f32_e32 v38, v63, v10
	s_wait_loadcnt 0x0
	v_lshlrev_b32_e32 v10, 16, v66
	v_fmac_f32_e32 v38, v59, v10
.LBB547_20:                             ;   in Loop: Header=BB547_22 Depth=2
	s_wait_alu 0xfffe
	s_or_b32 exec_lo, exec_lo, s49
	s_wait_loadcnt 0x2
	v_lshlrev_b32_e32 v11, 16, v62
	v_lshlrev_b32_e32 v10, 16, v64
	s_wait_loadcnt 0x1
	s_delay_alu instid0(VALU_DEP_1) | instskip(NEXT) | instid1(VALU_DEP_1)
	v_dual_fmac_f32 v37, v65, v10 :: v_dual_lshlrev_b32 v10, 16, v60
	v_fmac_f32_e32 v37, v61, v11
	s_delay_alu instid0(VALU_DEP_1) | instskip(SKIP_2) | instid1(VALU_DEP_1)
	v_fmac_f32_e32 v37, v63, v10
	s_wait_loadcnt 0x0
	v_lshlrev_b32_e32 v10, 16, v58
	v_fmac_f32_e32 v37, v59, v10
.LBB547_21:                             ;   in Loop: Header=BB547_22 Depth=2
	s_wait_alu 0xfffe
	s_or_b32 exec_lo, exec_lo, s7
	v_add_co_u32 v42, vcc_lo, v42, s24
	s_wait_alu 0xfffd
	v_add_co_ci_u32_e64 v43, null, s25, v43, vcc_lo
	v_add_co_u32 v44, vcc_lo, v44, s44
	s_wait_alu 0xfffd
	v_add_co_ci_u32_e64 v45, null, s45, v45, vcc_lo
	;; [unrolled: 3-line block ×4, first 2 shown]
	v_add_co_u32 v50, vcc_lo, v50, s44
	v_add_nc_u32_e32 v41, 64, v41
	s_wait_alu 0xfffd
	v_add_co_ci_u32_e64 v51, null, s45, v51, vcc_lo
	v_add_co_u32 v52, vcc_lo, v52, s24
	s_wait_alu 0xfffd
	v_add_co_ci_u32_e64 v53, null, s25, v53, vcc_lo
	v_add_co_u32 v54, vcc_lo, v54, s24
	s_wait_alu 0xfffd
	v_add_co_ci_u32_e64 v55, null, s25, v55, vcc_lo
	v_cmp_le_i32_e32 vcc_lo, s52, v41
	v_add_co_u32 v56, s7, v56, s44
	s_wait_alu 0xf1ff
	v_add_co_ci_u32_e64 v57, null, s45, v57, s7
	s_or_b32 s48, vcc_lo, s48
	s_wait_alu 0xfffe
	s_and_not1_b32 exec_lo, exec_lo, s48
	s_cbranch_execz .LBB547_27
.LBB547_22:                             ;   Parent Loop BB547_5 Depth=1
                                        ; =>  This Inner Loop Header: Depth=2
	s_and_saveexec_b32 s7, s0
	s_cbranch_execz .LBB547_21
; %bb.23:                               ;   in Loop: Header=BB547_22 Depth=2
	v_add_co_u32 v10, vcc_lo, v42, s18
	s_wait_alu 0xfffd
	v_add_co_ci_u32_e64 v11, null, s19, v43, vcc_lo
	v_add_co_u32 v12, vcc_lo, v54, s18
	s_wait_alu 0xfffd
	v_add_co_ci_u32_e64 v13, null, s19, v55, vcc_lo
	;; [unrolled: 3-line block ×4, first 2 shown]
	global_load_u16 v59, v[10:11], off
	global_load_u16 v61, v[12:13], off
	;; [unrolled: 1-line block ×4, first 2 shown]
	v_add_co_u32 v10, vcc_lo, v48, v6
	s_wait_alu 0xfffd
	v_add_co_ci_u32_e64 v11, null, v49, v7, vcc_lo
	v_add_co_u32 v14, vcc_lo, v56, v6
	s_wait_alu 0xfffd
	v_add_co_ci_u32_e64 v15, null, v57, v7, vcc_lo
	;; [unrolled: 3-line block ×4, first 2 shown]
	global_load_u16 v64, v[10:11], off
	global_load_u16 v62, v[14:15], off
	;; [unrolled: 1-line block ×4, first 2 shown]
	s_wait_loadcnt 0x7
	v_lshlrev_b32_e32 v65, 16, v59
	s_wait_loadcnt 0x6
	v_lshlrev_b32_e32 v61, 16, v61
	;; [unrolled: 2-line block ×4, first 2 shown]
	s_and_saveexec_b32 s49, s1
	s_cbranch_execz .LBB547_20
; %bb.24:                               ;   in Loop: Header=BB547_22 Depth=2
	global_load_u16 v69, v[10:11], off offset:64
	global_load_u16 v68, v[14:15], off offset:64
	global_load_u16 v67, v[12:13], off offset:64
	global_load_u16 v66, v[16:17], off offset:64
	s_and_saveexec_b32 s57, s2
	s_cbranch_execz .LBB547_19
; %bb.25:                               ;   in Loop: Header=BB547_22 Depth=2
	global_load_u16 v73, v[10:11], off offset:128
	global_load_u16 v72, v[14:15], off offset:128
	global_load_u16 v71, v[12:13], off offset:128
	global_load_u16 v70, v[16:17], off offset:128
	;; [unrolled: 7-line block ×3, first 2 shown]
	s_wait_loadcnt 0x3
	v_lshlrev_b32_e32 v10, 16, v10
	s_wait_loadcnt 0x2
	s_delay_alu instid0(VALU_DEP_1) | instskip(SKIP_3) | instid1(VALU_DEP_2)
	v_dual_fmac_f32 v40, v65, v10 :: v_dual_lshlrev_b32 v11, 16, v11
	s_wait_loadcnt 0x1
	v_lshlrev_b32_e32 v10, 16, v12
	s_wait_loadcnt 0x0
	v_dual_fmac_f32 v40, v61, v11 :: v_dual_lshlrev_b32 v11, 16, v13
	s_delay_alu instid0(VALU_DEP_1) | instskip(NEXT) | instid1(VALU_DEP_1)
	v_fmac_f32_e32 v40, v63, v10
	v_fmac_f32_e32 v40, v59, v11
	s_branch .LBB547_18
.LBB547_27:                             ;   in Loop: Header=BB547_5 Depth=1
	s_or_b32 exec_lo, exec_lo, s48
.LBB547_28:                             ;   in Loop: Header=BB547_5 Depth=1
	s_wait_alu 0xfffe
	s_or_b32 exec_lo, exec_lo, s8
	s_delay_alu instid0(SALU_CYCLE_1)
	s_and_not1_b32 vcc_lo, exec_lo, s53
	s_wait_alu 0xfffe
	s_cbranch_vccnz .LBB547_46
; %bb.29:                               ;   in Loop: Header=BB547_5 Depth=1
	v_cmp_gt_i32_e32 vcc_lo, s9, v41
	v_dual_mov_b32 v43, 0 :: v_dual_mov_b32 v42, 0
	v_or_b32_e32 v10, 1, v41
	v_dual_mov_b32 v45, 0 :: v_dual_mov_b32 v44, 0
	s_and_saveexec_b32 s8, vcc_lo
	s_cbranch_execz .LBB547_37
; %bb.30:                               ;   in Loop: Header=BB547_5 Depth=1
	v_mad_co_u64_u32 v[11:12], null, s36, v41, 0
	s_mul_u64 s[48:49], s[38:39], s[10:11]
	v_dual_mov_b32 v44, 0 :: v_dual_mov_b32 v43, 0
	s_wait_alu 0xfffe
	s_lshl_b64 s[48:49], s[48:49], 1
	v_mov_b32_e32 v42, 0
	s_wait_alu 0xfffe
	s_add_nc_u64 s[48:49], s[26:27], s[48:49]
	v_mad_co_u64_u32 v[12:13], null, s37, v41, v[12:13]
	s_mov_b32 s57, exec_lo
	v_lshlrev_b64_e32 v[11:12], 1, v[11:12]
	s_wait_alu 0xfffe
	s_delay_alu instid0(VALU_DEP_1) | instskip(SKIP_1) | instid1(VALU_DEP_2)
	v_add_co_u32 v11, s7, s48, v11
	s_wait_alu 0xf1ff
	v_add_co_ci_u32_e64 v12, null, s49, v12, s7
	global_load_u16 v11, v[11:12], off
	v_cmpx_gt_i32_e64 s9, v10
	s_cbranch_execz .LBB547_36
; %bb.31:                               ;   in Loop: Header=BB547_5 Depth=1
	v_mad_co_u64_u32 v[12:13], null, s36, v10, 0
	v_dual_mov_b32 v42, 0 :: v_dual_mov_b32 v43, 0
	s_mov_b32 s58, exec_lo
	s_delay_alu instid0(VALU_DEP_2) | instskip(NEXT) | instid1(VALU_DEP_1)
	v_mad_co_u64_u32 v[13:14], null, s37, v10, v[13:14]
	v_lshlrev_b64_e32 v[12:13], 1, v[12:13]
	s_delay_alu instid0(VALU_DEP_1) | instskip(SKIP_1) | instid1(VALU_DEP_2)
	v_add_co_u32 v12, s7, s48, v12
	s_wait_alu 0xf1ff
	v_add_co_ci_u32_e64 v13, null, s49, v13, s7
	global_load_u16 v12, v[12:13], off
	v_or_b32_e32 v13, 2, v41
	s_delay_alu instid0(VALU_DEP_1)
	v_cmpx_gt_i32_e64 s9, v13
	s_cbranch_execz .LBB547_35
; %bb.32:                               ;   in Loop: Header=BB547_5 Depth=1
	v_mad_co_u64_u32 v[14:15], null, s36, v13, 0
	v_mov_b32_e32 v42, 0
	s_mov_b32 s59, exec_lo
	s_delay_alu instid0(VALU_DEP_2) | instskip(NEXT) | instid1(VALU_DEP_1)
	v_mad_co_u64_u32 v[15:16], null, s37, v13, v[15:16]
	v_lshlrev_b64_e32 v[13:14], 1, v[14:15]
	s_delay_alu instid0(VALU_DEP_1) | instskip(SKIP_1) | instid1(VALU_DEP_2)
	v_add_co_u32 v13, s7, s48, v13
	s_wait_alu 0xf1ff
	v_add_co_ci_u32_e64 v14, null, s49, v14, s7
	global_load_u16 v13, v[13:14], off
	v_or_b32_e32 v14, 3, v41
	s_delay_alu instid0(VALU_DEP_1)
	v_cmpx_gt_i32_e64 s9, v14
	s_cbranch_execz .LBB547_34
; %bb.33:                               ;   in Loop: Header=BB547_5 Depth=1
	v_mad_co_u64_u32 v[15:16], null, s36, v14, 0
	s_delay_alu instid0(VALU_DEP_1) | instskip(NEXT) | instid1(VALU_DEP_1)
	v_mad_co_u64_u32 v[16:17], null, s37, v14, v[16:17]
	v_lshlrev_b64_e32 v[14:15], 1, v[15:16]
	s_delay_alu instid0(VALU_DEP_1) | instskip(SKIP_1) | instid1(VALU_DEP_2)
	v_add_co_u32 v14, s7, s48, v14
	s_wait_alu 0xf1ff
	v_add_co_ci_u32_e64 v15, null, s49, v15, s7
	global_load_u16 v14, v[14:15], off
	s_wait_loadcnt 0x0
	v_lshlrev_b32_e32 v42, 16, v14
.LBB547_34:                             ;   in Loop: Header=BB547_5 Depth=1
	s_wait_alu 0xfffe
	s_or_b32 exec_lo, exec_lo, s59
	s_wait_loadcnt 0x0
	v_lshlrev_b32_e32 v43, 16, v13
.LBB547_35:                             ;   in Loop: Header=BB547_5 Depth=1
	s_wait_alu 0xfffe
	s_or_b32 exec_lo, exec_lo, s58
	s_wait_loadcnt 0x0
	v_lshlrev_b32_e32 v44, 16, v12
.LBB547_36:                             ;   in Loop: Header=BB547_5 Depth=1
	s_or_b32 exec_lo, exec_lo, s57
	s_wait_loadcnt 0x0
	v_lshlrev_b32_e32 v45, 16, v11
.LBB547_37:                             ;   in Loop: Header=BB547_5 Depth=1
	s_wait_alu 0xfffe
	s_or_b32 exec_lo, exec_lo, s8
	s_and_saveexec_b32 s48, s0
	s_cbranch_execz .LBB547_45
; %bb.38:                               ;   in Loop: Header=BB547_5 Depth=1
	v_mad_co_u64_u32 v[11:12], null, s20, v41, 0
	v_mad_co_u64_u32 v[13:14], null, s20, v10, 0
	v_or_b32_e32 v50, 2, v41
	v_or_b32_e32 v51, 3, v41
	s_mul_u64 s[58:59], s[22:23], s[10:11]
	s_wait_alu 0xfffe
	s_lshl_b64 s[58:59], s[58:59], 1
	v_cmp_gt_i32_e64 s7, s9, v50
	s_delay_alu instid0(VALU_DEP_4) | instskip(SKIP_4) | instid1(VALU_DEP_2)
	v_mad_co_u64_u32 v[15:16], null, s21, v41, v[12:13]
	v_mad_co_u64_u32 v[16:17], null, s20, v50, 0
	;; [unrolled: 1-line block ×3, first 2 shown]
	s_wait_alu 0xfffe
	s_add_nc_u64 s[58:59], s[16:17], s[58:59]
	v_dual_cndmask_b32 v12, 0, v15 :: v_dual_mov_b32 v15, v17
	s_delay_alu instid0(VALU_DEP_2) | instskip(NEXT) | instid1(VALU_DEP_2)
	v_mov_b32_e32 v17, v47
	v_mad_co_u64_u32 v[48:49], null, s21, v10, v[14:15]
	v_cndmask_b32_e32 v11, 0, v11, vcc_lo
	v_cmp_gt_i32_e32 vcc_lo, s9, v10
	s_wait_alu 0xfffd
	s_delay_alu instid0(VALU_DEP_3) | instskip(NEXT) | instid1(VALU_DEP_3)
	v_dual_cndmask_b32 v13, 0, v13 :: v_dual_cndmask_b32 v14, 0, v48
	v_lshlrev_b64_e32 v[11:12], 1, v[11:12]
	s_wait_alu 0xfffe
	s_delay_alu instid0(VALU_DEP_1) | instskip(SKIP_1) | instid1(VALU_DEP_2)
	v_add_co_u32 v10, s8, s58, v11
	s_wait_alu 0xf1ff
	v_add_co_ci_u32_e64 v11, null, s59, v12, s8
	v_lshlrev_b64_e32 v[12:13], 1, v[13:14]
	s_delay_alu instid0(VALU_DEP_3) | instskip(SKIP_1) | instid1(VALU_DEP_3)
	v_add_co_u32 v10, vcc_lo, v10, v6
	s_wait_alu 0xfffd
	v_add_co_ci_u32_e64 v11, null, v11, v7, vcc_lo
	v_cmp_gt_i32_e32 vcc_lo, s9, v51
	v_cndmask_b32_e64 v14, 0, v16, s7
	s_wait_alu 0xfffd
	v_cndmask_b32_e32 v46, 0, v46, vcc_lo
	v_mad_co_u64_u32 v[49:50], null, s21, v50, v[15:16]
	v_mad_co_u64_u32 v[16:17], null, s21, v51, v[17:18]
	s_delay_alu instid0(VALU_DEP_2) | instskip(SKIP_1) | instid1(VALU_DEP_3)
	v_cndmask_b32_e64 v15, 0, v49, s7
	v_add_co_u32 v12, s7, s58, v12
	v_cndmask_b32_e32 v47, 0, v16, vcc_lo
	s_wait_alu 0xf1ff
	v_add_co_ci_u32_e64 v13, null, s59, v13, s7
	v_lshlrev_b64_e32 v[14:15], 1, v[14:15]
	v_add_co_u32 v12, vcc_lo, v12, v6
	v_lshlrev_b64_e32 v[16:17], 1, v[46:47]
	s_wait_alu 0xfffd
	v_add_co_ci_u32_e64 v13, null, v13, v7, vcc_lo
	s_delay_alu instid0(VALU_DEP_4)
	v_add_co_u32 v14, vcc_lo, s58, v14
	s_wait_alu 0xfffd
	v_add_co_ci_u32_e64 v15, null, s59, v15, vcc_lo
	v_add_co_u32 v16, vcc_lo, s58, v16
	s_wait_alu 0xfffd
	v_add_co_ci_u32_e64 v17, null, s59, v17, vcc_lo
	;; [unrolled: 3-line block ×4, first 2 shown]
	s_clause 0x3
	global_load_u16 v48, v[10:11], off
	global_load_u16 v47, v[12:13], off
	;; [unrolled: 1-line block ×4, first 2 shown]
	s_and_saveexec_b32 s7, s1
	s_cbranch_execz .LBB547_44
; %bb.39:                               ;   in Loop: Header=BB547_5 Depth=1
	s_clause 0x3
	global_load_u16 v52, v[10:11], off offset:64
	global_load_u16 v51, v[12:13], off offset:64
	global_load_u16 v50, v[14:15], off offset:64
	global_load_u16 v49, v[16:17], off offset:64
	s_and_saveexec_b32 s8, s2
	s_cbranch_execz .LBB547_43
; %bb.40:                               ;   in Loop: Header=BB547_5 Depth=1
	s_clause 0x3
	global_load_u16 v56, v[10:11], off offset:128
	global_load_u16 v55, v[12:13], off offset:128
	global_load_u16 v54, v[14:15], off offset:128
	global_load_u16 v53, v[16:17], off offset:128
	;; [unrolled: 8-line block ×3, first 2 shown]
	s_wait_loadcnt 0x3
	v_lshlrev_b32_e32 v10, 16, v10
	s_wait_loadcnt 0x2
	s_delay_alu instid0(VALU_DEP_1) | instskip(SKIP_3) | instid1(VALU_DEP_2)
	v_dual_fmac_f32 v40, v45, v10 :: v_dual_lshlrev_b32 v11, 16, v11
	s_wait_loadcnt 0x1
	v_lshlrev_b32_e32 v10, 16, v12
	s_wait_loadcnt 0x0
	v_dual_fmac_f32 v40, v44, v11 :: v_dual_lshlrev_b32 v11, 16, v13
	s_delay_alu instid0(VALU_DEP_1) | instskip(NEXT) | instid1(VALU_DEP_1)
	v_fmac_f32_e32 v40, v43, v10
	v_fmac_f32_e32 v40, v42, v11
.LBB547_42:                             ;   in Loop: Header=BB547_5 Depth=1
	s_wait_alu 0xfffe
	s_or_b32 exec_lo, exec_lo, s49
	s_wait_loadcnt 0x2
	v_lshlrev_b32_e32 v11, 16, v55
	v_lshlrev_b32_e32 v10, 16, v56
	s_delay_alu instid0(VALU_DEP_1) | instskip(SKIP_1) | instid1(VALU_DEP_1)
	v_fmac_f32_e32 v39, v45, v10
	s_wait_loadcnt 0x1
	v_dual_fmac_f32 v39, v44, v11 :: v_dual_lshlrev_b32 v10, 16, v54
	s_wait_loadcnt 0x0
	s_delay_alu instid0(VALU_DEP_1) | instskip(NEXT) | instid1(VALU_DEP_1)
	v_dual_fmac_f32 v39, v43, v10 :: v_dual_lshlrev_b32 v10, 16, v53
	v_fmac_f32_e32 v39, v42, v10
.LBB547_43:                             ;   in Loop: Header=BB547_5 Depth=1
	s_wait_alu 0xfffe
	s_or_b32 exec_lo, exec_lo, s8
	s_wait_loadcnt 0x3
	v_lshlrev_b32_e32 v10, 16, v52
	s_wait_loadcnt 0x2
	s_delay_alu instid0(VALU_DEP_1) | instskip(SKIP_2) | instid1(VALU_DEP_2)
	v_dual_fmac_f32 v38, v45, v10 :: v_dual_lshlrev_b32 v11, 16, v51
	s_wait_loadcnt 0x1
	v_lshlrev_b32_e32 v10, 16, v50
	v_fmac_f32_e32 v38, v44, v11
	s_delay_alu instid0(VALU_DEP_1) | instskip(SKIP_2) | instid1(VALU_DEP_1)
	v_fmac_f32_e32 v38, v43, v10
	s_wait_loadcnt 0x0
	v_lshlrev_b32_e32 v10, 16, v49
	v_fmac_f32_e32 v38, v42, v10
.LBB547_44:                             ;   in Loop: Header=BB547_5 Depth=1
	s_wait_alu 0xfffe
	s_or_b32 exec_lo, exec_lo, s7
	s_wait_loadcnt 0x2
	v_lshlrev_b32_e32 v11, 16, v47
	v_lshlrev_b32_e32 v10, 16, v48
	s_delay_alu instid0(VALU_DEP_1) | instskip(SKIP_1) | instid1(VALU_DEP_1)
	v_fmac_f32_e32 v37, v45, v10
	s_wait_loadcnt 0x1
	v_dual_fmac_f32 v37, v44, v11 :: v_dual_lshlrev_b32 v10, 16, v46
	s_wait_loadcnt 0x0
	s_delay_alu instid0(VALU_DEP_1) | instskip(NEXT) | instid1(VALU_DEP_1)
	v_dual_fmac_f32 v37, v43, v10 :: v_dual_lshlrev_b32 v10, 16, v41
	v_fmac_f32_e32 v37, v42, v10
.LBB547_45:                             ;   in Loop: Header=BB547_5 Depth=1
	s_wait_alu 0xfffe
	s_or_b32 exec_lo, exec_lo, s48
.LBB547_46:                             ;   in Loop: Header=BB547_5 Depth=1
	ds_store_2addr_b32 v0, v37, v38 offset1:32
	ds_store_2addr_b32 v0, v39, v40 offset0:64 offset1:96
	s_wait_dscnt 0x0
	s_barrier_signal -1
	s_barrier_wait -1
	global_inv scope:SCOPE_SE
                                        ; implicit-def: $vgpr12
	s_and_saveexec_b32 s7, s5
	s_cbranch_execz .LBB547_68
; %bb.47:                               ;   in Loop: Header=BB547_5 Depth=1
	ds_load_2addr_stride64_b32 v[10:11], v19 offset1:2
	ds_load_2addr_stride64_b32 v[12:13], v19 offset0:4 offset1:6
	ds_load_2addr_stride64_b32 v[14:15], v19 offset0:8 offset1:10
	s_mov_b32 s48, s55
	s_wait_dscnt 0x2
	v_add_f32_e32 v16, v10, v11
	ds_load_2addr_stride64_b32 v[10:11], v19 offset0:12 offset1:14
	s_wait_dscnt 0x2
	v_add_f32_e32 v12, v12, v16
	s_delay_alu instid0(VALU_DEP_1) | instskip(SKIP_3) | instid1(VALU_DEP_1)
	v_add_f32_e32 v16, v13, v12
	ds_load_2addr_stride64_b32 v[12:13], v19 offset0:16 offset1:18
	s_wait_dscnt 0x2
	v_add_f32_e32 v14, v14, v16
	v_add_f32_e32 v16, v15, v14
	ds_load_2addr_stride64_b32 v[14:15], v19 offset0:20 offset1:22
	s_wait_dscnt 0x2
	v_add_f32_e32 v10, v10, v16
	s_delay_alu instid0(VALU_DEP_1) | instskip(SKIP_1) | instid1(VALU_DEP_1)
	v_add_f32_e32 v10, v11, v10
	s_wait_dscnt 0x1
	v_add_f32_e32 v12, v12, v10
	ds_load_2addr_stride64_b32 v[10:11], v19 offset0:24 offset1:26
	v_add_f32_e32 v12, v13, v12
	s_wait_dscnt 0x1
	s_delay_alu instid0(VALU_DEP_1) | instskip(SKIP_3) | instid1(VALU_DEP_1)
	v_add_f32_e32 v14, v14, v12
	ds_load_2addr_stride64_b32 v[12:13], v19 offset0:28 offset1:30
	v_add_f32_e32 v14, v15, v14
	s_wait_dscnt 0x1
	v_add_f32_e32 v10, v10, v14
	s_delay_alu instid0(VALU_DEP_1) | instskip(SKIP_1) | instid1(VALU_DEP_1)
	v_add_f32_e32 v10, v11, v10
	s_wait_dscnt 0x0
	v_add_f32_e32 v10, v12, v10
                                        ; implicit-def: $vgpr12
	s_delay_alu instid0(VALU_DEP_1)
	v_add_f32_e32 v10, v13, v10
	ds_store_b32 v19, v10
	s_and_saveexec_b32 s8, s6
	s_cbranch_execz .LBB547_67
; %bb.48:                               ;   in Loop: Header=BB547_5 Depth=1
	v_mul_f32_e32 v10, v36, v10
	s_cmp_eq_f32 s56, 0
	s_cbranch_scc0 .LBB547_56
; %bb.49:                               ;   in Loop: Header=BB547_5 Depth=1
	s_delay_alu instid0(VALU_DEP_1) | instskip(NEXT) | instid1(VALU_DEP_1)
	v_and_b32_e32 v11, 0x7f800000, v10
	v_cmp_ne_u32_e32 vcc_lo, 0x7f800000, v11
                                        ; implicit-def: $vgpr11
	s_and_saveexec_b32 s48, vcc_lo
	s_wait_alu 0xfffe
	s_xor_b32 s48, exec_lo, s48
; %bb.50:                               ;   in Loop: Header=BB547_5 Depth=1
	v_bfe_u32 v11, v10, 16, 1
	s_delay_alu instid0(VALU_DEP_1)
	v_add3_u32 v11, v10, v11, 0x7fff
; %bb.51:                               ;   in Loop: Header=BB547_5 Depth=1
	s_wait_alu 0xfffe
	s_and_not1_saveexec_b32 s48, s48
; %bb.52:                               ;   in Loop: Header=BB547_5 Depth=1
	v_and_b32_e32 v11, 0xffff, v10
	v_or_b32_e32 v12, 0x10000, v10
	s_delay_alu instid0(VALU_DEP_2) | instskip(SKIP_1) | instid1(VALU_DEP_2)
	v_cmp_eq_u32_e32 vcc_lo, 0, v11
	s_wait_alu 0xfffd
	v_cndmask_b32_e32 v11, v12, v10, vcc_lo
; %bb.53:                               ;   in Loop: Header=BB547_5 Depth=1
	s_wait_alu 0xfffe
	s_or_b32 exec_lo, exec_lo, s48
	s_cbranch_execz .LBB547_57
	s_branch .LBB547_66
.LBB547_54:                             ;   in Loop: Header=BB547_5 Depth=1
	v_mov_b32_e32 v12, 0
	s_mov_b32 s55, exec_lo
	s_wait_alu 0xfffe
	s_or_b32 exec_lo, exec_lo, s8
	s_delay_alu instid0(SALU_CYCLE_1)
	s_and_b32 vcc_lo, exec_lo, s7
	s_wait_alu 0xfffe
	s_cbranch_vccnz .LBB547_16
.LBB547_55:                             ;   in Loop: Header=BB547_5 Depth=1
	v_dual_mov_b32 v11, v3 :: v_dual_mov_b32 v10, v2
	s_and_saveexec_b32 s7, s55
	s_cbranch_execz .LBB547_3
	s_branch .LBB547_69
.LBB547_56:                             ;   in Loop: Header=BB547_5 Depth=1
                                        ; implicit-def: $vgpr11
.LBB547_57:                             ;   in Loop: Header=BB547_5 Depth=1
	v_lshlrev_b64_e32 v[11:12], 1, v[4:5]
	s_delay_alu instid0(VALU_DEP_1) | instskip(SKIP_1) | instid1(VALU_DEP_2)
	v_add_co_u32 v11, vcc_lo, s46, v11
	s_wait_alu 0xfffd
	v_add_co_ci_u32_e64 v12, null, s47, v12, vcc_lo
	global_load_u16 v11, v[11:12], off
	s_wait_loadcnt 0x0
	v_lshlrev_b32_e32 v11, 16, v11
	s_delay_alu instid0(VALU_DEP_1) | instskip(NEXT) | instid1(VALU_DEP_1)
	v_mul_f32_e32 v11, s56, v11
	v_and_b32_e32 v12, 0x7f800000, v11
	s_delay_alu instid0(VALU_DEP_1)
	v_cmp_ne_u32_e32 vcc_lo, 0x7f800000, v12
                                        ; implicit-def: $vgpr12
	s_and_saveexec_b32 s48, vcc_lo
	s_wait_alu 0xfffe
	s_xor_b32 s48, exec_lo, s48
; %bb.58:                               ;   in Loop: Header=BB547_5 Depth=1
	v_bfe_u32 v12, v11, 16, 1
	s_delay_alu instid0(VALU_DEP_1)
	v_add3_u32 v12, v11, v12, 0x7fff
                                        ; implicit-def: $vgpr11
; %bb.59:                               ;   in Loop: Header=BB547_5 Depth=1
	s_wait_alu 0xfffe
	s_and_not1_saveexec_b32 s48, s48
; %bb.60:                               ;   in Loop: Header=BB547_5 Depth=1
	v_and_b32_e32 v12, 0xffff, v11
	v_or_b32_e32 v13, 0x10000, v11
	s_delay_alu instid0(VALU_DEP_2) | instskip(SKIP_1) | instid1(VALU_DEP_2)
	v_cmp_eq_u32_e32 vcc_lo, 0, v12
	s_wait_alu 0xfffd
	v_cndmask_b32_e32 v12, v13, v11, vcc_lo
; %bb.61:                               ;   in Loop: Header=BB547_5 Depth=1
	s_wait_alu 0xfffe
	s_or_b32 exec_lo, exec_lo, s48
	s_delay_alu instid0(VALU_DEP_1) | instskip(NEXT) | instid1(VALU_DEP_1)
	v_and_b32_e32 v11, 0xffff0000, v12
	v_add_f32_e32 v10, v10, v11
	s_delay_alu instid0(VALU_DEP_1) | instskip(NEXT) | instid1(VALU_DEP_1)
	v_and_b32_e32 v11, 0x7f800000, v10
	v_cmp_ne_u32_e32 vcc_lo, 0x7f800000, v11
                                        ; implicit-def: $vgpr11
	s_and_saveexec_b32 s48, vcc_lo
	s_wait_alu 0xfffe
	s_xor_b32 s48, exec_lo, s48
; %bb.62:                               ;   in Loop: Header=BB547_5 Depth=1
	v_bfe_u32 v11, v10, 16, 1
	s_delay_alu instid0(VALU_DEP_1)
	v_add3_u32 v11, v10, v11, 0x7fff
                                        ; implicit-def: $vgpr10
; %bb.63:                               ;   in Loop: Header=BB547_5 Depth=1
	s_wait_alu 0xfffe
	s_and_not1_saveexec_b32 s48, s48
; %bb.64:                               ;   in Loop: Header=BB547_5 Depth=1
	v_and_b32_e32 v11, 0xffff, v10
	v_or_b32_e32 v12, 0x10000, v10
	s_delay_alu instid0(VALU_DEP_2) | instskip(SKIP_1) | instid1(VALU_DEP_2)
	v_cmp_eq_u32_e32 vcc_lo, 0, v11
	s_wait_alu 0xfffd
	v_cndmask_b32_e32 v11, v12, v10, vcc_lo
; %bb.65:                               ;   in Loop: Header=BB547_5 Depth=1
	s_wait_alu 0xfffe
	s_or_b32 exec_lo, exec_lo, s48
.LBB547_66:                             ;   in Loop: Header=BB547_5 Depth=1
	s_delay_alu instid0(VALU_DEP_1)
	v_lshrrev_b32_e32 v12, 16, v11
	s_or_b32 s48, s55, exec_lo
.LBB547_67:                             ;   in Loop: Header=BB547_5 Depth=1
	s_wait_alu 0xfffe
	s_or_b32 exec_lo, exec_lo, s8
	s_delay_alu instid0(SALU_CYCLE_1)
	s_and_not1_b32 s8, s55, exec_lo
	s_and_b32 s48, s48, exec_lo
	s_wait_alu 0xfffe
	s_or_b32 s55, s8, s48
.LBB547_68:                             ;   in Loop: Header=BB547_5 Depth=1
	s_wait_alu 0xfffe
	s_or_b32 exec_lo, exec_lo, s7
	v_dual_mov_b32 v11, v5 :: v_dual_mov_b32 v10, v4
	s_and_saveexec_b32 s7, s55
	s_cbranch_execz .LBB547_3
.LBB547_69:                             ;   in Loop: Header=BB547_5 Depth=1
	s_delay_alu instid0(VALU_DEP_1) | instskip(SKIP_1) | instid1(VALU_DEP_1)
	v_lshlrev_b64_e32 v[10:11], 1, v[10:11]
	s_wait_alu 0xfffe
	v_add_co_u32 v10, vcc_lo, s46, v10
	s_wait_alu 0xfffd
	s_delay_alu instid0(VALU_DEP_2)
	v_add_co_ci_u32_e64 v11, null, s47, v11, vcc_lo
	global_store_b16 v[10:11], v12, off
	s_branch .LBB547_3
.LBB547_70:
	s_endpgm
	.section	.rodata,"a",@progbits
	.p2align	6, 0x0
	.amdhsa_kernel _ZL20rocblas_gemvn_kernelILi32ELi16El16rocblas_bfloat16PKfS0_EviiT3_lPKT2_lT1_lS6_lS7_lS3_lPT4_lS7_li
		.amdhsa_group_segment_fixed_size 8192
		.amdhsa_private_segment_fixed_size 0
		.amdhsa_kernarg_size 400
		.amdhsa_user_sgpr_count 2
		.amdhsa_user_sgpr_dispatch_ptr 0
		.amdhsa_user_sgpr_queue_ptr 0
		.amdhsa_user_sgpr_kernarg_segment_ptr 1
		.amdhsa_user_sgpr_dispatch_id 0
		.amdhsa_user_sgpr_private_segment_size 0
		.amdhsa_wavefront_size32 1
		.amdhsa_uses_dynamic_stack 0
		.amdhsa_enable_private_segment 0
		.amdhsa_system_sgpr_workgroup_id_x 1
		.amdhsa_system_sgpr_workgroup_id_y 0
		.amdhsa_system_sgpr_workgroup_id_z 1
		.amdhsa_system_sgpr_workgroup_info 0
		.amdhsa_system_vgpr_workitem_id 1
		.amdhsa_next_free_vgpr 74
		.amdhsa_next_free_sgpr 60
		.amdhsa_reserve_vcc 1
		.amdhsa_float_round_mode_32 0
		.amdhsa_float_round_mode_16_64 0
		.amdhsa_float_denorm_mode_32 3
		.amdhsa_float_denorm_mode_16_64 3
		.amdhsa_fp16_overflow 0
		.amdhsa_workgroup_processor_mode 1
		.amdhsa_memory_ordered 1
		.amdhsa_forward_progress 1
		.amdhsa_inst_pref_size 36
		.amdhsa_round_robin_scheduling 0
		.amdhsa_exception_fp_ieee_invalid_op 0
		.amdhsa_exception_fp_denorm_src 0
		.amdhsa_exception_fp_ieee_div_zero 0
		.amdhsa_exception_fp_ieee_overflow 0
		.amdhsa_exception_fp_ieee_underflow 0
		.amdhsa_exception_fp_ieee_inexact 0
		.amdhsa_exception_int_div_zero 0
	.end_amdhsa_kernel
	.section	.text._ZL20rocblas_gemvn_kernelILi32ELi16El16rocblas_bfloat16PKfS0_EviiT3_lPKT2_lT1_lS6_lS7_lS3_lPT4_lS7_li,"axG",@progbits,_ZL20rocblas_gemvn_kernelILi32ELi16El16rocblas_bfloat16PKfS0_EviiT3_lPKT2_lT1_lS6_lS7_lS3_lPT4_lS7_li,comdat
.Lfunc_end547:
	.size	_ZL20rocblas_gemvn_kernelILi32ELi16El16rocblas_bfloat16PKfS0_EviiT3_lPKT2_lT1_lS6_lS7_lS3_lPT4_lS7_li, .Lfunc_end547-_ZL20rocblas_gemvn_kernelILi32ELi16El16rocblas_bfloat16PKfS0_EviiT3_lPKT2_lT1_lS6_lS7_lS3_lPT4_lS7_li
                                        ; -- End function
	.set _ZL20rocblas_gemvn_kernelILi32ELi16El16rocblas_bfloat16PKfS0_EviiT3_lPKT2_lT1_lS6_lS7_lS3_lPT4_lS7_li.num_vgpr, 74
	.set _ZL20rocblas_gemvn_kernelILi32ELi16El16rocblas_bfloat16PKfS0_EviiT3_lPKT2_lT1_lS6_lS7_lS3_lPT4_lS7_li.num_agpr, 0
	.set _ZL20rocblas_gemvn_kernelILi32ELi16El16rocblas_bfloat16PKfS0_EviiT3_lPKT2_lT1_lS6_lS7_lS3_lPT4_lS7_li.numbered_sgpr, 60
	.set _ZL20rocblas_gemvn_kernelILi32ELi16El16rocblas_bfloat16PKfS0_EviiT3_lPKT2_lT1_lS6_lS7_lS3_lPT4_lS7_li.num_named_barrier, 0
	.set _ZL20rocblas_gemvn_kernelILi32ELi16El16rocblas_bfloat16PKfS0_EviiT3_lPKT2_lT1_lS6_lS7_lS3_lPT4_lS7_li.private_seg_size, 0
	.set _ZL20rocblas_gemvn_kernelILi32ELi16El16rocblas_bfloat16PKfS0_EviiT3_lPKT2_lT1_lS6_lS7_lS3_lPT4_lS7_li.uses_vcc, 1
	.set _ZL20rocblas_gemvn_kernelILi32ELi16El16rocblas_bfloat16PKfS0_EviiT3_lPKT2_lT1_lS6_lS7_lS3_lPT4_lS7_li.uses_flat_scratch, 0
	.set _ZL20rocblas_gemvn_kernelILi32ELi16El16rocblas_bfloat16PKfS0_EviiT3_lPKT2_lT1_lS6_lS7_lS3_lPT4_lS7_li.has_dyn_sized_stack, 0
	.set _ZL20rocblas_gemvn_kernelILi32ELi16El16rocblas_bfloat16PKfS0_EviiT3_lPKT2_lT1_lS6_lS7_lS3_lPT4_lS7_li.has_recursion, 0
	.set _ZL20rocblas_gemvn_kernelILi32ELi16El16rocblas_bfloat16PKfS0_EviiT3_lPKT2_lT1_lS6_lS7_lS3_lPT4_lS7_li.has_indirect_call, 0
	.section	.AMDGPU.csdata,"",@progbits
; Kernel info:
; codeLenInByte = 4508
; TotalNumSgprs: 62
; NumVgprs: 74
; ScratchSize: 0
; MemoryBound: 0
; FloatMode: 240
; IeeeMode: 1
; LDSByteSize: 8192 bytes/workgroup (compile time only)
; SGPRBlocks: 0
; VGPRBlocks: 9
; NumSGPRsForWavesPerEU: 62
; NumVGPRsForWavesPerEU: 74
; Occupancy: 16
; WaveLimiterHint : 1
; COMPUTE_PGM_RSRC2:SCRATCH_EN: 0
; COMPUTE_PGM_RSRC2:USER_SGPR: 2
; COMPUTE_PGM_RSRC2:TRAP_HANDLER: 0
; COMPUTE_PGM_RSRC2:TGID_X_EN: 1
; COMPUTE_PGM_RSRC2:TGID_Y_EN: 0
; COMPUTE_PGM_RSRC2:TGID_Z_EN: 1
; COMPUTE_PGM_RSRC2:TIDIG_COMP_CNT: 1
	.section	.text._ZL20rocblas_gemvn_kernelILi32ELi16Ei16rocblas_bfloat16fS0_EviiT3_lPKT2_lT1_lS4_lS5_lS1_lPT4_lS5_li,"axG",@progbits,_ZL20rocblas_gemvn_kernelILi32ELi16Ei16rocblas_bfloat16fS0_EviiT3_lPKT2_lT1_lS4_lS5_lS1_lPT4_lS5_li,comdat
	.globl	_ZL20rocblas_gemvn_kernelILi32ELi16Ei16rocblas_bfloat16fS0_EviiT3_lPKT2_lT1_lS4_lS5_lS1_lPT4_lS5_li ; -- Begin function _ZL20rocblas_gemvn_kernelILi32ELi16Ei16rocblas_bfloat16fS0_EviiT3_lPKT2_lT1_lS4_lS5_lS1_lPT4_lS5_li
	.p2align	8
	.type	_ZL20rocblas_gemvn_kernelILi32ELi16Ei16rocblas_bfloat16fS0_EviiT3_lPKT2_lT1_lS4_lS5_lS1_lPT4_lS5_li,@function
_ZL20rocblas_gemvn_kernelILi32ELi16Ei16rocblas_bfloat16fS0_EviiT3_lPKT2_lT1_lS4_lS5_lS1_lPT4_lS5_li: ; @_ZL20rocblas_gemvn_kernelILi32ELi16Ei16rocblas_bfloat16fS0_EviiT3_lPKT2_lT1_lS4_lS5_lS1_lPT4_lS5_li
; %bb.0:
	s_load_b64 s[2:3], s[0:1], 0x9c
	s_wait_kmcnt 0x0
	s_lshr_b32 s4, s2, 16
	s_and_b32 s2, s2, 0xffff
	s_and_b32 s3, s3, 0xffff
	s_mul_i32 s2, s4, s2
	s_delay_alu instid0(SALU_CYCLE_1) | instskip(NEXT) | instid1(SALU_CYCLE_1)
	s_mul_i32 s2, s2, s3
	s_cmp_lg_u32 s2, 0x200
	s_cbranch_scc1 .LBB548_70
; %bb.1:
	s_load_b32 s19, s[0:1], 0x88
	s_lshr_b32 s28, ttmp7, 16
	s_wait_kmcnt 0x0
	s_cmp_ge_u32 s28, s19
	s_cbranch_scc1 .LBB548_70
; %bb.2:
	s_clause 0x8
	s_load_b128 s[4:7], s[0:1], 0x18
	s_load_b96 s[16:18], s[0:1], 0x40
	s_load_b128 s[12:15], s[0:1], 0x68
	s_load_b32 s34, s[0:1], 0x78
	s_load_b96 s[20:22], s[0:1], 0x0
	s_load_b96 s[24:26], s[0:1], 0x50
	s_load_b32 s23, s[0:1], 0x28
	s_load_b128 s[8:11], s[0:1], 0x30
	s_load_b64 s[30:31], s[0:1], 0x80
	v_dual_mov_b32 v4, 0 :: v_dual_and_b32 v7, 0x3ff, v0
	v_bfe_u32 v6, v0, 10, 10
	s_mov_b32 s29, 0
	s_delay_alu instid0(VALU_DEP_1)
	v_lshl_add_u32 v5, v6, 5, v7
	v_lshlrev_b32_e32 v19, 2, v6
	s_wait_kmcnt 0x0
	s_lshl_b64 s[0:1], s[6:7], 1
	s_lshl_b64 s[2:3], s[16:17], 1
	;; [unrolled: 1-line block ×3, first 2 shown]
	s_ashr_i32 s35, s34, 31
	s_cmp_eq_f32 s22, 0
	s_add_nc_u64 s[14:15], s[4:5], s[0:1]
	s_mov_b32 s16, s20
	s_add_nc_u64 s[10:11], s[10:11], s[2:3]
	s_cselect_b32 s27, -1, 0
	s_cmp_neq_f32 s22, 0
	s_add_nc_u64 s[12:13], s[12:13], s[6:7]
	s_cselect_b32 s36, -1, 0
	s_cmp_neq_f32 s26, 1.0
	s_cselect_b32 s0, -1, 0
	s_lshl_b32 s33, ttmp9, 7
	s_ashr_i32 s17, s20, 31
	v_add_nc_u32_e32 v3, s33, v5
	v_or_b32_e32 v9, s33, v5
	v_add_nc_u32_e32 v20, s33, v7
	s_or_b32 s38, s36, s0
	s_cmp_neq_f32 s26, 0
	v_mad_co_u64_u32 v[0:1], null, s34, v3, 0
	v_mul_lo_u32 v2, s34, v9
	v_cmp_gt_i64_e32 vcc_lo, s[16:17], v[3:4]
	v_add_nc_u32_e32 v4, 32, v20
	s_cselect_b32 s39, -1, 0
	s_cmp_eq_f32 s26, 0
	v_add_nc_u32_e32 v10, 64, v20
	v_add_nc_u32_e32 v11, 0x60, v20
	v_cmp_gt_i32_e64 s1, s20, v4
	v_mad_co_u64_u32 v[3:4], null, s35, v3, v[1:2]
	v_lshlrev_b32_e32 v8, 2, v7
	s_cselect_b32 s40, -1, 0
	s_ashr_i32 s2, s21, 31
	v_mul_lo_u32 v4, s23, v19
	s_lshr_b32 s2, s2, 26
	v_cmp_gt_i32_e64 s6, s20, v9
	s_add_co_i32 s41, s21, s2
	v_mul_lo_u32 v9, v6, s23
	v_mov_b32_e32 v1, v3
	v_lshl_add_u32 v21, v6, 9, v8
	v_lshl_add_u32 v22, v6, 7, v8
	v_or_b32_e32 v8, 2, v19
	v_cmp_gt_i32_e64 s2, s20, v10
	s_and_not1_b32 s41, s41, 63
	v_or_b32_e32 v10, 3, v19
	v_cmp_gt_i32_e64 s3, s20, v11
	v_mul_lo_u32 v11, v6, s18
	s_sub_co_i32 s5, s21, s41
	v_ashrrev_i32_e32 v3, 31, v2
	s_cmp_gt_i32 s5, 0
	v_cmp_gt_u32_e64 s5, 0x80, v5
	v_add3_u32 v23, v4, s23, v7
	v_mad_co_u64_u32 v[4:5], null, s23, v8, v[7:8]
	s_mov_b32 s16, s18
	v_mad_co_u64_u32 v[5:6], null, s23, v10, v[7:8]
	v_lshl_add_u32 v24, v9, 2, v7
	s_wait_alu 0xfffe
	v_mad_co_u64_u32 v[6:7], null, s18, v19, s[16:17]
	v_mul_lo_u32 v25, s18, v8
	v_mul_lo_u32 v26, s18, v10
	v_lshlrev_b64_e32 v[7:8], 1, v[0:1]
	v_lshlrev_b64_e32 v[9:10], 1, v[2:3]
	v_cmp_gt_i32_e64 s0, s20, v20
	v_cmp_gt_i32_e64 s4, s41, v19
	v_lshlrev_b32_e32 v27, 2, v11
	s_cselect_b32 s20, -1, 0
	s_and_b32 s42, s5, vcc_lo
	s_lshl_b32 s43, s23, 6
	s_lshl_b32 s44, s18, 6
	s_branch .LBB548_5
.LBB548_3:                              ;   in Loop: Header=BB548_5 Depth=1
	s_wait_alu 0xfffe
	s_or_b32 exec_lo, exec_lo, s7
.LBB548_4:                              ;   in Loop: Header=BB548_5 Depth=1
	s_add_co_i32 s28, s28, 0x10000
	s_delay_alu instid0(SALU_CYCLE_1)
	s_cmp_lt_u32 s28, s19
	s_cbranch_scc0 .LBB548_70
.LBB548_5:                              ; =>This Loop Header: Depth=1
                                        ;     Child Loop BB548_22 Depth 2
	s_and_not1_b32 vcc_lo, exec_lo, s38
	s_wait_alu 0xfffe
	s_cbranch_vccnz .LBB548_4
; %bb.6:                                ;   in Loop: Header=BB548_5 Depth=1
	s_mul_u64 s[16:17], s[30:31], s[28:29]
	s_and_not1_b32 vcc_lo, exec_lo, s27
	s_wait_alu 0xfffe
	s_lshl_b64 s[16:17], s[16:17], 1
	s_wait_alu 0xfffe
	s_add_nc_u64 s[16:17], s[12:13], s[16:17]
	s_cbranch_vccnz .LBB548_14
; %bb.7:                                ;   in Loop: Header=BB548_5 Depth=1
	s_mov_b32 s7, 0
	s_mov_b32 s45, 0
                                        ; implicit-def: $vgpr13
	s_and_saveexec_b32 s34, s42
	s_cbranch_execz .LBB548_15
; %bb.8:                                ;   in Loop: Header=BB548_5 Depth=1
	s_and_not1_b32 vcc_lo, exec_lo, s39
	s_wait_alu 0xfffe
	s_cbranch_vccnz .LBB548_67
; %bb.9:                                ;   in Loop: Header=BB548_5 Depth=1
	v_add_co_u32 v11, vcc_lo, s16, v7
	s_wait_alu 0xfffd
	v_add_co_ci_u32_e64 v12, null, s17, v8, vcc_lo
	global_load_u16 v11, v[11:12], off
	s_wait_loadcnt 0x0
	v_lshlrev_b32_e32 v11, 16, v11
	s_delay_alu instid0(VALU_DEP_1) | instskip(NEXT) | instid1(VALU_DEP_1)
	v_mul_f32_e32 v11, s26, v11
	v_and_b32_e32 v12, 0x7f800000, v11
	s_delay_alu instid0(VALU_DEP_1)
	v_cmp_ne_u32_e32 vcc_lo, 0x7f800000, v12
                                        ; implicit-def: $vgpr12
	s_and_saveexec_b32 s35, vcc_lo
	s_wait_alu 0xfffe
	s_xor_b32 s35, exec_lo, s35
; %bb.10:                               ;   in Loop: Header=BB548_5 Depth=1
	v_bfe_u32 v12, v11, 16, 1
	s_delay_alu instid0(VALU_DEP_1)
	v_add3_u32 v12, v11, v12, 0x7fff
                                        ; implicit-def: $vgpr11
; %bb.11:                               ;   in Loop: Header=BB548_5 Depth=1
	s_wait_alu 0xfffe
	s_and_not1_saveexec_b32 s35, s35
; %bb.12:                               ;   in Loop: Header=BB548_5 Depth=1
	v_and_b32_e32 v12, 0xffff, v11
	v_or_b32_e32 v13, 0x10000, v11
	s_delay_alu instid0(VALU_DEP_2) | instskip(SKIP_1) | instid1(VALU_DEP_2)
	v_cmp_eq_u32_e32 vcc_lo, 0, v12
	s_wait_alu 0xfffd
	v_cndmask_b32_e32 v12, v13, v11, vcc_lo
; %bb.13:                               ;   in Loop: Header=BB548_5 Depth=1
	s_wait_alu 0xfffe
	s_or_b32 exec_lo, exec_lo, s35
	s_delay_alu instid0(VALU_DEP_1) | instskip(SKIP_2) | instid1(SALU_CYCLE_1)
	v_lshrrev_b32_e32 v13, 16, v12
	s_mov_b32 s45, exec_lo
	s_or_b32 exec_lo, exec_lo, s34
	s_and_b32 vcc_lo, exec_lo, s7
	s_wait_alu 0xfffe
	s_cbranch_vccnz .LBB548_16
	s_branch .LBB548_68
.LBB548_14:                             ;   in Loop: Header=BB548_5 Depth=1
	s_mov_b32 s45, 0
                                        ; implicit-def: $vgpr13
	s_cbranch_execnz .LBB548_16
	s_branch .LBB548_68
.LBB548_15:                             ;   in Loop: Header=BB548_5 Depth=1
	s_wait_alu 0xfffe
	s_or_b32 exec_lo, exec_lo, s34
	s_delay_alu instid0(SALU_CYCLE_1)
	s_and_b32 vcc_lo, exec_lo, s7
	s_wait_alu 0xfffe
	s_cbranch_vccz .LBB548_68
.LBB548_16:                             ;   in Loop: Header=BB548_5 Depth=1
	s_mul_u64 s[34:35], s[8:9], s[28:29]
	s_mul_u64 s[36:37], s[24:25], s[28:29]
	v_dual_mov_b32 v28, 0 :: v_dual_mov_b32 v29, 0
	v_dual_mov_b32 v32, v19 :: v_dual_mov_b32 v31, 0
	v_mov_b32_e32 v30, 0
	s_wait_alu 0xfffe
	s_lshl_b64 s[34:35], s[34:35], 1
	s_lshl_b64 s[36:37], s[36:37], 1
	s_wait_alu 0xfffe
	s_add_nc_u64 s[34:35], s[14:15], s[34:35]
	s_add_nc_u64 s[36:37], s[10:11], s[36:37]
	s_and_saveexec_b32 s7, s4
	s_cbranch_execz .LBB548_28
; %bb.17:                               ;   in Loop: Header=BB548_5 Depth=1
	v_dual_mov_b32 v28, 0 :: v_dual_mov_b32 v33, v24
	v_dual_mov_b32 v34, v5 :: v_dual_mov_b32 v35, v4
	;; [unrolled: 1-line block ×4, first 2 shown]
	v_mov_b32_e32 v30, 0
	s_mov_b32 s46, 0
	s_mov_b32 s47, 0
	s_branch .LBB548_22
.LBB548_18:                             ;   in Loop: Header=BB548_22 Depth=2
	s_or_b32 exec_lo, exec_lo, s51
	s_wait_loadcnt 0x3
	v_lshlrev_b32_e32 v11, 16, v52
	s_wait_loadcnt 0x2
	v_lshlrev_b32_e32 v12, 16, v51
	s_wait_loadcnt 0x1
	s_delay_alu instid0(VALU_DEP_2) | instskip(NEXT) | instid1(VALU_DEP_1)
	v_dual_fmac_f32 v30, v44, v11 :: v_dual_lshlrev_b32 v11, 16, v50
	v_fmac_f32_e32 v30, v40, v12
	s_wait_loadcnt 0x0
	s_delay_alu instid0(VALU_DEP_1) | instskip(NEXT) | instid1(VALU_DEP_1)
	v_dual_fmac_f32 v30, v42, v11 :: v_dual_lshlrev_b32 v11, 16, v49
	v_fmac_f32_e32 v30, v38, v11
.LBB548_19:                             ;   in Loop: Header=BB548_22 Depth=2
	s_or_b32 exec_lo, exec_lo, s50
	s_wait_loadcnt 0x3
	v_lshlrev_b32_e32 v11, 16, v48
	s_wait_loadcnt 0x2
	v_lshlrev_b32_e32 v12, 16, v47
	s_delay_alu instid0(VALU_DEP_2) | instskip(SKIP_2) | instid1(VALU_DEP_2)
	v_fmac_f32_e32 v29, v44, v11
	s_wait_loadcnt 0x1
	v_lshlrev_b32_e32 v11, 16, v46
	v_fmac_f32_e32 v29, v40, v12
	s_delay_alu instid0(VALU_DEP_1) | instskip(SKIP_2) | instid1(VALU_DEP_1)
	v_fmac_f32_e32 v29, v42, v11
	s_wait_loadcnt 0x0
	v_lshlrev_b32_e32 v11, 16, v45
	v_fmac_f32_e32 v29, v38, v11
.LBB548_20:                             ;   in Loop: Header=BB548_22 Depth=2
	s_or_b32 exec_lo, exec_lo, s49
	s_wait_loadcnt 0x2
	v_lshlrev_b32_e32 v12, 16, v41
	v_lshlrev_b32_e32 v11, 16, v43
	s_delay_alu instid0(VALU_DEP_1) | instskip(SKIP_1) | instid1(VALU_DEP_1)
	v_fmac_f32_e32 v28, v44, v11
	s_wait_loadcnt 0x1
	v_dual_fmac_f32 v28, v40, v12 :: v_dual_lshlrev_b32 v11, 16, v39
	s_wait_loadcnt 0x0
	s_delay_alu instid0(VALU_DEP_1) | instskip(NEXT) | instid1(VALU_DEP_1)
	v_dual_fmac_f32 v28, v42, v11 :: v_dual_lshlrev_b32 v11, 16, v37
	v_fmac_f32_e32 v28, v38, v11
.LBB548_21:                             ;   in Loop: Header=BB548_22 Depth=2
	s_or_b32 exec_lo, exec_lo, s48
	v_add_nc_u32_e32 v32, 64, v32
	v_add_nc_u32_e32 v36, s43, v36
	;; [unrolled: 1-line block ×5, first 2 shown]
	v_cmp_le_i32_e32 vcc_lo, s41, v32
	s_wait_alu 0xfffe
	s_add_co_i32 s47, s47, s44
	s_or_b32 s46, vcc_lo, s46
	s_wait_alu 0xfffe
	s_and_not1_b32 exec_lo, exec_lo, s46
	s_cbranch_execz .LBB548_27
.LBB548_22:                             ;   Parent Loop BB548_5 Depth=1
                                        ; =>  This Inner Loop Header: Depth=2
	s_and_saveexec_b32 s48, s0
	s_cbranch_execz .LBB548_21
; %bb.23:                               ;   in Loop: Header=BB548_22 Depth=2
	s_wait_alu 0xfffe
	v_add_nc_u32_e32 v11, s47, v27
	v_add_nc_u32_e32 v13, s47, v6
	;; [unrolled: 1-line block ×5, first 2 shown]
	v_ashrrev_i32_e32 v12, 31, v11
	v_ashrrev_i32_e32 v14, 31, v13
	;; [unrolled: 1-line block ×5, first 2 shown]
	v_lshlrev_b64_e32 v[11:12], 1, v[11:12]
	v_lshlrev_b64_e32 v[13:14], 1, v[13:14]
	;; [unrolled: 1-line block ×4, first 2 shown]
	v_add_nc_u32_e32 v39, s33, v36
	v_add_nc_u32_e32 v41, s33, v35
	v_add_co_u32 v11, vcc_lo, s36, v11
	s_wait_alu 0xfffd
	v_add_co_ci_u32_e64 v12, null, s37, v12, vcc_lo
	v_add_co_u32 v13, vcc_lo, s36, v13
	s_wait_alu 0xfffd
	v_add_co_ci_u32_e64 v14, null, s37, v14, vcc_lo
	;; [unrolled: 3-line block ×4, first 2 shown]
	v_lshlrev_b64_e32 v[37:38], 1, v[37:38]
	s_clause 0x3
	global_load_u16 v44, v[11:12], off
	global_load_u16 v45, v[13:14], off
	global_load_u16 v46, v[15:16], off
	global_load_u16 v47, v[17:18], off
	v_add_nc_u32_e32 v15, s33, v34
	v_ashrrev_i32_e32 v40, 31, v39
	v_ashrrev_i32_e32 v42, 31, v41
	v_add_co_u32 v11, vcc_lo, s34, v37
	s_delay_alu instid0(VALU_DEP_4) | instskip(NEXT) | instid1(VALU_DEP_4)
	v_ashrrev_i32_e32 v16, 31, v15
	v_lshlrev_b64_e32 v[13:14], 1, v[39:40]
	s_wait_alu 0xfffd
	v_add_co_ci_u32_e64 v12, null, s35, v38, vcc_lo
	v_lshlrev_b64_e32 v[37:38], 1, v[41:42]
	v_lshlrev_b64_e32 v[15:16], 1, v[15:16]
	s_delay_alu instid0(VALU_DEP_4) | instskip(SKIP_2) | instid1(VALU_DEP_4)
	v_add_co_u32 v17, vcc_lo, s34, v13
	s_wait_alu 0xfffd
	v_add_co_ci_u32_e64 v18, null, s35, v14, vcc_lo
	v_add_co_u32 v13, vcc_lo, s34, v37
	s_wait_alu 0xfffd
	v_add_co_ci_u32_e64 v14, null, s35, v38, vcc_lo
	;; [unrolled: 3-line block ×3, first 2 shown]
	s_clause 0x3
	global_load_u16 v43, v[11:12], off
	global_load_u16 v41, v[17:18], off
	;; [unrolled: 1-line block ×4, first 2 shown]
	s_wait_loadcnt 0x7
	v_lshlrev_b32_e32 v44, 16, v44
	s_wait_loadcnt 0x6
	v_lshlrev_b32_e32 v40, 16, v45
	;; [unrolled: 2-line block ×4, first 2 shown]
	s_and_saveexec_b32 s49, s1
	s_cbranch_execz .LBB548_20
; %bb.24:                               ;   in Loop: Header=BB548_22 Depth=2
	s_clause 0x3
	global_load_u16 v48, v[11:12], off offset:64
	global_load_u16 v47, v[17:18], off offset:64
	global_load_u16 v46, v[13:14], off offset:64
	global_load_u16 v45, v[15:16], off offset:64
	s_and_saveexec_b32 s50, s2
	s_cbranch_execz .LBB548_19
; %bb.25:                               ;   in Loop: Header=BB548_22 Depth=2
	s_clause 0x3
	global_load_u16 v52, v[11:12], off offset:128
	global_load_u16 v51, v[17:18], off offset:128
	global_load_u16 v50, v[13:14], off offset:128
	global_load_u16 v49, v[15:16], off offset:128
	;; [unrolled: 8-line block ×3, first 2 shown]
	s_wait_loadcnt 0x3
	v_lshlrev_b32_e32 v11, 16, v11
	s_wait_loadcnt 0x2
	s_delay_alu instid0(VALU_DEP_1) | instskip(SKIP_3) | instid1(VALU_DEP_2)
	v_dual_fmac_f32 v31, v44, v11 :: v_dual_lshlrev_b32 v12, 16, v12
	s_wait_loadcnt 0x1
	v_lshlrev_b32_e32 v11, 16, v13
	s_wait_loadcnt 0x0
	v_dual_fmac_f32 v31, v40, v12 :: v_dual_lshlrev_b32 v12, 16, v14
	s_delay_alu instid0(VALU_DEP_1) | instskip(NEXT) | instid1(VALU_DEP_1)
	v_fmac_f32_e32 v31, v42, v11
	v_fmac_f32_e32 v31, v38, v12
	s_branch .LBB548_18
.LBB548_27:                             ;   in Loop: Header=BB548_5 Depth=1
	s_or_b32 exec_lo, exec_lo, s46
.LBB548_28:                             ;   in Loop: Header=BB548_5 Depth=1
	s_wait_alu 0xfffe
	s_or_b32 exec_lo, exec_lo, s7
	s_delay_alu instid0(SALU_CYCLE_1)
	s_and_not1_b32 vcc_lo, exec_lo, s20
	s_wait_alu 0xfffe
	s_cbranch_vccnz .LBB548_46
; %bb.29:                               ;   in Loop: Header=BB548_5 Depth=1
	v_cmp_gt_i32_e32 vcc_lo, s21, v32
	v_dual_mov_b32 v34, 0 :: v_dual_mov_b32 v33, 0
	v_or_b32_e32 v11, 1, v32
	v_dual_mov_b32 v36, 0 :: v_dual_mov_b32 v35, 0
	s_and_saveexec_b32 s46, vcc_lo
	s_cbranch_execz .LBB548_37
; %bb.30:                               ;   in Loop: Header=BB548_5 Depth=1
	v_mul_lo_u32 v12, v32, s18
	v_dual_mov_b32 v35, 0 :: v_dual_mov_b32 v34, 0
	v_mov_b32_e32 v33, 0
	s_mov_b32 s47, exec_lo
	s_delay_alu instid0(VALU_DEP_3) | instskip(NEXT) | instid1(VALU_DEP_1)
	v_ashrrev_i32_e32 v13, 31, v12
	v_lshlrev_b64_e32 v[12:13], 1, v[12:13]
	s_delay_alu instid0(VALU_DEP_1) | instskip(SKIP_1) | instid1(VALU_DEP_2)
	v_add_co_u32 v12, s7, s36, v12
	s_wait_alu 0xf1ff
	v_add_co_ci_u32_e64 v13, null, s37, v13, s7
	global_load_u16 v12, v[12:13], off
	v_cmpx_gt_i32_e64 s21, v11
	s_cbranch_execz .LBB548_36
; %bb.31:                               ;   in Loop: Header=BB548_5 Depth=1
	v_mul_lo_u32 v13, v11, s18
	v_dual_mov_b32 v33, 0 :: v_dual_mov_b32 v34, 0
	s_mov_b32 s48, exec_lo
	s_delay_alu instid0(VALU_DEP_2) | instskip(NEXT) | instid1(VALU_DEP_1)
	v_ashrrev_i32_e32 v14, 31, v13
	v_lshlrev_b64_e32 v[13:14], 1, v[13:14]
	s_delay_alu instid0(VALU_DEP_1) | instskip(SKIP_1) | instid1(VALU_DEP_2)
	v_add_co_u32 v13, s7, s36, v13
	s_wait_alu 0xf1ff
	v_add_co_ci_u32_e64 v14, null, s37, v14, s7
	global_load_u16 v13, v[13:14], off
	v_or_b32_e32 v14, 2, v32
	s_delay_alu instid0(VALU_DEP_1)
	v_cmpx_gt_i32_e64 s21, v14
	s_cbranch_execz .LBB548_35
; %bb.32:                               ;   in Loop: Header=BB548_5 Depth=1
	v_mul_lo_u32 v14, v14, s18
	v_mov_b32_e32 v33, 0
	s_mov_b32 s49, exec_lo
	s_delay_alu instid0(VALU_DEP_2) | instskip(NEXT) | instid1(VALU_DEP_1)
	v_ashrrev_i32_e32 v15, 31, v14
	v_lshlrev_b64_e32 v[14:15], 1, v[14:15]
	s_delay_alu instid0(VALU_DEP_1) | instskip(SKIP_1) | instid1(VALU_DEP_2)
	v_add_co_u32 v14, s7, s36, v14
	s_wait_alu 0xf1ff
	v_add_co_ci_u32_e64 v15, null, s37, v15, s7
	global_load_u16 v14, v[14:15], off
	v_or_b32_e32 v15, 3, v32
	s_delay_alu instid0(VALU_DEP_1)
	v_cmpx_gt_i32_e64 s21, v15
	s_cbranch_execz .LBB548_34
; %bb.33:                               ;   in Loop: Header=BB548_5 Depth=1
	v_mul_lo_u32 v15, v15, s18
	s_delay_alu instid0(VALU_DEP_1) | instskip(NEXT) | instid1(VALU_DEP_1)
	v_ashrrev_i32_e32 v16, 31, v15
	v_lshlrev_b64_e32 v[15:16], 1, v[15:16]
	s_delay_alu instid0(VALU_DEP_1) | instskip(SKIP_1) | instid1(VALU_DEP_2)
	v_add_co_u32 v15, s7, s36, v15
	s_wait_alu 0xf1ff
	v_add_co_ci_u32_e64 v16, null, s37, v16, s7
	global_load_u16 v15, v[15:16], off
	s_wait_loadcnt 0x0
	v_lshlrev_b32_e32 v33, 16, v15
.LBB548_34:                             ;   in Loop: Header=BB548_5 Depth=1
	s_or_b32 exec_lo, exec_lo, s49
	s_wait_loadcnt 0x0
	v_lshlrev_b32_e32 v34, 16, v14
.LBB548_35:                             ;   in Loop: Header=BB548_5 Depth=1
	s_or_b32 exec_lo, exec_lo, s48
	s_wait_loadcnt 0x0
	v_lshlrev_b32_e32 v35, 16, v13
.LBB548_36:                             ;   in Loop: Header=BB548_5 Depth=1
	s_wait_alu 0xfffe
	s_or_b32 exec_lo, exec_lo, s47
	s_wait_loadcnt 0x0
	v_lshlrev_b32_e32 v36, 16, v12
.LBB548_37:                             ;   in Loop: Header=BB548_5 Depth=1
	s_wait_alu 0xfffe
	s_or_b32 exec_lo, exec_lo, s46
	s_and_saveexec_b32 s7, s0
	s_cbranch_execz .LBB548_45
; %bb.38:                               ;   in Loop: Header=BB548_5 Depth=1
	v_mul_lo_u32 v13, v32, s23
	v_or_b32_e32 v12, 2, v32
	v_mul_lo_u32 v15, v11, s23
	v_or_b32_e32 v14, 3, v32
	s_delay_alu instid0(VALU_DEP_3) | instskip(NEXT) | instid1(VALU_DEP_2)
	v_mul_lo_u32 v16, v12, s23
	v_mul_lo_u32 v17, v14, s23
	v_cndmask_b32_e32 v13, 0, v13, vcc_lo
	v_cmp_gt_i32_e32 vcc_lo, s21, v11
	s_wait_alu 0xfffd
	v_cndmask_b32_e32 v15, 0, v15, vcc_lo
	v_cmp_gt_i32_e32 vcc_lo, s21, v12
	s_wait_alu 0xfffd
	;; [unrolled: 3-line block ×3, first 2 shown]
	v_dual_cndmask_b32 v14, 0, v17 :: v_dual_add_nc_u32 v11, v13, v20
	v_add_nc_u32_e32 v13, v15, v20
	v_add_nc_u32_e32 v15, v12, v20
	s_delay_alu instid0(VALU_DEP_3) | instskip(NEXT) | instid1(VALU_DEP_4)
	v_ashrrev_i32_e32 v12, 31, v11
	v_add_nc_u32_e32 v17, v14, v20
	s_delay_alu instid0(VALU_DEP_4) | instskip(NEXT) | instid1(VALU_DEP_4)
	v_ashrrev_i32_e32 v14, 31, v13
	v_ashrrev_i32_e32 v16, 31, v15
	s_delay_alu instid0(VALU_DEP_4) | instskip(NEXT) | instid1(VALU_DEP_4)
	v_lshlrev_b64_e32 v[11:12], 1, v[11:12]
	v_ashrrev_i32_e32 v18, 31, v17
	s_delay_alu instid0(VALU_DEP_4) | instskip(NEXT) | instid1(VALU_DEP_4)
	v_lshlrev_b64_e32 v[13:14], 1, v[13:14]
	v_lshlrev_b64_e32 v[37:38], 1, v[15:16]
	s_delay_alu instid0(VALU_DEP_4) | instskip(NEXT) | instid1(VALU_DEP_4)
	v_add_co_u32 v15, vcc_lo, s34, v11
	v_lshlrev_b64_e32 v[39:40], 1, v[17:18]
	s_wait_alu 0xfffd
	v_add_co_ci_u32_e64 v16, null, s35, v12, vcc_lo
	v_add_co_u32 v17, vcc_lo, s34, v13
	s_wait_alu 0xfffd
	v_add_co_ci_u32_e64 v18, null, s35, v14, vcc_lo
	v_add_co_u32 v11, vcc_lo, s34, v37
	;; [unrolled: 3-line block ×3, first 2 shown]
	s_wait_alu 0xfffd
	v_add_co_ci_u32_e64 v14, null, s35, v40, vcc_lo
	s_clause 0x3
	global_load_u16 v39, v[15:16], off
	global_load_u16 v38, v[17:18], off
	;; [unrolled: 1-line block ×4, first 2 shown]
	s_and_saveexec_b32 s34, s1
	s_cbranch_execz .LBB548_44
; %bb.39:                               ;   in Loop: Header=BB548_5 Depth=1
	s_clause 0x3
	global_load_u16 v43, v[15:16], off offset:64
	global_load_u16 v42, v[17:18], off offset:64
	global_load_u16 v41, v[11:12], off offset:64
	global_load_u16 v40, v[13:14], off offset:64
	s_and_saveexec_b32 s35, s2
	s_cbranch_execz .LBB548_43
; %bb.40:                               ;   in Loop: Header=BB548_5 Depth=1
	s_clause 0x3
	global_load_u16 v47, v[15:16], off offset:128
	global_load_u16 v46, v[17:18], off offset:128
	global_load_u16 v45, v[11:12], off offset:128
	global_load_u16 v44, v[13:14], off offset:128
	;; [unrolled: 8-line block ×3, first 2 shown]
	s_wait_loadcnt 0x3
	v_lshlrev_b32_e32 v13, 16, v15
	s_wait_loadcnt 0x2
	v_lshlrev_b32_e32 v14, 16, v16
	;; [unrolled: 2-line block ×3, first 2 shown]
	s_wait_loadcnt 0x0
	v_dual_fmac_f32 v31, v36, v13 :: v_dual_lshlrev_b32 v12, 16, v12
	s_delay_alu instid0(VALU_DEP_1) | instskip(NEXT) | instid1(VALU_DEP_1)
	v_fmac_f32_e32 v31, v35, v14
	v_fmac_f32_e32 v31, v34, v11
	s_delay_alu instid0(VALU_DEP_1)
	v_fmac_f32_e32 v31, v33, v12
.LBB548_42:                             ;   in Loop: Header=BB548_5 Depth=1
	s_wait_alu 0xfffe
	s_or_b32 exec_lo, exec_lo, s36
	s_wait_loadcnt 0x2
	v_lshlrev_b32_e32 v12, 16, v46
	v_lshlrev_b32_e32 v11, 16, v47
	s_wait_loadcnt 0x1
	s_delay_alu instid0(VALU_DEP_1) | instskip(NEXT) | instid1(VALU_DEP_1)
	v_dual_fmac_f32 v30, v36, v11 :: v_dual_lshlrev_b32 v11, 16, v45
	v_fmac_f32_e32 v30, v35, v12
	s_wait_loadcnt 0x0
	s_delay_alu instid0(VALU_DEP_1) | instskip(NEXT) | instid1(VALU_DEP_1)
	v_dual_fmac_f32 v30, v34, v11 :: v_dual_lshlrev_b32 v11, 16, v44
	v_fmac_f32_e32 v30, v33, v11
.LBB548_43:                             ;   in Loop: Header=BB548_5 Depth=1
	s_wait_alu 0xfffe
	s_or_b32 exec_lo, exec_lo, s35
	s_wait_loadcnt 0x3
	v_lshlrev_b32_e32 v11, 16, v43
	s_wait_loadcnt 0x2
	s_delay_alu instid0(VALU_DEP_1) | instskip(SKIP_2) | instid1(VALU_DEP_2)
	v_dual_fmac_f32 v29, v36, v11 :: v_dual_lshlrev_b32 v12, 16, v42
	s_wait_loadcnt 0x1
	v_lshlrev_b32_e32 v11, 16, v41
	v_fmac_f32_e32 v29, v35, v12
	s_delay_alu instid0(VALU_DEP_1) | instskip(SKIP_2) | instid1(VALU_DEP_1)
	v_fmac_f32_e32 v29, v34, v11
	s_wait_loadcnt 0x0
	v_lshlrev_b32_e32 v11, 16, v40
	v_fmac_f32_e32 v29, v33, v11
.LBB548_44:                             ;   in Loop: Header=BB548_5 Depth=1
	s_wait_alu 0xfffe
	s_or_b32 exec_lo, exec_lo, s34
	s_wait_loadcnt 0x2
	v_lshlrev_b32_e32 v12, 16, v38
	v_lshlrev_b32_e32 v11, 16, v39
	s_wait_loadcnt 0x1
	s_delay_alu instid0(VALU_DEP_1) | instskip(NEXT) | instid1(VALU_DEP_1)
	v_dual_fmac_f32 v28, v36, v11 :: v_dual_lshlrev_b32 v11, 16, v37
	v_fmac_f32_e32 v28, v35, v12
	s_wait_loadcnt 0x0
	s_delay_alu instid0(VALU_DEP_1) | instskip(NEXT) | instid1(VALU_DEP_1)
	v_dual_fmac_f32 v28, v34, v11 :: v_dual_lshlrev_b32 v11, 16, v32
	v_fmac_f32_e32 v28, v33, v11
.LBB548_45:                             ;   in Loop: Header=BB548_5 Depth=1
	s_wait_alu 0xfffe
	s_or_b32 exec_lo, exec_lo, s7
.LBB548_46:                             ;   in Loop: Header=BB548_5 Depth=1
	ds_store_2addr_b32 v21, v28, v29 offset1:32
	ds_store_2addr_b32 v21, v30, v31 offset0:64 offset1:96
	s_wait_dscnt 0x0
	s_barrier_signal -1
	s_barrier_wait -1
	global_inv scope:SCOPE_SE
                                        ; implicit-def: $vgpr13
	s_and_saveexec_b32 s7, s5
	s_cbranch_execz .LBB548_66
; %bb.47:                               ;   in Loop: Header=BB548_5 Depth=1
	ds_load_2addr_stride64_b32 v[11:12], v22 offset1:2
	ds_load_2addr_stride64_b32 v[13:14], v22 offset0:4 offset1:6
	ds_load_2addr_stride64_b32 v[15:16], v22 offset0:8 offset1:10
	s_mov_b32 s35, s45
	s_wait_dscnt 0x2
	v_add_f32_e32 v17, v11, v12
	ds_load_2addr_stride64_b32 v[11:12], v22 offset0:12 offset1:14
	s_wait_dscnt 0x2
	v_add_f32_e32 v13, v13, v17
	s_delay_alu instid0(VALU_DEP_1) | instskip(SKIP_3) | instid1(VALU_DEP_1)
	v_add_f32_e32 v17, v14, v13
	ds_load_2addr_stride64_b32 v[13:14], v22 offset0:16 offset1:18
	s_wait_dscnt 0x2
	v_add_f32_e32 v15, v15, v17
	v_add_f32_e32 v17, v16, v15
	ds_load_2addr_stride64_b32 v[15:16], v22 offset0:20 offset1:22
	s_wait_dscnt 0x2
	v_add_f32_e32 v11, v11, v17
	s_delay_alu instid0(VALU_DEP_1) | instskip(SKIP_1) | instid1(VALU_DEP_1)
	v_add_f32_e32 v11, v12, v11
	s_wait_dscnt 0x1
	v_add_f32_e32 v13, v13, v11
	ds_load_2addr_stride64_b32 v[11:12], v22 offset0:24 offset1:26
	v_add_f32_e32 v13, v14, v13
	s_wait_dscnt 0x1
	s_delay_alu instid0(VALU_DEP_1) | instskip(SKIP_3) | instid1(VALU_DEP_1)
	v_add_f32_e32 v15, v15, v13
	ds_load_2addr_stride64_b32 v[13:14], v22 offset0:28 offset1:30
	v_add_f32_e32 v15, v16, v15
	s_wait_dscnt 0x1
	v_add_f32_e32 v11, v11, v15
	s_delay_alu instid0(VALU_DEP_1) | instskip(SKIP_1) | instid1(VALU_DEP_1)
	v_add_f32_e32 v11, v12, v11
	s_wait_dscnt 0x0
	v_add_f32_e32 v11, v13, v11
                                        ; implicit-def: $vgpr13
	s_delay_alu instid0(VALU_DEP_1)
	v_add_f32_e32 v11, v14, v11
	ds_store_b32 v22, v11
	s_and_saveexec_b32 s34, s6
	s_cbranch_execz .LBB548_65
; %bb.48:                               ;   in Loop: Header=BB548_5 Depth=1
	v_mul_f32_e32 v11, s22, v11
	s_and_b32 vcc_lo, exec_lo, s40
	s_mov_b32 s35, -1
                                        ; implicit-def: $vgpr12
	s_wait_alu 0xfffe
	s_cbranch_vccz .LBB548_54
; %bb.49:                               ;   in Loop: Header=BB548_5 Depth=1
	v_and_b32_e32 v12, 0x7f800000, v11
	s_delay_alu instid0(VALU_DEP_1)
	v_cmp_ne_u32_e32 vcc_lo, 0x7f800000, v12
                                        ; implicit-def: $vgpr12
	s_and_saveexec_b32 s35, vcc_lo
	s_wait_alu 0xfffe
	s_xor_b32 s35, exec_lo, s35
; %bb.50:                               ;   in Loop: Header=BB548_5 Depth=1
	v_bfe_u32 v12, v11, 16, 1
	s_delay_alu instid0(VALU_DEP_1)
	v_add3_u32 v12, v11, v12, 0x7fff
; %bb.51:                               ;   in Loop: Header=BB548_5 Depth=1
	s_wait_alu 0xfffe
	s_and_not1_saveexec_b32 s35, s35
; %bb.52:                               ;   in Loop: Header=BB548_5 Depth=1
	v_and_b32_e32 v12, 0xffff, v11
	v_or_b32_e32 v13, 0x10000, v11
	s_delay_alu instid0(VALU_DEP_2) | instskip(SKIP_1) | instid1(VALU_DEP_2)
	v_cmp_eq_u32_e32 vcc_lo, 0, v12
	s_wait_alu 0xfffd
	v_cndmask_b32_e32 v12, v13, v11, vcc_lo
; %bb.53:                               ;   in Loop: Header=BB548_5 Depth=1
	s_wait_alu 0xfffe
	s_or_b32 exec_lo, exec_lo, s35
	s_mov_b32 s35, 0
.LBB548_54:                             ;   in Loop: Header=BB548_5 Depth=1
	s_wait_alu 0xfffe
	s_and_not1_b32 vcc_lo, exec_lo, s35
	s_wait_alu 0xfffe
	s_cbranch_vccnz .LBB548_64
; %bb.55:                               ;   in Loop: Header=BB548_5 Depth=1
	v_add_co_u32 v12, vcc_lo, s16, v9
	s_wait_alu 0xfffd
	v_add_co_ci_u32_e64 v13, null, s17, v10, vcc_lo
	global_load_u16 v12, v[12:13], off
	s_wait_loadcnt 0x0
	v_lshlrev_b32_e32 v12, 16, v12
	s_delay_alu instid0(VALU_DEP_1) | instskip(NEXT) | instid1(VALU_DEP_1)
	v_mul_f32_e32 v12, s26, v12
	v_and_b32_e32 v13, 0x7f800000, v12
	s_delay_alu instid0(VALU_DEP_1)
	v_cmp_ne_u32_e32 vcc_lo, 0x7f800000, v13
                                        ; implicit-def: $vgpr13
	s_and_saveexec_b32 s35, vcc_lo
	s_wait_alu 0xfffe
	s_xor_b32 s35, exec_lo, s35
; %bb.56:                               ;   in Loop: Header=BB548_5 Depth=1
	v_bfe_u32 v13, v12, 16, 1
	s_delay_alu instid0(VALU_DEP_1)
	v_add3_u32 v13, v12, v13, 0x7fff
                                        ; implicit-def: $vgpr12
; %bb.57:                               ;   in Loop: Header=BB548_5 Depth=1
	s_wait_alu 0xfffe
	s_and_not1_saveexec_b32 s35, s35
; %bb.58:                               ;   in Loop: Header=BB548_5 Depth=1
	v_and_b32_e32 v13, 0xffff, v12
	v_or_b32_e32 v14, 0x10000, v12
	s_delay_alu instid0(VALU_DEP_2) | instskip(SKIP_1) | instid1(VALU_DEP_2)
	v_cmp_eq_u32_e32 vcc_lo, 0, v13
	s_wait_alu 0xfffd
	v_cndmask_b32_e32 v13, v14, v12, vcc_lo
; %bb.59:                               ;   in Loop: Header=BB548_5 Depth=1
	s_wait_alu 0xfffe
	s_or_b32 exec_lo, exec_lo, s35
	s_delay_alu instid0(VALU_DEP_1) | instskip(NEXT) | instid1(VALU_DEP_1)
	v_and_b32_e32 v12, 0xffff0000, v13
	v_add_f32_e32 v11, v11, v12
	s_delay_alu instid0(VALU_DEP_1) | instskip(NEXT) | instid1(VALU_DEP_1)
	v_and_b32_e32 v12, 0x7f800000, v11
	v_cmp_ne_u32_e32 vcc_lo, 0x7f800000, v12
                                        ; implicit-def: $vgpr12
	s_and_saveexec_b32 s35, vcc_lo
	s_wait_alu 0xfffe
	s_xor_b32 s35, exec_lo, s35
; %bb.60:                               ;   in Loop: Header=BB548_5 Depth=1
	v_bfe_u32 v12, v11, 16, 1
	s_delay_alu instid0(VALU_DEP_1)
	v_add3_u32 v12, v11, v12, 0x7fff
                                        ; implicit-def: $vgpr11
; %bb.61:                               ;   in Loop: Header=BB548_5 Depth=1
	s_wait_alu 0xfffe
	s_and_not1_saveexec_b32 s35, s35
; %bb.62:                               ;   in Loop: Header=BB548_5 Depth=1
	v_and_b32_e32 v12, 0xffff, v11
	v_or_b32_e32 v13, 0x10000, v11
	s_delay_alu instid0(VALU_DEP_2) | instskip(SKIP_1) | instid1(VALU_DEP_2)
	v_cmp_eq_u32_e32 vcc_lo, 0, v12
	s_wait_alu 0xfffd
	v_cndmask_b32_e32 v12, v13, v11, vcc_lo
; %bb.63:                               ;   in Loop: Header=BB548_5 Depth=1
	s_wait_alu 0xfffe
	s_or_b32 exec_lo, exec_lo, s35
.LBB548_64:                             ;   in Loop: Header=BB548_5 Depth=1
	s_delay_alu instid0(VALU_DEP_1)
	v_lshrrev_b32_e32 v13, 16, v12
	s_or_b32 s35, s45, exec_lo
.LBB548_65:                             ;   in Loop: Header=BB548_5 Depth=1
	s_wait_alu 0xfffe
	s_or_b32 exec_lo, exec_lo, s34
	s_delay_alu instid0(SALU_CYCLE_1)
	s_and_not1_b32 s34, s45, exec_lo
	s_and_b32 s35, s35, exec_lo
	s_wait_alu 0xfffe
	s_or_b32 s45, s34, s35
.LBB548_66:                             ;   in Loop: Header=BB548_5 Depth=1
	s_wait_alu 0xfffe
	s_or_b32 exec_lo, exec_lo, s7
	v_dual_mov_b32 v12, v3 :: v_dual_mov_b32 v11, v2
	s_and_saveexec_b32 s7, s45
	s_cbranch_execz .LBB548_3
	s_branch .LBB548_69
.LBB548_67:                             ;   in Loop: Header=BB548_5 Depth=1
	v_mov_b32_e32 v13, 0
	s_mov_b32 s45, exec_lo
	s_or_b32 exec_lo, exec_lo, s34
	s_delay_alu instid0(SALU_CYCLE_1)
	s_and_b32 vcc_lo, exec_lo, s7
	s_wait_alu 0xfffe
	s_cbranch_vccnz .LBB548_16
.LBB548_68:                             ;   in Loop: Header=BB548_5 Depth=1
	v_dual_mov_b32 v12, v1 :: v_dual_mov_b32 v11, v0
	s_and_saveexec_b32 s7, s45
	s_cbranch_execz .LBB548_3
.LBB548_69:                             ;   in Loop: Header=BB548_5 Depth=1
	s_delay_alu instid0(VALU_DEP_1) | instskip(SKIP_1) | instid1(VALU_DEP_1)
	v_lshlrev_b64_e32 v[11:12], 1, v[11:12]
	s_wait_alu 0xfffe
	v_add_co_u32 v11, vcc_lo, s16, v11
	s_wait_alu 0xfffd
	s_delay_alu instid0(VALU_DEP_2)
	v_add_co_ci_u32_e64 v12, null, s17, v12, vcc_lo
	global_store_b16 v[11:12], v13, off
	s_branch .LBB548_3
.LBB548_70:
	s_endpgm
	.section	.rodata,"a",@progbits
	.p2align	6, 0x0
	.amdhsa_kernel _ZL20rocblas_gemvn_kernelILi32ELi16Ei16rocblas_bfloat16fS0_EviiT3_lPKT2_lT1_lS4_lS5_lS1_lPT4_lS5_li
		.amdhsa_group_segment_fixed_size 8192
		.amdhsa_private_segment_fixed_size 0
		.amdhsa_kernarg_size 400
		.amdhsa_user_sgpr_count 2
		.amdhsa_user_sgpr_dispatch_ptr 0
		.amdhsa_user_sgpr_queue_ptr 0
		.amdhsa_user_sgpr_kernarg_segment_ptr 1
		.amdhsa_user_sgpr_dispatch_id 0
		.amdhsa_user_sgpr_private_segment_size 0
		.amdhsa_wavefront_size32 1
		.amdhsa_uses_dynamic_stack 0
		.amdhsa_enable_private_segment 0
		.amdhsa_system_sgpr_workgroup_id_x 1
		.amdhsa_system_sgpr_workgroup_id_y 0
		.amdhsa_system_sgpr_workgroup_id_z 1
		.amdhsa_system_sgpr_workgroup_info 0
		.amdhsa_system_vgpr_workitem_id 1
		.amdhsa_next_free_vgpr 53
		.amdhsa_next_free_sgpr 52
		.amdhsa_reserve_vcc 1
		.amdhsa_float_round_mode_32 0
		.amdhsa_float_round_mode_16_64 0
		.amdhsa_float_denorm_mode_32 3
		.amdhsa_float_denorm_mode_16_64 3
		.amdhsa_fp16_overflow 0
		.amdhsa_workgroup_processor_mode 1
		.amdhsa_memory_ordered 1
		.amdhsa_forward_progress 1
		.amdhsa_inst_pref_size 31
		.amdhsa_round_robin_scheduling 0
		.amdhsa_exception_fp_ieee_invalid_op 0
		.amdhsa_exception_fp_denorm_src 0
		.amdhsa_exception_fp_ieee_div_zero 0
		.amdhsa_exception_fp_ieee_overflow 0
		.amdhsa_exception_fp_ieee_underflow 0
		.amdhsa_exception_fp_ieee_inexact 0
		.amdhsa_exception_int_div_zero 0
	.end_amdhsa_kernel
	.section	.text._ZL20rocblas_gemvn_kernelILi32ELi16Ei16rocblas_bfloat16fS0_EviiT3_lPKT2_lT1_lS4_lS5_lS1_lPT4_lS5_li,"axG",@progbits,_ZL20rocblas_gemvn_kernelILi32ELi16Ei16rocblas_bfloat16fS0_EviiT3_lPKT2_lT1_lS4_lS5_lS1_lPT4_lS5_li,comdat
.Lfunc_end548:
	.size	_ZL20rocblas_gemvn_kernelILi32ELi16Ei16rocblas_bfloat16fS0_EviiT3_lPKT2_lT1_lS4_lS5_lS1_lPT4_lS5_li, .Lfunc_end548-_ZL20rocblas_gemvn_kernelILi32ELi16Ei16rocblas_bfloat16fS0_EviiT3_lPKT2_lT1_lS4_lS5_lS1_lPT4_lS5_li
                                        ; -- End function
	.set _ZL20rocblas_gemvn_kernelILi32ELi16Ei16rocblas_bfloat16fS0_EviiT3_lPKT2_lT1_lS4_lS5_lS1_lPT4_lS5_li.num_vgpr, 53
	.set _ZL20rocblas_gemvn_kernelILi32ELi16Ei16rocblas_bfloat16fS0_EviiT3_lPKT2_lT1_lS4_lS5_lS1_lPT4_lS5_li.num_agpr, 0
	.set _ZL20rocblas_gemvn_kernelILi32ELi16Ei16rocblas_bfloat16fS0_EviiT3_lPKT2_lT1_lS4_lS5_lS1_lPT4_lS5_li.numbered_sgpr, 52
	.set _ZL20rocblas_gemvn_kernelILi32ELi16Ei16rocblas_bfloat16fS0_EviiT3_lPKT2_lT1_lS4_lS5_lS1_lPT4_lS5_li.num_named_barrier, 0
	.set _ZL20rocblas_gemvn_kernelILi32ELi16Ei16rocblas_bfloat16fS0_EviiT3_lPKT2_lT1_lS4_lS5_lS1_lPT4_lS5_li.private_seg_size, 0
	.set _ZL20rocblas_gemvn_kernelILi32ELi16Ei16rocblas_bfloat16fS0_EviiT3_lPKT2_lT1_lS4_lS5_lS1_lPT4_lS5_li.uses_vcc, 1
	.set _ZL20rocblas_gemvn_kernelILi32ELi16Ei16rocblas_bfloat16fS0_EviiT3_lPKT2_lT1_lS4_lS5_lS1_lPT4_lS5_li.uses_flat_scratch, 0
	.set _ZL20rocblas_gemvn_kernelILi32ELi16Ei16rocblas_bfloat16fS0_EviiT3_lPKT2_lT1_lS4_lS5_lS1_lPT4_lS5_li.has_dyn_sized_stack, 0
	.set _ZL20rocblas_gemvn_kernelILi32ELi16Ei16rocblas_bfloat16fS0_EviiT3_lPKT2_lT1_lS4_lS5_lS1_lPT4_lS5_li.has_recursion, 0
	.set _ZL20rocblas_gemvn_kernelILi32ELi16Ei16rocblas_bfloat16fS0_EviiT3_lPKT2_lT1_lS4_lS5_lS1_lPT4_lS5_li.has_indirect_call, 0
	.section	.AMDGPU.csdata,"",@progbits
; Kernel info:
; codeLenInByte = 3860
; TotalNumSgprs: 54
; NumVgprs: 53
; ScratchSize: 0
; MemoryBound: 0
; FloatMode: 240
; IeeeMode: 1
; LDSByteSize: 8192 bytes/workgroup (compile time only)
; SGPRBlocks: 0
; VGPRBlocks: 6
; NumSGPRsForWavesPerEU: 54
; NumVGPRsForWavesPerEU: 53
; Occupancy: 16
; WaveLimiterHint : 1
; COMPUTE_PGM_RSRC2:SCRATCH_EN: 0
; COMPUTE_PGM_RSRC2:USER_SGPR: 2
; COMPUTE_PGM_RSRC2:TRAP_HANDLER: 0
; COMPUTE_PGM_RSRC2:TGID_X_EN: 1
; COMPUTE_PGM_RSRC2:TGID_Y_EN: 0
; COMPUTE_PGM_RSRC2:TGID_Z_EN: 1
; COMPUTE_PGM_RSRC2:TIDIG_COMP_CNT: 1
	.section	.text._ZL20rocblas_gemvn_kernelILi32ELi16El16rocblas_bfloat16fS0_EviiT3_lPKT2_lT1_lS4_lS5_lS1_lPT4_lS5_li,"axG",@progbits,_ZL20rocblas_gemvn_kernelILi32ELi16El16rocblas_bfloat16fS0_EviiT3_lPKT2_lT1_lS4_lS5_lS1_lPT4_lS5_li,comdat
	.globl	_ZL20rocblas_gemvn_kernelILi32ELi16El16rocblas_bfloat16fS0_EviiT3_lPKT2_lT1_lS4_lS5_lS1_lPT4_lS5_li ; -- Begin function _ZL20rocblas_gemvn_kernelILi32ELi16El16rocblas_bfloat16fS0_EviiT3_lPKT2_lT1_lS4_lS5_lS1_lPT4_lS5_li
	.p2align	8
	.type	_ZL20rocblas_gemvn_kernelILi32ELi16El16rocblas_bfloat16fS0_EviiT3_lPKT2_lT1_lS4_lS5_lS1_lPT4_lS5_li,@function
_ZL20rocblas_gemvn_kernelILi32ELi16El16rocblas_bfloat16fS0_EviiT3_lPKT2_lT1_lS4_lS5_lS1_lPT4_lS5_li: ; @_ZL20rocblas_gemvn_kernelILi32ELi16El16rocblas_bfloat16fS0_EviiT3_lPKT2_lT1_lS4_lS5_lS1_lPT4_lS5_li
; %bb.0:
	s_load_b64 s[2:3], s[0:1], 0x9c
	s_wait_kmcnt 0x0
	s_lshr_b32 s4, s2, 16
	s_and_b32 s2, s2, 0xffff
	s_and_b32 s3, s3, 0xffff
	s_mul_i32 s2, s4, s2
	s_delay_alu instid0(SALU_CYCLE_1) | instskip(NEXT) | instid1(SALU_CYCLE_1)
	s_mul_i32 s2, s2, s3
	s_cmp_lg_u32 s2, 0x200
	s_cbranch_scc1 .LBB549_70
; %bb.1:
	s_load_b32 s33, s[0:1], 0x88
	s_lshr_b32 s34, ttmp7, 16
	s_wait_kmcnt 0x0
	s_cmp_ge_u32 s34, s33
	s_cbranch_scc1 .LBB549_70
; %bb.2:
	s_clause 0x3
	s_load_b512 s[8:23], s[0:1], 0x18
	s_load_b256 s[24:31], s[0:1], 0x68
	s_load_b96 s[36:38], s[0:1], 0x0
	s_load_b32 s39, s[0:1], 0x58
	v_and_b32_e32 v1, 0x3ff, v0
	v_bfe_u32 v15, v0, 10, 10
	v_mov_b32_e32 v3, 0
	s_mov_b32 s35, 0
	s_delay_alu instid0(VALU_DEP_2) | instskip(NEXT) | instid1(VALU_DEP_1)
	v_lshlrev_b32_e32 v16, 2, v15
	v_or_b32_e32 v19, 3, v16
	v_or_b32_e32 v23, 2, v16
	s_wait_kmcnt 0x0
	s_lshl_b64 s[2:3], s[10:11], 1
	s_lshl_b64 s[10:11], s[18:19], 1
	s_lshl_b64 s[4:5], s[26:27], 1
	s_cmp_eq_f32 s38, 0
	s_add_nc_u64 s[18:19], s[8:9], s[2:3]
	v_mad_co_u64_u32 v[4:5], null, s20, v15, 0
	s_cselect_b32 s46, -1, 0
	s_cmp_neq_f32 s38, 0
	s_add_nc_u64 s[24:25], s[24:25], s[4:5]
	s_mov_b32 s6, s36
	v_mad_co_u64_u32 v[27:28], null, s20, v23, 0
	s_cselect_b32 s1, -1, 0
	s_cmp_neq_f32 s39, 1.0
	v_mad_co_u64_u32 v[29:30], null, s20, v16, s[20:21]
	v_mad_co_u64_u32 v[31:32], null, s12, v16, s[12:13]
	s_cselect_b32 s2, -1, 0
	s_lshl_b32 s8, ttmp9, 7
	s_ashr_i32 s7, s36, 31
	s_or_b32 s47, s1, s2
	s_cmp_neq_f32 s39, 0
	v_add_nc_u32_e32 v6, s8, v1
	s_add_nc_u64 s[26:27], s[16:17], s[10:11]
	s_cselect_b32 s48, -1, 0
	s_cmp_eq_f32 s39, 0
	s_delay_alu instid0(VALU_DEP_1) | instskip(SKIP_3) | instid1(SALU_CYCLE_1)
	v_add_nc_u32_e32 v8, 64, v6
	v_add_nc_u32_e32 v9, 0x60, v6
	s_cselect_b32 s49, -1, 0
	s_ashr_i32 s2, s37, 31
	s_lshr_b32 s3, s2, 26
	s_delay_alu instid0(VALU_DEP_1)
	v_cmp_gt_i32_e64 s4, s36, v9
	s_add_co_i32 s50, s37, s3
	v_cmp_gt_i32_e64 s3, s36, v8
	v_mad_co_u64_u32 v[8:9], null, s12, v19, 0
	v_lshlrev_b32_e32 v10, 2, v1
	s_and_not1_b32 s50, s50, 63
	s_delay_alu instid0(SALU_CYCLE_1) | instskip(NEXT) | instid1(VALU_DEP_1)
	s_sub_co_i32 s5, s37, s50
	v_lshl_add_u32 v17, v15, 9, v10
	v_lshl_add_u32 v18, v15, 7, v10
	v_mad_co_u64_u32 v[10:11], null, s21, v15, v[5:6]
	v_mad_co_u64_u32 v[11:12], null, s20, v19, 0
	v_mov_b32_e32 v5, v9
	s_cmp_gt_i32 s5, 0
	v_cmp_gt_i32_e64 s5, s50, v16
	s_cselect_b32 s51, -1, 0
	s_lshl_b64 s[40:41], s[14:15], 1
	v_mad_co_u64_u32 v[13:14], null, s13, v19, v[5:6]
	v_dual_mov_b32 v5, v10 :: v_dual_mov_b32 v10, v12
	v_lshl_add_u32 v0, v15, 5, v1
	v_ashrrev_i32_e32 v7, 31, v6
	v_cmp_gt_i32_e64 s1, s36, v6
	s_delay_alu instid0(VALU_DEP_4) | instskip(NEXT) | instid1(VALU_DEP_4)
	v_lshlrev_b64_e32 v[4:5], 3, v[4:5]
	v_dual_mov_b32 v9, v13 :: v_dual_add_nc_u32 v2, s8, v0
	v_cmp_gt_u32_e64 s0, 0x80, v0
	v_or_b32_e32 v20, s8, v0
	v_mad_co_u64_u32 v[12:13], null, s21, v19, v[10:11]
	s_delay_alu instid0(VALU_DEP_4)
	v_mad_co_u64_u32 v[0:1], null, s28, v2, 0
	v_cmp_gt_i64_e32 vcc_lo, s[6:7], v[2:3]
	v_mad_co_u64_u32 v[13:14], null, s12, v15, 0
	v_add_nc_u32_e32 v3, 32, v6
	s_ashr_i32 s6, s8, 31
	v_mul_lo_u32 v21, s29, v20
	v_mad_co_u64_u32 v[1:2], null, s29, v2, v[1:2]
	s_delay_alu instid0(VALU_DEP_3)
	v_cmp_gt_i32_e64 s2, s36, v3
	v_mad_co_u64_u32 v[2:3], null, s28, v20, 0
	s_wait_alu 0xfffe
	s_mul_i32 s7, s28, s6
	v_cmp_gt_i32_e64 s6, s36, v20
	s_and_b32 s36, s0, vcc_lo
	v_add_co_u32 v19, vcc_lo, s16, v4
	s_delay_alu instid0(VALU_DEP_1)
	v_add_co_ci_u32_e64 v20, null, s17, v5, vcc_lo
	v_lshlrev_b64_e32 v[4:5], 1, v[6:7]
	v_lshlrev_b64_e32 v[6:7], 1, v[8:9]
	v_mad_co_u64_u32 v[9:10], null, s12, v23, 0
	v_mov_b32_e32 v8, v14
	s_wait_alu 0xfffe
	v_add3_u32 v3, v3, s7, v21
	s_lshl_b64 s[28:29], s[22:23], 1
	v_add_co_u32 v21, vcc_lo, s18, v6
	s_wait_alu 0xfffd
	v_add_co_ci_u32_e64 v22, null, s19, v7, vcc_lo
	v_mad_co_u64_u32 v[14:15], null, s13, v15, v[8:9]
	v_lshlrev_b64_e32 v[7:8], 1, v[11:12]
	v_mov_b32_e32 v6, v10
	v_mov_b32_e32 v10, v28
	s_lshl_b64 s[42:43], s[12:13], 7
	s_delay_alu instid0(VALU_DEP_2) | instskip(SKIP_1) | instid1(VALU_DEP_2)
	v_mad_co_u64_u32 v[11:12], null, s13, v23, v[6:7]
	v_mov_b32_e32 v6, v30
	v_mad_co_u64_u32 v[25:26], null, s21, v23, v[10:11]
	v_add_co_u32 v23, vcc_lo, s16, v7
	s_wait_alu 0xfffd
	v_add_co_ci_u32_e64 v24, null, s17, v8, vcc_lo
	v_lshlrev_b64_e32 v[7:8], 3, v[13:14]
	v_mov_b32_e32 v10, v11
	v_mov_b32_e32 v28, v25
	s_delay_alu instid0(VALU_DEP_3)
	v_add_co_u32 v25, vcc_lo, s18, v7
	v_mad_co_u64_u32 v[11:12], null, s21, v16, v[6:7]
	s_wait_alu 0xfffd
	v_add_co_ci_u32_e64 v26, null, s19, v8, vcc_lo
	v_lshlrev_b64_e32 v[7:8], 1, v[9:10]
	v_mov_b32_e32 v6, v32
	v_lshlrev_b64_e32 v[12:13], 1, v[27:28]
	v_mov_b32_e32 v30, v11
	s_delay_alu instid0(VALU_DEP_3) | instskip(SKIP_1) | instid1(VALU_DEP_3)
	v_mad_co_u64_u32 v[9:10], null, s13, v16, v[6:7]
	v_add_co_u32 v27, vcc_lo, s18, v7
	v_lshlrev_b64_e32 v[6:7], 1, v[29:30]
	s_wait_alu 0xfffd
	v_add_co_ci_u32_e64 v28, null, s19, v8, vcc_lo
	v_add_co_u32 v29, vcc_lo, s16, v12
	v_mov_b32_e32 v32, v9
	s_wait_alu 0xfffd
	v_add_co_ci_u32_e64 v30, null, s17, v13, vcc_lo
	s_delay_alu instid0(VALU_DEP_2) | instskip(SKIP_4) | instid1(VALU_DEP_4)
	v_lshlrev_b64_e32 v[8:9], 1, v[31:32]
	v_add_co_u32 v31, vcc_lo, s16, v6
	s_wait_alu 0xfffd
	v_add_co_ci_u32_e64 v32, null, s17, v7, vcc_lo
	v_lshlrev_b64_e32 v[6:7], 1, v[0:1]
	v_add_co_u32 v33, vcc_lo, s18, v8
	s_wait_alu 0xfffd
	v_add_co_ci_u32_e64 v34, null, s19, v9, vcc_lo
	s_lshl_b64 s[16:17], s[20:21], 7
	s_branch .LBB549_5
.LBB549_3:                              ;   in Loop: Header=BB549_5 Depth=1
	s_wait_alu 0xfffe
	s_or_b32 exec_lo, exec_lo, s7
.LBB549_4:                              ;   in Loop: Header=BB549_5 Depth=1
	s_add_co_i32 s34, s34, 0x10000
	s_delay_alu instid0(SALU_CYCLE_1)
	s_cmp_lt_u32 s34, s33
	s_cbranch_scc0 .LBB549_70
.LBB549_5:                              ; =>This Loop Header: Depth=1
                                        ;     Child Loop BB549_22 Depth 2
	s_and_not1_b32 vcc_lo, exec_lo, s47
	s_wait_alu 0xfffe
	s_cbranch_vccnz .LBB549_4
; %bb.6:                                ;   in Loop: Header=BB549_5 Depth=1
	s_mul_u64 s[8:9], s[30:31], s[34:35]
	s_and_not1_b32 vcc_lo, exec_lo, s46
	s_wait_alu 0xfffe
	s_lshl_b64 s[8:9], s[8:9], 1
	s_wait_alu 0xfffe
	s_add_nc_u64 s[44:45], s[24:25], s[8:9]
	s_cbranch_vccnz .LBB549_14
; %bb.7:                                ;   in Loop: Header=BB549_5 Depth=1
	s_mov_b32 s7, 0
	s_mov_b32 s52, 0
                                        ; implicit-def: $vgpr10
	s_and_saveexec_b32 s8, s36
	s_cbranch_execz .LBB549_15
; %bb.8:                                ;   in Loop: Header=BB549_5 Depth=1
	s_and_not1_b32 vcc_lo, exec_lo, s48
	s_wait_alu 0xfffe
	s_cbranch_vccnz .LBB549_67
; %bb.9:                                ;   in Loop: Header=BB549_5 Depth=1
	v_add_co_u32 v8, vcc_lo, s44, v6
	s_wait_alu 0xfffd
	v_add_co_ci_u32_e64 v9, null, s45, v7, vcc_lo
	global_load_u16 v8, v[8:9], off
	s_wait_loadcnt 0x0
	v_lshlrev_b32_e32 v8, 16, v8
	s_delay_alu instid0(VALU_DEP_1) | instskip(NEXT) | instid1(VALU_DEP_1)
	v_mul_f32_e32 v8, s39, v8
	v_and_b32_e32 v9, 0x7f800000, v8
	s_delay_alu instid0(VALU_DEP_1)
	v_cmp_ne_u32_e32 vcc_lo, 0x7f800000, v9
                                        ; implicit-def: $vgpr9
	s_and_saveexec_b32 s9, vcc_lo
	s_wait_alu 0xfffe
	s_xor_b32 s9, exec_lo, s9
; %bb.10:                               ;   in Loop: Header=BB549_5 Depth=1
	v_bfe_u32 v9, v8, 16, 1
	s_delay_alu instid0(VALU_DEP_1)
	v_add3_u32 v9, v8, v9, 0x7fff
                                        ; implicit-def: $vgpr8
; %bb.11:                               ;   in Loop: Header=BB549_5 Depth=1
	s_wait_alu 0xfffe
	s_and_not1_saveexec_b32 s9, s9
; %bb.12:                               ;   in Loop: Header=BB549_5 Depth=1
	v_and_b32_e32 v9, 0xffff, v8
	v_or_b32_e32 v10, 0x10000, v8
	s_delay_alu instid0(VALU_DEP_2) | instskip(SKIP_1) | instid1(VALU_DEP_2)
	v_cmp_eq_u32_e32 vcc_lo, 0, v9
	s_wait_alu 0xfffd
	v_cndmask_b32_e32 v9, v10, v8, vcc_lo
; %bb.13:                               ;   in Loop: Header=BB549_5 Depth=1
	s_wait_alu 0xfffe
	s_or_b32 exec_lo, exec_lo, s9
	s_delay_alu instid0(VALU_DEP_1) | instskip(SKIP_2) | instid1(SALU_CYCLE_1)
	v_lshrrev_b32_e32 v10, 16, v9
	s_mov_b32 s52, exec_lo
	s_or_b32 exec_lo, exec_lo, s8
	s_and_b32 vcc_lo, exec_lo, s7
	s_wait_alu 0xfffe
	s_cbranch_vccnz .LBB549_16
	s_branch .LBB549_68
.LBB549_14:                             ;   in Loop: Header=BB549_5 Depth=1
	s_mov_b32 s52, 0
                                        ; implicit-def: $vgpr10
	s_cbranch_execnz .LBB549_16
	s_branch .LBB549_68
.LBB549_15:                             ;   in Loop: Header=BB549_5 Depth=1
	s_wait_alu 0xfffe
	s_or_b32 exec_lo, exec_lo, s8
	s_delay_alu instid0(SALU_CYCLE_1)
	s_and_b32 vcc_lo, exec_lo, s7
	s_wait_alu 0xfffe
	s_cbranch_vccz .LBB549_68
.LBB549_16:                             ;   in Loop: Header=BB549_5 Depth=1
	v_dual_mov_b32 v35, 0 :: v_dual_mov_b32 v36, 0
	v_dual_mov_b32 v39, v16 :: v_dual_mov_b32 v38, 0
	v_mov_b32_e32 v37, 0
	s_and_saveexec_b32 s8, s5
	s_cbranch_execz .LBB549_28
; %bb.17:                               ;   in Loop: Header=BB549_5 Depth=1
	s_mul_u64 s[54:55], s[28:29], s[34:35]
	s_mul_u64 s[56:57], s[40:41], s[34:35]
	s_wait_alu 0xfffe
	v_add_co_u32 v40, vcc_lo, v19, s54
	s_wait_alu 0xfffd
	v_add_co_ci_u32_e64 v41, null, s55, v20, vcc_lo
	v_add_co_u32 v42, vcc_lo, v21, s56
	s_wait_alu 0xfffd
	v_add_co_ci_u32_e64 v43, null, s57, v22, vcc_lo
	;; [unrolled: 3-line block ×8, first 2 shown]
	v_dual_mov_b32 v35, 0 :: v_dual_mov_b32 v36, 0
	v_dual_mov_b32 v39, v16 :: v_dual_mov_b32 v38, 0
	v_mov_b32_e32 v37, 0
	s_mov_b32 s9, 0
	s_branch .LBB549_22
.LBB549_18:                             ;   in Loop: Header=BB549_22 Depth=2
	s_wait_alu 0xfffe
	s_or_b32 exec_lo, exec_lo, s55
	s_wait_loadcnt 0x2
	v_lshlrev_b32_e32 v9, 16, v70
	v_lshlrev_b32_e32 v8, 16, v71
	s_wait_loadcnt 0x1
	s_delay_alu instid0(VALU_DEP_1) | instskip(NEXT) | instid1(VALU_DEP_1)
	v_dual_fmac_f32 v37, v63, v8 :: v_dual_lshlrev_b32 v8, 16, v69
	v_fmac_f32_e32 v37, v59, v9
	s_delay_alu instid0(VALU_DEP_1) | instskip(SKIP_2) | instid1(VALU_DEP_1)
	v_fmac_f32_e32 v37, v61, v8
	s_wait_loadcnt 0x0
	v_lshlrev_b32_e32 v8, 16, v68
	v_fmac_f32_e32 v37, v57, v8
.LBB549_19:                             ;   in Loop: Header=BB549_22 Depth=2
	s_wait_alu 0xfffe
	s_or_b32 exec_lo, exec_lo, s54
	s_wait_loadcnt 0x3
	v_lshlrev_b32_e32 v8, 16, v67
	s_wait_loadcnt 0x2
	s_delay_alu instid0(VALU_DEP_1) | instskip(SKIP_2) | instid1(VALU_DEP_2)
	v_dual_fmac_f32 v36, v63, v8 :: v_dual_lshlrev_b32 v9, 16, v66
	s_wait_loadcnt 0x1
	v_lshlrev_b32_e32 v8, 16, v65
	v_fmac_f32_e32 v36, v59, v9
	s_delay_alu instid0(VALU_DEP_1) | instskip(SKIP_2) | instid1(VALU_DEP_1)
	v_fmac_f32_e32 v36, v61, v8
	s_wait_loadcnt 0x0
	v_lshlrev_b32_e32 v8, 16, v64
	v_fmac_f32_e32 v36, v57, v8
.LBB549_20:                             ;   in Loop: Header=BB549_22 Depth=2
	s_or_b32 exec_lo, exec_lo, s53
	s_wait_loadcnt 0x2
	v_lshlrev_b32_e32 v9, 16, v60
	v_lshlrev_b32_e32 v8, 16, v62
	s_wait_loadcnt 0x1
	s_delay_alu instid0(VALU_DEP_1) | instskip(NEXT) | instid1(VALU_DEP_1)
	v_dual_fmac_f32 v35, v63, v8 :: v_dual_lshlrev_b32 v8, 16, v58
	v_fmac_f32_e32 v35, v59, v9
	s_delay_alu instid0(VALU_DEP_1) | instskip(SKIP_2) | instid1(VALU_DEP_1)
	v_fmac_f32_e32 v35, v61, v8
	s_wait_loadcnt 0x0
	v_lshlrev_b32_e32 v8, 16, v56
	v_fmac_f32_e32 v35, v57, v8
.LBB549_21:                             ;   in Loop: Header=BB549_22 Depth=2
	s_wait_alu 0xfffe
	s_or_b32 exec_lo, exec_lo, s7
	v_add_co_u32 v40, vcc_lo, v40, s16
	s_wait_alu 0xfffd
	v_add_co_ci_u32_e64 v41, null, s17, v41, vcc_lo
	v_add_co_u32 v42, vcc_lo, v42, s42
	s_wait_alu 0xfffd
	v_add_co_ci_u32_e64 v43, null, s43, v43, vcc_lo
	;; [unrolled: 3-line block ×4, first 2 shown]
	v_add_co_u32 v48, vcc_lo, v48, s42
	v_add_nc_u32_e32 v39, 64, v39
	s_wait_alu 0xfffd
	v_add_co_ci_u32_e64 v49, null, s43, v49, vcc_lo
	v_add_co_u32 v50, vcc_lo, v50, s16
	s_wait_alu 0xfffd
	v_add_co_ci_u32_e64 v51, null, s17, v51, vcc_lo
	v_add_co_u32 v52, vcc_lo, v52, s16
	s_wait_alu 0xfffd
	v_add_co_ci_u32_e64 v53, null, s17, v53, vcc_lo
	v_cmp_le_i32_e32 vcc_lo, s50, v39
	v_add_co_u32 v54, s7, v54, s42
	s_wait_alu 0xf1ff
	v_add_co_ci_u32_e64 v55, null, s43, v55, s7
	s_or_b32 s9, vcc_lo, s9
	s_wait_alu 0xfffe
	s_and_not1_b32 exec_lo, exec_lo, s9
	s_cbranch_execz .LBB549_27
.LBB549_22:                             ;   Parent Loop BB549_5 Depth=1
                                        ; =>  This Inner Loop Header: Depth=2
	s_and_saveexec_b32 s7, s1
	s_cbranch_execz .LBB549_21
; %bb.23:                               ;   in Loop: Header=BB549_22 Depth=2
	v_add_co_u32 v8, vcc_lo, v40, s10
	s_wait_alu 0xfffd
	v_add_co_ci_u32_e64 v9, null, s11, v41, vcc_lo
	v_add_co_u32 v10, vcc_lo, v52, s10
	s_wait_alu 0xfffd
	v_add_co_ci_u32_e64 v11, null, s11, v53, vcc_lo
	;; [unrolled: 3-line block ×4, first 2 shown]
	global_load_u16 v57, v[8:9], off
	global_load_u16 v59, v[10:11], off
	global_load_u16 v61, v[12:13], off
	global_load_u16 v64, v[14:15], off
	v_add_co_u32 v8, vcc_lo, v46, v4
	s_wait_alu 0xfffd
	v_add_co_ci_u32_e64 v9, null, v47, v5, vcc_lo
	v_add_co_u32 v12, vcc_lo, v54, v4
	s_wait_alu 0xfffd
	v_add_co_ci_u32_e64 v13, null, v55, v5, vcc_lo
	;; [unrolled: 3-line block ×4, first 2 shown]
	global_load_u16 v62, v[8:9], off
	global_load_u16 v60, v[12:13], off
	;; [unrolled: 1-line block ×4, first 2 shown]
	s_wait_loadcnt 0x7
	v_lshlrev_b32_e32 v63, 16, v57
	s_wait_loadcnt 0x6
	v_lshlrev_b32_e32 v59, 16, v59
	;; [unrolled: 2-line block ×4, first 2 shown]
	s_and_saveexec_b32 s53, s2
	s_cbranch_execz .LBB549_20
; %bb.24:                               ;   in Loop: Header=BB549_22 Depth=2
	global_load_u16 v67, v[8:9], off offset:64
	global_load_u16 v66, v[12:13], off offset:64
	global_load_u16 v65, v[10:11], off offset:64
	global_load_u16 v64, v[14:15], off offset:64
	s_and_saveexec_b32 s54, s3
	s_cbranch_execz .LBB549_19
; %bb.25:                               ;   in Loop: Header=BB549_22 Depth=2
	global_load_u16 v71, v[8:9], off offset:128
	global_load_u16 v70, v[12:13], off offset:128
	global_load_u16 v69, v[10:11], off offset:128
	global_load_u16 v68, v[14:15], off offset:128
	;; [unrolled: 7-line block ×3, first 2 shown]
	s_wait_loadcnt 0x3
	v_lshlrev_b32_e32 v8, 16, v8
	s_wait_loadcnt 0x2
	s_delay_alu instid0(VALU_DEP_1) | instskip(SKIP_3) | instid1(VALU_DEP_2)
	v_dual_fmac_f32 v38, v63, v8 :: v_dual_lshlrev_b32 v9, 16, v9
	s_wait_loadcnt 0x1
	v_lshlrev_b32_e32 v8, 16, v10
	s_wait_loadcnt 0x0
	v_dual_fmac_f32 v38, v59, v9 :: v_dual_lshlrev_b32 v9, 16, v11
	s_delay_alu instid0(VALU_DEP_1) | instskip(NEXT) | instid1(VALU_DEP_1)
	v_fmac_f32_e32 v38, v61, v8
	v_fmac_f32_e32 v38, v57, v9
	s_branch .LBB549_18
.LBB549_27:                             ;   in Loop: Header=BB549_5 Depth=1
	s_or_b32 exec_lo, exec_lo, s9
.LBB549_28:                             ;   in Loop: Header=BB549_5 Depth=1
	s_wait_alu 0xfffe
	s_or_b32 exec_lo, exec_lo, s8
	s_delay_alu instid0(SALU_CYCLE_1)
	s_and_not1_b32 vcc_lo, exec_lo, s51
	s_wait_alu 0xfffe
	s_cbranch_vccnz .LBB549_46
; %bb.29:                               ;   in Loop: Header=BB549_5 Depth=1
	v_cmp_gt_i32_e32 vcc_lo, s37, v39
	v_dual_mov_b32 v41, 0 :: v_dual_mov_b32 v40, 0
	v_or_b32_e32 v8, 1, v39
	v_dual_mov_b32 v43, 0 :: v_dual_mov_b32 v42, 0
	s_and_saveexec_b32 s53, vcc_lo
	s_cbranch_execz .LBB549_37
; %bb.30:                               ;   in Loop: Header=BB549_5 Depth=1
	v_mad_co_u64_u32 v[9:10], null, s20, v39, 0
	s_mul_u64 s[8:9], s[22:23], s[34:35]
	v_dual_mov_b32 v42, 0 :: v_dual_mov_b32 v41, 0
	s_wait_alu 0xfffe
	s_lshl_b64 s[8:9], s[8:9], 1
	v_mov_b32_e32 v40, 0
	s_wait_alu 0xfffe
	s_add_nc_u64 s[8:9], s[26:27], s[8:9]
	v_mad_co_u64_u32 v[10:11], null, s21, v39, v[10:11]
	s_mov_b32 s54, exec_lo
	v_lshlrev_b64_e32 v[9:10], 1, v[9:10]
	s_wait_alu 0xfffe
	s_delay_alu instid0(VALU_DEP_1) | instskip(SKIP_1) | instid1(VALU_DEP_2)
	v_add_co_u32 v9, s7, s8, v9
	s_wait_alu 0xf1ff
	v_add_co_ci_u32_e64 v10, null, s9, v10, s7
	global_load_u16 v9, v[9:10], off
	v_cmpx_gt_i32_e64 s37, v8
	s_cbranch_execz .LBB549_36
; %bb.31:                               ;   in Loop: Header=BB549_5 Depth=1
	v_mad_co_u64_u32 v[10:11], null, s20, v8, 0
	v_dual_mov_b32 v40, 0 :: v_dual_mov_b32 v41, 0
	s_mov_b32 s55, exec_lo
	s_delay_alu instid0(VALU_DEP_2) | instskip(NEXT) | instid1(VALU_DEP_1)
	v_mad_co_u64_u32 v[11:12], null, s21, v8, v[11:12]
	v_lshlrev_b64_e32 v[10:11], 1, v[10:11]
	s_delay_alu instid0(VALU_DEP_1) | instskip(SKIP_1) | instid1(VALU_DEP_2)
	v_add_co_u32 v10, s7, s8, v10
	s_wait_alu 0xf1ff
	v_add_co_ci_u32_e64 v11, null, s9, v11, s7
	global_load_u16 v10, v[10:11], off
	v_or_b32_e32 v11, 2, v39
	s_delay_alu instid0(VALU_DEP_1)
	v_cmpx_gt_i32_e64 s37, v11
	s_cbranch_execz .LBB549_35
; %bb.32:                               ;   in Loop: Header=BB549_5 Depth=1
	v_mad_co_u64_u32 v[12:13], null, s20, v11, 0
	v_mov_b32_e32 v40, 0
	s_mov_b32 s56, exec_lo
	s_delay_alu instid0(VALU_DEP_2) | instskip(NEXT) | instid1(VALU_DEP_1)
	v_mad_co_u64_u32 v[13:14], null, s21, v11, v[13:14]
	v_lshlrev_b64_e32 v[11:12], 1, v[12:13]
	s_delay_alu instid0(VALU_DEP_1) | instskip(SKIP_1) | instid1(VALU_DEP_2)
	v_add_co_u32 v11, s7, s8, v11
	s_wait_alu 0xf1ff
	v_add_co_ci_u32_e64 v12, null, s9, v12, s7
	global_load_u16 v11, v[11:12], off
	v_or_b32_e32 v12, 3, v39
	s_delay_alu instid0(VALU_DEP_1)
	v_cmpx_gt_i32_e64 s37, v12
	s_cbranch_execz .LBB549_34
; %bb.33:                               ;   in Loop: Header=BB549_5 Depth=1
	v_mad_co_u64_u32 v[13:14], null, s20, v12, 0
	s_delay_alu instid0(VALU_DEP_1) | instskip(NEXT) | instid1(VALU_DEP_1)
	v_mad_co_u64_u32 v[14:15], null, s21, v12, v[14:15]
	v_lshlrev_b64_e32 v[12:13], 1, v[13:14]
	s_delay_alu instid0(VALU_DEP_1) | instskip(SKIP_1) | instid1(VALU_DEP_2)
	v_add_co_u32 v12, s7, s8, v12
	s_wait_alu 0xf1ff
	v_add_co_ci_u32_e64 v13, null, s9, v13, s7
	global_load_u16 v12, v[12:13], off
	s_wait_loadcnt 0x0
	v_lshlrev_b32_e32 v40, 16, v12
.LBB549_34:                             ;   in Loop: Header=BB549_5 Depth=1
	s_wait_alu 0xfffe
	s_or_b32 exec_lo, exec_lo, s56
	s_wait_loadcnt 0x0
	v_lshlrev_b32_e32 v41, 16, v11
.LBB549_35:                             ;   in Loop: Header=BB549_5 Depth=1
	s_wait_alu 0xfffe
	s_or_b32 exec_lo, exec_lo, s55
	s_wait_loadcnt 0x0
	v_lshlrev_b32_e32 v42, 16, v10
.LBB549_36:                             ;   in Loop: Header=BB549_5 Depth=1
	s_or_b32 exec_lo, exec_lo, s54
	s_wait_loadcnt 0x0
	v_lshlrev_b32_e32 v43, 16, v9
.LBB549_37:                             ;   in Loop: Header=BB549_5 Depth=1
	s_or_b32 exec_lo, exec_lo, s53
	s_and_saveexec_b32 s9, s1
	s_cbranch_execz .LBB549_45
; %bb.38:                               ;   in Loop: Header=BB549_5 Depth=1
	v_mad_co_u64_u32 v[9:10], null, s12, v39, 0
	v_mad_co_u64_u32 v[11:12], null, s12, v8, 0
	v_or_b32_e32 v48, 2, v39
	v_or_b32_e32 v49, 3, v39
	s_mul_u64 s[54:55], s[14:15], s[34:35]
	s_wait_alu 0xfffe
	s_lshl_b64 s[54:55], s[54:55], 1
	v_cmp_gt_i32_e64 s7, s37, v48
	s_delay_alu instid0(VALU_DEP_4) | instskip(SKIP_4) | instid1(VALU_DEP_2)
	v_mad_co_u64_u32 v[13:14], null, s13, v39, v[10:11]
	v_mad_co_u64_u32 v[14:15], null, s12, v48, 0
	;; [unrolled: 1-line block ×3, first 2 shown]
	s_wait_alu 0xfffe
	s_add_nc_u64 s[54:55], s[18:19], s[54:55]
	v_dual_cndmask_b32 v10, 0, v13 :: v_dual_mov_b32 v13, v15
	s_delay_alu instid0(VALU_DEP_2) | instskip(NEXT) | instid1(VALU_DEP_2)
	v_mov_b32_e32 v15, v45
	v_mad_co_u64_u32 v[46:47], null, s13, v8, v[12:13]
	v_cndmask_b32_e32 v9, 0, v9, vcc_lo
	v_cmp_gt_i32_e32 vcc_lo, s37, v8
	s_wait_alu 0xfffd
	s_delay_alu instid0(VALU_DEP_3) | instskip(NEXT) | instid1(VALU_DEP_3)
	v_dual_cndmask_b32 v11, 0, v11 :: v_dual_cndmask_b32 v12, 0, v46
	v_lshlrev_b64_e32 v[9:10], 1, v[9:10]
	s_wait_alu 0xfffe
	s_delay_alu instid0(VALU_DEP_1) | instskip(SKIP_1) | instid1(VALU_DEP_2)
	v_add_co_u32 v8, s8, s54, v9
	s_wait_alu 0xf1ff
	v_add_co_ci_u32_e64 v9, null, s55, v10, s8
	v_lshlrev_b64_e32 v[10:11], 1, v[11:12]
	s_delay_alu instid0(VALU_DEP_3) | instskip(SKIP_1) | instid1(VALU_DEP_3)
	v_add_co_u32 v8, vcc_lo, v8, v4
	s_wait_alu 0xfffd
	v_add_co_ci_u32_e64 v9, null, v9, v5, vcc_lo
	v_cmp_gt_i32_e32 vcc_lo, s37, v49
	v_cndmask_b32_e64 v12, 0, v14, s7
	s_wait_alu 0xfffd
	v_cndmask_b32_e32 v44, 0, v44, vcc_lo
	v_mad_co_u64_u32 v[47:48], null, s13, v48, v[13:14]
	v_mad_co_u64_u32 v[14:15], null, s13, v49, v[15:16]
	s_delay_alu instid0(VALU_DEP_2) | instskip(SKIP_1) | instid1(VALU_DEP_3)
	v_cndmask_b32_e64 v13, 0, v47, s7
	v_add_co_u32 v10, s7, s54, v10
	v_cndmask_b32_e32 v45, 0, v14, vcc_lo
	s_wait_alu 0xf1ff
	v_add_co_ci_u32_e64 v11, null, s55, v11, s7
	v_lshlrev_b64_e32 v[12:13], 1, v[12:13]
	v_add_co_u32 v10, vcc_lo, v10, v4
	v_lshlrev_b64_e32 v[14:15], 1, v[44:45]
	s_wait_alu 0xfffd
	v_add_co_ci_u32_e64 v11, null, v11, v5, vcc_lo
	s_delay_alu instid0(VALU_DEP_4)
	v_add_co_u32 v12, vcc_lo, s54, v12
	s_wait_alu 0xfffd
	v_add_co_ci_u32_e64 v13, null, s55, v13, vcc_lo
	v_add_co_u32 v14, vcc_lo, s54, v14
	s_wait_alu 0xfffd
	v_add_co_ci_u32_e64 v15, null, s55, v15, vcc_lo
	;; [unrolled: 3-line block ×4, first 2 shown]
	s_clause 0x3
	global_load_u16 v46, v[8:9], off
	global_load_u16 v45, v[10:11], off
	;; [unrolled: 1-line block ×4, first 2 shown]
	s_and_saveexec_b32 s7, s2
	s_cbranch_execz .LBB549_44
; %bb.39:                               ;   in Loop: Header=BB549_5 Depth=1
	s_clause 0x3
	global_load_u16 v50, v[8:9], off offset:64
	global_load_u16 v49, v[10:11], off offset:64
	global_load_u16 v48, v[12:13], off offset:64
	global_load_u16 v47, v[14:15], off offset:64
	s_and_saveexec_b32 s8, s3
	s_cbranch_execz .LBB549_43
; %bb.40:                               ;   in Loop: Header=BB549_5 Depth=1
	s_clause 0x3
	global_load_u16 v54, v[8:9], off offset:128
	global_load_u16 v53, v[10:11], off offset:128
	global_load_u16 v52, v[12:13], off offset:128
	global_load_u16 v51, v[14:15], off offset:128
	;; [unrolled: 8-line block ×3, first 2 shown]
	s_wait_loadcnt 0x3
	v_lshlrev_b32_e32 v8, 16, v8
	s_wait_loadcnt 0x2
	s_delay_alu instid0(VALU_DEP_1) | instskip(SKIP_3) | instid1(VALU_DEP_2)
	v_dual_fmac_f32 v38, v43, v8 :: v_dual_lshlrev_b32 v9, 16, v9
	s_wait_loadcnt 0x1
	v_lshlrev_b32_e32 v8, 16, v10
	s_wait_loadcnt 0x0
	v_dual_fmac_f32 v38, v42, v9 :: v_dual_lshlrev_b32 v9, 16, v11
	s_delay_alu instid0(VALU_DEP_1) | instskip(NEXT) | instid1(VALU_DEP_1)
	v_fmac_f32_e32 v38, v41, v8
	v_fmac_f32_e32 v38, v40, v9
.LBB549_42:                             ;   in Loop: Header=BB549_5 Depth=1
	s_or_b32 exec_lo, exec_lo, s53
	s_wait_loadcnt 0x2
	v_lshlrev_b32_e32 v9, 16, v53
	v_lshlrev_b32_e32 v8, 16, v54
	s_delay_alu instid0(VALU_DEP_1) | instskip(SKIP_1) | instid1(VALU_DEP_1)
	v_fmac_f32_e32 v37, v43, v8
	s_wait_loadcnt 0x1
	v_dual_fmac_f32 v37, v42, v9 :: v_dual_lshlrev_b32 v8, 16, v52
	s_wait_loadcnt 0x0
	s_delay_alu instid0(VALU_DEP_1) | instskip(NEXT) | instid1(VALU_DEP_1)
	v_dual_fmac_f32 v37, v41, v8 :: v_dual_lshlrev_b32 v8, 16, v51
	v_fmac_f32_e32 v37, v40, v8
.LBB549_43:                             ;   in Loop: Header=BB549_5 Depth=1
	s_wait_alu 0xfffe
	s_or_b32 exec_lo, exec_lo, s8
	s_wait_loadcnt 0x3
	v_lshlrev_b32_e32 v8, 16, v50
	s_wait_loadcnt 0x2
	s_delay_alu instid0(VALU_DEP_1) | instskip(SKIP_2) | instid1(VALU_DEP_2)
	v_dual_fmac_f32 v36, v43, v8 :: v_dual_lshlrev_b32 v9, 16, v49
	s_wait_loadcnt 0x1
	v_lshlrev_b32_e32 v8, 16, v48
	v_fmac_f32_e32 v36, v42, v9
	s_delay_alu instid0(VALU_DEP_1) | instskip(SKIP_2) | instid1(VALU_DEP_1)
	v_fmac_f32_e32 v36, v41, v8
	s_wait_loadcnt 0x0
	v_lshlrev_b32_e32 v8, 16, v47
	v_fmac_f32_e32 v36, v40, v8
.LBB549_44:                             ;   in Loop: Header=BB549_5 Depth=1
	s_wait_alu 0xfffe
	s_or_b32 exec_lo, exec_lo, s7
	s_wait_loadcnt 0x2
	v_lshlrev_b32_e32 v9, 16, v45
	v_lshlrev_b32_e32 v8, 16, v46
	s_delay_alu instid0(VALU_DEP_1) | instskip(SKIP_1) | instid1(VALU_DEP_1)
	v_fmac_f32_e32 v35, v43, v8
	s_wait_loadcnt 0x1
	v_dual_fmac_f32 v35, v42, v9 :: v_dual_lshlrev_b32 v8, 16, v44
	s_wait_loadcnt 0x0
	s_delay_alu instid0(VALU_DEP_1) | instskip(NEXT) | instid1(VALU_DEP_1)
	v_dual_fmac_f32 v35, v41, v8 :: v_dual_lshlrev_b32 v8, 16, v39
	v_fmac_f32_e32 v35, v40, v8
.LBB549_45:                             ;   in Loop: Header=BB549_5 Depth=1
	s_wait_alu 0xfffe
	s_or_b32 exec_lo, exec_lo, s9
.LBB549_46:                             ;   in Loop: Header=BB549_5 Depth=1
	ds_store_2addr_b32 v17, v35, v36 offset1:32
	ds_store_2addr_b32 v17, v37, v38 offset0:64 offset1:96
	s_wait_dscnt 0x0
	s_barrier_signal -1
	s_barrier_wait -1
	global_inv scope:SCOPE_SE
                                        ; implicit-def: $vgpr10
	s_and_saveexec_b32 s7, s0
	s_cbranch_execz .LBB549_66
; %bb.47:                               ;   in Loop: Header=BB549_5 Depth=1
	ds_load_2addr_stride64_b32 v[8:9], v18 offset1:2
	ds_load_2addr_stride64_b32 v[10:11], v18 offset0:4 offset1:6
	ds_load_2addr_stride64_b32 v[12:13], v18 offset0:8 offset1:10
	s_mov_b32 s9, s52
	s_wait_dscnt 0x2
	v_add_f32_e32 v14, v8, v9
	ds_load_2addr_stride64_b32 v[8:9], v18 offset0:12 offset1:14
	s_wait_dscnt 0x2
	v_add_f32_e32 v10, v10, v14
	s_delay_alu instid0(VALU_DEP_1) | instskip(SKIP_3) | instid1(VALU_DEP_1)
	v_add_f32_e32 v14, v11, v10
	ds_load_2addr_stride64_b32 v[10:11], v18 offset0:16 offset1:18
	s_wait_dscnt 0x2
	v_add_f32_e32 v12, v12, v14
	v_add_f32_e32 v14, v13, v12
	ds_load_2addr_stride64_b32 v[12:13], v18 offset0:20 offset1:22
	s_wait_dscnt 0x2
	v_add_f32_e32 v8, v8, v14
	s_delay_alu instid0(VALU_DEP_1) | instskip(SKIP_1) | instid1(VALU_DEP_1)
	v_add_f32_e32 v8, v9, v8
	s_wait_dscnt 0x1
	v_add_f32_e32 v10, v10, v8
	ds_load_2addr_stride64_b32 v[8:9], v18 offset0:24 offset1:26
	v_add_f32_e32 v10, v11, v10
	s_wait_dscnt 0x1
	s_delay_alu instid0(VALU_DEP_1) | instskip(SKIP_3) | instid1(VALU_DEP_1)
	v_add_f32_e32 v12, v12, v10
	ds_load_2addr_stride64_b32 v[10:11], v18 offset0:28 offset1:30
	v_add_f32_e32 v12, v13, v12
	s_wait_dscnt 0x1
	v_add_f32_e32 v8, v8, v12
	s_delay_alu instid0(VALU_DEP_1) | instskip(SKIP_1) | instid1(VALU_DEP_1)
	v_add_f32_e32 v8, v9, v8
	s_wait_dscnt 0x0
	v_add_f32_e32 v8, v10, v8
                                        ; implicit-def: $vgpr10
	s_delay_alu instid0(VALU_DEP_1)
	v_add_f32_e32 v8, v11, v8
	ds_store_b32 v18, v8
	s_and_saveexec_b32 s8, s6
	s_cbranch_execz .LBB549_65
; %bb.48:                               ;   in Loop: Header=BB549_5 Depth=1
	v_mul_f32_e32 v8, s38, v8
	s_and_b32 vcc_lo, exec_lo, s49
	s_mov_b32 s9, -1
                                        ; implicit-def: $vgpr9
	s_wait_alu 0xfffe
	s_cbranch_vccz .LBB549_54
; %bb.49:                               ;   in Loop: Header=BB549_5 Depth=1
	v_and_b32_e32 v9, 0x7f800000, v8
	s_delay_alu instid0(VALU_DEP_1)
	v_cmp_ne_u32_e32 vcc_lo, 0x7f800000, v9
                                        ; implicit-def: $vgpr9
	s_and_saveexec_b32 s9, vcc_lo
	s_wait_alu 0xfffe
	s_xor_b32 s9, exec_lo, s9
; %bb.50:                               ;   in Loop: Header=BB549_5 Depth=1
	v_bfe_u32 v9, v8, 16, 1
	s_delay_alu instid0(VALU_DEP_1)
	v_add3_u32 v9, v8, v9, 0x7fff
; %bb.51:                               ;   in Loop: Header=BB549_5 Depth=1
	s_wait_alu 0xfffe
	s_and_not1_saveexec_b32 s9, s9
; %bb.52:                               ;   in Loop: Header=BB549_5 Depth=1
	v_and_b32_e32 v9, 0xffff, v8
	v_or_b32_e32 v10, 0x10000, v8
	s_delay_alu instid0(VALU_DEP_2) | instskip(SKIP_1) | instid1(VALU_DEP_2)
	v_cmp_eq_u32_e32 vcc_lo, 0, v9
	s_wait_alu 0xfffd
	v_cndmask_b32_e32 v9, v10, v8, vcc_lo
; %bb.53:                               ;   in Loop: Header=BB549_5 Depth=1
	s_wait_alu 0xfffe
	s_or_b32 exec_lo, exec_lo, s9
	s_mov_b32 s9, 0
.LBB549_54:                             ;   in Loop: Header=BB549_5 Depth=1
	s_wait_alu 0xfffe
	s_and_not1_b32 vcc_lo, exec_lo, s9
	s_wait_alu 0xfffe
	s_cbranch_vccnz .LBB549_64
; %bb.55:                               ;   in Loop: Header=BB549_5 Depth=1
	v_lshlrev_b64_e32 v[9:10], 1, v[2:3]
	s_delay_alu instid0(VALU_DEP_1) | instskip(SKIP_1) | instid1(VALU_DEP_2)
	v_add_co_u32 v9, vcc_lo, s44, v9
	s_wait_alu 0xfffd
	v_add_co_ci_u32_e64 v10, null, s45, v10, vcc_lo
	global_load_u16 v9, v[9:10], off
	s_wait_loadcnt 0x0
	v_lshlrev_b32_e32 v9, 16, v9
	s_delay_alu instid0(VALU_DEP_1) | instskip(NEXT) | instid1(VALU_DEP_1)
	v_mul_f32_e32 v9, s39, v9
	v_and_b32_e32 v10, 0x7f800000, v9
	s_delay_alu instid0(VALU_DEP_1)
	v_cmp_ne_u32_e32 vcc_lo, 0x7f800000, v10
                                        ; implicit-def: $vgpr10
	s_and_saveexec_b32 s9, vcc_lo
	s_wait_alu 0xfffe
	s_xor_b32 s9, exec_lo, s9
; %bb.56:                               ;   in Loop: Header=BB549_5 Depth=1
	v_bfe_u32 v10, v9, 16, 1
	s_delay_alu instid0(VALU_DEP_1)
	v_add3_u32 v10, v9, v10, 0x7fff
                                        ; implicit-def: $vgpr9
; %bb.57:                               ;   in Loop: Header=BB549_5 Depth=1
	s_wait_alu 0xfffe
	s_and_not1_saveexec_b32 s9, s9
; %bb.58:                               ;   in Loop: Header=BB549_5 Depth=1
	v_and_b32_e32 v10, 0xffff, v9
	v_or_b32_e32 v11, 0x10000, v9
	s_delay_alu instid0(VALU_DEP_2) | instskip(SKIP_1) | instid1(VALU_DEP_2)
	v_cmp_eq_u32_e32 vcc_lo, 0, v10
	s_wait_alu 0xfffd
	v_cndmask_b32_e32 v10, v11, v9, vcc_lo
; %bb.59:                               ;   in Loop: Header=BB549_5 Depth=1
	s_wait_alu 0xfffe
	s_or_b32 exec_lo, exec_lo, s9
	s_delay_alu instid0(VALU_DEP_1) | instskip(NEXT) | instid1(VALU_DEP_1)
	v_and_b32_e32 v9, 0xffff0000, v10
	v_add_f32_e32 v8, v8, v9
	s_delay_alu instid0(VALU_DEP_1) | instskip(NEXT) | instid1(VALU_DEP_1)
	v_and_b32_e32 v9, 0x7f800000, v8
	v_cmp_ne_u32_e32 vcc_lo, 0x7f800000, v9
                                        ; implicit-def: $vgpr9
	s_and_saveexec_b32 s9, vcc_lo
	s_wait_alu 0xfffe
	s_xor_b32 s9, exec_lo, s9
; %bb.60:                               ;   in Loop: Header=BB549_5 Depth=1
	v_bfe_u32 v9, v8, 16, 1
	s_delay_alu instid0(VALU_DEP_1)
	v_add3_u32 v9, v8, v9, 0x7fff
                                        ; implicit-def: $vgpr8
; %bb.61:                               ;   in Loop: Header=BB549_5 Depth=1
	s_wait_alu 0xfffe
	s_and_not1_saveexec_b32 s9, s9
; %bb.62:                               ;   in Loop: Header=BB549_5 Depth=1
	v_and_b32_e32 v9, 0xffff, v8
	v_or_b32_e32 v10, 0x10000, v8
	s_delay_alu instid0(VALU_DEP_2) | instskip(SKIP_1) | instid1(VALU_DEP_2)
	v_cmp_eq_u32_e32 vcc_lo, 0, v9
	s_wait_alu 0xfffd
	v_cndmask_b32_e32 v9, v10, v8, vcc_lo
; %bb.63:                               ;   in Loop: Header=BB549_5 Depth=1
	s_wait_alu 0xfffe
	s_or_b32 exec_lo, exec_lo, s9
.LBB549_64:                             ;   in Loop: Header=BB549_5 Depth=1
	s_delay_alu instid0(VALU_DEP_1)
	v_lshrrev_b32_e32 v10, 16, v9
	s_or_b32 s9, s52, exec_lo
.LBB549_65:                             ;   in Loop: Header=BB549_5 Depth=1
	s_wait_alu 0xfffe
	s_or_b32 exec_lo, exec_lo, s8
	s_delay_alu instid0(SALU_CYCLE_1)
	s_and_not1_b32 s8, s52, exec_lo
	s_and_b32 s9, s9, exec_lo
	s_wait_alu 0xfffe
	s_or_b32 s52, s8, s9
.LBB549_66:                             ;   in Loop: Header=BB549_5 Depth=1
	s_wait_alu 0xfffe
	s_or_b32 exec_lo, exec_lo, s7
	v_dual_mov_b32 v9, v3 :: v_dual_mov_b32 v8, v2
	s_and_saveexec_b32 s7, s52
	s_cbranch_execz .LBB549_3
	s_branch .LBB549_69
.LBB549_67:                             ;   in Loop: Header=BB549_5 Depth=1
	v_mov_b32_e32 v10, 0
	s_mov_b32 s52, exec_lo
	s_or_b32 exec_lo, exec_lo, s8
	s_delay_alu instid0(SALU_CYCLE_1)
	s_and_b32 vcc_lo, exec_lo, s7
	s_wait_alu 0xfffe
	s_cbranch_vccnz .LBB549_16
.LBB549_68:                             ;   in Loop: Header=BB549_5 Depth=1
	v_dual_mov_b32 v9, v1 :: v_dual_mov_b32 v8, v0
	s_and_saveexec_b32 s7, s52
	s_cbranch_execz .LBB549_3
.LBB549_69:                             ;   in Loop: Header=BB549_5 Depth=1
	s_delay_alu instid0(VALU_DEP_1) | instskip(SKIP_1) | instid1(VALU_DEP_1)
	v_lshlrev_b64_e32 v[8:9], 1, v[8:9]
	s_wait_alu 0xfffe
	v_add_co_u32 v8, vcc_lo, s44, v8
	s_wait_alu 0xfffd
	s_delay_alu instid0(VALU_DEP_2)
	v_add_co_ci_u32_e64 v9, null, s45, v9, vcc_lo
	global_store_b16 v[8:9], v10, off
	s_branch .LBB549_3
.LBB549_70:
	s_endpgm
	.section	.rodata,"a",@progbits
	.p2align	6, 0x0
	.amdhsa_kernel _ZL20rocblas_gemvn_kernelILi32ELi16El16rocblas_bfloat16fS0_EviiT3_lPKT2_lT1_lS4_lS5_lS1_lPT4_lS5_li
		.amdhsa_group_segment_fixed_size 8192
		.amdhsa_private_segment_fixed_size 0
		.amdhsa_kernarg_size 400
		.amdhsa_user_sgpr_count 2
		.amdhsa_user_sgpr_dispatch_ptr 0
		.amdhsa_user_sgpr_queue_ptr 0
		.amdhsa_user_sgpr_kernarg_segment_ptr 1
		.amdhsa_user_sgpr_dispatch_id 0
		.amdhsa_user_sgpr_private_segment_size 0
		.amdhsa_wavefront_size32 1
		.amdhsa_uses_dynamic_stack 0
		.amdhsa_enable_private_segment 0
		.amdhsa_system_sgpr_workgroup_id_x 1
		.amdhsa_system_sgpr_workgroup_id_y 0
		.amdhsa_system_sgpr_workgroup_id_z 1
		.amdhsa_system_sgpr_workgroup_info 0
		.amdhsa_system_vgpr_workitem_id 1
		.amdhsa_next_free_vgpr 72
		.amdhsa_next_free_sgpr 58
		.amdhsa_reserve_vcc 1
		.amdhsa_float_round_mode_32 0
		.amdhsa_float_round_mode_16_64 0
		.amdhsa_float_denorm_mode_32 3
		.amdhsa_float_denorm_mode_16_64 3
		.amdhsa_fp16_overflow 0
		.amdhsa_workgroup_processor_mode 1
		.amdhsa_memory_ordered 1
		.amdhsa_forward_progress 1
		.amdhsa_inst_pref_size 36
		.amdhsa_round_robin_scheduling 0
		.amdhsa_exception_fp_ieee_invalid_op 0
		.amdhsa_exception_fp_denorm_src 0
		.amdhsa_exception_fp_ieee_div_zero 0
		.amdhsa_exception_fp_ieee_overflow 0
		.amdhsa_exception_fp_ieee_underflow 0
		.amdhsa_exception_fp_ieee_inexact 0
		.amdhsa_exception_int_div_zero 0
	.end_amdhsa_kernel
	.section	.text._ZL20rocblas_gemvn_kernelILi32ELi16El16rocblas_bfloat16fS0_EviiT3_lPKT2_lT1_lS4_lS5_lS1_lPT4_lS5_li,"axG",@progbits,_ZL20rocblas_gemvn_kernelILi32ELi16El16rocblas_bfloat16fS0_EviiT3_lPKT2_lT1_lS4_lS5_lS1_lPT4_lS5_li,comdat
.Lfunc_end549:
	.size	_ZL20rocblas_gemvn_kernelILi32ELi16El16rocblas_bfloat16fS0_EviiT3_lPKT2_lT1_lS4_lS5_lS1_lPT4_lS5_li, .Lfunc_end549-_ZL20rocblas_gemvn_kernelILi32ELi16El16rocblas_bfloat16fS0_EviiT3_lPKT2_lT1_lS4_lS5_lS1_lPT4_lS5_li
                                        ; -- End function
	.set _ZL20rocblas_gemvn_kernelILi32ELi16El16rocblas_bfloat16fS0_EviiT3_lPKT2_lT1_lS4_lS5_lS1_lPT4_lS5_li.num_vgpr, 72
	.set _ZL20rocblas_gemvn_kernelILi32ELi16El16rocblas_bfloat16fS0_EviiT3_lPKT2_lT1_lS4_lS5_lS1_lPT4_lS5_li.num_agpr, 0
	.set _ZL20rocblas_gemvn_kernelILi32ELi16El16rocblas_bfloat16fS0_EviiT3_lPKT2_lT1_lS4_lS5_lS1_lPT4_lS5_li.numbered_sgpr, 58
	.set _ZL20rocblas_gemvn_kernelILi32ELi16El16rocblas_bfloat16fS0_EviiT3_lPKT2_lT1_lS4_lS5_lS1_lPT4_lS5_li.num_named_barrier, 0
	.set _ZL20rocblas_gemvn_kernelILi32ELi16El16rocblas_bfloat16fS0_EviiT3_lPKT2_lT1_lS4_lS5_lS1_lPT4_lS5_li.private_seg_size, 0
	.set _ZL20rocblas_gemvn_kernelILi32ELi16El16rocblas_bfloat16fS0_EviiT3_lPKT2_lT1_lS4_lS5_lS1_lPT4_lS5_li.uses_vcc, 1
	.set _ZL20rocblas_gemvn_kernelILi32ELi16El16rocblas_bfloat16fS0_EviiT3_lPKT2_lT1_lS4_lS5_lS1_lPT4_lS5_li.uses_flat_scratch, 0
	.set _ZL20rocblas_gemvn_kernelILi32ELi16El16rocblas_bfloat16fS0_EviiT3_lPKT2_lT1_lS4_lS5_lS1_lPT4_lS5_li.has_dyn_sized_stack, 0
	.set _ZL20rocblas_gemvn_kernelILi32ELi16El16rocblas_bfloat16fS0_EviiT3_lPKT2_lT1_lS4_lS5_lS1_lPT4_lS5_li.has_recursion, 0
	.set _ZL20rocblas_gemvn_kernelILi32ELi16El16rocblas_bfloat16fS0_EviiT3_lPKT2_lT1_lS4_lS5_lS1_lPT4_lS5_li.has_indirect_call, 0
	.section	.AMDGPU.csdata,"",@progbits
; Kernel info:
; codeLenInByte = 4488
; TotalNumSgprs: 60
; NumVgprs: 72
; ScratchSize: 0
; MemoryBound: 0
; FloatMode: 240
; IeeeMode: 1
; LDSByteSize: 8192 bytes/workgroup (compile time only)
; SGPRBlocks: 0
; VGPRBlocks: 8
; NumSGPRsForWavesPerEU: 60
; NumVGPRsForWavesPerEU: 72
; Occupancy: 16
; WaveLimiterHint : 1
; COMPUTE_PGM_RSRC2:SCRATCH_EN: 0
; COMPUTE_PGM_RSRC2:USER_SGPR: 2
; COMPUTE_PGM_RSRC2:TRAP_HANDLER: 0
; COMPUTE_PGM_RSRC2:TGID_X_EN: 1
; COMPUTE_PGM_RSRC2:TGID_Y_EN: 0
; COMPUTE_PGM_RSRC2:TGID_Z_EN: 1
; COMPUTE_PGM_RSRC2:TIDIG_COMP_CNT: 1
	.section	.text._ZL20rocblas_gemvn_kernelILi64ELi16Ei16rocblas_bfloat16PKfS0_EviiT3_lPKT2_lT1_lS6_lS7_lS3_lPT4_lS7_li,"axG",@progbits,_ZL20rocblas_gemvn_kernelILi64ELi16Ei16rocblas_bfloat16PKfS0_EviiT3_lPKT2_lT1_lS6_lS7_lS3_lPT4_lS7_li,comdat
	.globl	_ZL20rocblas_gemvn_kernelILi64ELi16Ei16rocblas_bfloat16PKfS0_EviiT3_lPKT2_lT1_lS6_lS7_lS3_lPT4_lS7_li ; -- Begin function _ZL20rocblas_gemvn_kernelILi64ELi16Ei16rocblas_bfloat16PKfS0_EviiT3_lPKT2_lT1_lS6_lS7_lS3_lPT4_lS7_li
	.p2align	8
	.type	_ZL20rocblas_gemvn_kernelILi64ELi16Ei16rocblas_bfloat16PKfS0_EviiT3_lPKT2_lT1_lS6_lS7_lS3_lPT4_lS7_li,@function
_ZL20rocblas_gemvn_kernelILi64ELi16Ei16rocblas_bfloat16PKfS0_EviiT3_lPKT2_lT1_lS6_lS7_lS3_lPT4_lS7_li: ; @_ZL20rocblas_gemvn_kernelILi64ELi16Ei16rocblas_bfloat16PKfS0_EviiT3_lPKT2_lT1_lS6_lS7_lS3_lPT4_lS7_li
; %bb.0:
	s_load_b64 s[2:3], s[0:1], 0x9c
	s_wait_kmcnt 0x0
	s_lshr_b32 s4, s2, 16
	s_and_b32 s2, s2, 0xffff
	s_and_b32 s3, s3, 0xffff
	s_mul_i32 s2, s4, s2
	s_delay_alu instid0(SALU_CYCLE_1) | instskip(NEXT) | instid1(SALU_CYCLE_1)
	s_mul_i32 s2, s2, s3
	s_cmp_lg_u32 s2, 0x400
	s_cbranch_scc1 .LBB550_70
; %bb.1:
	s_load_b32 s31, s[0:1], 0x88
	s_lshr_b32 s34, ttmp7, 16
	s_wait_kmcnt 0x0
	s_cmp_ge_u32 s34, s31
	s_cbranch_scc1 .LBB550_70
; %bb.2:
	s_clause 0x3
	s_load_b96 s[4:6], s[0:1], 0x70
	s_load_b256 s[8:15], s[0:1], 0x8
	s_load_b96 s[28:30], s[0:1], 0x40
	s_load_b64 s[36:37], s[0:1], 0x0
	v_and_b32_e32 v9, 0x3ff, v0
	v_bfe_u32 v8, v0, 10, 10
	s_clause 0x2
	s_load_b32 s33, s[0:1], 0x28
	s_load_b128 s[24:27], s[0:1], 0x30
	s_load_b256 s[16:23], s[0:1], 0x50
	s_lshl_b32 s42, ttmp9, 8
	v_mov_b32_e32 v1, 0
	v_add_nc_u32_e32 v19, s42, v9
	v_lshl_add_u32 v5, v8, 6, v9
	v_lshlrev_b32_e32 v20, 2, v8
	s_load_b64 s[38:39], s[0:1], 0x80
	s_mov_b32 s35, 0
	v_add_nc_u32_e32 v7, 0x80, v19
	v_add_nc_u32_e32 v0, s42, v5
	v_or_b32_e32 v11, s42, v5
	v_add_nc_u32_e32 v6, 64, v19
	v_add_nc_u32_e32 v10, 0xc0, v19
	v_or_b32_e32 v12, 3, v20
	s_wait_kmcnt 0x0
	v_mad_co_u64_u32 v[2:3], null, s6, v0, 0
	s_lshl_b64 s[2:3], s[14:15], 1
	s_ashr_i32 s1, s6, 31
	s_ashr_i32 s7, s37, 31
	s_add_nc_u64 s[12:13], s[12:13], s[2:3]
	v_cmp_gt_i32_e64 s3, s36, v7
	v_mul_lo_u32 v7, s33, v20
	s_lshl_b64 s[4:5], s[4:5], 1
	s_wait_alu 0xfffe
	s_lshr_b32 s2, s7, 26
	v_mad_co_u64_u32 v[3:4], null, s1, v0, v[3:4]
	v_mul_lo_u32 v4, s6, v11
	v_cmp_gt_i32_e64 s6, s36, v11
	v_mul_lo_u32 v11, v8, s33
	s_add_co_i32 s43, s37, s2
	s_add_nc_u64 s[22:23], s[22:23], s[4:5]
	v_cmp_gt_i32_e64 s2, s36, v6
	v_cmp_gt_i32_e64 s4, s36, v10
	v_lshlrev_b32_e32 v6, 2, v9
	v_or_b32_e32 v10, 2, v20
	v_mul_lo_u32 v13, v8, s30
	s_lshl_b64 s[14:15], s[28:29], 1
	s_ashr_i32 s29, s36, 31
	s_mov_b32 s28, s36
	s_wait_alu 0xfffe
	s_and_not1_b32 s43, s43, 63
	s_add_nc_u64 s[14:15], s[26:27], s[14:15]
	v_cmp_gt_i64_e32 vcc_lo, s[28:29], v[0:1]
	v_lshl_add_u32 v0, v8, 10, v6
	v_lshl_add_u32 v21, v8, 8, v6
	v_add3_u32 v22, v7, s33, v9
	v_mad_co_u64_u32 v[6:7], null, s33, v10, v[9:10]
	s_mov_b32 s26, s30
	s_wait_alu 0xfffe
	s_sub_co_i32 s5, s37, s43
	v_mad_co_u64_u32 v[7:8], null, s33, v12, v[9:10]
	v_lshl_add_u32 v23, v11, 2, v9
	v_mad_co_u64_u32 v[8:9], null, s30, v20, s[26:27]
	v_mul_lo_u32 v24, s30, v10
	v_mul_lo_u32 v25, s30, v12
	s_cmp_gt_i32 s5, 0
	v_cmp_gt_u32_e64 s5, 0x100, v5
	v_lshlrev_b64_e32 v[9:10], 1, v[2:3]
	v_cmp_gt_i32_e64 s0, s36, v19
	v_cmp_gt_i32_e64 s1, s43, v20
	v_ashrrev_i32_e32 v5, 31, v4
	v_lshlrev_b32_e32 v26, 2, v13
	s_cselect_b32 s36, -1, 0
	s_and_b32 s44, s5, vcc_lo
	s_lshl_b32 s45, s33, 6
	s_lshl_b32 s46, s30, 6
	s_branch .LBB550_5
.LBB550_3:                              ;   in Loop: Header=BB550_5 Depth=1
	s_wait_alu 0xfffe
	s_or_b32 exec_lo, exec_lo, s7
.LBB550_4:                              ;   in Loop: Header=BB550_5 Depth=1
	s_add_co_i32 s34, s34, 0x10000
	s_delay_alu instid0(SALU_CYCLE_1)
	s_cmp_lt_u32 s34, s31
	s_cbranch_scc0 .LBB550_70
.LBB550_5:                              ; =>This Loop Header: Depth=1
                                        ;     Child Loop BB550_22 Depth 2
	s_mul_u64 s[26:27], s[10:11], s[34:35]
	s_mul_u64 s[28:29], s[20:21], s[34:35]
	s_wait_alu 0xfffe
	s_lshl_b64 s[26:27], s[26:27], 2
	s_lshl_b64 s[28:29], s[28:29], 2
	s_wait_alu 0xfffe
	s_add_nc_u64 s[26:27], s[8:9], s[26:27]
	s_add_nc_u64 s[28:29], s[18:19], s[28:29]
	s_clause 0x1
	global_load_b32 v27, v1, s[26:27]
	global_load_b32 v11, v1, s[28:29]
	s_wait_loadcnt 0x1
	v_cmp_eq_f32_e32 vcc_lo, 0, v27
	s_wait_loadcnt 0x0
	v_cmp_eq_f32_e64 s7, 1.0, v11
	v_readfirstlane_b32 s48, v11
	s_and_b32 s7, vcc_lo, s7
	s_wait_alu 0xfffe
	s_and_b32 vcc_lo, exec_lo, s7
	s_wait_alu 0xfffe
	s_cbranch_vccnz .LBB550_4
; %bb.6:                                ;   in Loop: Header=BB550_5 Depth=1
	v_cmp_neq_f32_e32 vcc_lo, 0, v27
	s_mul_u64 s[26:27], s[38:39], s[34:35]
	s_wait_alu 0xfffe
	s_lshl_b64 s[26:27], s[26:27], 1
	s_wait_alu 0xfffe
	s_add_nc_u64 s[26:27], s[22:23], s[26:27]
	s_cbranch_vccnz .LBB550_14
; %bb.7:                                ;   in Loop: Header=BB550_5 Depth=1
	s_mov_b32 s7, 0
	s_mov_b32 s47, 0
                                        ; implicit-def: $vgpr13
	s_and_saveexec_b32 s28, s44
	s_cbranch_execz .LBB550_15
; %bb.8:                                ;   in Loop: Header=BB550_5 Depth=1
	s_cmp_eq_f32 s48, 0
	s_cbranch_scc1 .LBB550_54
; %bb.9:                                ;   in Loop: Header=BB550_5 Depth=1
	s_wait_alu 0xfffe
	v_add_co_u32 v11, vcc_lo, s26, v9
	s_wait_alu 0xfffd
	v_add_co_ci_u32_e64 v12, null, s27, v10, vcc_lo
	global_load_u16 v11, v[11:12], off
	s_wait_loadcnt 0x0
	v_lshlrev_b32_e32 v11, 16, v11
	s_delay_alu instid0(VALU_DEP_1) | instskip(NEXT) | instid1(VALU_DEP_1)
	v_mul_f32_e32 v11, s48, v11
	v_and_b32_e32 v12, 0x7f800000, v11
	s_delay_alu instid0(VALU_DEP_1)
	v_cmp_ne_u32_e32 vcc_lo, 0x7f800000, v12
                                        ; implicit-def: $vgpr12
	s_and_saveexec_b32 s29, vcc_lo
	s_wait_alu 0xfffe
	s_xor_b32 s29, exec_lo, s29
; %bb.10:                               ;   in Loop: Header=BB550_5 Depth=1
	v_bfe_u32 v12, v11, 16, 1
	s_delay_alu instid0(VALU_DEP_1)
	v_add3_u32 v12, v11, v12, 0x7fff
                                        ; implicit-def: $vgpr11
; %bb.11:                               ;   in Loop: Header=BB550_5 Depth=1
	s_wait_alu 0xfffe
	s_and_not1_saveexec_b32 s29, s29
; %bb.12:                               ;   in Loop: Header=BB550_5 Depth=1
	v_and_b32_e32 v12, 0xffff, v11
	v_or_b32_e32 v13, 0x10000, v11
	s_delay_alu instid0(VALU_DEP_2) | instskip(SKIP_1) | instid1(VALU_DEP_2)
	v_cmp_eq_u32_e32 vcc_lo, 0, v12
	s_wait_alu 0xfffd
	v_cndmask_b32_e32 v12, v13, v11, vcc_lo
; %bb.13:                               ;   in Loop: Header=BB550_5 Depth=1
	s_wait_alu 0xfffe
	s_or_b32 exec_lo, exec_lo, s29
	s_delay_alu instid0(VALU_DEP_1) | instskip(SKIP_2) | instid1(SALU_CYCLE_1)
	v_lshrrev_b32_e32 v13, 16, v12
	s_mov_b32 s47, exec_lo
	s_or_b32 exec_lo, exec_lo, s28
	s_and_b32 vcc_lo, exec_lo, s7
	s_wait_alu 0xfffe
	s_cbranch_vccnz .LBB550_16
	s_branch .LBB550_55
.LBB550_14:                             ;   in Loop: Header=BB550_5 Depth=1
	s_mov_b32 s47, 0
                                        ; implicit-def: $vgpr13
	s_cbranch_execnz .LBB550_16
	s_branch .LBB550_55
.LBB550_15:                             ;   in Loop: Header=BB550_5 Depth=1
	s_wait_alu 0xfffe
	s_or_b32 exec_lo, exec_lo, s28
	s_delay_alu instid0(SALU_CYCLE_1)
	s_and_b32 vcc_lo, exec_lo, s7
	s_wait_alu 0xfffe
	s_cbranch_vccz .LBB550_55
.LBB550_16:                             ;   in Loop: Header=BB550_5 Depth=1
	s_mul_u64 s[28:29], s[24:25], s[34:35]
	s_mul_u64 s[40:41], s[16:17], s[34:35]
	v_dual_mov_b32 v28, 0 :: v_dual_mov_b32 v29, 0
	v_dual_mov_b32 v32, v20 :: v_dual_mov_b32 v31, 0
	v_mov_b32_e32 v30, 0
	s_wait_alu 0xfffe
	s_lshl_b64 s[28:29], s[28:29], 1
	s_lshl_b64 s[40:41], s[40:41], 1
	s_wait_alu 0xfffe
	s_add_nc_u64 s[28:29], s[12:13], s[28:29]
	s_add_nc_u64 s[40:41], s[14:15], s[40:41]
	s_and_saveexec_b32 s7, s1
	s_cbranch_execz .LBB550_28
; %bb.17:                               ;   in Loop: Header=BB550_5 Depth=1
	v_dual_mov_b32 v28, 0 :: v_dual_mov_b32 v33, v23
	v_dual_mov_b32 v34, v7 :: v_dual_mov_b32 v35, v6
	;; [unrolled: 1-line block ×4, first 2 shown]
	v_mov_b32_e32 v30, 0
	s_mov_b32 s49, 0
	s_mov_b32 s50, 0
	s_branch .LBB550_22
.LBB550_18:                             ;   in Loop: Header=BB550_22 Depth=2
	s_or_b32 exec_lo, exec_lo, s54
	s_wait_loadcnt 0x3
	v_lshlrev_b32_e32 v11, 16, v52
	s_wait_loadcnt 0x2
	v_lshlrev_b32_e32 v12, 16, v51
	s_wait_loadcnt 0x1
	s_delay_alu instid0(VALU_DEP_2) | instskip(NEXT) | instid1(VALU_DEP_1)
	v_dual_fmac_f32 v30, v44, v11 :: v_dual_lshlrev_b32 v11, 16, v50
	v_fmac_f32_e32 v30, v40, v12
	s_wait_loadcnt 0x0
	s_delay_alu instid0(VALU_DEP_1) | instskip(NEXT) | instid1(VALU_DEP_1)
	v_dual_fmac_f32 v30, v42, v11 :: v_dual_lshlrev_b32 v11, 16, v49
	v_fmac_f32_e32 v30, v38, v11
.LBB550_19:                             ;   in Loop: Header=BB550_22 Depth=2
	s_or_b32 exec_lo, exec_lo, s53
	s_wait_loadcnt 0x3
	v_lshlrev_b32_e32 v11, 16, v48
	s_wait_loadcnt 0x2
	v_lshlrev_b32_e32 v12, 16, v47
	s_delay_alu instid0(VALU_DEP_2) | instskip(SKIP_2) | instid1(VALU_DEP_2)
	v_fmac_f32_e32 v29, v44, v11
	s_wait_loadcnt 0x1
	v_lshlrev_b32_e32 v11, 16, v46
	v_fmac_f32_e32 v29, v40, v12
	s_delay_alu instid0(VALU_DEP_1) | instskip(SKIP_2) | instid1(VALU_DEP_1)
	v_fmac_f32_e32 v29, v42, v11
	s_wait_loadcnt 0x0
	v_lshlrev_b32_e32 v11, 16, v45
	v_fmac_f32_e32 v29, v38, v11
.LBB550_20:                             ;   in Loop: Header=BB550_22 Depth=2
	s_or_b32 exec_lo, exec_lo, s52
	s_wait_loadcnt 0x2
	v_lshlrev_b32_e32 v12, 16, v41
	v_lshlrev_b32_e32 v11, 16, v43
	s_delay_alu instid0(VALU_DEP_1) | instskip(SKIP_1) | instid1(VALU_DEP_1)
	v_fmac_f32_e32 v28, v44, v11
	s_wait_loadcnt 0x1
	v_dual_fmac_f32 v28, v40, v12 :: v_dual_lshlrev_b32 v11, 16, v39
	s_wait_loadcnt 0x0
	s_delay_alu instid0(VALU_DEP_1) | instskip(NEXT) | instid1(VALU_DEP_1)
	v_dual_fmac_f32 v28, v42, v11 :: v_dual_lshlrev_b32 v11, 16, v37
	v_fmac_f32_e32 v28, v38, v11
.LBB550_21:                             ;   in Loop: Header=BB550_22 Depth=2
	s_wait_alu 0xfffe
	s_or_b32 exec_lo, exec_lo, s51
	v_add_nc_u32_e32 v32, 64, v32
	v_add_nc_u32_e32 v36, s45, v36
	;; [unrolled: 1-line block ×5, first 2 shown]
	v_cmp_le_i32_e32 vcc_lo, s43, v32
	s_add_co_i32 s50, s50, s46
	s_or_b32 s49, vcc_lo, s49
	s_wait_alu 0xfffe
	s_and_not1_b32 exec_lo, exec_lo, s49
	s_cbranch_execz .LBB550_27
.LBB550_22:                             ;   Parent Loop BB550_5 Depth=1
                                        ; =>  This Inner Loop Header: Depth=2
	s_and_saveexec_b32 s51, s0
	s_cbranch_execz .LBB550_21
; %bb.23:                               ;   in Loop: Header=BB550_22 Depth=2
	s_wait_alu 0xfffe
	v_add_nc_u32_e32 v11, s50, v26
	v_add_nc_u32_e32 v13, s50, v8
	;; [unrolled: 1-line block ×5, first 2 shown]
	v_ashrrev_i32_e32 v12, 31, v11
	v_ashrrev_i32_e32 v14, 31, v13
	v_ashrrev_i32_e32 v16, 31, v15
	v_ashrrev_i32_e32 v18, 31, v17
	v_ashrrev_i32_e32 v38, 31, v37
	v_lshlrev_b64_e32 v[11:12], 1, v[11:12]
	v_lshlrev_b64_e32 v[13:14], 1, v[13:14]
	;; [unrolled: 1-line block ×4, first 2 shown]
	v_add_nc_u32_e32 v39, s42, v36
	v_add_nc_u32_e32 v41, s42, v35
	v_add_co_u32 v11, vcc_lo, s40, v11
	s_wait_alu 0xfffd
	v_add_co_ci_u32_e64 v12, null, s41, v12, vcc_lo
	v_add_co_u32 v13, vcc_lo, s40, v13
	s_wait_alu 0xfffd
	v_add_co_ci_u32_e64 v14, null, s41, v14, vcc_lo
	;; [unrolled: 3-line block ×4, first 2 shown]
	v_lshlrev_b64_e32 v[37:38], 1, v[37:38]
	s_clause 0x3
	global_load_u16 v44, v[11:12], off
	global_load_u16 v45, v[13:14], off
	;; [unrolled: 1-line block ×4, first 2 shown]
	v_add_nc_u32_e32 v15, s42, v34
	v_ashrrev_i32_e32 v40, 31, v39
	v_ashrrev_i32_e32 v42, 31, v41
	v_add_co_u32 v11, vcc_lo, s28, v37
	s_delay_alu instid0(VALU_DEP_4) | instskip(NEXT) | instid1(VALU_DEP_4)
	v_ashrrev_i32_e32 v16, 31, v15
	v_lshlrev_b64_e32 v[13:14], 1, v[39:40]
	s_wait_alu 0xfffd
	v_add_co_ci_u32_e64 v12, null, s29, v38, vcc_lo
	v_lshlrev_b64_e32 v[37:38], 1, v[41:42]
	v_lshlrev_b64_e32 v[15:16], 1, v[15:16]
	s_delay_alu instid0(VALU_DEP_4) | instskip(SKIP_2) | instid1(VALU_DEP_4)
	v_add_co_u32 v17, vcc_lo, s28, v13
	s_wait_alu 0xfffd
	v_add_co_ci_u32_e64 v18, null, s29, v14, vcc_lo
	v_add_co_u32 v13, vcc_lo, s28, v37
	s_wait_alu 0xfffd
	v_add_co_ci_u32_e64 v14, null, s29, v38, vcc_lo
	;; [unrolled: 3-line block ×3, first 2 shown]
	s_clause 0x3
	global_load_u16 v43, v[11:12], off
	global_load_u16 v41, v[17:18], off
	;; [unrolled: 1-line block ×4, first 2 shown]
	s_wait_loadcnt 0x7
	v_lshlrev_b32_e32 v44, 16, v44
	s_wait_loadcnt 0x6
	v_lshlrev_b32_e32 v40, 16, v45
	;; [unrolled: 2-line block ×4, first 2 shown]
	s_and_saveexec_b32 s52, s2
	s_cbranch_execz .LBB550_20
; %bb.24:                               ;   in Loop: Header=BB550_22 Depth=2
	s_clause 0x3
	global_load_u16 v48, v[11:12], off offset:128
	global_load_u16 v47, v[17:18], off offset:128
	global_load_u16 v46, v[13:14], off offset:128
	global_load_u16 v45, v[15:16], off offset:128
	s_and_saveexec_b32 s53, s3
	s_cbranch_execz .LBB550_19
; %bb.25:                               ;   in Loop: Header=BB550_22 Depth=2
	s_clause 0x3
	global_load_u16 v52, v[11:12], off offset:256
	global_load_u16 v51, v[17:18], off offset:256
	global_load_u16 v50, v[13:14], off offset:256
	global_load_u16 v49, v[15:16], off offset:256
	;; [unrolled: 8-line block ×3, first 2 shown]
	s_wait_loadcnt 0x3
	v_lshlrev_b32_e32 v11, 16, v11
	s_wait_loadcnt 0x2
	s_delay_alu instid0(VALU_DEP_1) | instskip(SKIP_3) | instid1(VALU_DEP_2)
	v_dual_fmac_f32 v31, v44, v11 :: v_dual_lshlrev_b32 v12, 16, v12
	s_wait_loadcnt 0x1
	v_lshlrev_b32_e32 v11, 16, v13
	s_wait_loadcnt 0x0
	v_dual_fmac_f32 v31, v40, v12 :: v_dual_lshlrev_b32 v12, 16, v14
	s_delay_alu instid0(VALU_DEP_1) | instskip(NEXT) | instid1(VALU_DEP_1)
	v_fmac_f32_e32 v31, v42, v11
	v_fmac_f32_e32 v31, v38, v12
	s_branch .LBB550_18
.LBB550_27:                             ;   in Loop: Header=BB550_5 Depth=1
	s_or_b32 exec_lo, exec_lo, s49
.LBB550_28:                             ;   in Loop: Header=BB550_5 Depth=1
	s_wait_alu 0xfffe
	s_or_b32 exec_lo, exec_lo, s7
	s_delay_alu instid0(SALU_CYCLE_1)
	s_and_not1_b32 vcc_lo, exec_lo, s36
	s_wait_alu 0xfffe
	s_cbranch_vccnz .LBB550_46
; %bb.29:                               ;   in Loop: Header=BB550_5 Depth=1
	v_cmp_gt_i32_e32 vcc_lo, s37, v32
	v_dual_mov_b32 v34, 0 :: v_dual_mov_b32 v33, 0
	v_or_b32_e32 v11, 1, v32
	v_dual_mov_b32 v36, 0 :: v_dual_mov_b32 v35, 0
	s_and_saveexec_b32 s49, vcc_lo
	s_cbranch_execz .LBB550_37
; %bb.30:                               ;   in Loop: Header=BB550_5 Depth=1
	v_mul_lo_u32 v12, v32, s30
	v_dual_mov_b32 v35, 0 :: v_dual_mov_b32 v34, 0
	v_mov_b32_e32 v33, 0
	s_mov_b32 s50, exec_lo
	s_delay_alu instid0(VALU_DEP_3) | instskip(NEXT) | instid1(VALU_DEP_1)
	v_ashrrev_i32_e32 v13, 31, v12
	v_lshlrev_b64_e32 v[12:13], 1, v[12:13]
	s_delay_alu instid0(VALU_DEP_1) | instskip(SKIP_1) | instid1(VALU_DEP_2)
	v_add_co_u32 v12, s7, s40, v12
	s_wait_alu 0xf1ff
	v_add_co_ci_u32_e64 v13, null, s41, v13, s7
	global_load_u16 v12, v[12:13], off
	v_cmpx_gt_i32_e64 s37, v11
	s_cbranch_execz .LBB550_36
; %bb.31:                               ;   in Loop: Header=BB550_5 Depth=1
	v_mul_lo_u32 v13, v11, s30
	v_dual_mov_b32 v33, 0 :: v_dual_mov_b32 v34, 0
	s_mov_b32 s51, exec_lo
	s_delay_alu instid0(VALU_DEP_2) | instskip(NEXT) | instid1(VALU_DEP_1)
	v_ashrrev_i32_e32 v14, 31, v13
	v_lshlrev_b64_e32 v[13:14], 1, v[13:14]
	s_delay_alu instid0(VALU_DEP_1) | instskip(SKIP_1) | instid1(VALU_DEP_2)
	v_add_co_u32 v13, s7, s40, v13
	s_wait_alu 0xf1ff
	v_add_co_ci_u32_e64 v14, null, s41, v14, s7
	global_load_u16 v13, v[13:14], off
	v_or_b32_e32 v14, 2, v32
	s_delay_alu instid0(VALU_DEP_1)
	v_cmpx_gt_i32_e64 s37, v14
	s_cbranch_execz .LBB550_35
; %bb.32:                               ;   in Loop: Header=BB550_5 Depth=1
	v_mul_lo_u32 v14, v14, s30
	v_mov_b32_e32 v33, 0
	s_mov_b32 s52, exec_lo
	s_delay_alu instid0(VALU_DEP_2) | instskip(NEXT) | instid1(VALU_DEP_1)
	v_ashrrev_i32_e32 v15, 31, v14
	v_lshlrev_b64_e32 v[14:15], 1, v[14:15]
	s_delay_alu instid0(VALU_DEP_1) | instskip(SKIP_1) | instid1(VALU_DEP_2)
	v_add_co_u32 v14, s7, s40, v14
	s_wait_alu 0xf1ff
	v_add_co_ci_u32_e64 v15, null, s41, v15, s7
	global_load_u16 v14, v[14:15], off
	v_or_b32_e32 v15, 3, v32
	s_delay_alu instid0(VALU_DEP_1)
	v_cmpx_gt_i32_e64 s37, v15
	s_cbranch_execz .LBB550_34
; %bb.33:                               ;   in Loop: Header=BB550_5 Depth=1
	v_mul_lo_u32 v15, v15, s30
	s_delay_alu instid0(VALU_DEP_1) | instskip(NEXT) | instid1(VALU_DEP_1)
	v_ashrrev_i32_e32 v16, 31, v15
	v_lshlrev_b64_e32 v[15:16], 1, v[15:16]
	s_delay_alu instid0(VALU_DEP_1) | instskip(SKIP_1) | instid1(VALU_DEP_2)
	v_add_co_u32 v15, s7, s40, v15
	s_wait_alu 0xf1ff
	v_add_co_ci_u32_e64 v16, null, s41, v16, s7
	global_load_u16 v15, v[15:16], off
	s_wait_loadcnt 0x0
	v_lshlrev_b32_e32 v33, 16, v15
.LBB550_34:                             ;   in Loop: Header=BB550_5 Depth=1
	s_or_b32 exec_lo, exec_lo, s52
	s_wait_loadcnt 0x0
	v_lshlrev_b32_e32 v34, 16, v14
.LBB550_35:                             ;   in Loop: Header=BB550_5 Depth=1
	s_wait_alu 0xfffe
	s_or_b32 exec_lo, exec_lo, s51
	s_wait_loadcnt 0x0
	v_lshlrev_b32_e32 v35, 16, v13
.LBB550_36:                             ;   in Loop: Header=BB550_5 Depth=1
	s_wait_alu 0xfffe
	s_or_b32 exec_lo, exec_lo, s50
	s_wait_loadcnt 0x0
	v_lshlrev_b32_e32 v36, 16, v12
.LBB550_37:                             ;   in Loop: Header=BB550_5 Depth=1
	s_wait_alu 0xfffe
	s_or_b32 exec_lo, exec_lo, s49
	s_and_saveexec_b32 s7, s0
	s_cbranch_execz .LBB550_45
; %bb.38:                               ;   in Loop: Header=BB550_5 Depth=1
	v_mul_lo_u32 v13, v32, s33
	v_or_b32_e32 v12, 2, v32
	v_mul_lo_u32 v15, v11, s33
	v_or_b32_e32 v14, 3, v32
	s_delay_alu instid0(VALU_DEP_3) | instskip(NEXT) | instid1(VALU_DEP_2)
	v_mul_lo_u32 v16, v12, s33
	v_mul_lo_u32 v17, v14, s33
	v_cndmask_b32_e32 v13, 0, v13, vcc_lo
	v_cmp_gt_i32_e32 vcc_lo, s37, v11
	s_wait_alu 0xfffd
	v_cndmask_b32_e32 v15, 0, v15, vcc_lo
	v_cmp_gt_i32_e32 vcc_lo, s37, v12
	s_wait_alu 0xfffd
	;; [unrolled: 3-line block ×3, first 2 shown]
	v_dual_cndmask_b32 v14, 0, v17 :: v_dual_add_nc_u32 v11, v13, v19
	v_add_nc_u32_e32 v13, v15, v19
	v_add_nc_u32_e32 v15, v12, v19
	s_delay_alu instid0(VALU_DEP_3) | instskip(NEXT) | instid1(VALU_DEP_4)
	v_ashrrev_i32_e32 v12, 31, v11
	v_add_nc_u32_e32 v17, v14, v19
	s_delay_alu instid0(VALU_DEP_4) | instskip(NEXT) | instid1(VALU_DEP_4)
	v_ashrrev_i32_e32 v14, 31, v13
	v_ashrrev_i32_e32 v16, 31, v15
	s_delay_alu instid0(VALU_DEP_4) | instskip(NEXT) | instid1(VALU_DEP_4)
	v_lshlrev_b64_e32 v[11:12], 1, v[11:12]
	v_ashrrev_i32_e32 v18, 31, v17
	s_delay_alu instid0(VALU_DEP_4) | instskip(NEXT) | instid1(VALU_DEP_4)
	v_lshlrev_b64_e32 v[13:14], 1, v[13:14]
	v_lshlrev_b64_e32 v[37:38], 1, v[15:16]
	s_delay_alu instid0(VALU_DEP_4) | instskip(NEXT) | instid1(VALU_DEP_4)
	v_add_co_u32 v15, vcc_lo, s28, v11
	v_lshlrev_b64_e32 v[39:40], 1, v[17:18]
	s_wait_alu 0xfffd
	v_add_co_ci_u32_e64 v16, null, s29, v12, vcc_lo
	v_add_co_u32 v17, vcc_lo, s28, v13
	s_wait_alu 0xfffd
	v_add_co_ci_u32_e64 v18, null, s29, v14, vcc_lo
	v_add_co_u32 v11, vcc_lo, s28, v37
	;; [unrolled: 3-line block ×3, first 2 shown]
	s_wait_alu 0xfffd
	v_add_co_ci_u32_e64 v14, null, s29, v40, vcc_lo
	s_clause 0x3
	global_load_u16 v39, v[15:16], off
	global_load_u16 v38, v[17:18], off
	;; [unrolled: 1-line block ×4, first 2 shown]
	s_and_saveexec_b32 s28, s2
	s_cbranch_execz .LBB550_44
; %bb.39:                               ;   in Loop: Header=BB550_5 Depth=1
	s_clause 0x3
	global_load_u16 v43, v[15:16], off offset:128
	global_load_u16 v42, v[17:18], off offset:128
	global_load_u16 v41, v[11:12], off offset:128
	global_load_u16 v40, v[13:14], off offset:128
	s_and_saveexec_b32 s29, s3
	s_cbranch_execz .LBB550_43
; %bb.40:                               ;   in Loop: Header=BB550_5 Depth=1
	s_clause 0x3
	global_load_u16 v47, v[15:16], off offset:256
	global_load_u16 v46, v[17:18], off offset:256
	global_load_u16 v45, v[11:12], off offset:256
	global_load_u16 v44, v[13:14], off offset:256
	s_and_saveexec_b32 s40, s4
	s_cbranch_execz .LBB550_42
; %bb.41:                               ;   in Loop: Header=BB550_5 Depth=1
	s_clause 0x3
	global_load_u16 v15, v[15:16], off offset:384
	global_load_u16 v16, v[17:18], off offset:384
	global_load_u16 v11, v[11:12], off offset:384
	global_load_u16 v12, v[13:14], off offset:384
	s_wait_loadcnt 0x3
	v_lshlrev_b32_e32 v13, 16, v15
	s_wait_loadcnt 0x2
	v_lshlrev_b32_e32 v14, 16, v16
	;; [unrolled: 2-line block ×3, first 2 shown]
	s_wait_loadcnt 0x0
	v_dual_fmac_f32 v31, v36, v13 :: v_dual_lshlrev_b32 v12, 16, v12
	s_delay_alu instid0(VALU_DEP_1) | instskip(NEXT) | instid1(VALU_DEP_1)
	v_fmac_f32_e32 v31, v35, v14
	v_fmac_f32_e32 v31, v34, v11
	s_delay_alu instid0(VALU_DEP_1)
	v_fmac_f32_e32 v31, v33, v12
.LBB550_42:                             ;   in Loop: Header=BB550_5 Depth=1
	s_wait_alu 0xfffe
	s_or_b32 exec_lo, exec_lo, s40
	s_wait_loadcnt 0x2
	v_lshlrev_b32_e32 v12, 16, v46
	v_lshlrev_b32_e32 v11, 16, v47
	s_wait_loadcnt 0x1
	s_delay_alu instid0(VALU_DEP_1) | instskip(NEXT) | instid1(VALU_DEP_1)
	v_dual_fmac_f32 v30, v36, v11 :: v_dual_lshlrev_b32 v11, 16, v45
	v_fmac_f32_e32 v30, v35, v12
	s_wait_loadcnt 0x0
	s_delay_alu instid0(VALU_DEP_1) | instskip(NEXT) | instid1(VALU_DEP_1)
	v_dual_fmac_f32 v30, v34, v11 :: v_dual_lshlrev_b32 v11, 16, v44
	v_fmac_f32_e32 v30, v33, v11
.LBB550_43:                             ;   in Loop: Header=BB550_5 Depth=1
	s_wait_alu 0xfffe
	s_or_b32 exec_lo, exec_lo, s29
	s_wait_loadcnt 0x3
	v_lshlrev_b32_e32 v11, 16, v43
	s_wait_loadcnt 0x2
	s_delay_alu instid0(VALU_DEP_1) | instskip(SKIP_2) | instid1(VALU_DEP_2)
	v_dual_fmac_f32 v29, v36, v11 :: v_dual_lshlrev_b32 v12, 16, v42
	s_wait_loadcnt 0x1
	v_lshlrev_b32_e32 v11, 16, v41
	v_fmac_f32_e32 v29, v35, v12
	s_delay_alu instid0(VALU_DEP_1) | instskip(SKIP_2) | instid1(VALU_DEP_1)
	v_fmac_f32_e32 v29, v34, v11
	s_wait_loadcnt 0x0
	v_lshlrev_b32_e32 v11, 16, v40
	v_fmac_f32_e32 v29, v33, v11
.LBB550_44:                             ;   in Loop: Header=BB550_5 Depth=1
	s_wait_alu 0xfffe
	s_or_b32 exec_lo, exec_lo, s28
	s_wait_loadcnt 0x2
	v_lshlrev_b32_e32 v12, 16, v38
	v_lshlrev_b32_e32 v11, 16, v39
	s_wait_loadcnt 0x1
	s_delay_alu instid0(VALU_DEP_1) | instskip(NEXT) | instid1(VALU_DEP_1)
	v_dual_fmac_f32 v28, v36, v11 :: v_dual_lshlrev_b32 v11, 16, v37
	v_fmac_f32_e32 v28, v35, v12
	s_wait_loadcnt 0x0
	s_delay_alu instid0(VALU_DEP_1) | instskip(NEXT) | instid1(VALU_DEP_1)
	v_dual_fmac_f32 v28, v34, v11 :: v_dual_lshlrev_b32 v11, 16, v32
	v_fmac_f32_e32 v28, v33, v11
.LBB550_45:                             ;   in Loop: Header=BB550_5 Depth=1
	s_wait_alu 0xfffe
	s_or_b32 exec_lo, exec_lo, s7
.LBB550_46:                             ;   in Loop: Header=BB550_5 Depth=1
	ds_store_2addr_stride64_b32 v0, v28, v29 offset1:1
	ds_store_2addr_stride64_b32 v0, v30, v31 offset0:2 offset1:3
	s_wait_dscnt 0x0
	s_barrier_signal -1
	s_barrier_wait -1
	global_inv scope:SCOPE_SE
                                        ; implicit-def: $vgpr13
	s_and_saveexec_b32 s7, s5
	s_cbranch_execz .LBB550_68
; %bb.47:                               ;   in Loop: Header=BB550_5 Depth=1
	ds_load_2addr_stride64_b32 v[11:12], v21 offset1:4
	ds_load_2addr_stride64_b32 v[13:14], v21 offset0:8 offset1:12
	ds_load_2addr_stride64_b32 v[15:16], v21 offset0:16 offset1:20
	s_mov_b32 s29, s47
	s_wait_dscnt 0x2
	v_add_f32_e32 v17, v11, v12
	ds_load_2addr_stride64_b32 v[11:12], v21 offset0:24 offset1:28
	s_wait_dscnt 0x2
	v_add_f32_e32 v13, v13, v17
	s_delay_alu instid0(VALU_DEP_1) | instskip(SKIP_3) | instid1(VALU_DEP_1)
	v_add_f32_e32 v17, v14, v13
	ds_load_2addr_stride64_b32 v[13:14], v21 offset0:32 offset1:36
	s_wait_dscnt 0x2
	v_add_f32_e32 v15, v15, v17
	v_add_f32_e32 v17, v16, v15
	ds_load_2addr_stride64_b32 v[15:16], v21 offset0:40 offset1:44
	s_wait_dscnt 0x2
	v_add_f32_e32 v11, v11, v17
	s_delay_alu instid0(VALU_DEP_1) | instskip(SKIP_1) | instid1(VALU_DEP_1)
	v_add_f32_e32 v11, v12, v11
	s_wait_dscnt 0x1
	v_add_f32_e32 v13, v13, v11
	ds_load_2addr_stride64_b32 v[11:12], v21 offset0:48 offset1:52
	v_add_f32_e32 v13, v14, v13
	s_wait_dscnt 0x1
	s_delay_alu instid0(VALU_DEP_1) | instskip(SKIP_3) | instid1(VALU_DEP_1)
	v_add_f32_e32 v15, v15, v13
	ds_load_2addr_stride64_b32 v[13:14], v21 offset0:56 offset1:60
	v_add_f32_e32 v15, v16, v15
	s_wait_dscnt 0x1
	v_add_f32_e32 v11, v11, v15
	s_delay_alu instid0(VALU_DEP_1) | instskip(SKIP_1) | instid1(VALU_DEP_1)
	v_add_f32_e32 v11, v12, v11
	s_wait_dscnt 0x0
	v_add_f32_e32 v11, v13, v11
                                        ; implicit-def: $vgpr13
	s_delay_alu instid0(VALU_DEP_1)
	v_add_f32_e32 v11, v14, v11
	ds_store_b32 v21, v11
	s_and_saveexec_b32 s28, s6
	s_cbranch_execz .LBB550_67
; %bb.48:                               ;   in Loop: Header=BB550_5 Depth=1
	v_mul_f32_e32 v11, v27, v11
	s_cmp_eq_f32 s48, 0
	s_cbranch_scc0 .LBB550_56
; %bb.49:                               ;   in Loop: Header=BB550_5 Depth=1
	s_delay_alu instid0(VALU_DEP_1) | instskip(NEXT) | instid1(VALU_DEP_1)
	v_and_b32_e32 v12, 0x7f800000, v11
	v_cmp_ne_u32_e32 vcc_lo, 0x7f800000, v12
                                        ; implicit-def: $vgpr12
	s_and_saveexec_b32 s29, vcc_lo
	s_wait_alu 0xfffe
	s_xor_b32 s29, exec_lo, s29
; %bb.50:                               ;   in Loop: Header=BB550_5 Depth=1
	v_bfe_u32 v12, v11, 16, 1
	s_delay_alu instid0(VALU_DEP_1)
	v_add3_u32 v12, v11, v12, 0x7fff
; %bb.51:                               ;   in Loop: Header=BB550_5 Depth=1
	s_wait_alu 0xfffe
	s_and_not1_saveexec_b32 s29, s29
; %bb.52:                               ;   in Loop: Header=BB550_5 Depth=1
	v_and_b32_e32 v12, 0xffff, v11
	v_or_b32_e32 v13, 0x10000, v11
	s_delay_alu instid0(VALU_DEP_2) | instskip(SKIP_1) | instid1(VALU_DEP_2)
	v_cmp_eq_u32_e32 vcc_lo, 0, v12
	s_wait_alu 0xfffd
	v_cndmask_b32_e32 v12, v13, v11, vcc_lo
; %bb.53:                               ;   in Loop: Header=BB550_5 Depth=1
	s_wait_alu 0xfffe
	s_or_b32 exec_lo, exec_lo, s29
	s_cbranch_execz .LBB550_57
	s_branch .LBB550_66
.LBB550_54:                             ;   in Loop: Header=BB550_5 Depth=1
	v_mov_b32_e32 v13, 0
	s_mov_b32 s47, exec_lo
	s_wait_alu 0xfffe
	s_or_b32 exec_lo, exec_lo, s28
	s_delay_alu instid0(SALU_CYCLE_1)
	s_and_b32 vcc_lo, exec_lo, s7
	s_wait_alu 0xfffe
	s_cbranch_vccnz .LBB550_16
.LBB550_55:                             ;   in Loop: Header=BB550_5 Depth=1
	v_dual_mov_b32 v12, v3 :: v_dual_mov_b32 v11, v2
	s_and_saveexec_b32 s7, s47
	s_cbranch_execz .LBB550_3
	s_branch .LBB550_69
.LBB550_56:                             ;   in Loop: Header=BB550_5 Depth=1
                                        ; implicit-def: $vgpr12
.LBB550_57:                             ;   in Loop: Header=BB550_5 Depth=1
	v_lshlrev_b64_e32 v[12:13], 1, v[4:5]
	s_delay_alu instid0(VALU_DEP_1) | instskip(SKIP_1) | instid1(VALU_DEP_2)
	v_add_co_u32 v12, vcc_lo, s26, v12
	s_wait_alu 0xfffd
	v_add_co_ci_u32_e64 v13, null, s27, v13, vcc_lo
	global_load_u16 v12, v[12:13], off
	s_wait_loadcnt 0x0
	v_lshlrev_b32_e32 v12, 16, v12
	s_delay_alu instid0(VALU_DEP_1) | instskip(NEXT) | instid1(VALU_DEP_1)
	v_mul_f32_e32 v12, s48, v12
	v_and_b32_e32 v13, 0x7f800000, v12
	s_delay_alu instid0(VALU_DEP_1)
	v_cmp_ne_u32_e32 vcc_lo, 0x7f800000, v13
                                        ; implicit-def: $vgpr13
	s_and_saveexec_b32 s29, vcc_lo
	s_wait_alu 0xfffe
	s_xor_b32 s29, exec_lo, s29
; %bb.58:                               ;   in Loop: Header=BB550_5 Depth=1
	v_bfe_u32 v13, v12, 16, 1
	s_delay_alu instid0(VALU_DEP_1)
	v_add3_u32 v13, v12, v13, 0x7fff
                                        ; implicit-def: $vgpr12
; %bb.59:                               ;   in Loop: Header=BB550_5 Depth=1
	s_wait_alu 0xfffe
	s_and_not1_saveexec_b32 s29, s29
; %bb.60:                               ;   in Loop: Header=BB550_5 Depth=1
	v_and_b32_e32 v13, 0xffff, v12
	v_or_b32_e32 v14, 0x10000, v12
	s_delay_alu instid0(VALU_DEP_2) | instskip(SKIP_1) | instid1(VALU_DEP_2)
	v_cmp_eq_u32_e32 vcc_lo, 0, v13
	s_wait_alu 0xfffd
	v_cndmask_b32_e32 v13, v14, v12, vcc_lo
; %bb.61:                               ;   in Loop: Header=BB550_5 Depth=1
	s_wait_alu 0xfffe
	s_or_b32 exec_lo, exec_lo, s29
	s_delay_alu instid0(VALU_DEP_1) | instskip(NEXT) | instid1(VALU_DEP_1)
	v_and_b32_e32 v12, 0xffff0000, v13
	v_add_f32_e32 v11, v11, v12
	s_delay_alu instid0(VALU_DEP_1) | instskip(NEXT) | instid1(VALU_DEP_1)
	v_and_b32_e32 v12, 0x7f800000, v11
	v_cmp_ne_u32_e32 vcc_lo, 0x7f800000, v12
                                        ; implicit-def: $vgpr12
	s_and_saveexec_b32 s29, vcc_lo
	s_wait_alu 0xfffe
	s_xor_b32 s29, exec_lo, s29
; %bb.62:                               ;   in Loop: Header=BB550_5 Depth=1
	v_bfe_u32 v12, v11, 16, 1
	s_delay_alu instid0(VALU_DEP_1)
	v_add3_u32 v12, v11, v12, 0x7fff
                                        ; implicit-def: $vgpr11
; %bb.63:                               ;   in Loop: Header=BB550_5 Depth=1
	s_wait_alu 0xfffe
	s_and_not1_saveexec_b32 s29, s29
; %bb.64:                               ;   in Loop: Header=BB550_5 Depth=1
	v_and_b32_e32 v12, 0xffff, v11
	v_or_b32_e32 v13, 0x10000, v11
	s_delay_alu instid0(VALU_DEP_2) | instskip(SKIP_1) | instid1(VALU_DEP_2)
	v_cmp_eq_u32_e32 vcc_lo, 0, v12
	s_wait_alu 0xfffd
	v_cndmask_b32_e32 v12, v13, v11, vcc_lo
; %bb.65:                               ;   in Loop: Header=BB550_5 Depth=1
	s_wait_alu 0xfffe
	s_or_b32 exec_lo, exec_lo, s29
.LBB550_66:                             ;   in Loop: Header=BB550_5 Depth=1
	s_delay_alu instid0(VALU_DEP_1)
	v_lshrrev_b32_e32 v13, 16, v12
	s_or_b32 s29, s47, exec_lo
.LBB550_67:                             ;   in Loop: Header=BB550_5 Depth=1
	s_wait_alu 0xfffe
	s_or_b32 exec_lo, exec_lo, s28
	s_delay_alu instid0(SALU_CYCLE_1)
	s_and_not1_b32 s28, s47, exec_lo
	s_and_b32 s29, s29, exec_lo
	s_wait_alu 0xfffe
	s_or_b32 s47, s28, s29
.LBB550_68:                             ;   in Loop: Header=BB550_5 Depth=1
	s_wait_alu 0xfffe
	s_or_b32 exec_lo, exec_lo, s7
	v_dual_mov_b32 v12, v5 :: v_dual_mov_b32 v11, v4
	s_and_saveexec_b32 s7, s47
	s_cbranch_execz .LBB550_3
.LBB550_69:                             ;   in Loop: Header=BB550_5 Depth=1
	s_delay_alu instid0(VALU_DEP_1) | instskip(SKIP_1) | instid1(VALU_DEP_1)
	v_lshlrev_b64_e32 v[11:12], 1, v[11:12]
	s_wait_alu 0xfffe
	v_add_co_u32 v11, vcc_lo, s26, v11
	s_wait_alu 0xfffd
	s_delay_alu instid0(VALU_DEP_2)
	v_add_co_ci_u32_e64 v12, null, s27, v12, vcc_lo
	global_store_b16 v[11:12], v13, off
	s_branch .LBB550_3
.LBB550_70:
	s_endpgm
	.section	.rodata,"a",@progbits
	.p2align	6, 0x0
	.amdhsa_kernel _ZL20rocblas_gemvn_kernelILi64ELi16Ei16rocblas_bfloat16PKfS0_EviiT3_lPKT2_lT1_lS6_lS7_lS3_lPT4_lS7_li
		.amdhsa_group_segment_fixed_size 16384
		.amdhsa_private_segment_fixed_size 0
		.amdhsa_kernarg_size 400
		.amdhsa_user_sgpr_count 2
		.amdhsa_user_sgpr_dispatch_ptr 0
		.amdhsa_user_sgpr_queue_ptr 0
		.amdhsa_user_sgpr_kernarg_segment_ptr 1
		.amdhsa_user_sgpr_dispatch_id 0
		.amdhsa_user_sgpr_private_segment_size 0
		.amdhsa_wavefront_size32 1
		.amdhsa_uses_dynamic_stack 0
		.amdhsa_enable_private_segment 0
		.amdhsa_system_sgpr_workgroup_id_x 1
		.amdhsa_system_sgpr_workgroup_id_y 0
		.amdhsa_system_sgpr_workgroup_id_z 1
		.amdhsa_system_sgpr_workgroup_info 0
		.amdhsa_system_vgpr_workitem_id 1
		.amdhsa_next_free_vgpr 53
		.amdhsa_next_free_sgpr 55
		.amdhsa_reserve_vcc 1
		.amdhsa_float_round_mode_32 0
		.amdhsa_float_round_mode_16_64 0
		.amdhsa_float_denorm_mode_32 3
		.amdhsa_float_denorm_mode_16_64 3
		.amdhsa_fp16_overflow 0
		.amdhsa_workgroup_processor_mode 1
		.amdhsa_memory_ordered 1
		.amdhsa_forward_progress 1
		.amdhsa_inst_pref_size 31
		.amdhsa_round_robin_scheduling 0
		.amdhsa_exception_fp_ieee_invalid_op 0
		.amdhsa_exception_fp_denorm_src 0
		.amdhsa_exception_fp_ieee_div_zero 0
		.amdhsa_exception_fp_ieee_overflow 0
		.amdhsa_exception_fp_ieee_underflow 0
		.amdhsa_exception_fp_ieee_inexact 0
		.amdhsa_exception_int_div_zero 0
	.end_amdhsa_kernel
	.section	.text._ZL20rocblas_gemvn_kernelILi64ELi16Ei16rocblas_bfloat16PKfS0_EviiT3_lPKT2_lT1_lS6_lS7_lS3_lPT4_lS7_li,"axG",@progbits,_ZL20rocblas_gemvn_kernelILi64ELi16Ei16rocblas_bfloat16PKfS0_EviiT3_lPKT2_lT1_lS6_lS7_lS3_lPT4_lS7_li,comdat
.Lfunc_end550:
	.size	_ZL20rocblas_gemvn_kernelILi64ELi16Ei16rocblas_bfloat16PKfS0_EviiT3_lPKT2_lT1_lS6_lS7_lS3_lPT4_lS7_li, .Lfunc_end550-_ZL20rocblas_gemvn_kernelILi64ELi16Ei16rocblas_bfloat16PKfS0_EviiT3_lPKT2_lT1_lS6_lS7_lS3_lPT4_lS7_li
                                        ; -- End function
	.set _ZL20rocblas_gemvn_kernelILi64ELi16Ei16rocblas_bfloat16PKfS0_EviiT3_lPKT2_lT1_lS6_lS7_lS3_lPT4_lS7_li.num_vgpr, 53
	.set _ZL20rocblas_gemvn_kernelILi64ELi16Ei16rocblas_bfloat16PKfS0_EviiT3_lPKT2_lT1_lS6_lS7_lS3_lPT4_lS7_li.num_agpr, 0
	.set _ZL20rocblas_gemvn_kernelILi64ELi16Ei16rocblas_bfloat16PKfS0_EviiT3_lPKT2_lT1_lS6_lS7_lS3_lPT4_lS7_li.numbered_sgpr, 55
	.set _ZL20rocblas_gemvn_kernelILi64ELi16Ei16rocblas_bfloat16PKfS0_EviiT3_lPKT2_lT1_lS6_lS7_lS3_lPT4_lS7_li.num_named_barrier, 0
	.set _ZL20rocblas_gemvn_kernelILi64ELi16Ei16rocblas_bfloat16PKfS0_EviiT3_lPKT2_lT1_lS6_lS7_lS3_lPT4_lS7_li.private_seg_size, 0
	.set _ZL20rocblas_gemvn_kernelILi64ELi16Ei16rocblas_bfloat16PKfS0_EviiT3_lPKT2_lT1_lS6_lS7_lS3_lPT4_lS7_li.uses_vcc, 1
	.set _ZL20rocblas_gemvn_kernelILi64ELi16Ei16rocblas_bfloat16PKfS0_EviiT3_lPKT2_lT1_lS6_lS7_lS3_lPT4_lS7_li.uses_flat_scratch, 0
	.set _ZL20rocblas_gemvn_kernelILi64ELi16Ei16rocblas_bfloat16PKfS0_EviiT3_lPKT2_lT1_lS6_lS7_lS3_lPT4_lS7_li.has_dyn_sized_stack, 0
	.set _ZL20rocblas_gemvn_kernelILi64ELi16Ei16rocblas_bfloat16PKfS0_EviiT3_lPKT2_lT1_lS6_lS7_lS3_lPT4_lS7_li.has_recursion, 0
	.set _ZL20rocblas_gemvn_kernelILi64ELi16Ei16rocblas_bfloat16PKfS0_EviiT3_lPKT2_lT1_lS6_lS7_lS3_lPT4_lS7_li.has_indirect_call, 0
	.section	.AMDGPU.csdata,"",@progbits
; Kernel info:
; codeLenInByte = 3900
; TotalNumSgprs: 57
; NumVgprs: 53
; ScratchSize: 0
; MemoryBound: 0
; FloatMode: 240
; IeeeMode: 1
; LDSByteSize: 16384 bytes/workgroup (compile time only)
; SGPRBlocks: 0
; VGPRBlocks: 6
; NumSGPRsForWavesPerEU: 57
; NumVGPRsForWavesPerEU: 53
; Occupancy: 16
; WaveLimiterHint : 1
; COMPUTE_PGM_RSRC2:SCRATCH_EN: 0
; COMPUTE_PGM_RSRC2:USER_SGPR: 2
; COMPUTE_PGM_RSRC2:TRAP_HANDLER: 0
; COMPUTE_PGM_RSRC2:TGID_X_EN: 1
; COMPUTE_PGM_RSRC2:TGID_Y_EN: 0
; COMPUTE_PGM_RSRC2:TGID_Z_EN: 1
; COMPUTE_PGM_RSRC2:TIDIG_COMP_CNT: 1
	.section	.text._ZL20rocblas_gemvn_kernelILi64ELi16El16rocblas_bfloat16PKfS0_EviiT3_lPKT2_lT1_lS6_lS7_lS3_lPT4_lS7_li,"axG",@progbits,_ZL20rocblas_gemvn_kernelILi64ELi16El16rocblas_bfloat16PKfS0_EviiT3_lPKT2_lT1_lS6_lS7_lS3_lPT4_lS7_li,comdat
	.globl	_ZL20rocblas_gemvn_kernelILi64ELi16El16rocblas_bfloat16PKfS0_EviiT3_lPKT2_lT1_lS6_lS7_lS3_lPT4_lS7_li ; -- Begin function _ZL20rocblas_gemvn_kernelILi64ELi16El16rocblas_bfloat16PKfS0_EviiT3_lPKT2_lT1_lS6_lS7_lS3_lPT4_lS7_li
	.p2align	8
	.type	_ZL20rocblas_gemvn_kernelILi64ELi16El16rocblas_bfloat16PKfS0_EviiT3_lPKT2_lT1_lS6_lS7_lS3_lPT4_lS7_li,@function
_ZL20rocblas_gemvn_kernelILi64ELi16El16rocblas_bfloat16PKfS0_EviiT3_lPKT2_lT1_lS6_lS7_lS3_lPT4_lS7_li: ; @_ZL20rocblas_gemvn_kernelILi64ELi16El16rocblas_bfloat16PKfS0_EviiT3_lPKT2_lT1_lS6_lS7_lS3_lPT4_lS7_li
; %bb.0:
	s_load_b64 s[2:3], s[0:1], 0x9c
	s_wait_kmcnt 0x0
	s_lshr_b32 s4, s2, 16
	s_and_b32 s2, s2, 0xffff
	s_and_b32 s3, s3, 0xffff
	s_mul_i32 s2, s4, s2
	s_delay_alu instid0(SALU_CYCLE_1) | instskip(NEXT) | instid1(SALU_CYCLE_1)
	s_mul_i32 s2, s2, s3
	s_cmp_lg_u32 s2, 0x400
	s_cbranch_scc1 .LBB551_70
; %bb.1:
	s_load_b32 s33, s[0:1], 0x88
	s_lshr_b32 s10, ttmp7, 16
	s_wait_kmcnt 0x0
	s_cmp_ge_u32 s10, s33
	s_cbranch_scc1 .LBB551_70
; %bb.2:
	s_clause 0x2
	s_load_b512 s[12:27], s[0:1], 0x8
	s_load_b512 s[36:51], s[0:1], 0x48
	s_load_b64 s[8:9], s[0:1], 0x0
	v_and_b32_e32 v5, 0x3ff, v0
	v_bfe_u32 v17, v0, 10, 10
	s_lshl_b32 s34, ttmp9, 8
	s_mov_b32 s11, 0
	s_delay_alu instid0(VALU_DEP_2) | instskip(NEXT) | instid1(VALU_DEP_2)
	v_dual_mov_b32 v1, 0 :: v_dual_add_nc_u32 v6, s34, v5
	v_lshlrev_b32_e32 v18, 2, v17
	v_lshl_add_u32 v10, v17, 6, v5
	s_delay_alu instid0(VALU_DEP_3) | instskip(SKIP_1) | instid1(VALU_DEP_4)
	v_add_nc_u32_e32 v8, 0x80, v6
	v_add_nc_u32_e32 v9, 0xc0, v6
	v_or_b32_e32 v20, 3, v18
	s_delay_alu instid0(VALU_DEP_4)
	v_add_nc_u32_e32 v0, s34, v10
	v_or_b32_e32 v21, s34, v10
	v_ashrrev_i32_e32 v7, 31, v6
	s_wait_kmcnt 0x0
	s_lshl_b64 s[4:5], s[18:19], 1
	s_lshl_b64 s[18:19], s[26:27], 1
	s_ashr_i32 s28, s9, 31
	s_add_nc_u64 s[16:17], s[16:17], s[4:5]
	s_lshr_b32 s4, s28, 26
	s_lshl_b64 s[6:7], s[46:47], 1
	s_add_co_i32 s52, s9, s4
	s_ashr_i32 s31, s8, 31
	s_and_not1_b32 s52, s52, 63
	v_cmp_gt_i32_e64 s2, s8, v8
	s_sub_co_i32 s5, s9, s52
	v_cmp_gt_i32_e64 s3, s8, v9
	s_cmp_gt_i32 s5, 0
	v_mad_co_u64_u32 v[8:9], null, s36, v17, 0
	v_cmp_gt_u32_e64 s5, 0x100, v10
	v_mad_co_u64_u32 v[10:11], null, s20, v20, 0
	s_mov_b32 s30, s8
	s_add_nc_u64 s[28:29], s[44:45], s[6:7]
	s_cselect_b32 s53, -1, 0
	v_mul_lo_u32 v22, s49, v21
	s_ashr_i32 s6, s34, 31
	v_cmp_gt_i32_e64 s0, s8, v6
	v_mad_co_u64_u32 v[12:13], null, s37, v17, v[9:10]
	v_mov_b32_e32 v9, v11
	v_mad_co_u64_u32 v[13:14], null, s36, v20, 0
	v_or_b32_e32 v24, 2, v18
	s_mul_i32 s7, s48, s6
	s_delay_alu instid0(VALU_DEP_3)
	v_mad_co_u64_u32 v[15:16], null, s21, v20, v[9:10]
	v_mov_b32_e32 v9, v12
	v_mad_co_u64_u32 v[2:3], null, s48, v0, 0
	v_add_nc_u32_e32 v4, 64, v6
	v_mov_b32_e32 v12, v14
	v_cmp_gt_i64_e32 vcc_lo, s[30:31], v[0:1]
	v_lshlrev_b64_e32 v[8:9], 3, v[8:9]
	v_mov_b32_e32 v11, v15
	v_cmp_gt_i32_e64 s1, s8, v4
	v_mad_co_u64_u32 v[3:4], null, s49, v0, v[3:4]
	v_lshlrev_b32_e32 v4, 2, v5
	v_mad_co_u64_u32 v[14:15], null, s37, v20, v[12:13]
	v_mad_co_u64_u32 v[15:16], null, s20, v17, 0
	s_delay_alu instid0(VALU_DEP_3)
	v_lshl_add_u32 v0, v17, 10, v4
	v_lshl_add_u32 v19, v17, 8, v4
	v_mad_co_u64_u32 v[4:5], null, s48, v21, 0
	s_and_b32 s54, s5, vcc_lo
	v_add_co_u32 v20, vcc_lo, s24, v8
	v_cmp_gt_i32_e64 s6, s8, v21
	v_add_co_ci_u32_e64 v21, null, s25, v9, vcc_lo
	v_lshlrev_b64_e32 v[8:9], 1, v[10:11]
	v_mad_co_u64_u32 v[11:12], null, s20, v24, 0
	v_mov_b32_e32 v10, v16
	v_add3_u32 v5, v5, s7, v22
	v_mad_co_u64_u32 v[28:29], null, s36, v24, 0
	v_add_co_u32 v22, vcc_lo, s16, v8
	s_delay_alu instid0(VALU_DEP_4)
	v_mad_co_u64_u32 v[16:17], null, s21, v17, v[10:11]
	s_wait_alu 0xfffd
	v_add_co_ci_u32_e64 v23, null, s17, v9, vcc_lo
	v_lshlrev_b64_e32 v[9:10], 1, v[13:14]
	v_mov_b32_e32 v8, v12
	v_mov_b32_e32 v12, v29
	v_mad_co_u64_u32 v[30:31], null, s36, v18, s[36:37]
	v_mad_co_u64_u32 v[32:33], null, s20, v18, s[20:21]
	s_delay_alu instid0(VALU_DEP_4)
	v_mad_co_u64_u32 v[13:14], null, s21, v24, v[8:9]
	v_lshlrev_b64_e32 v[6:7], 1, v[6:7]
	v_cmp_gt_i32_e64 s4, s52, v18
	v_mov_b32_e32 v8, v31
	s_add_nc_u64 s[26:27], s[24:25], s[18:19]
	s_lshl_b64 s[30:31], s[38:39], 1
	s_lshl_b64 s[34:35], s[22:23], 1
	v_mad_co_u64_u32 v[26:27], null, s37, v24, v[12:13]
	v_add_co_u32 v24, vcc_lo, s24, v9
	s_wait_alu 0xfffd
	v_add_co_ci_u32_e64 v25, null, s25, v10, vcc_lo
	v_lshlrev_b64_e32 v[9:10], 3, v[15:16]
	s_delay_alu instid0(VALU_DEP_4) | instskip(SKIP_1) | instid1(VALU_DEP_2)
	v_dual_mov_b32 v12, v13 :: v_dual_mov_b32 v29, v26
	s_lshl_b64 s[44:45], s[20:21], 7
	v_add_co_u32 v26, vcc_lo, s16, v9
	v_mad_co_u64_u32 v[13:14], null, s37, v18, v[8:9]
	s_wait_alu 0xfffd
	v_add_co_ci_u32_e64 v27, null, s17, v10, vcc_lo
	v_lshlrev_b64_e32 v[9:10], 1, v[11:12]
	v_mov_b32_e32 v8, v33
	v_lshlrev_b64_e32 v[14:15], 1, v[28:29]
	v_mov_b32_e32 v31, v13
	s_delay_alu instid0(VALU_DEP_3) | instskip(SKIP_1) | instid1(VALU_DEP_3)
	v_mad_co_u64_u32 v[11:12], null, s21, v18, v[8:9]
	v_add_co_u32 v28, vcc_lo, s16, v9
	v_lshlrev_b64_e32 v[8:9], 1, v[30:31]
	s_wait_alu 0xfffd
	v_add_co_ci_u32_e64 v29, null, s17, v10, vcc_lo
	v_add_co_u32 v30, vcc_lo, s24, v14
	v_mov_b32_e32 v33, v11
	s_wait_alu 0xfffd
	v_add_co_ci_u32_e64 v31, null, s25, v15, vcc_lo
	s_delay_alu instid0(VALU_DEP_2) | instskip(SKIP_4) | instid1(VALU_DEP_4)
	v_lshlrev_b64_e32 v[10:11], 1, v[32:33]
	v_add_co_u32 v32, vcc_lo, s24, v8
	s_wait_alu 0xfffd
	v_add_co_ci_u32_e64 v33, null, s25, v9, vcc_lo
	v_lshlrev_b64_e32 v[8:9], 1, v[2:3]
	v_add_co_u32 v34, vcc_lo, s16, v10
	s_wait_alu 0xfffd
	v_add_co_ci_u32_e64 v35, null, s17, v11, vcc_lo
	s_lshl_b64 s[24:25], s[36:37], 7
	s_branch .LBB551_5
.LBB551_3:                              ;   in Loop: Header=BB551_5 Depth=1
	s_wait_alu 0xfffe
	s_or_b32 exec_lo, exec_lo, s7
.LBB551_4:                              ;   in Loop: Header=BB551_5 Depth=1
	s_add_co_i32 s10, s10, 0x10000
	s_delay_alu instid0(SALU_CYCLE_1)
	s_cmp_lt_u32 s10, s33
	s_cbranch_scc0 .LBB551_70
.LBB551_5:                              ; =>This Loop Header: Depth=1
                                        ;     Child Loop BB551_22 Depth 2
	s_mul_u64 s[46:47], s[14:15], s[10:11]
	s_mul_u64 s[48:49], s[42:43], s[10:11]
	s_wait_alu 0xfffe
	s_lshl_b64 s[46:47], s[46:47], 2
	s_lshl_b64 s[48:49], s[48:49], 2
	s_wait_alu 0xfffe
	s_add_nc_u64 s[46:47], s[12:13], s[46:47]
	s_add_nc_u64 s[48:49], s[40:41], s[48:49]
	s_clause 0x1
	global_load_b32 v36, v1, s[46:47]
	global_load_b32 v10, v1, s[48:49]
	s_wait_loadcnt 0x1
	v_cmp_eq_f32_e32 vcc_lo, 0, v36
	s_wait_loadcnt 0x0
	v_cmp_eq_f32_e64 s7, 1.0, v10
	v_readfirstlane_b32 s56, v10
	s_and_b32 s7, vcc_lo, s7
	s_wait_alu 0xfffe
	s_and_b32 vcc_lo, exec_lo, s7
	s_wait_alu 0xfffe
	s_cbranch_vccnz .LBB551_4
; %bb.6:                                ;   in Loop: Header=BB551_5 Depth=1
	v_cmp_neq_f32_e32 vcc_lo, 0, v36
	s_mul_u64 s[46:47], s[50:51], s[10:11]
	s_wait_alu 0xfffe
	s_lshl_b64 s[46:47], s[46:47], 1
	s_wait_alu 0xfffe
	s_add_nc_u64 s[46:47], s[28:29], s[46:47]
	s_cbranch_vccnz .LBB551_14
; %bb.7:                                ;   in Loop: Header=BB551_5 Depth=1
	s_mov_b32 s7, 0
	s_mov_b32 s55, 0
                                        ; implicit-def: $vgpr12
	s_and_saveexec_b32 s8, s54
	s_cbranch_execz .LBB551_15
; %bb.8:                                ;   in Loop: Header=BB551_5 Depth=1
	s_cmp_eq_f32 s56, 0
	s_cbranch_scc1 .LBB551_54
; %bb.9:                                ;   in Loop: Header=BB551_5 Depth=1
	s_wait_alu 0xfffe
	v_add_co_u32 v10, vcc_lo, s46, v8
	s_wait_alu 0xfffd
	v_add_co_ci_u32_e64 v11, null, s47, v9, vcc_lo
	global_load_u16 v10, v[10:11], off
	s_wait_loadcnt 0x0
	v_lshlrev_b32_e32 v10, 16, v10
	s_delay_alu instid0(VALU_DEP_1) | instskip(NEXT) | instid1(VALU_DEP_1)
	v_mul_f32_e32 v10, s56, v10
	v_and_b32_e32 v11, 0x7f800000, v10
	s_delay_alu instid0(VALU_DEP_1)
	v_cmp_ne_u32_e32 vcc_lo, 0x7f800000, v11
                                        ; implicit-def: $vgpr11
	s_and_saveexec_b32 s48, vcc_lo
	s_wait_alu 0xfffe
	s_xor_b32 s48, exec_lo, s48
; %bb.10:                               ;   in Loop: Header=BB551_5 Depth=1
	v_bfe_u32 v11, v10, 16, 1
	s_delay_alu instid0(VALU_DEP_1)
	v_add3_u32 v11, v10, v11, 0x7fff
                                        ; implicit-def: $vgpr10
; %bb.11:                               ;   in Loop: Header=BB551_5 Depth=1
	s_wait_alu 0xfffe
	s_and_not1_saveexec_b32 s48, s48
; %bb.12:                               ;   in Loop: Header=BB551_5 Depth=1
	v_and_b32_e32 v11, 0xffff, v10
	v_or_b32_e32 v12, 0x10000, v10
	s_delay_alu instid0(VALU_DEP_2) | instskip(SKIP_1) | instid1(VALU_DEP_2)
	v_cmp_eq_u32_e32 vcc_lo, 0, v11
	s_wait_alu 0xfffd
	v_cndmask_b32_e32 v11, v12, v10, vcc_lo
; %bb.13:                               ;   in Loop: Header=BB551_5 Depth=1
	s_wait_alu 0xfffe
	s_or_b32 exec_lo, exec_lo, s48
	s_delay_alu instid0(VALU_DEP_1) | instskip(SKIP_2) | instid1(SALU_CYCLE_1)
	v_lshrrev_b32_e32 v12, 16, v11
	s_mov_b32 s55, exec_lo
	s_or_b32 exec_lo, exec_lo, s8
	s_and_b32 vcc_lo, exec_lo, s7
	s_wait_alu 0xfffe
	s_cbranch_vccnz .LBB551_16
	s_branch .LBB551_55
.LBB551_14:                             ;   in Loop: Header=BB551_5 Depth=1
	s_mov_b32 s55, 0
                                        ; implicit-def: $vgpr12
	s_cbranch_execnz .LBB551_16
	s_branch .LBB551_55
.LBB551_15:                             ;   in Loop: Header=BB551_5 Depth=1
	s_wait_alu 0xfffe
	s_or_b32 exec_lo, exec_lo, s8
	s_delay_alu instid0(SALU_CYCLE_1)
	s_and_b32 vcc_lo, exec_lo, s7
	s_wait_alu 0xfffe
	s_cbranch_vccz .LBB551_55
.LBB551_16:                             ;   in Loop: Header=BB551_5 Depth=1
	v_dual_mov_b32 v37, 0 :: v_dual_mov_b32 v38, 0
	v_dual_mov_b32 v41, v18 :: v_dual_mov_b32 v40, 0
	v_mov_b32_e32 v39, 0
	s_and_saveexec_b32 s8, s4
	s_cbranch_execz .LBB551_28
; %bb.17:                               ;   in Loop: Header=BB551_5 Depth=1
	s_mul_u64 s[48:49], s[30:31], s[10:11]
	s_mul_u64 s[58:59], s[34:35], s[10:11]
	s_wait_alu 0xfffe
	v_add_co_u32 v42, vcc_lo, v20, s48
	s_wait_alu 0xfffd
	v_add_co_ci_u32_e64 v43, null, s49, v21, vcc_lo
	v_add_co_u32 v44, vcc_lo, v22, s58
	s_wait_alu 0xfffd
	v_add_co_ci_u32_e64 v45, null, s59, v23, vcc_lo
	;; [unrolled: 3-line block ×8, first 2 shown]
	v_dual_mov_b32 v37, 0 :: v_dual_mov_b32 v38, 0
	v_dual_mov_b32 v41, v18 :: v_dual_mov_b32 v40, 0
	v_mov_b32_e32 v39, 0
	s_mov_b32 s48, 0
	s_branch .LBB551_22
.LBB551_18:                             ;   in Loop: Header=BB551_22 Depth=2
	s_wait_alu 0xfffe
	s_or_b32 exec_lo, exec_lo, s58
	s_wait_loadcnt 0x2
	v_lshlrev_b32_e32 v11, 16, v72
	v_lshlrev_b32_e32 v10, 16, v73
	s_wait_loadcnt 0x1
	s_delay_alu instid0(VALU_DEP_1) | instskip(NEXT) | instid1(VALU_DEP_1)
	v_dual_fmac_f32 v39, v65, v10 :: v_dual_lshlrev_b32 v10, 16, v71
	v_fmac_f32_e32 v39, v61, v11
	s_delay_alu instid0(VALU_DEP_1) | instskip(SKIP_2) | instid1(VALU_DEP_1)
	v_fmac_f32_e32 v39, v63, v10
	s_wait_loadcnt 0x0
	v_lshlrev_b32_e32 v10, 16, v70
	v_fmac_f32_e32 v39, v59, v10
.LBB551_19:                             ;   in Loop: Header=BB551_22 Depth=2
	s_wait_alu 0xfffe
	s_or_b32 exec_lo, exec_lo, s57
	s_wait_loadcnt 0x3
	v_lshlrev_b32_e32 v10, 16, v69
	s_wait_loadcnt 0x2
	s_delay_alu instid0(VALU_DEP_1) | instskip(SKIP_2) | instid1(VALU_DEP_2)
	v_dual_fmac_f32 v38, v65, v10 :: v_dual_lshlrev_b32 v11, 16, v68
	s_wait_loadcnt 0x1
	v_lshlrev_b32_e32 v10, 16, v67
	v_fmac_f32_e32 v38, v61, v11
	s_delay_alu instid0(VALU_DEP_1) | instskip(SKIP_2) | instid1(VALU_DEP_1)
	v_fmac_f32_e32 v38, v63, v10
	s_wait_loadcnt 0x0
	v_lshlrev_b32_e32 v10, 16, v66
	v_fmac_f32_e32 v38, v59, v10
.LBB551_20:                             ;   in Loop: Header=BB551_22 Depth=2
	s_wait_alu 0xfffe
	s_or_b32 exec_lo, exec_lo, s49
	s_wait_loadcnt 0x2
	v_lshlrev_b32_e32 v11, 16, v62
	v_lshlrev_b32_e32 v10, 16, v64
	s_wait_loadcnt 0x1
	s_delay_alu instid0(VALU_DEP_1) | instskip(NEXT) | instid1(VALU_DEP_1)
	v_dual_fmac_f32 v37, v65, v10 :: v_dual_lshlrev_b32 v10, 16, v60
	v_fmac_f32_e32 v37, v61, v11
	s_delay_alu instid0(VALU_DEP_1) | instskip(SKIP_2) | instid1(VALU_DEP_1)
	v_fmac_f32_e32 v37, v63, v10
	s_wait_loadcnt 0x0
	v_lshlrev_b32_e32 v10, 16, v58
	v_fmac_f32_e32 v37, v59, v10
.LBB551_21:                             ;   in Loop: Header=BB551_22 Depth=2
	s_wait_alu 0xfffe
	s_or_b32 exec_lo, exec_lo, s7
	v_add_co_u32 v42, vcc_lo, v42, s24
	s_wait_alu 0xfffd
	v_add_co_ci_u32_e64 v43, null, s25, v43, vcc_lo
	v_add_co_u32 v44, vcc_lo, v44, s44
	s_wait_alu 0xfffd
	v_add_co_ci_u32_e64 v45, null, s45, v45, vcc_lo
	;; [unrolled: 3-line block ×4, first 2 shown]
	v_add_co_u32 v50, vcc_lo, v50, s44
	v_add_nc_u32_e32 v41, 64, v41
	s_wait_alu 0xfffd
	v_add_co_ci_u32_e64 v51, null, s45, v51, vcc_lo
	v_add_co_u32 v52, vcc_lo, v52, s24
	s_wait_alu 0xfffd
	v_add_co_ci_u32_e64 v53, null, s25, v53, vcc_lo
	v_add_co_u32 v54, vcc_lo, v54, s24
	s_wait_alu 0xfffd
	v_add_co_ci_u32_e64 v55, null, s25, v55, vcc_lo
	v_cmp_le_i32_e32 vcc_lo, s52, v41
	v_add_co_u32 v56, s7, v56, s44
	s_wait_alu 0xf1ff
	v_add_co_ci_u32_e64 v57, null, s45, v57, s7
	s_or_b32 s48, vcc_lo, s48
	s_wait_alu 0xfffe
	s_and_not1_b32 exec_lo, exec_lo, s48
	s_cbranch_execz .LBB551_27
.LBB551_22:                             ;   Parent Loop BB551_5 Depth=1
                                        ; =>  This Inner Loop Header: Depth=2
	s_and_saveexec_b32 s7, s0
	s_cbranch_execz .LBB551_21
; %bb.23:                               ;   in Loop: Header=BB551_22 Depth=2
	v_add_co_u32 v10, vcc_lo, v42, s18
	s_wait_alu 0xfffd
	v_add_co_ci_u32_e64 v11, null, s19, v43, vcc_lo
	v_add_co_u32 v12, vcc_lo, v54, s18
	s_wait_alu 0xfffd
	v_add_co_ci_u32_e64 v13, null, s19, v55, vcc_lo
	v_add_co_u32 v14, vcc_lo, v52, s18
	s_wait_alu 0xfffd
	v_add_co_ci_u32_e64 v15, null, s19, v53, vcc_lo
	v_add_co_u32 v16, vcc_lo, v46, s18
	s_wait_alu 0xfffd
	v_add_co_ci_u32_e64 v17, null, s19, v47, vcc_lo
	global_load_u16 v59, v[10:11], off
	global_load_u16 v61, v[12:13], off
	;; [unrolled: 1-line block ×4, first 2 shown]
	v_add_co_u32 v10, vcc_lo, v48, v6
	s_wait_alu 0xfffd
	v_add_co_ci_u32_e64 v11, null, v49, v7, vcc_lo
	v_add_co_u32 v14, vcc_lo, v56, v6
	s_wait_alu 0xfffd
	v_add_co_ci_u32_e64 v15, null, v57, v7, vcc_lo
	;; [unrolled: 3-line block ×4, first 2 shown]
	global_load_u16 v64, v[10:11], off
	global_load_u16 v62, v[14:15], off
	;; [unrolled: 1-line block ×4, first 2 shown]
	s_wait_loadcnt 0x7
	v_lshlrev_b32_e32 v65, 16, v59
	s_wait_loadcnt 0x6
	v_lshlrev_b32_e32 v61, 16, v61
	;; [unrolled: 2-line block ×4, first 2 shown]
	s_and_saveexec_b32 s49, s1
	s_cbranch_execz .LBB551_20
; %bb.24:                               ;   in Loop: Header=BB551_22 Depth=2
	global_load_u16 v69, v[10:11], off offset:128
	global_load_u16 v68, v[14:15], off offset:128
	global_load_u16 v67, v[12:13], off offset:128
	global_load_u16 v66, v[16:17], off offset:128
	s_and_saveexec_b32 s57, s2
	s_cbranch_execz .LBB551_19
; %bb.25:                               ;   in Loop: Header=BB551_22 Depth=2
	global_load_u16 v73, v[10:11], off offset:256
	global_load_u16 v72, v[14:15], off offset:256
	global_load_u16 v71, v[12:13], off offset:256
	global_load_u16 v70, v[16:17], off offset:256
	s_and_saveexec_b32 s58, s3
	s_cbranch_execz .LBB551_18
; %bb.26:                               ;   in Loop: Header=BB551_22 Depth=2
	global_load_u16 v10, v[10:11], off offset:384
	global_load_u16 v11, v[14:15], off offset:384
	global_load_u16 v12, v[12:13], off offset:384
	global_load_u16 v13, v[16:17], off offset:384
	s_wait_loadcnt 0x3
	v_lshlrev_b32_e32 v10, 16, v10
	s_wait_loadcnt 0x2
	s_delay_alu instid0(VALU_DEP_1) | instskip(SKIP_3) | instid1(VALU_DEP_2)
	v_dual_fmac_f32 v40, v65, v10 :: v_dual_lshlrev_b32 v11, 16, v11
	s_wait_loadcnt 0x1
	v_lshlrev_b32_e32 v10, 16, v12
	s_wait_loadcnt 0x0
	v_dual_fmac_f32 v40, v61, v11 :: v_dual_lshlrev_b32 v11, 16, v13
	s_delay_alu instid0(VALU_DEP_1) | instskip(NEXT) | instid1(VALU_DEP_1)
	v_fmac_f32_e32 v40, v63, v10
	v_fmac_f32_e32 v40, v59, v11
	s_branch .LBB551_18
.LBB551_27:                             ;   in Loop: Header=BB551_5 Depth=1
	s_or_b32 exec_lo, exec_lo, s48
.LBB551_28:                             ;   in Loop: Header=BB551_5 Depth=1
	s_wait_alu 0xfffe
	s_or_b32 exec_lo, exec_lo, s8
	s_delay_alu instid0(SALU_CYCLE_1)
	s_and_not1_b32 vcc_lo, exec_lo, s53
	s_wait_alu 0xfffe
	s_cbranch_vccnz .LBB551_46
; %bb.29:                               ;   in Loop: Header=BB551_5 Depth=1
	v_cmp_gt_i32_e32 vcc_lo, s9, v41
	v_dual_mov_b32 v43, 0 :: v_dual_mov_b32 v42, 0
	v_or_b32_e32 v10, 1, v41
	v_dual_mov_b32 v45, 0 :: v_dual_mov_b32 v44, 0
	s_and_saveexec_b32 s8, vcc_lo
	s_cbranch_execz .LBB551_37
; %bb.30:                               ;   in Loop: Header=BB551_5 Depth=1
	v_mad_co_u64_u32 v[11:12], null, s36, v41, 0
	s_mul_u64 s[48:49], s[38:39], s[10:11]
	v_dual_mov_b32 v44, 0 :: v_dual_mov_b32 v43, 0
	s_wait_alu 0xfffe
	s_lshl_b64 s[48:49], s[48:49], 1
	v_mov_b32_e32 v42, 0
	s_wait_alu 0xfffe
	s_add_nc_u64 s[48:49], s[26:27], s[48:49]
	v_mad_co_u64_u32 v[12:13], null, s37, v41, v[12:13]
	s_mov_b32 s57, exec_lo
	v_lshlrev_b64_e32 v[11:12], 1, v[11:12]
	s_wait_alu 0xfffe
	s_delay_alu instid0(VALU_DEP_1) | instskip(SKIP_1) | instid1(VALU_DEP_2)
	v_add_co_u32 v11, s7, s48, v11
	s_wait_alu 0xf1ff
	v_add_co_ci_u32_e64 v12, null, s49, v12, s7
	global_load_u16 v11, v[11:12], off
	v_cmpx_gt_i32_e64 s9, v10
	s_cbranch_execz .LBB551_36
; %bb.31:                               ;   in Loop: Header=BB551_5 Depth=1
	v_mad_co_u64_u32 v[12:13], null, s36, v10, 0
	v_dual_mov_b32 v42, 0 :: v_dual_mov_b32 v43, 0
	s_mov_b32 s58, exec_lo
	s_delay_alu instid0(VALU_DEP_2) | instskip(NEXT) | instid1(VALU_DEP_1)
	v_mad_co_u64_u32 v[13:14], null, s37, v10, v[13:14]
	v_lshlrev_b64_e32 v[12:13], 1, v[12:13]
	s_delay_alu instid0(VALU_DEP_1) | instskip(SKIP_1) | instid1(VALU_DEP_2)
	v_add_co_u32 v12, s7, s48, v12
	s_wait_alu 0xf1ff
	v_add_co_ci_u32_e64 v13, null, s49, v13, s7
	global_load_u16 v12, v[12:13], off
	v_or_b32_e32 v13, 2, v41
	s_delay_alu instid0(VALU_DEP_1)
	v_cmpx_gt_i32_e64 s9, v13
	s_cbranch_execz .LBB551_35
; %bb.32:                               ;   in Loop: Header=BB551_5 Depth=1
	v_mad_co_u64_u32 v[14:15], null, s36, v13, 0
	v_mov_b32_e32 v42, 0
	s_mov_b32 s59, exec_lo
	s_delay_alu instid0(VALU_DEP_2) | instskip(NEXT) | instid1(VALU_DEP_1)
	v_mad_co_u64_u32 v[15:16], null, s37, v13, v[15:16]
	v_lshlrev_b64_e32 v[13:14], 1, v[14:15]
	s_delay_alu instid0(VALU_DEP_1) | instskip(SKIP_1) | instid1(VALU_DEP_2)
	v_add_co_u32 v13, s7, s48, v13
	s_wait_alu 0xf1ff
	v_add_co_ci_u32_e64 v14, null, s49, v14, s7
	global_load_u16 v13, v[13:14], off
	v_or_b32_e32 v14, 3, v41
	s_delay_alu instid0(VALU_DEP_1)
	v_cmpx_gt_i32_e64 s9, v14
	s_cbranch_execz .LBB551_34
; %bb.33:                               ;   in Loop: Header=BB551_5 Depth=1
	v_mad_co_u64_u32 v[15:16], null, s36, v14, 0
	s_delay_alu instid0(VALU_DEP_1) | instskip(NEXT) | instid1(VALU_DEP_1)
	v_mad_co_u64_u32 v[16:17], null, s37, v14, v[16:17]
	v_lshlrev_b64_e32 v[14:15], 1, v[15:16]
	s_delay_alu instid0(VALU_DEP_1) | instskip(SKIP_1) | instid1(VALU_DEP_2)
	v_add_co_u32 v14, s7, s48, v14
	s_wait_alu 0xf1ff
	v_add_co_ci_u32_e64 v15, null, s49, v15, s7
	global_load_u16 v14, v[14:15], off
	s_wait_loadcnt 0x0
	v_lshlrev_b32_e32 v42, 16, v14
.LBB551_34:                             ;   in Loop: Header=BB551_5 Depth=1
	s_wait_alu 0xfffe
	s_or_b32 exec_lo, exec_lo, s59
	s_wait_loadcnt 0x0
	v_lshlrev_b32_e32 v43, 16, v13
.LBB551_35:                             ;   in Loop: Header=BB551_5 Depth=1
	s_wait_alu 0xfffe
	s_or_b32 exec_lo, exec_lo, s58
	s_wait_loadcnt 0x0
	v_lshlrev_b32_e32 v44, 16, v12
.LBB551_36:                             ;   in Loop: Header=BB551_5 Depth=1
	s_or_b32 exec_lo, exec_lo, s57
	s_wait_loadcnt 0x0
	v_lshlrev_b32_e32 v45, 16, v11
.LBB551_37:                             ;   in Loop: Header=BB551_5 Depth=1
	s_wait_alu 0xfffe
	s_or_b32 exec_lo, exec_lo, s8
	s_and_saveexec_b32 s48, s0
	s_cbranch_execz .LBB551_45
; %bb.38:                               ;   in Loop: Header=BB551_5 Depth=1
	v_mad_co_u64_u32 v[11:12], null, s20, v41, 0
	v_mad_co_u64_u32 v[13:14], null, s20, v10, 0
	v_or_b32_e32 v50, 2, v41
	v_or_b32_e32 v51, 3, v41
	s_mul_u64 s[58:59], s[22:23], s[10:11]
	s_wait_alu 0xfffe
	s_lshl_b64 s[58:59], s[58:59], 1
	v_cmp_gt_i32_e64 s7, s9, v50
	s_delay_alu instid0(VALU_DEP_4) | instskip(SKIP_4) | instid1(VALU_DEP_2)
	v_mad_co_u64_u32 v[15:16], null, s21, v41, v[12:13]
	v_mad_co_u64_u32 v[16:17], null, s20, v50, 0
	v_mad_co_u64_u32 v[46:47], null, s20, v51, 0
	s_wait_alu 0xfffe
	s_add_nc_u64 s[58:59], s[16:17], s[58:59]
	v_dual_cndmask_b32 v12, 0, v15 :: v_dual_mov_b32 v15, v17
	s_delay_alu instid0(VALU_DEP_2) | instskip(NEXT) | instid1(VALU_DEP_2)
	v_mov_b32_e32 v17, v47
	v_mad_co_u64_u32 v[48:49], null, s21, v10, v[14:15]
	v_cndmask_b32_e32 v11, 0, v11, vcc_lo
	v_cmp_gt_i32_e32 vcc_lo, s9, v10
	s_wait_alu 0xfffd
	s_delay_alu instid0(VALU_DEP_3) | instskip(NEXT) | instid1(VALU_DEP_3)
	v_dual_cndmask_b32 v13, 0, v13 :: v_dual_cndmask_b32 v14, 0, v48
	v_lshlrev_b64_e32 v[11:12], 1, v[11:12]
	s_wait_alu 0xfffe
	s_delay_alu instid0(VALU_DEP_1) | instskip(SKIP_1) | instid1(VALU_DEP_2)
	v_add_co_u32 v10, s8, s58, v11
	s_wait_alu 0xf1ff
	v_add_co_ci_u32_e64 v11, null, s59, v12, s8
	v_lshlrev_b64_e32 v[12:13], 1, v[13:14]
	s_delay_alu instid0(VALU_DEP_3) | instskip(SKIP_1) | instid1(VALU_DEP_3)
	v_add_co_u32 v10, vcc_lo, v10, v6
	s_wait_alu 0xfffd
	v_add_co_ci_u32_e64 v11, null, v11, v7, vcc_lo
	v_cmp_gt_i32_e32 vcc_lo, s9, v51
	v_cndmask_b32_e64 v14, 0, v16, s7
	s_wait_alu 0xfffd
	v_cndmask_b32_e32 v46, 0, v46, vcc_lo
	v_mad_co_u64_u32 v[49:50], null, s21, v50, v[15:16]
	v_mad_co_u64_u32 v[16:17], null, s21, v51, v[17:18]
	s_delay_alu instid0(VALU_DEP_2) | instskip(SKIP_1) | instid1(VALU_DEP_3)
	v_cndmask_b32_e64 v15, 0, v49, s7
	v_add_co_u32 v12, s7, s58, v12
	v_cndmask_b32_e32 v47, 0, v16, vcc_lo
	s_wait_alu 0xf1ff
	v_add_co_ci_u32_e64 v13, null, s59, v13, s7
	v_lshlrev_b64_e32 v[14:15], 1, v[14:15]
	v_add_co_u32 v12, vcc_lo, v12, v6
	v_lshlrev_b64_e32 v[16:17], 1, v[46:47]
	s_wait_alu 0xfffd
	v_add_co_ci_u32_e64 v13, null, v13, v7, vcc_lo
	s_delay_alu instid0(VALU_DEP_4)
	v_add_co_u32 v14, vcc_lo, s58, v14
	s_wait_alu 0xfffd
	v_add_co_ci_u32_e64 v15, null, s59, v15, vcc_lo
	v_add_co_u32 v16, vcc_lo, s58, v16
	s_wait_alu 0xfffd
	v_add_co_ci_u32_e64 v17, null, s59, v17, vcc_lo
	;; [unrolled: 3-line block ×4, first 2 shown]
	s_clause 0x3
	global_load_u16 v48, v[10:11], off
	global_load_u16 v47, v[12:13], off
	;; [unrolled: 1-line block ×4, first 2 shown]
	s_and_saveexec_b32 s7, s1
	s_cbranch_execz .LBB551_44
; %bb.39:                               ;   in Loop: Header=BB551_5 Depth=1
	s_clause 0x3
	global_load_u16 v52, v[10:11], off offset:128
	global_load_u16 v51, v[12:13], off offset:128
	global_load_u16 v50, v[14:15], off offset:128
	global_load_u16 v49, v[16:17], off offset:128
	s_and_saveexec_b32 s8, s2
	s_cbranch_execz .LBB551_43
; %bb.40:                               ;   in Loop: Header=BB551_5 Depth=1
	s_clause 0x3
	global_load_u16 v56, v[10:11], off offset:256
	global_load_u16 v55, v[12:13], off offset:256
	global_load_u16 v54, v[14:15], off offset:256
	global_load_u16 v53, v[16:17], off offset:256
	;; [unrolled: 8-line block ×3, first 2 shown]
	s_wait_loadcnt 0x3
	v_lshlrev_b32_e32 v10, 16, v10
	s_wait_loadcnt 0x2
	s_delay_alu instid0(VALU_DEP_1) | instskip(SKIP_3) | instid1(VALU_DEP_2)
	v_dual_fmac_f32 v40, v45, v10 :: v_dual_lshlrev_b32 v11, 16, v11
	s_wait_loadcnt 0x1
	v_lshlrev_b32_e32 v10, 16, v12
	s_wait_loadcnt 0x0
	v_dual_fmac_f32 v40, v44, v11 :: v_dual_lshlrev_b32 v11, 16, v13
	s_delay_alu instid0(VALU_DEP_1) | instskip(NEXT) | instid1(VALU_DEP_1)
	v_fmac_f32_e32 v40, v43, v10
	v_fmac_f32_e32 v40, v42, v11
.LBB551_42:                             ;   in Loop: Header=BB551_5 Depth=1
	s_wait_alu 0xfffe
	s_or_b32 exec_lo, exec_lo, s49
	s_wait_loadcnt 0x2
	v_lshlrev_b32_e32 v11, 16, v55
	v_lshlrev_b32_e32 v10, 16, v56
	s_delay_alu instid0(VALU_DEP_1) | instskip(SKIP_1) | instid1(VALU_DEP_1)
	v_fmac_f32_e32 v39, v45, v10
	s_wait_loadcnt 0x1
	v_dual_fmac_f32 v39, v44, v11 :: v_dual_lshlrev_b32 v10, 16, v54
	s_wait_loadcnt 0x0
	s_delay_alu instid0(VALU_DEP_1) | instskip(NEXT) | instid1(VALU_DEP_1)
	v_dual_fmac_f32 v39, v43, v10 :: v_dual_lshlrev_b32 v10, 16, v53
	v_fmac_f32_e32 v39, v42, v10
.LBB551_43:                             ;   in Loop: Header=BB551_5 Depth=1
	s_wait_alu 0xfffe
	s_or_b32 exec_lo, exec_lo, s8
	s_wait_loadcnt 0x3
	v_lshlrev_b32_e32 v10, 16, v52
	s_wait_loadcnt 0x2
	s_delay_alu instid0(VALU_DEP_1) | instskip(SKIP_2) | instid1(VALU_DEP_2)
	v_dual_fmac_f32 v38, v45, v10 :: v_dual_lshlrev_b32 v11, 16, v51
	s_wait_loadcnt 0x1
	v_lshlrev_b32_e32 v10, 16, v50
	v_fmac_f32_e32 v38, v44, v11
	s_delay_alu instid0(VALU_DEP_1) | instskip(SKIP_2) | instid1(VALU_DEP_1)
	v_fmac_f32_e32 v38, v43, v10
	s_wait_loadcnt 0x0
	v_lshlrev_b32_e32 v10, 16, v49
	v_fmac_f32_e32 v38, v42, v10
.LBB551_44:                             ;   in Loop: Header=BB551_5 Depth=1
	s_wait_alu 0xfffe
	s_or_b32 exec_lo, exec_lo, s7
	s_wait_loadcnt 0x2
	v_lshlrev_b32_e32 v11, 16, v47
	v_lshlrev_b32_e32 v10, 16, v48
	s_delay_alu instid0(VALU_DEP_1) | instskip(SKIP_1) | instid1(VALU_DEP_1)
	v_fmac_f32_e32 v37, v45, v10
	s_wait_loadcnt 0x1
	v_dual_fmac_f32 v37, v44, v11 :: v_dual_lshlrev_b32 v10, 16, v46
	s_wait_loadcnt 0x0
	s_delay_alu instid0(VALU_DEP_1) | instskip(NEXT) | instid1(VALU_DEP_1)
	v_dual_fmac_f32 v37, v43, v10 :: v_dual_lshlrev_b32 v10, 16, v41
	v_fmac_f32_e32 v37, v42, v10
.LBB551_45:                             ;   in Loop: Header=BB551_5 Depth=1
	s_wait_alu 0xfffe
	s_or_b32 exec_lo, exec_lo, s48
.LBB551_46:                             ;   in Loop: Header=BB551_5 Depth=1
	ds_store_2addr_stride64_b32 v0, v37, v38 offset1:1
	ds_store_2addr_stride64_b32 v0, v39, v40 offset0:2 offset1:3
	s_wait_dscnt 0x0
	s_barrier_signal -1
	s_barrier_wait -1
	global_inv scope:SCOPE_SE
                                        ; implicit-def: $vgpr12
	s_and_saveexec_b32 s7, s5
	s_cbranch_execz .LBB551_68
; %bb.47:                               ;   in Loop: Header=BB551_5 Depth=1
	ds_load_2addr_stride64_b32 v[10:11], v19 offset1:4
	ds_load_2addr_stride64_b32 v[12:13], v19 offset0:8 offset1:12
	ds_load_2addr_stride64_b32 v[14:15], v19 offset0:16 offset1:20
	s_mov_b32 s48, s55
	s_wait_dscnt 0x2
	v_add_f32_e32 v16, v10, v11
	ds_load_2addr_stride64_b32 v[10:11], v19 offset0:24 offset1:28
	s_wait_dscnt 0x2
	v_add_f32_e32 v12, v12, v16
	s_delay_alu instid0(VALU_DEP_1) | instskip(SKIP_3) | instid1(VALU_DEP_1)
	v_add_f32_e32 v16, v13, v12
	ds_load_2addr_stride64_b32 v[12:13], v19 offset0:32 offset1:36
	s_wait_dscnt 0x2
	v_add_f32_e32 v14, v14, v16
	v_add_f32_e32 v16, v15, v14
	ds_load_2addr_stride64_b32 v[14:15], v19 offset0:40 offset1:44
	s_wait_dscnt 0x2
	v_add_f32_e32 v10, v10, v16
	s_delay_alu instid0(VALU_DEP_1) | instskip(SKIP_1) | instid1(VALU_DEP_1)
	v_add_f32_e32 v10, v11, v10
	s_wait_dscnt 0x1
	v_add_f32_e32 v12, v12, v10
	ds_load_2addr_stride64_b32 v[10:11], v19 offset0:48 offset1:52
	v_add_f32_e32 v12, v13, v12
	s_wait_dscnt 0x1
	s_delay_alu instid0(VALU_DEP_1) | instskip(SKIP_3) | instid1(VALU_DEP_1)
	v_add_f32_e32 v14, v14, v12
	ds_load_2addr_stride64_b32 v[12:13], v19 offset0:56 offset1:60
	v_add_f32_e32 v14, v15, v14
	s_wait_dscnt 0x1
	v_add_f32_e32 v10, v10, v14
	s_delay_alu instid0(VALU_DEP_1) | instskip(SKIP_1) | instid1(VALU_DEP_1)
	v_add_f32_e32 v10, v11, v10
	s_wait_dscnt 0x0
	v_add_f32_e32 v10, v12, v10
                                        ; implicit-def: $vgpr12
	s_delay_alu instid0(VALU_DEP_1)
	v_add_f32_e32 v10, v13, v10
	ds_store_b32 v19, v10
	s_and_saveexec_b32 s8, s6
	s_cbranch_execz .LBB551_67
; %bb.48:                               ;   in Loop: Header=BB551_5 Depth=1
	v_mul_f32_e32 v10, v36, v10
	s_cmp_eq_f32 s56, 0
	s_cbranch_scc0 .LBB551_56
; %bb.49:                               ;   in Loop: Header=BB551_5 Depth=1
	s_delay_alu instid0(VALU_DEP_1) | instskip(NEXT) | instid1(VALU_DEP_1)
	v_and_b32_e32 v11, 0x7f800000, v10
	v_cmp_ne_u32_e32 vcc_lo, 0x7f800000, v11
                                        ; implicit-def: $vgpr11
	s_and_saveexec_b32 s48, vcc_lo
	s_wait_alu 0xfffe
	s_xor_b32 s48, exec_lo, s48
; %bb.50:                               ;   in Loop: Header=BB551_5 Depth=1
	v_bfe_u32 v11, v10, 16, 1
	s_delay_alu instid0(VALU_DEP_1)
	v_add3_u32 v11, v10, v11, 0x7fff
; %bb.51:                               ;   in Loop: Header=BB551_5 Depth=1
	s_wait_alu 0xfffe
	s_and_not1_saveexec_b32 s48, s48
; %bb.52:                               ;   in Loop: Header=BB551_5 Depth=1
	v_and_b32_e32 v11, 0xffff, v10
	v_or_b32_e32 v12, 0x10000, v10
	s_delay_alu instid0(VALU_DEP_2) | instskip(SKIP_1) | instid1(VALU_DEP_2)
	v_cmp_eq_u32_e32 vcc_lo, 0, v11
	s_wait_alu 0xfffd
	v_cndmask_b32_e32 v11, v12, v10, vcc_lo
; %bb.53:                               ;   in Loop: Header=BB551_5 Depth=1
	s_wait_alu 0xfffe
	s_or_b32 exec_lo, exec_lo, s48
	s_cbranch_execz .LBB551_57
	s_branch .LBB551_66
.LBB551_54:                             ;   in Loop: Header=BB551_5 Depth=1
	v_mov_b32_e32 v12, 0
	s_mov_b32 s55, exec_lo
	s_wait_alu 0xfffe
	s_or_b32 exec_lo, exec_lo, s8
	s_delay_alu instid0(SALU_CYCLE_1)
	s_and_b32 vcc_lo, exec_lo, s7
	s_wait_alu 0xfffe
	s_cbranch_vccnz .LBB551_16
.LBB551_55:                             ;   in Loop: Header=BB551_5 Depth=1
	v_dual_mov_b32 v11, v3 :: v_dual_mov_b32 v10, v2
	s_and_saveexec_b32 s7, s55
	s_cbranch_execz .LBB551_3
	s_branch .LBB551_69
.LBB551_56:                             ;   in Loop: Header=BB551_5 Depth=1
                                        ; implicit-def: $vgpr11
.LBB551_57:                             ;   in Loop: Header=BB551_5 Depth=1
	v_lshlrev_b64_e32 v[11:12], 1, v[4:5]
	s_delay_alu instid0(VALU_DEP_1) | instskip(SKIP_1) | instid1(VALU_DEP_2)
	v_add_co_u32 v11, vcc_lo, s46, v11
	s_wait_alu 0xfffd
	v_add_co_ci_u32_e64 v12, null, s47, v12, vcc_lo
	global_load_u16 v11, v[11:12], off
	s_wait_loadcnt 0x0
	v_lshlrev_b32_e32 v11, 16, v11
	s_delay_alu instid0(VALU_DEP_1) | instskip(NEXT) | instid1(VALU_DEP_1)
	v_mul_f32_e32 v11, s56, v11
	v_and_b32_e32 v12, 0x7f800000, v11
	s_delay_alu instid0(VALU_DEP_1)
	v_cmp_ne_u32_e32 vcc_lo, 0x7f800000, v12
                                        ; implicit-def: $vgpr12
	s_and_saveexec_b32 s48, vcc_lo
	s_wait_alu 0xfffe
	s_xor_b32 s48, exec_lo, s48
; %bb.58:                               ;   in Loop: Header=BB551_5 Depth=1
	v_bfe_u32 v12, v11, 16, 1
	s_delay_alu instid0(VALU_DEP_1)
	v_add3_u32 v12, v11, v12, 0x7fff
                                        ; implicit-def: $vgpr11
; %bb.59:                               ;   in Loop: Header=BB551_5 Depth=1
	s_wait_alu 0xfffe
	s_and_not1_saveexec_b32 s48, s48
; %bb.60:                               ;   in Loop: Header=BB551_5 Depth=1
	v_and_b32_e32 v12, 0xffff, v11
	v_or_b32_e32 v13, 0x10000, v11
	s_delay_alu instid0(VALU_DEP_2) | instskip(SKIP_1) | instid1(VALU_DEP_2)
	v_cmp_eq_u32_e32 vcc_lo, 0, v12
	s_wait_alu 0xfffd
	v_cndmask_b32_e32 v12, v13, v11, vcc_lo
; %bb.61:                               ;   in Loop: Header=BB551_5 Depth=1
	s_wait_alu 0xfffe
	s_or_b32 exec_lo, exec_lo, s48
	s_delay_alu instid0(VALU_DEP_1) | instskip(NEXT) | instid1(VALU_DEP_1)
	v_and_b32_e32 v11, 0xffff0000, v12
	v_add_f32_e32 v10, v10, v11
	s_delay_alu instid0(VALU_DEP_1) | instskip(NEXT) | instid1(VALU_DEP_1)
	v_and_b32_e32 v11, 0x7f800000, v10
	v_cmp_ne_u32_e32 vcc_lo, 0x7f800000, v11
                                        ; implicit-def: $vgpr11
	s_and_saveexec_b32 s48, vcc_lo
	s_wait_alu 0xfffe
	s_xor_b32 s48, exec_lo, s48
; %bb.62:                               ;   in Loop: Header=BB551_5 Depth=1
	v_bfe_u32 v11, v10, 16, 1
	s_delay_alu instid0(VALU_DEP_1)
	v_add3_u32 v11, v10, v11, 0x7fff
                                        ; implicit-def: $vgpr10
; %bb.63:                               ;   in Loop: Header=BB551_5 Depth=1
	s_wait_alu 0xfffe
	s_and_not1_saveexec_b32 s48, s48
; %bb.64:                               ;   in Loop: Header=BB551_5 Depth=1
	v_and_b32_e32 v11, 0xffff, v10
	v_or_b32_e32 v12, 0x10000, v10
	s_delay_alu instid0(VALU_DEP_2) | instskip(SKIP_1) | instid1(VALU_DEP_2)
	v_cmp_eq_u32_e32 vcc_lo, 0, v11
	s_wait_alu 0xfffd
	v_cndmask_b32_e32 v11, v12, v10, vcc_lo
; %bb.65:                               ;   in Loop: Header=BB551_5 Depth=1
	s_wait_alu 0xfffe
	s_or_b32 exec_lo, exec_lo, s48
.LBB551_66:                             ;   in Loop: Header=BB551_5 Depth=1
	s_delay_alu instid0(VALU_DEP_1)
	v_lshrrev_b32_e32 v12, 16, v11
	s_or_b32 s48, s55, exec_lo
.LBB551_67:                             ;   in Loop: Header=BB551_5 Depth=1
	s_wait_alu 0xfffe
	s_or_b32 exec_lo, exec_lo, s8
	s_delay_alu instid0(SALU_CYCLE_1)
	s_and_not1_b32 s8, s55, exec_lo
	s_and_b32 s48, s48, exec_lo
	s_wait_alu 0xfffe
	s_or_b32 s55, s8, s48
.LBB551_68:                             ;   in Loop: Header=BB551_5 Depth=1
	s_wait_alu 0xfffe
	s_or_b32 exec_lo, exec_lo, s7
	v_dual_mov_b32 v11, v5 :: v_dual_mov_b32 v10, v4
	s_and_saveexec_b32 s7, s55
	s_cbranch_execz .LBB551_3
.LBB551_69:                             ;   in Loop: Header=BB551_5 Depth=1
	s_delay_alu instid0(VALU_DEP_1) | instskip(SKIP_1) | instid1(VALU_DEP_1)
	v_lshlrev_b64_e32 v[10:11], 1, v[10:11]
	s_wait_alu 0xfffe
	v_add_co_u32 v10, vcc_lo, s46, v10
	s_wait_alu 0xfffd
	s_delay_alu instid0(VALU_DEP_2)
	v_add_co_ci_u32_e64 v11, null, s47, v11, vcc_lo
	global_store_b16 v[10:11], v12, off
	s_branch .LBB551_3
.LBB551_70:
	s_endpgm
	.section	.rodata,"a",@progbits
	.p2align	6, 0x0
	.amdhsa_kernel _ZL20rocblas_gemvn_kernelILi64ELi16El16rocblas_bfloat16PKfS0_EviiT3_lPKT2_lT1_lS6_lS7_lS3_lPT4_lS7_li
		.amdhsa_group_segment_fixed_size 16384
		.amdhsa_private_segment_fixed_size 0
		.amdhsa_kernarg_size 400
		.amdhsa_user_sgpr_count 2
		.amdhsa_user_sgpr_dispatch_ptr 0
		.amdhsa_user_sgpr_queue_ptr 0
		.amdhsa_user_sgpr_kernarg_segment_ptr 1
		.amdhsa_user_sgpr_dispatch_id 0
		.amdhsa_user_sgpr_private_segment_size 0
		.amdhsa_wavefront_size32 1
		.amdhsa_uses_dynamic_stack 0
		.amdhsa_enable_private_segment 0
		.amdhsa_system_sgpr_workgroup_id_x 1
		.amdhsa_system_sgpr_workgroup_id_y 0
		.amdhsa_system_sgpr_workgroup_id_z 1
		.amdhsa_system_sgpr_workgroup_info 0
		.amdhsa_system_vgpr_workitem_id 1
		.amdhsa_next_free_vgpr 74
		.amdhsa_next_free_sgpr 60
		.amdhsa_reserve_vcc 1
		.amdhsa_float_round_mode_32 0
		.amdhsa_float_round_mode_16_64 0
		.amdhsa_float_denorm_mode_32 3
		.amdhsa_float_denorm_mode_16_64 3
		.amdhsa_fp16_overflow 0
		.amdhsa_workgroup_processor_mode 1
		.amdhsa_memory_ordered 1
		.amdhsa_forward_progress 1
		.amdhsa_inst_pref_size 36
		.amdhsa_round_robin_scheduling 0
		.amdhsa_exception_fp_ieee_invalid_op 0
		.amdhsa_exception_fp_denorm_src 0
		.amdhsa_exception_fp_ieee_div_zero 0
		.amdhsa_exception_fp_ieee_overflow 0
		.amdhsa_exception_fp_ieee_underflow 0
		.amdhsa_exception_fp_ieee_inexact 0
		.amdhsa_exception_int_div_zero 0
	.end_amdhsa_kernel
	.section	.text._ZL20rocblas_gemvn_kernelILi64ELi16El16rocblas_bfloat16PKfS0_EviiT3_lPKT2_lT1_lS6_lS7_lS3_lPT4_lS7_li,"axG",@progbits,_ZL20rocblas_gemvn_kernelILi64ELi16El16rocblas_bfloat16PKfS0_EviiT3_lPKT2_lT1_lS6_lS7_lS3_lPT4_lS7_li,comdat
.Lfunc_end551:
	.size	_ZL20rocblas_gemvn_kernelILi64ELi16El16rocblas_bfloat16PKfS0_EviiT3_lPKT2_lT1_lS6_lS7_lS3_lPT4_lS7_li, .Lfunc_end551-_ZL20rocblas_gemvn_kernelILi64ELi16El16rocblas_bfloat16PKfS0_EviiT3_lPKT2_lT1_lS6_lS7_lS3_lPT4_lS7_li
                                        ; -- End function
	.set _ZL20rocblas_gemvn_kernelILi64ELi16El16rocblas_bfloat16PKfS0_EviiT3_lPKT2_lT1_lS6_lS7_lS3_lPT4_lS7_li.num_vgpr, 74
	.set _ZL20rocblas_gemvn_kernelILi64ELi16El16rocblas_bfloat16PKfS0_EviiT3_lPKT2_lT1_lS6_lS7_lS3_lPT4_lS7_li.num_agpr, 0
	.set _ZL20rocblas_gemvn_kernelILi64ELi16El16rocblas_bfloat16PKfS0_EviiT3_lPKT2_lT1_lS6_lS7_lS3_lPT4_lS7_li.numbered_sgpr, 60
	.set _ZL20rocblas_gemvn_kernelILi64ELi16El16rocblas_bfloat16PKfS0_EviiT3_lPKT2_lT1_lS6_lS7_lS3_lPT4_lS7_li.num_named_barrier, 0
	.set _ZL20rocblas_gemvn_kernelILi64ELi16El16rocblas_bfloat16PKfS0_EviiT3_lPKT2_lT1_lS6_lS7_lS3_lPT4_lS7_li.private_seg_size, 0
	.set _ZL20rocblas_gemvn_kernelILi64ELi16El16rocblas_bfloat16PKfS0_EviiT3_lPKT2_lT1_lS6_lS7_lS3_lPT4_lS7_li.uses_vcc, 1
	.set _ZL20rocblas_gemvn_kernelILi64ELi16El16rocblas_bfloat16PKfS0_EviiT3_lPKT2_lT1_lS6_lS7_lS3_lPT4_lS7_li.uses_flat_scratch, 0
	.set _ZL20rocblas_gemvn_kernelILi64ELi16El16rocblas_bfloat16PKfS0_EviiT3_lPKT2_lT1_lS6_lS7_lS3_lPT4_lS7_li.has_dyn_sized_stack, 0
	.set _ZL20rocblas_gemvn_kernelILi64ELi16El16rocblas_bfloat16PKfS0_EviiT3_lPKT2_lT1_lS6_lS7_lS3_lPT4_lS7_li.has_recursion, 0
	.set _ZL20rocblas_gemvn_kernelILi64ELi16El16rocblas_bfloat16PKfS0_EviiT3_lPKT2_lT1_lS6_lS7_lS3_lPT4_lS7_li.has_indirect_call, 0
	.section	.AMDGPU.csdata,"",@progbits
; Kernel info:
; codeLenInByte = 4512
; TotalNumSgprs: 62
; NumVgprs: 74
; ScratchSize: 0
; MemoryBound: 0
; FloatMode: 240
; IeeeMode: 1
; LDSByteSize: 16384 bytes/workgroup (compile time only)
; SGPRBlocks: 0
; VGPRBlocks: 9
; NumSGPRsForWavesPerEU: 62
; NumVGPRsForWavesPerEU: 74
; Occupancy: 16
; WaveLimiterHint : 1
; COMPUTE_PGM_RSRC2:SCRATCH_EN: 0
; COMPUTE_PGM_RSRC2:USER_SGPR: 2
; COMPUTE_PGM_RSRC2:TRAP_HANDLER: 0
; COMPUTE_PGM_RSRC2:TGID_X_EN: 1
; COMPUTE_PGM_RSRC2:TGID_Y_EN: 0
; COMPUTE_PGM_RSRC2:TGID_Z_EN: 1
; COMPUTE_PGM_RSRC2:TIDIG_COMP_CNT: 1
	.section	.text._ZL20rocblas_gemvn_kernelILi64ELi16Ei16rocblas_bfloat16fS0_EviiT3_lPKT2_lT1_lS4_lS5_lS1_lPT4_lS5_li,"axG",@progbits,_ZL20rocblas_gemvn_kernelILi64ELi16Ei16rocblas_bfloat16fS0_EviiT3_lPKT2_lT1_lS4_lS5_lS1_lPT4_lS5_li,comdat
	.globl	_ZL20rocblas_gemvn_kernelILi64ELi16Ei16rocblas_bfloat16fS0_EviiT3_lPKT2_lT1_lS4_lS5_lS1_lPT4_lS5_li ; -- Begin function _ZL20rocblas_gemvn_kernelILi64ELi16Ei16rocblas_bfloat16fS0_EviiT3_lPKT2_lT1_lS4_lS5_lS1_lPT4_lS5_li
	.p2align	8
	.type	_ZL20rocblas_gemvn_kernelILi64ELi16Ei16rocblas_bfloat16fS0_EviiT3_lPKT2_lT1_lS4_lS5_lS1_lPT4_lS5_li,@function
_ZL20rocblas_gemvn_kernelILi64ELi16Ei16rocblas_bfloat16fS0_EviiT3_lPKT2_lT1_lS4_lS5_lS1_lPT4_lS5_li: ; @_ZL20rocblas_gemvn_kernelILi64ELi16Ei16rocblas_bfloat16fS0_EviiT3_lPKT2_lT1_lS4_lS5_lS1_lPT4_lS5_li
; %bb.0:
	s_load_b64 s[2:3], s[0:1], 0x9c
	s_wait_kmcnt 0x0
	s_lshr_b32 s4, s2, 16
	s_and_b32 s2, s2, 0xffff
	s_and_b32 s3, s3, 0xffff
	s_mul_i32 s2, s4, s2
	s_delay_alu instid0(SALU_CYCLE_1) | instskip(NEXT) | instid1(SALU_CYCLE_1)
	s_mul_i32 s2, s2, s3
	s_cmp_lg_u32 s2, 0x400
	s_cbranch_scc1 .LBB552_70
; %bb.1:
	s_load_b32 s19, s[0:1], 0x88
	s_lshr_b32 s28, ttmp7, 16
	s_wait_kmcnt 0x0
	s_cmp_ge_u32 s28, s19
	s_cbranch_scc1 .LBB552_70
; %bb.2:
	s_clause 0x8
	s_load_b128 s[4:7], s[0:1], 0x18
	s_load_b96 s[16:18], s[0:1], 0x40
	s_load_b128 s[12:15], s[0:1], 0x68
	s_load_b32 s34, s[0:1], 0x78
	s_load_b96 s[20:22], s[0:1], 0x0
	s_load_b96 s[24:26], s[0:1], 0x50
	s_load_b32 s23, s[0:1], 0x28
	s_load_b128 s[8:11], s[0:1], 0x30
	s_load_b64 s[30:31], s[0:1], 0x80
	v_dual_mov_b32 v4, 0 :: v_dual_and_b32 v7, 0x3ff, v0
	v_bfe_u32 v6, v0, 10, 10
	s_mov_b32 s29, 0
	s_delay_alu instid0(VALU_DEP_1)
	v_lshl_add_u32 v5, v6, 6, v7
	v_lshlrev_b32_e32 v17, 2, v6
	s_wait_kmcnt 0x0
	s_lshl_b64 s[0:1], s[6:7], 1
	s_lshl_b64 s[2:3], s[16:17], 1
	;; [unrolled: 1-line block ×3, first 2 shown]
	s_ashr_i32 s35, s34, 31
	s_cmp_eq_f32 s22, 0
	s_add_nc_u64 s[14:15], s[4:5], s[0:1]
	s_mov_b32 s16, s20
	s_add_nc_u64 s[10:11], s[10:11], s[2:3]
	s_cselect_b32 s27, -1, 0
	s_cmp_neq_f32 s22, 0
	s_add_nc_u64 s[12:13], s[12:13], s[6:7]
	s_cselect_b32 s36, -1, 0
	s_cmp_neq_f32 s26, 1.0
	s_cselect_b32 s0, -1, 0
	s_lshl_b32 s33, ttmp9, 8
	s_ashr_i32 s17, s20, 31
	v_add_nc_u32_e32 v3, s33, v5
	v_or_b32_e32 v9, s33, v5
	v_add_nc_u32_e32 v18, s33, v7
	s_or_b32 s38, s36, s0
	s_cmp_neq_f32 s26, 0
	v_mad_co_u64_u32 v[0:1], null, s34, v3, 0
	v_mul_lo_u32 v2, s34, v9
	v_cmp_gt_i64_e32 vcc_lo, s[16:17], v[3:4]
	v_add_nc_u32_e32 v4, 64, v18
	s_cselect_b32 s39, -1, 0
	s_cmp_eq_f32 s26, 0
	v_add_nc_u32_e32 v10, 0x80, v18
	v_add_nc_u32_e32 v11, 0xc0, v18
	v_cmp_gt_i32_e64 s1, s20, v4
	v_mad_co_u64_u32 v[3:4], null, s35, v3, v[1:2]
	v_lshlrev_b32_e32 v8, 2, v7
	s_cselect_b32 s40, -1, 0
	s_ashr_i32 s2, s21, 31
	v_mul_lo_u32 v4, s23, v17
	s_lshr_b32 s2, s2, 26
	v_cmp_gt_i32_e64 s6, s20, v9
	s_add_co_i32 s41, s21, s2
	v_mul_lo_u32 v9, v6, s23
	v_mov_b32_e32 v1, v3
	v_lshl_add_u32 v19, v6, 10, v8
	v_lshl_add_u32 v20, v6, 8, v8
	v_or_b32_e32 v8, 2, v17
	v_cmp_gt_i32_e64 s2, s20, v10
	s_and_not1_b32 s41, s41, 63
	v_or_b32_e32 v10, 3, v17
	v_cmp_gt_i32_e64 s3, s20, v11
	v_mul_lo_u32 v11, v6, s18
	s_sub_co_i32 s5, s21, s41
	v_add3_u32 v21, v4, s23, v7
	s_cmp_gt_i32 s5, 0
	v_cmp_gt_u32_e64 s5, 0x100, v5
	v_mad_co_u64_u32 v[4:5], null, s23, v8, v[7:8]
	s_mov_b32 s16, s18
	v_mad_co_u64_u32 v[5:6], null, s23, v10, v[7:8]
	v_lshl_add_u32 v22, v9, 2, v7
	s_wait_alu 0xfffe
	v_mad_co_u64_u32 v[6:7], null, s18, v17, s[16:17]
	v_mul_lo_u32 v23, s18, v8
	v_mul_lo_u32 v24, s18, v10
	v_lshlrev_b64_e32 v[7:8], 1, v[0:1]
	v_cmp_gt_i32_e64 s0, s20, v18
	v_cmp_gt_i32_e64 s4, s41, v17
	v_ashrrev_i32_e32 v3, 31, v2
	v_lshlrev_b32_e32 v25, 2, v11
	s_cselect_b32 s20, -1, 0
	s_and_b32 s42, s5, vcc_lo
	s_lshl_b32 s43, s23, 6
	s_lshl_b32 s44, s18, 6
	s_branch .LBB552_5
.LBB552_3:                              ;   in Loop: Header=BB552_5 Depth=1
	s_wait_alu 0xfffe
	s_or_b32 exec_lo, exec_lo, s7
.LBB552_4:                              ;   in Loop: Header=BB552_5 Depth=1
	s_add_co_i32 s28, s28, 0x10000
	s_delay_alu instid0(SALU_CYCLE_1)
	s_cmp_lt_u32 s28, s19
	s_cbranch_scc0 .LBB552_70
.LBB552_5:                              ; =>This Loop Header: Depth=1
                                        ;     Child Loop BB552_22 Depth 2
	s_and_not1_b32 vcc_lo, exec_lo, s38
	s_wait_alu 0xfffe
	s_cbranch_vccnz .LBB552_4
; %bb.6:                                ;   in Loop: Header=BB552_5 Depth=1
	s_mul_u64 s[16:17], s[30:31], s[28:29]
	s_and_not1_b32 vcc_lo, exec_lo, s27
	s_wait_alu 0xfffe
	s_lshl_b64 s[16:17], s[16:17], 1
	s_wait_alu 0xfffe
	s_add_nc_u64 s[16:17], s[12:13], s[16:17]
	s_cbranch_vccnz .LBB552_14
; %bb.7:                                ;   in Loop: Header=BB552_5 Depth=1
	s_mov_b32 s7, 0
	s_mov_b32 s45, 0
                                        ; implicit-def: $vgpr11
	s_and_saveexec_b32 s34, s42
	s_cbranch_execz .LBB552_15
; %bb.8:                                ;   in Loop: Header=BB552_5 Depth=1
	s_and_not1_b32 vcc_lo, exec_lo, s39
	s_wait_alu 0xfffe
	s_cbranch_vccnz .LBB552_67
; %bb.9:                                ;   in Loop: Header=BB552_5 Depth=1
	v_add_co_u32 v9, vcc_lo, s16, v7
	s_wait_alu 0xfffd
	v_add_co_ci_u32_e64 v10, null, s17, v8, vcc_lo
	global_load_u16 v9, v[9:10], off
	s_wait_loadcnt 0x0
	v_lshlrev_b32_e32 v9, 16, v9
	s_delay_alu instid0(VALU_DEP_1) | instskip(NEXT) | instid1(VALU_DEP_1)
	v_mul_f32_e32 v9, s26, v9
	v_and_b32_e32 v10, 0x7f800000, v9
	s_delay_alu instid0(VALU_DEP_1)
	v_cmp_ne_u32_e32 vcc_lo, 0x7f800000, v10
                                        ; implicit-def: $vgpr10
	s_and_saveexec_b32 s35, vcc_lo
	s_wait_alu 0xfffe
	s_xor_b32 s35, exec_lo, s35
; %bb.10:                               ;   in Loop: Header=BB552_5 Depth=1
	v_bfe_u32 v10, v9, 16, 1
	s_delay_alu instid0(VALU_DEP_1)
	v_add3_u32 v10, v9, v10, 0x7fff
                                        ; implicit-def: $vgpr9
; %bb.11:                               ;   in Loop: Header=BB552_5 Depth=1
	s_wait_alu 0xfffe
	s_and_not1_saveexec_b32 s35, s35
; %bb.12:                               ;   in Loop: Header=BB552_5 Depth=1
	v_and_b32_e32 v10, 0xffff, v9
	v_or_b32_e32 v11, 0x10000, v9
	s_delay_alu instid0(VALU_DEP_2) | instskip(SKIP_1) | instid1(VALU_DEP_2)
	v_cmp_eq_u32_e32 vcc_lo, 0, v10
	s_wait_alu 0xfffd
	v_cndmask_b32_e32 v10, v11, v9, vcc_lo
; %bb.13:                               ;   in Loop: Header=BB552_5 Depth=1
	s_wait_alu 0xfffe
	s_or_b32 exec_lo, exec_lo, s35
	s_delay_alu instid0(VALU_DEP_1) | instskip(SKIP_2) | instid1(SALU_CYCLE_1)
	v_lshrrev_b32_e32 v11, 16, v10
	s_mov_b32 s45, exec_lo
	s_or_b32 exec_lo, exec_lo, s34
	s_and_b32 vcc_lo, exec_lo, s7
	s_wait_alu 0xfffe
	s_cbranch_vccnz .LBB552_16
	s_branch .LBB552_68
.LBB552_14:                             ;   in Loop: Header=BB552_5 Depth=1
	s_mov_b32 s45, 0
                                        ; implicit-def: $vgpr11
	s_cbranch_execnz .LBB552_16
	s_branch .LBB552_68
.LBB552_15:                             ;   in Loop: Header=BB552_5 Depth=1
	s_wait_alu 0xfffe
	s_or_b32 exec_lo, exec_lo, s34
	s_delay_alu instid0(SALU_CYCLE_1)
	s_and_b32 vcc_lo, exec_lo, s7
	s_wait_alu 0xfffe
	s_cbranch_vccz .LBB552_68
.LBB552_16:                             ;   in Loop: Header=BB552_5 Depth=1
	s_mul_u64 s[34:35], s[8:9], s[28:29]
	s_mul_u64 s[36:37], s[24:25], s[28:29]
	v_dual_mov_b32 v26, 0 :: v_dual_mov_b32 v27, 0
	v_dual_mov_b32 v30, v17 :: v_dual_mov_b32 v29, 0
	v_mov_b32_e32 v28, 0
	s_wait_alu 0xfffe
	s_lshl_b64 s[34:35], s[34:35], 1
	s_lshl_b64 s[36:37], s[36:37], 1
	s_wait_alu 0xfffe
	s_add_nc_u64 s[34:35], s[14:15], s[34:35]
	s_add_nc_u64 s[36:37], s[10:11], s[36:37]
	s_and_saveexec_b32 s7, s4
	s_cbranch_execz .LBB552_28
; %bb.17:                               ;   in Loop: Header=BB552_5 Depth=1
	v_dual_mov_b32 v26, 0 :: v_dual_mov_b32 v31, v22
	v_dual_mov_b32 v32, v5 :: v_dual_mov_b32 v33, v4
	;; [unrolled: 1-line block ×4, first 2 shown]
	v_mov_b32_e32 v28, 0
	s_mov_b32 s46, 0
	s_mov_b32 s47, 0
	s_branch .LBB552_22
.LBB552_18:                             ;   in Loop: Header=BB552_22 Depth=2
	s_or_b32 exec_lo, exec_lo, s51
	s_wait_loadcnt 0x3
	v_lshlrev_b32_e32 v9, 16, v50
	s_wait_loadcnt 0x2
	v_lshlrev_b32_e32 v10, 16, v49
	s_wait_loadcnt 0x1
	s_delay_alu instid0(VALU_DEP_2) | instskip(NEXT) | instid1(VALU_DEP_1)
	v_dual_fmac_f32 v28, v42, v9 :: v_dual_lshlrev_b32 v9, 16, v48
	v_fmac_f32_e32 v28, v38, v10
	s_wait_loadcnt 0x0
	s_delay_alu instid0(VALU_DEP_1) | instskip(NEXT) | instid1(VALU_DEP_1)
	v_dual_fmac_f32 v28, v40, v9 :: v_dual_lshlrev_b32 v9, 16, v47
	v_fmac_f32_e32 v28, v36, v9
.LBB552_19:                             ;   in Loop: Header=BB552_22 Depth=2
	s_or_b32 exec_lo, exec_lo, s50
	s_wait_loadcnt 0x3
	v_lshlrev_b32_e32 v9, 16, v46
	s_wait_loadcnt 0x2
	v_lshlrev_b32_e32 v10, 16, v45
	s_delay_alu instid0(VALU_DEP_2) | instskip(SKIP_2) | instid1(VALU_DEP_2)
	v_fmac_f32_e32 v27, v42, v9
	s_wait_loadcnt 0x1
	v_lshlrev_b32_e32 v9, 16, v44
	v_fmac_f32_e32 v27, v38, v10
	s_delay_alu instid0(VALU_DEP_1) | instskip(SKIP_2) | instid1(VALU_DEP_1)
	v_fmac_f32_e32 v27, v40, v9
	s_wait_loadcnt 0x0
	v_lshlrev_b32_e32 v9, 16, v43
	v_fmac_f32_e32 v27, v36, v9
.LBB552_20:                             ;   in Loop: Header=BB552_22 Depth=2
	s_or_b32 exec_lo, exec_lo, s49
	s_wait_loadcnt 0x2
	v_lshlrev_b32_e32 v10, 16, v39
	v_lshlrev_b32_e32 v9, 16, v41
	s_delay_alu instid0(VALU_DEP_1) | instskip(SKIP_1) | instid1(VALU_DEP_1)
	v_fmac_f32_e32 v26, v42, v9
	s_wait_loadcnt 0x1
	v_dual_fmac_f32 v26, v38, v10 :: v_dual_lshlrev_b32 v9, 16, v37
	s_wait_loadcnt 0x0
	s_delay_alu instid0(VALU_DEP_1) | instskip(NEXT) | instid1(VALU_DEP_1)
	v_dual_fmac_f32 v26, v40, v9 :: v_dual_lshlrev_b32 v9, 16, v35
	v_fmac_f32_e32 v26, v36, v9
.LBB552_21:                             ;   in Loop: Header=BB552_22 Depth=2
	s_or_b32 exec_lo, exec_lo, s48
	v_add_nc_u32_e32 v30, 64, v30
	v_add_nc_u32_e32 v34, s43, v34
	;; [unrolled: 1-line block ×5, first 2 shown]
	v_cmp_le_i32_e32 vcc_lo, s41, v30
	s_wait_alu 0xfffe
	s_add_co_i32 s47, s47, s44
	s_or_b32 s46, vcc_lo, s46
	s_wait_alu 0xfffe
	s_and_not1_b32 exec_lo, exec_lo, s46
	s_cbranch_execz .LBB552_27
.LBB552_22:                             ;   Parent Loop BB552_5 Depth=1
                                        ; =>  This Inner Loop Header: Depth=2
	s_and_saveexec_b32 s48, s0
	s_cbranch_execz .LBB552_21
; %bb.23:                               ;   in Loop: Header=BB552_22 Depth=2
	s_wait_alu 0xfffe
	v_add_nc_u32_e32 v9, s47, v25
	v_add_nc_u32_e32 v11, s47, v6
	;; [unrolled: 1-line block ×5, first 2 shown]
	v_ashrrev_i32_e32 v10, 31, v9
	v_ashrrev_i32_e32 v12, 31, v11
	;; [unrolled: 1-line block ×5, first 2 shown]
	v_lshlrev_b64_e32 v[9:10], 1, v[9:10]
	v_lshlrev_b64_e32 v[11:12], 1, v[11:12]
	;; [unrolled: 1-line block ×4, first 2 shown]
	v_add_nc_u32_e32 v37, s33, v34
	v_add_nc_u32_e32 v39, s33, v33
	v_add_co_u32 v9, vcc_lo, s36, v9
	s_wait_alu 0xfffd
	v_add_co_ci_u32_e64 v10, null, s37, v10, vcc_lo
	v_add_co_u32 v11, vcc_lo, s36, v11
	s_wait_alu 0xfffd
	v_add_co_ci_u32_e64 v12, null, s37, v12, vcc_lo
	;; [unrolled: 3-line block ×4, first 2 shown]
	v_lshlrev_b64_e32 v[35:36], 1, v[35:36]
	s_clause 0x3
	global_load_u16 v42, v[9:10], off
	global_load_u16 v43, v[11:12], off
	;; [unrolled: 1-line block ×4, first 2 shown]
	v_add_nc_u32_e32 v13, s33, v32
	v_ashrrev_i32_e32 v38, 31, v37
	v_ashrrev_i32_e32 v40, 31, v39
	v_add_co_u32 v9, vcc_lo, s34, v35
	s_delay_alu instid0(VALU_DEP_4) | instskip(NEXT) | instid1(VALU_DEP_4)
	v_ashrrev_i32_e32 v14, 31, v13
	v_lshlrev_b64_e32 v[11:12], 1, v[37:38]
	s_wait_alu 0xfffd
	v_add_co_ci_u32_e64 v10, null, s35, v36, vcc_lo
	v_lshlrev_b64_e32 v[35:36], 1, v[39:40]
	v_lshlrev_b64_e32 v[13:14], 1, v[13:14]
	s_delay_alu instid0(VALU_DEP_4) | instskip(SKIP_2) | instid1(VALU_DEP_4)
	v_add_co_u32 v15, vcc_lo, s34, v11
	s_wait_alu 0xfffd
	v_add_co_ci_u32_e64 v16, null, s35, v12, vcc_lo
	v_add_co_u32 v11, vcc_lo, s34, v35
	s_wait_alu 0xfffd
	v_add_co_ci_u32_e64 v12, null, s35, v36, vcc_lo
	;; [unrolled: 3-line block ×3, first 2 shown]
	s_clause 0x3
	global_load_u16 v41, v[9:10], off
	global_load_u16 v39, v[15:16], off
	;; [unrolled: 1-line block ×4, first 2 shown]
	s_wait_loadcnt 0x7
	v_lshlrev_b32_e32 v42, 16, v42
	s_wait_loadcnt 0x6
	v_lshlrev_b32_e32 v38, 16, v43
	;; [unrolled: 2-line block ×4, first 2 shown]
	s_and_saveexec_b32 s49, s1
	s_cbranch_execz .LBB552_20
; %bb.24:                               ;   in Loop: Header=BB552_22 Depth=2
	s_clause 0x3
	global_load_u16 v46, v[9:10], off offset:128
	global_load_u16 v45, v[15:16], off offset:128
	global_load_u16 v44, v[11:12], off offset:128
	global_load_u16 v43, v[13:14], off offset:128
	s_and_saveexec_b32 s50, s2
	s_cbranch_execz .LBB552_19
; %bb.25:                               ;   in Loop: Header=BB552_22 Depth=2
	s_clause 0x3
	global_load_u16 v50, v[9:10], off offset:256
	global_load_u16 v49, v[15:16], off offset:256
	global_load_u16 v48, v[11:12], off offset:256
	global_load_u16 v47, v[13:14], off offset:256
	s_and_saveexec_b32 s51, s3
	s_cbranch_execz .LBB552_18
; %bb.26:                               ;   in Loop: Header=BB552_22 Depth=2
	s_clause 0x3
	global_load_u16 v9, v[9:10], off offset:384
	global_load_u16 v10, v[15:16], off offset:384
	global_load_u16 v11, v[11:12], off offset:384
	global_load_u16 v12, v[13:14], off offset:384
	s_wait_loadcnt 0x3
	v_lshlrev_b32_e32 v9, 16, v9
	s_wait_loadcnt 0x2
	s_delay_alu instid0(VALU_DEP_1) | instskip(SKIP_3) | instid1(VALU_DEP_2)
	v_dual_fmac_f32 v29, v42, v9 :: v_dual_lshlrev_b32 v10, 16, v10
	s_wait_loadcnt 0x1
	v_lshlrev_b32_e32 v9, 16, v11
	s_wait_loadcnt 0x0
	v_dual_fmac_f32 v29, v38, v10 :: v_dual_lshlrev_b32 v10, 16, v12
	s_delay_alu instid0(VALU_DEP_1) | instskip(NEXT) | instid1(VALU_DEP_1)
	v_fmac_f32_e32 v29, v40, v9
	v_fmac_f32_e32 v29, v36, v10
	s_branch .LBB552_18
.LBB552_27:                             ;   in Loop: Header=BB552_5 Depth=1
	s_or_b32 exec_lo, exec_lo, s46
.LBB552_28:                             ;   in Loop: Header=BB552_5 Depth=1
	s_wait_alu 0xfffe
	s_or_b32 exec_lo, exec_lo, s7
	s_delay_alu instid0(SALU_CYCLE_1)
	s_and_not1_b32 vcc_lo, exec_lo, s20
	s_wait_alu 0xfffe
	s_cbranch_vccnz .LBB552_46
; %bb.29:                               ;   in Loop: Header=BB552_5 Depth=1
	v_cmp_gt_i32_e32 vcc_lo, s21, v30
	v_dual_mov_b32 v32, 0 :: v_dual_mov_b32 v31, 0
	v_or_b32_e32 v9, 1, v30
	v_dual_mov_b32 v34, 0 :: v_dual_mov_b32 v33, 0
	s_and_saveexec_b32 s46, vcc_lo
	s_cbranch_execz .LBB552_37
; %bb.30:                               ;   in Loop: Header=BB552_5 Depth=1
	v_mul_lo_u32 v10, v30, s18
	v_dual_mov_b32 v33, 0 :: v_dual_mov_b32 v32, 0
	v_mov_b32_e32 v31, 0
	s_mov_b32 s47, exec_lo
	s_delay_alu instid0(VALU_DEP_3) | instskip(NEXT) | instid1(VALU_DEP_1)
	v_ashrrev_i32_e32 v11, 31, v10
	v_lshlrev_b64_e32 v[10:11], 1, v[10:11]
	s_delay_alu instid0(VALU_DEP_1) | instskip(SKIP_1) | instid1(VALU_DEP_2)
	v_add_co_u32 v10, s7, s36, v10
	s_wait_alu 0xf1ff
	v_add_co_ci_u32_e64 v11, null, s37, v11, s7
	global_load_u16 v10, v[10:11], off
	v_cmpx_gt_i32_e64 s21, v9
	s_cbranch_execz .LBB552_36
; %bb.31:                               ;   in Loop: Header=BB552_5 Depth=1
	v_mul_lo_u32 v11, v9, s18
	v_dual_mov_b32 v31, 0 :: v_dual_mov_b32 v32, 0
	s_mov_b32 s48, exec_lo
	s_delay_alu instid0(VALU_DEP_2) | instskip(NEXT) | instid1(VALU_DEP_1)
	v_ashrrev_i32_e32 v12, 31, v11
	v_lshlrev_b64_e32 v[11:12], 1, v[11:12]
	s_delay_alu instid0(VALU_DEP_1) | instskip(SKIP_1) | instid1(VALU_DEP_2)
	v_add_co_u32 v11, s7, s36, v11
	s_wait_alu 0xf1ff
	v_add_co_ci_u32_e64 v12, null, s37, v12, s7
	global_load_u16 v11, v[11:12], off
	v_or_b32_e32 v12, 2, v30
	s_delay_alu instid0(VALU_DEP_1)
	v_cmpx_gt_i32_e64 s21, v12
	s_cbranch_execz .LBB552_35
; %bb.32:                               ;   in Loop: Header=BB552_5 Depth=1
	v_mul_lo_u32 v12, v12, s18
	v_mov_b32_e32 v31, 0
	s_mov_b32 s49, exec_lo
	s_delay_alu instid0(VALU_DEP_2) | instskip(NEXT) | instid1(VALU_DEP_1)
	v_ashrrev_i32_e32 v13, 31, v12
	v_lshlrev_b64_e32 v[12:13], 1, v[12:13]
	s_delay_alu instid0(VALU_DEP_1) | instskip(SKIP_1) | instid1(VALU_DEP_2)
	v_add_co_u32 v12, s7, s36, v12
	s_wait_alu 0xf1ff
	v_add_co_ci_u32_e64 v13, null, s37, v13, s7
	global_load_u16 v12, v[12:13], off
	v_or_b32_e32 v13, 3, v30
	s_delay_alu instid0(VALU_DEP_1)
	v_cmpx_gt_i32_e64 s21, v13
	s_cbranch_execz .LBB552_34
; %bb.33:                               ;   in Loop: Header=BB552_5 Depth=1
	v_mul_lo_u32 v13, v13, s18
	s_delay_alu instid0(VALU_DEP_1) | instskip(NEXT) | instid1(VALU_DEP_1)
	v_ashrrev_i32_e32 v14, 31, v13
	v_lshlrev_b64_e32 v[13:14], 1, v[13:14]
	s_delay_alu instid0(VALU_DEP_1) | instskip(SKIP_1) | instid1(VALU_DEP_2)
	v_add_co_u32 v13, s7, s36, v13
	s_wait_alu 0xf1ff
	v_add_co_ci_u32_e64 v14, null, s37, v14, s7
	global_load_u16 v13, v[13:14], off
	s_wait_loadcnt 0x0
	v_lshlrev_b32_e32 v31, 16, v13
.LBB552_34:                             ;   in Loop: Header=BB552_5 Depth=1
	s_or_b32 exec_lo, exec_lo, s49
	s_wait_loadcnt 0x0
	v_lshlrev_b32_e32 v32, 16, v12
.LBB552_35:                             ;   in Loop: Header=BB552_5 Depth=1
	s_or_b32 exec_lo, exec_lo, s48
	s_wait_loadcnt 0x0
	v_lshlrev_b32_e32 v33, 16, v11
.LBB552_36:                             ;   in Loop: Header=BB552_5 Depth=1
	s_wait_alu 0xfffe
	s_or_b32 exec_lo, exec_lo, s47
	s_wait_loadcnt 0x0
	v_lshlrev_b32_e32 v34, 16, v10
.LBB552_37:                             ;   in Loop: Header=BB552_5 Depth=1
	s_wait_alu 0xfffe
	s_or_b32 exec_lo, exec_lo, s46
	s_and_saveexec_b32 s7, s0
	s_cbranch_execz .LBB552_45
; %bb.38:                               ;   in Loop: Header=BB552_5 Depth=1
	v_mul_lo_u32 v11, v30, s23
	v_or_b32_e32 v10, 2, v30
	v_mul_lo_u32 v13, v9, s23
	v_or_b32_e32 v12, 3, v30
	s_delay_alu instid0(VALU_DEP_3) | instskip(NEXT) | instid1(VALU_DEP_2)
	v_mul_lo_u32 v14, v10, s23
	v_mul_lo_u32 v15, v12, s23
	v_cndmask_b32_e32 v11, 0, v11, vcc_lo
	v_cmp_gt_i32_e32 vcc_lo, s21, v9
	s_wait_alu 0xfffd
	v_cndmask_b32_e32 v13, 0, v13, vcc_lo
	v_cmp_gt_i32_e32 vcc_lo, s21, v10
	s_wait_alu 0xfffd
	;; [unrolled: 3-line block ×3, first 2 shown]
	v_dual_cndmask_b32 v12, 0, v15 :: v_dual_add_nc_u32 v9, v11, v18
	v_add_nc_u32_e32 v11, v13, v18
	v_add_nc_u32_e32 v13, v10, v18
	s_delay_alu instid0(VALU_DEP_3) | instskip(NEXT) | instid1(VALU_DEP_4)
	v_ashrrev_i32_e32 v10, 31, v9
	v_add_nc_u32_e32 v15, v12, v18
	s_delay_alu instid0(VALU_DEP_4) | instskip(NEXT) | instid1(VALU_DEP_4)
	v_ashrrev_i32_e32 v12, 31, v11
	v_ashrrev_i32_e32 v14, 31, v13
	s_delay_alu instid0(VALU_DEP_4) | instskip(NEXT) | instid1(VALU_DEP_4)
	v_lshlrev_b64_e32 v[9:10], 1, v[9:10]
	v_ashrrev_i32_e32 v16, 31, v15
	s_delay_alu instid0(VALU_DEP_4) | instskip(NEXT) | instid1(VALU_DEP_4)
	v_lshlrev_b64_e32 v[11:12], 1, v[11:12]
	v_lshlrev_b64_e32 v[35:36], 1, v[13:14]
	s_delay_alu instid0(VALU_DEP_4) | instskip(NEXT) | instid1(VALU_DEP_4)
	v_add_co_u32 v13, vcc_lo, s34, v9
	v_lshlrev_b64_e32 v[37:38], 1, v[15:16]
	s_wait_alu 0xfffd
	v_add_co_ci_u32_e64 v14, null, s35, v10, vcc_lo
	v_add_co_u32 v15, vcc_lo, s34, v11
	s_wait_alu 0xfffd
	v_add_co_ci_u32_e64 v16, null, s35, v12, vcc_lo
	v_add_co_u32 v9, vcc_lo, s34, v35
	;; [unrolled: 3-line block ×3, first 2 shown]
	s_wait_alu 0xfffd
	v_add_co_ci_u32_e64 v12, null, s35, v38, vcc_lo
	s_clause 0x3
	global_load_u16 v37, v[13:14], off
	global_load_u16 v36, v[15:16], off
	;; [unrolled: 1-line block ×4, first 2 shown]
	s_and_saveexec_b32 s34, s1
	s_cbranch_execz .LBB552_44
; %bb.39:                               ;   in Loop: Header=BB552_5 Depth=1
	s_clause 0x3
	global_load_u16 v41, v[13:14], off offset:128
	global_load_u16 v40, v[15:16], off offset:128
	global_load_u16 v39, v[9:10], off offset:128
	global_load_u16 v38, v[11:12], off offset:128
	s_and_saveexec_b32 s35, s2
	s_cbranch_execz .LBB552_43
; %bb.40:                               ;   in Loop: Header=BB552_5 Depth=1
	s_clause 0x3
	global_load_u16 v45, v[13:14], off offset:256
	global_load_u16 v44, v[15:16], off offset:256
	global_load_u16 v43, v[9:10], off offset:256
	global_load_u16 v42, v[11:12], off offset:256
	;; [unrolled: 8-line block ×3, first 2 shown]
	s_wait_loadcnt 0x3
	v_lshlrev_b32_e32 v11, 16, v13
	s_wait_loadcnt 0x2
	v_lshlrev_b32_e32 v12, 16, v14
	;; [unrolled: 2-line block ×3, first 2 shown]
	s_wait_loadcnt 0x0
	v_dual_fmac_f32 v29, v34, v11 :: v_dual_lshlrev_b32 v10, 16, v10
	s_delay_alu instid0(VALU_DEP_1) | instskip(NEXT) | instid1(VALU_DEP_1)
	v_fmac_f32_e32 v29, v33, v12
	v_fmac_f32_e32 v29, v32, v9
	s_delay_alu instid0(VALU_DEP_1)
	v_fmac_f32_e32 v29, v31, v10
.LBB552_42:                             ;   in Loop: Header=BB552_5 Depth=1
	s_wait_alu 0xfffe
	s_or_b32 exec_lo, exec_lo, s36
	s_wait_loadcnt 0x2
	v_lshlrev_b32_e32 v10, 16, v44
	v_lshlrev_b32_e32 v9, 16, v45
	s_wait_loadcnt 0x1
	s_delay_alu instid0(VALU_DEP_1) | instskip(NEXT) | instid1(VALU_DEP_1)
	v_dual_fmac_f32 v28, v34, v9 :: v_dual_lshlrev_b32 v9, 16, v43
	v_fmac_f32_e32 v28, v33, v10
	s_wait_loadcnt 0x0
	s_delay_alu instid0(VALU_DEP_1) | instskip(NEXT) | instid1(VALU_DEP_1)
	v_dual_fmac_f32 v28, v32, v9 :: v_dual_lshlrev_b32 v9, 16, v42
	v_fmac_f32_e32 v28, v31, v9
.LBB552_43:                             ;   in Loop: Header=BB552_5 Depth=1
	s_wait_alu 0xfffe
	s_or_b32 exec_lo, exec_lo, s35
	s_wait_loadcnt 0x3
	v_lshlrev_b32_e32 v9, 16, v41
	s_wait_loadcnt 0x2
	s_delay_alu instid0(VALU_DEP_1) | instskip(SKIP_2) | instid1(VALU_DEP_2)
	v_dual_fmac_f32 v27, v34, v9 :: v_dual_lshlrev_b32 v10, 16, v40
	s_wait_loadcnt 0x1
	v_lshlrev_b32_e32 v9, 16, v39
	v_fmac_f32_e32 v27, v33, v10
	s_delay_alu instid0(VALU_DEP_1) | instskip(SKIP_2) | instid1(VALU_DEP_1)
	v_fmac_f32_e32 v27, v32, v9
	s_wait_loadcnt 0x0
	v_lshlrev_b32_e32 v9, 16, v38
	v_fmac_f32_e32 v27, v31, v9
.LBB552_44:                             ;   in Loop: Header=BB552_5 Depth=1
	s_wait_alu 0xfffe
	s_or_b32 exec_lo, exec_lo, s34
	s_wait_loadcnt 0x2
	v_lshlrev_b32_e32 v10, 16, v36
	v_lshlrev_b32_e32 v9, 16, v37
	s_wait_loadcnt 0x1
	s_delay_alu instid0(VALU_DEP_1) | instskip(NEXT) | instid1(VALU_DEP_1)
	v_dual_fmac_f32 v26, v34, v9 :: v_dual_lshlrev_b32 v9, 16, v35
	v_fmac_f32_e32 v26, v33, v10
	s_wait_loadcnt 0x0
	s_delay_alu instid0(VALU_DEP_1) | instskip(NEXT) | instid1(VALU_DEP_1)
	v_dual_fmac_f32 v26, v32, v9 :: v_dual_lshlrev_b32 v9, 16, v30
	v_fmac_f32_e32 v26, v31, v9
.LBB552_45:                             ;   in Loop: Header=BB552_5 Depth=1
	s_wait_alu 0xfffe
	s_or_b32 exec_lo, exec_lo, s7
.LBB552_46:                             ;   in Loop: Header=BB552_5 Depth=1
	ds_store_2addr_stride64_b32 v19, v26, v27 offset1:1
	ds_store_2addr_stride64_b32 v19, v28, v29 offset0:2 offset1:3
	s_wait_dscnt 0x0
	s_barrier_signal -1
	s_barrier_wait -1
	global_inv scope:SCOPE_SE
                                        ; implicit-def: $vgpr11
	s_and_saveexec_b32 s7, s5
	s_cbranch_execz .LBB552_66
; %bb.47:                               ;   in Loop: Header=BB552_5 Depth=1
	ds_load_2addr_stride64_b32 v[9:10], v20 offset1:4
	ds_load_2addr_stride64_b32 v[11:12], v20 offset0:8 offset1:12
	ds_load_2addr_stride64_b32 v[13:14], v20 offset0:16 offset1:20
	s_mov_b32 s35, s45
	s_wait_dscnt 0x2
	v_add_f32_e32 v15, v9, v10
	ds_load_2addr_stride64_b32 v[9:10], v20 offset0:24 offset1:28
	s_wait_dscnt 0x2
	v_add_f32_e32 v11, v11, v15
	s_delay_alu instid0(VALU_DEP_1) | instskip(SKIP_3) | instid1(VALU_DEP_1)
	v_add_f32_e32 v15, v12, v11
	ds_load_2addr_stride64_b32 v[11:12], v20 offset0:32 offset1:36
	s_wait_dscnt 0x2
	v_add_f32_e32 v13, v13, v15
	v_add_f32_e32 v15, v14, v13
	ds_load_2addr_stride64_b32 v[13:14], v20 offset0:40 offset1:44
	s_wait_dscnt 0x2
	v_add_f32_e32 v9, v9, v15
	s_delay_alu instid0(VALU_DEP_1) | instskip(SKIP_1) | instid1(VALU_DEP_1)
	v_add_f32_e32 v9, v10, v9
	s_wait_dscnt 0x1
	v_add_f32_e32 v11, v11, v9
	ds_load_2addr_stride64_b32 v[9:10], v20 offset0:48 offset1:52
	v_add_f32_e32 v11, v12, v11
	s_wait_dscnt 0x1
	s_delay_alu instid0(VALU_DEP_1) | instskip(SKIP_3) | instid1(VALU_DEP_1)
	v_add_f32_e32 v13, v13, v11
	ds_load_2addr_stride64_b32 v[11:12], v20 offset0:56 offset1:60
	v_add_f32_e32 v13, v14, v13
	s_wait_dscnt 0x1
	v_add_f32_e32 v9, v9, v13
	s_delay_alu instid0(VALU_DEP_1) | instskip(SKIP_1) | instid1(VALU_DEP_1)
	v_add_f32_e32 v9, v10, v9
	s_wait_dscnt 0x0
	v_add_f32_e32 v9, v11, v9
                                        ; implicit-def: $vgpr11
	s_delay_alu instid0(VALU_DEP_1)
	v_add_f32_e32 v9, v12, v9
	ds_store_b32 v20, v9
	s_and_saveexec_b32 s34, s6
	s_cbranch_execz .LBB552_65
; %bb.48:                               ;   in Loop: Header=BB552_5 Depth=1
	v_mul_f32_e32 v9, s22, v9
	s_and_b32 vcc_lo, exec_lo, s40
	s_mov_b32 s35, -1
                                        ; implicit-def: $vgpr10
	s_wait_alu 0xfffe
	s_cbranch_vccz .LBB552_54
; %bb.49:                               ;   in Loop: Header=BB552_5 Depth=1
	v_and_b32_e32 v10, 0x7f800000, v9
	s_delay_alu instid0(VALU_DEP_1)
	v_cmp_ne_u32_e32 vcc_lo, 0x7f800000, v10
                                        ; implicit-def: $vgpr10
	s_and_saveexec_b32 s35, vcc_lo
	s_wait_alu 0xfffe
	s_xor_b32 s35, exec_lo, s35
; %bb.50:                               ;   in Loop: Header=BB552_5 Depth=1
	v_bfe_u32 v10, v9, 16, 1
	s_delay_alu instid0(VALU_DEP_1)
	v_add3_u32 v10, v9, v10, 0x7fff
; %bb.51:                               ;   in Loop: Header=BB552_5 Depth=1
	s_wait_alu 0xfffe
	s_and_not1_saveexec_b32 s35, s35
; %bb.52:                               ;   in Loop: Header=BB552_5 Depth=1
	v_and_b32_e32 v10, 0xffff, v9
	v_or_b32_e32 v11, 0x10000, v9
	s_delay_alu instid0(VALU_DEP_2) | instskip(SKIP_1) | instid1(VALU_DEP_2)
	v_cmp_eq_u32_e32 vcc_lo, 0, v10
	s_wait_alu 0xfffd
	v_cndmask_b32_e32 v10, v11, v9, vcc_lo
; %bb.53:                               ;   in Loop: Header=BB552_5 Depth=1
	s_wait_alu 0xfffe
	s_or_b32 exec_lo, exec_lo, s35
	s_mov_b32 s35, 0
.LBB552_54:                             ;   in Loop: Header=BB552_5 Depth=1
	s_wait_alu 0xfffe
	s_and_not1_b32 vcc_lo, exec_lo, s35
	s_wait_alu 0xfffe
	s_cbranch_vccnz .LBB552_64
; %bb.55:                               ;   in Loop: Header=BB552_5 Depth=1
	v_lshlrev_b64_e32 v[10:11], 1, v[2:3]
	s_delay_alu instid0(VALU_DEP_1) | instskip(SKIP_1) | instid1(VALU_DEP_2)
	v_add_co_u32 v10, vcc_lo, s16, v10
	s_wait_alu 0xfffd
	v_add_co_ci_u32_e64 v11, null, s17, v11, vcc_lo
	global_load_u16 v10, v[10:11], off
	s_wait_loadcnt 0x0
	v_lshlrev_b32_e32 v10, 16, v10
	s_delay_alu instid0(VALU_DEP_1) | instskip(NEXT) | instid1(VALU_DEP_1)
	v_mul_f32_e32 v10, s26, v10
	v_and_b32_e32 v11, 0x7f800000, v10
	s_delay_alu instid0(VALU_DEP_1)
	v_cmp_ne_u32_e32 vcc_lo, 0x7f800000, v11
                                        ; implicit-def: $vgpr11
	s_and_saveexec_b32 s35, vcc_lo
	s_wait_alu 0xfffe
	s_xor_b32 s35, exec_lo, s35
; %bb.56:                               ;   in Loop: Header=BB552_5 Depth=1
	v_bfe_u32 v11, v10, 16, 1
	s_delay_alu instid0(VALU_DEP_1)
	v_add3_u32 v11, v10, v11, 0x7fff
                                        ; implicit-def: $vgpr10
; %bb.57:                               ;   in Loop: Header=BB552_5 Depth=1
	s_wait_alu 0xfffe
	s_and_not1_saveexec_b32 s35, s35
; %bb.58:                               ;   in Loop: Header=BB552_5 Depth=1
	v_and_b32_e32 v11, 0xffff, v10
	v_or_b32_e32 v12, 0x10000, v10
	s_delay_alu instid0(VALU_DEP_2) | instskip(SKIP_1) | instid1(VALU_DEP_2)
	v_cmp_eq_u32_e32 vcc_lo, 0, v11
	s_wait_alu 0xfffd
	v_cndmask_b32_e32 v11, v12, v10, vcc_lo
; %bb.59:                               ;   in Loop: Header=BB552_5 Depth=1
	s_wait_alu 0xfffe
	s_or_b32 exec_lo, exec_lo, s35
	s_delay_alu instid0(VALU_DEP_1) | instskip(NEXT) | instid1(VALU_DEP_1)
	v_and_b32_e32 v10, 0xffff0000, v11
	v_add_f32_e32 v9, v9, v10
	s_delay_alu instid0(VALU_DEP_1) | instskip(NEXT) | instid1(VALU_DEP_1)
	v_and_b32_e32 v10, 0x7f800000, v9
	v_cmp_ne_u32_e32 vcc_lo, 0x7f800000, v10
                                        ; implicit-def: $vgpr10
	s_and_saveexec_b32 s35, vcc_lo
	s_wait_alu 0xfffe
	s_xor_b32 s35, exec_lo, s35
; %bb.60:                               ;   in Loop: Header=BB552_5 Depth=1
	v_bfe_u32 v10, v9, 16, 1
	s_delay_alu instid0(VALU_DEP_1)
	v_add3_u32 v10, v9, v10, 0x7fff
                                        ; implicit-def: $vgpr9
; %bb.61:                               ;   in Loop: Header=BB552_5 Depth=1
	s_wait_alu 0xfffe
	s_and_not1_saveexec_b32 s35, s35
; %bb.62:                               ;   in Loop: Header=BB552_5 Depth=1
	v_and_b32_e32 v10, 0xffff, v9
	v_or_b32_e32 v11, 0x10000, v9
	s_delay_alu instid0(VALU_DEP_2) | instskip(SKIP_1) | instid1(VALU_DEP_2)
	v_cmp_eq_u32_e32 vcc_lo, 0, v10
	s_wait_alu 0xfffd
	v_cndmask_b32_e32 v10, v11, v9, vcc_lo
; %bb.63:                               ;   in Loop: Header=BB552_5 Depth=1
	s_wait_alu 0xfffe
	s_or_b32 exec_lo, exec_lo, s35
.LBB552_64:                             ;   in Loop: Header=BB552_5 Depth=1
	s_delay_alu instid0(VALU_DEP_1)
	v_lshrrev_b32_e32 v11, 16, v10
	s_or_b32 s35, s45, exec_lo
.LBB552_65:                             ;   in Loop: Header=BB552_5 Depth=1
	s_wait_alu 0xfffe
	s_or_b32 exec_lo, exec_lo, s34
	s_delay_alu instid0(SALU_CYCLE_1)
	s_and_not1_b32 s34, s45, exec_lo
	s_and_b32 s35, s35, exec_lo
	s_wait_alu 0xfffe
	s_or_b32 s45, s34, s35
.LBB552_66:                             ;   in Loop: Header=BB552_5 Depth=1
	s_wait_alu 0xfffe
	s_or_b32 exec_lo, exec_lo, s7
	v_dual_mov_b32 v10, v3 :: v_dual_mov_b32 v9, v2
	s_and_saveexec_b32 s7, s45
	s_cbranch_execz .LBB552_3
	s_branch .LBB552_69
.LBB552_67:                             ;   in Loop: Header=BB552_5 Depth=1
	v_mov_b32_e32 v11, 0
	s_mov_b32 s45, exec_lo
	s_or_b32 exec_lo, exec_lo, s34
	s_delay_alu instid0(SALU_CYCLE_1)
	s_and_b32 vcc_lo, exec_lo, s7
	s_wait_alu 0xfffe
	s_cbranch_vccnz .LBB552_16
.LBB552_68:                             ;   in Loop: Header=BB552_5 Depth=1
	v_dual_mov_b32 v10, v1 :: v_dual_mov_b32 v9, v0
	s_and_saveexec_b32 s7, s45
	s_cbranch_execz .LBB552_3
.LBB552_69:                             ;   in Loop: Header=BB552_5 Depth=1
	s_delay_alu instid0(VALU_DEP_1) | instskip(SKIP_1) | instid1(VALU_DEP_1)
	v_lshlrev_b64_e32 v[9:10], 1, v[9:10]
	s_wait_alu 0xfffe
	v_add_co_u32 v9, vcc_lo, s16, v9
	s_wait_alu 0xfffd
	s_delay_alu instid0(VALU_DEP_2)
	v_add_co_ci_u32_e64 v10, null, s17, v10, vcc_lo
	global_store_b16 v[9:10], v11, off
	s_branch .LBB552_3
.LBB552_70:
	s_endpgm
	.section	.rodata,"a",@progbits
	.p2align	6, 0x0
	.amdhsa_kernel _ZL20rocblas_gemvn_kernelILi64ELi16Ei16rocblas_bfloat16fS0_EviiT3_lPKT2_lT1_lS4_lS5_lS1_lPT4_lS5_li
		.amdhsa_group_segment_fixed_size 16384
		.amdhsa_private_segment_fixed_size 0
		.amdhsa_kernarg_size 400
		.amdhsa_user_sgpr_count 2
		.amdhsa_user_sgpr_dispatch_ptr 0
		.amdhsa_user_sgpr_queue_ptr 0
		.amdhsa_user_sgpr_kernarg_segment_ptr 1
		.amdhsa_user_sgpr_dispatch_id 0
		.amdhsa_user_sgpr_private_segment_size 0
		.amdhsa_wavefront_size32 1
		.amdhsa_uses_dynamic_stack 0
		.amdhsa_enable_private_segment 0
		.amdhsa_system_sgpr_workgroup_id_x 1
		.amdhsa_system_sgpr_workgroup_id_y 0
		.amdhsa_system_sgpr_workgroup_id_z 1
		.amdhsa_system_sgpr_workgroup_info 0
		.amdhsa_system_vgpr_workitem_id 1
		.amdhsa_next_free_vgpr 51
		.amdhsa_next_free_sgpr 52
		.amdhsa_reserve_vcc 1
		.amdhsa_float_round_mode_32 0
		.amdhsa_float_round_mode_16_64 0
		.amdhsa_float_denorm_mode_32 3
		.amdhsa_float_denorm_mode_16_64 3
		.amdhsa_fp16_overflow 0
		.amdhsa_workgroup_processor_mode 1
		.amdhsa_memory_ordered 1
		.amdhsa_forward_progress 1
		.amdhsa_inst_pref_size 31
		.amdhsa_round_robin_scheduling 0
		.amdhsa_exception_fp_ieee_invalid_op 0
		.amdhsa_exception_fp_denorm_src 0
		.amdhsa_exception_fp_ieee_div_zero 0
		.amdhsa_exception_fp_ieee_overflow 0
		.amdhsa_exception_fp_ieee_underflow 0
		.amdhsa_exception_fp_ieee_inexact 0
		.amdhsa_exception_int_div_zero 0
	.end_amdhsa_kernel
	.section	.text._ZL20rocblas_gemvn_kernelILi64ELi16Ei16rocblas_bfloat16fS0_EviiT3_lPKT2_lT1_lS4_lS5_lS1_lPT4_lS5_li,"axG",@progbits,_ZL20rocblas_gemvn_kernelILi64ELi16Ei16rocblas_bfloat16fS0_EviiT3_lPKT2_lT1_lS4_lS5_lS1_lPT4_lS5_li,comdat
.Lfunc_end552:
	.size	_ZL20rocblas_gemvn_kernelILi64ELi16Ei16rocblas_bfloat16fS0_EviiT3_lPKT2_lT1_lS4_lS5_lS1_lPT4_lS5_li, .Lfunc_end552-_ZL20rocblas_gemvn_kernelILi64ELi16Ei16rocblas_bfloat16fS0_EviiT3_lPKT2_lT1_lS4_lS5_lS1_lPT4_lS5_li
                                        ; -- End function
	.set _ZL20rocblas_gemvn_kernelILi64ELi16Ei16rocblas_bfloat16fS0_EviiT3_lPKT2_lT1_lS4_lS5_lS1_lPT4_lS5_li.num_vgpr, 51
	.set _ZL20rocblas_gemvn_kernelILi64ELi16Ei16rocblas_bfloat16fS0_EviiT3_lPKT2_lT1_lS4_lS5_lS1_lPT4_lS5_li.num_agpr, 0
	.set _ZL20rocblas_gemvn_kernelILi64ELi16Ei16rocblas_bfloat16fS0_EviiT3_lPKT2_lT1_lS4_lS5_lS1_lPT4_lS5_li.numbered_sgpr, 52
	.set _ZL20rocblas_gemvn_kernelILi64ELi16Ei16rocblas_bfloat16fS0_EviiT3_lPKT2_lT1_lS4_lS5_lS1_lPT4_lS5_li.num_named_barrier, 0
	.set _ZL20rocblas_gemvn_kernelILi64ELi16Ei16rocblas_bfloat16fS0_EviiT3_lPKT2_lT1_lS4_lS5_lS1_lPT4_lS5_li.private_seg_size, 0
	.set _ZL20rocblas_gemvn_kernelILi64ELi16Ei16rocblas_bfloat16fS0_EviiT3_lPKT2_lT1_lS4_lS5_lS1_lPT4_lS5_li.uses_vcc, 1
	.set _ZL20rocblas_gemvn_kernelILi64ELi16Ei16rocblas_bfloat16fS0_EviiT3_lPKT2_lT1_lS4_lS5_lS1_lPT4_lS5_li.uses_flat_scratch, 0
	.set _ZL20rocblas_gemvn_kernelILi64ELi16Ei16rocblas_bfloat16fS0_EviiT3_lPKT2_lT1_lS4_lS5_lS1_lPT4_lS5_li.has_dyn_sized_stack, 0
	.set _ZL20rocblas_gemvn_kernelILi64ELi16Ei16rocblas_bfloat16fS0_EviiT3_lPKT2_lT1_lS4_lS5_lS1_lPT4_lS5_li.has_recursion, 0
	.set _ZL20rocblas_gemvn_kernelILi64ELi16Ei16rocblas_bfloat16fS0_EviiT3_lPKT2_lT1_lS4_lS5_lS1_lPT4_lS5_li.has_indirect_call, 0
	.section	.AMDGPU.csdata,"",@progbits
; Kernel info:
; codeLenInByte = 3868
; TotalNumSgprs: 54
; NumVgprs: 51
; ScratchSize: 0
; MemoryBound: 0
; FloatMode: 240
; IeeeMode: 1
; LDSByteSize: 16384 bytes/workgroup (compile time only)
; SGPRBlocks: 0
; VGPRBlocks: 6
; NumSGPRsForWavesPerEU: 54
; NumVGPRsForWavesPerEU: 51
; Occupancy: 16
; WaveLimiterHint : 1
; COMPUTE_PGM_RSRC2:SCRATCH_EN: 0
; COMPUTE_PGM_RSRC2:USER_SGPR: 2
; COMPUTE_PGM_RSRC2:TRAP_HANDLER: 0
; COMPUTE_PGM_RSRC2:TGID_X_EN: 1
; COMPUTE_PGM_RSRC2:TGID_Y_EN: 0
; COMPUTE_PGM_RSRC2:TGID_Z_EN: 1
; COMPUTE_PGM_RSRC2:TIDIG_COMP_CNT: 1
	.section	.text._ZL20rocblas_gemvn_kernelILi64ELi16El16rocblas_bfloat16fS0_EviiT3_lPKT2_lT1_lS4_lS5_lS1_lPT4_lS5_li,"axG",@progbits,_ZL20rocblas_gemvn_kernelILi64ELi16El16rocblas_bfloat16fS0_EviiT3_lPKT2_lT1_lS4_lS5_lS1_lPT4_lS5_li,comdat
	.globl	_ZL20rocblas_gemvn_kernelILi64ELi16El16rocblas_bfloat16fS0_EviiT3_lPKT2_lT1_lS4_lS5_lS1_lPT4_lS5_li ; -- Begin function _ZL20rocblas_gemvn_kernelILi64ELi16El16rocblas_bfloat16fS0_EviiT3_lPKT2_lT1_lS4_lS5_lS1_lPT4_lS5_li
	.p2align	8
	.type	_ZL20rocblas_gemvn_kernelILi64ELi16El16rocblas_bfloat16fS0_EviiT3_lPKT2_lT1_lS4_lS5_lS1_lPT4_lS5_li,@function
_ZL20rocblas_gemvn_kernelILi64ELi16El16rocblas_bfloat16fS0_EviiT3_lPKT2_lT1_lS4_lS5_lS1_lPT4_lS5_li: ; @_ZL20rocblas_gemvn_kernelILi64ELi16El16rocblas_bfloat16fS0_EviiT3_lPKT2_lT1_lS4_lS5_lS1_lPT4_lS5_li
; %bb.0:
	s_load_b64 s[2:3], s[0:1], 0x9c
	s_wait_kmcnt 0x0
	s_lshr_b32 s4, s2, 16
	s_and_b32 s2, s2, 0xffff
	s_and_b32 s3, s3, 0xffff
	s_mul_i32 s2, s4, s2
	s_delay_alu instid0(SALU_CYCLE_1) | instskip(NEXT) | instid1(SALU_CYCLE_1)
	s_mul_i32 s2, s2, s3
	s_cmp_lg_u32 s2, 0x400
	s_cbranch_scc1 .LBB553_70
; %bb.1:
	s_load_b32 s33, s[0:1], 0x88
	s_lshr_b32 s34, ttmp7, 16
	s_wait_kmcnt 0x0
	s_cmp_ge_u32 s34, s33
	s_cbranch_scc1 .LBB553_70
; %bb.2:
	s_clause 0x3
	s_load_b512 s[8:23], s[0:1], 0x18
	s_load_b256 s[24:31], s[0:1], 0x68
	s_load_b96 s[36:38], s[0:1], 0x0
	s_load_b32 s39, s[0:1], 0x58
	v_and_b32_e32 v1, 0x3ff, v0
	v_bfe_u32 v15, v0, 10, 10
	v_mov_b32_e32 v3, 0
	s_mov_b32 s35, 0
	s_delay_alu instid0(VALU_DEP_2) | instskip(NEXT) | instid1(VALU_DEP_1)
	v_lshlrev_b32_e32 v16, 2, v15
	v_or_b32_e32 v19, 3, v16
	v_or_b32_e32 v23, 2, v16
	s_wait_kmcnt 0x0
	s_lshl_b64 s[2:3], s[10:11], 1
	s_lshl_b64 s[10:11], s[18:19], 1
	;; [unrolled: 1-line block ×3, first 2 shown]
	s_cmp_eq_f32 s38, 0
	s_add_nc_u64 s[18:19], s[8:9], s[2:3]
	v_mad_co_u64_u32 v[4:5], null, s20, v15, 0
	s_cselect_b32 s46, -1, 0
	s_cmp_neq_f32 s38, 0
	s_add_nc_u64 s[24:25], s[24:25], s[4:5]
	s_mov_b32 s6, s36
	v_mad_co_u64_u32 v[27:28], null, s20, v23, 0
	s_cselect_b32 s1, -1, 0
	s_cmp_neq_f32 s39, 1.0
	v_mad_co_u64_u32 v[29:30], null, s20, v16, s[20:21]
	v_mad_co_u64_u32 v[31:32], null, s12, v16, s[12:13]
	s_cselect_b32 s2, -1, 0
	s_lshl_b32 s8, ttmp9, 8
	s_ashr_i32 s7, s36, 31
	s_or_b32 s47, s1, s2
	s_cmp_neq_f32 s39, 0
	v_add_nc_u32_e32 v6, s8, v1
	s_add_nc_u64 s[26:27], s[16:17], s[10:11]
	s_cselect_b32 s48, -1, 0
	s_cmp_eq_f32 s39, 0
	s_delay_alu instid0(VALU_DEP_1) | instskip(SKIP_3) | instid1(SALU_CYCLE_1)
	v_add_nc_u32_e32 v8, 0x80, v6
	v_add_nc_u32_e32 v9, 0xc0, v6
	s_cselect_b32 s49, -1, 0
	s_ashr_i32 s2, s37, 31
	s_lshr_b32 s3, s2, 26
	s_delay_alu instid0(VALU_DEP_1)
	v_cmp_gt_i32_e64 s4, s36, v9
	s_add_co_i32 s50, s37, s3
	v_cmp_gt_i32_e64 s3, s36, v8
	v_mad_co_u64_u32 v[8:9], null, s12, v19, 0
	v_lshlrev_b32_e32 v10, 2, v1
	s_and_not1_b32 s50, s50, 63
	s_delay_alu instid0(SALU_CYCLE_1) | instskip(NEXT) | instid1(VALU_DEP_1)
	s_sub_co_i32 s5, s37, s50
	v_lshl_add_u32 v17, v15, 10, v10
	v_lshl_add_u32 v18, v15, 8, v10
	v_mad_co_u64_u32 v[10:11], null, s21, v15, v[5:6]
	v_mad_co_u64_u32 v[11:12], null, s20, v19, 0
	v_mov_b32_e32 v5, v9
	s_cmp_gt_i32 s5, 0
	v_cmp_gt_i32_e64 s5, s50, v16
	s_cselect_b32 s51, -1, 0
	s_lshl_b64 s[40:41], s[14:15], 1
	v_mad_co_u64_u32 v[13:14], null, s13, v19, v[5:6]
	v_dual_mov_b32 v5, v10 :: v_dual_mov_b32 v10, v12
	v_lshl_add_u32 v0, v15, 6, v1
	v_ashrrev_i32_e32 v7, 31, v6
	v_cmp_gt_i32_e64 s1, s36, v6
	s_delay_alu instid0(VALU_DEP_4) | instskip(NEXT) | instid1(VALU_DEP_4)
	v_lshlrev_b64_e32 v[4:5], 3, v[4:5]
	v_dual_mov_b32 v9, v13 :: v_dual_add_nc_u32 v2, s8, v0
	v_cmp_gt_u32_e64 s0, 0x100, v0
	v_or_b32_e32 v20, s8, v0
	v_mad_co_u64_u32 v[12:13], null, s21, v19, v[10:11]
	s_delay_alu instid0(VALU_DEP_4)
	v_mad_co_u64_u32 v[0:1], null, s28, v2, 0
	v_cmp_gt_i64_e32 vcc_lo, s[6:7], v[2:3]
	v_mad_co_u64_u32 v[13:14], null, s12, v15, 0
	v_add_nc_u32_e32 v3, 64, v6
	s_ashr_i32 s6, s8, 31
	v_mul_lo_u32 v21, s29, v20
	v_mad_co_u64_u32 v[1:2], null, s29, v2, v[1:2]
	s_delay_alu instid0(VALU_DEP_3)
	v_cmp_gt_i32_e64 s2, s36, v3
	v_mad_co_u64_u32 v[2:3], null, s28, v20, 0
	s_wait_alu 0xfffe
	s_mul_i32 s7, s28, s6
	v_cmp_gt_i32_e64 s6, s36, v20
	s_and_b32 s36, s0, vcc_lo
	v_add_co_u32 v19, vcc_lo, s16, v4
	s_delay_alu instid0(VALU_DEP_1)
	v_add_co_ci_u32_e64 v20, null, s17, v5, vcc_lo
	v_lshlrev_b64_e32 v[4:5], 1, v[6:7]
	v_lshlrev_b64_e32 v[6:7], 1, v[8:9]
	v_mad_co_u64_u32 v[9:10], null, s12, v23, 0
	v_mov_b32_e32 v8, v14
	s_wait_alu 0xfffe
	v_add3_u32 v3, v3, s7, v21
	s_lshl_b64 s[28:29], s[22:23], 1
	v_add_co_u32 v21, vcc_lo, s18, v6
	s_wait_alu 0xfffd
	v_add_co_ci_u32_e64 v22, null, s19, v7, vcc_lo
	v_mad_co_u64_u32 v[14:15], null, s13, v15, v[8:9]
	v_lshlrev_b64_e32 v[7:8], 1, v[11:12]
	v_mov_b32_e32 v6, v10
	v_mov_b32_e32 v10, v28
	s_lshl_b64 s[42:43], s[12:13], 7
	s_delay_alu instid0(VALU_DEP_2) | instskip(SKIP_1) | instid1(VALU_DEP_2)
	v_mad_co_u64_u32 v[11:12], null, s13, v23, v[6:7]
	v_mov_b32_e32 v6, v30
	v_mad_co_u64_u32 v[25:26], null, s21, v23, v[10:11]
	v_add_co_u32 v23, vcc_lo, s16, v7
	s_wait_alu 0xfffd
	v_add_co_ci_u32_e64 v24, null, s17, v8, vcc_lo
	v_lshlrev_b64_e32 v[7:8], 3, v[13:14]
	v_mov_b32_e32 v10, v11
	v_mov_b32_e32 v28, v25
	s_delay_alu instid0(VALU_DEP_3)
	v_add_co_u32 v25, vcc_lo, s18, v7
	v_mad_co_u64_u32 v[11:12], null, s21, v16, v[6:7]
	s_wait_alu 0xfffd
	v_add_co_ci_u32_e64 v26, null, s19, v8, vcc_lo
	v_lshlrev_b64_e32 v[7:8], 1, v[9:10]
	v_mov_b32_e32 v6, v32
	v_lshlrev_b64_e32 v[12:13], 1, v[27:28]
	v_mov_b32_e32 v30, v11
	s_delay_alu instid0(VALU_DEP_3) | instskip(SKIP_1) | instid1(VALU_DEP_3)
	v_mad_co_u64_u32 v[9:10], null, s13, v16, v[6:7]
	v_add_co_u32 v27, vcc_lo, s18, v7
	v_lshlrev_b64_e32 v[6:7], 1, v[29:30]
	s_wait_alu 0xfffd
	v_add_co_ci_u32_e64 v28, null, s19, v8, vcc_lo
	v_add_co_u32 v29, vcc_lo, s16, v12
	v_mov_b32_e32 v32, v9
	s_wait_alu 0xfffd
	v_add_co_ci_u32_e64 v30, null, s17, v13, vcc_lo
	s_delay_alu instid0(VALU_DEP_2) | instskip(SKIP_4) | instid1(VALU_DEP_4)
	v_lshlrev_b64_e32 v[8:9], 1, v[31:32]
	v_add_co_u32 v31, vcc_lo, s16, v6
	s_wait_alu 0xfffd
	v_add_co_ci_u32_e64 v32, null, s17, v7, vcc_lo
	v_lshlrev_b64_e32 v[6:7], 1, v[0:1]
	v_add_co_u32 v33, vcc_lo, s18, v8
	s_wait_alu 0xfffd
	v_add_co_ci_u32_e64 v34, null, s19, v9, vcc_lo
	s_lshl_b64 s[16:17], s[20:21], 7
	s_branch .LBB553_5
.LBB553_3:                              ;   in Loop: Header=BB553_5 Depth=1
	s_wait_alu 0xfffe
	s_or_b32 exec_lo, exec_lo, s7
.LBB553_4:                              ;   in Loop: Header=BB553_5 Depth=1
	s_add_co_i32 s34, s34, 0x10000
	s_delay_alu instid0(SALU_CYCLE_1)
	s_cmp_lt_u32 s34, s33
	s_cbranch_scc0 .LBB553_70
.LBB553_5:                              ; =>This Loop Header: Depth=1
                                        ;     Child Loop BB553_22 Depth 2
	s_and_not1_b32 vcc_lo, exec_lo, s47
	s_wait_alu 0xfffe
	s_cbranch_vccnz .LBB553_4
; %bb.6:                                ;   in Loop: Header=BB553_5 Depth=1
	s_mul_u64 s[8:9], s[30:31], s[34:35]
	s_and_not1_b32 vcc_lo, exec_lo, s46
	s_wait_alu 0xfffe
	s_lshl_b64 s[8:9], s[8:9], 1
	s_wait_alu 0xfffe
	s_add_nc_u64 s[44:45], s[24:25], s[8:9]
	s_cbranch_vccnz .LBB553_14
; %bb.7:                                ;   in Loop: Header=BB553_5 Depth=1
	s_mov_b32 s7, 0
	s_mov_b32 s52, 0
                                        ; implicit-def: $vgpr10
	s_and_saveexec_b32 s8, s36
	s_cbranch_execz .LBB553_15
; %bb.8:                                ;   in Loop: Header=BB553_5 Depth=1
	s_and_not1_b32 vcc_lo, exec_lo, s48
	s_wait_alu 0xfffe
	s_cbranch_vccnz .LBB553_67
; %bb.9:                                ;   in Loop: Header=BB553_5 Depth=1
	v_add_co_u32 v8, vcc_lo, s44, v6
	s_wait_alu 0xfffd
	v_add_co_ci_u32_e64 v9, null, s45, v7, vcc_lo
	global_load_u16 v8, v[8:9], off
	s_wait_loadcnt 0x0
	v_lshlrev_b32_e32 v8, 16, v8
	s_delay_alu instid0(VALU_DEP_1) | instskip(NEXT) | instid1(VALU_DEP_1)
	v_mul_f32_e32 v8, s39, v8
	v_and_b32_e32 v9, 0x7f800000, v8
	s_delay_alu instid0(VALU_DEP_1)
	v_cmp_ne_u32_e32 vcc_lo, 0x7f800000, v9
                                        ; implicit-def: $vgpr9
	s_and_saveexec_b32 s9, vcc_lo
	s_wait_alu 0xfffe
	s_xor_b32 s9, exec_lo, s9
; %bb.10:                               ;   in Loop: Header=BB553_5 Depth=1
	v_bfe_u32 v9, v8, 16, 1
	s_delay_alu instid0(VALU_DEP_1)
	v_add3_u32 v9, v8, v9, 0x7fff
                                        ; implicit-def: $vgpr8
; %bb.11:                               ;   in Loop: Header=BB553_5 Depth=1
	s_wait_alu 0xfffe
	s_and_not1_saveexec_b32 s9, s9
; %bb.12:                               ;   in Loop: Header=BB553_5 Depth=1
	v_and_b32_e32 v9, 0xffff, v8
	v_or_b32_e32 v10, 0x10000, v8
	s_delay_alu instid0(VALU_DEP_2) | instskip(SKIP_1) | instid1(VALU_DEP_2)
	v_cmp_eq_u32_e32 vcc_lo, 0, v9
	s_wait_alu 0xfffd
	v_cndmask_b32_e32 v9, v10, v8, vcc_lo
; %bb.13:                               ;   in Loop: Header=BB553_5 Depth=1
	s_wait_alu 0xfffe
	s_or_b32 exec_lo, exec_lo, s9
	s_delay_alu instid0(VALU_DEP_1) | instskip(SKIP_2) | instid1(SALU_CYCLE_1)
	v_lshrrev_b32_e32 v10, 16, v9
	s_mov_b32 s52, exec_lo
	s_or_b32 exec_lo, exec_lo, s8
	s_and_b32 vcc_lo, exec_lo, s7
	s_wait_alu 0xfffe
	s_cbranch_vccnz .LBB553_16
	s_branch .LBB553_68
.LBB553_14:                             ;   in Loop: Header=BB553_5 Depth=1
	s_mov_b32 s52, 0
                                        ; implicit-def: $vgpr10
	s_cbranch_execnz .LBB553_16
	s_branch .LBB553_68
.LBB553_15:                             ;   in Loop: Header=BB553_5 Depth=1
	s_wait_alu 0xfffe
	s_or_b32 exec_lo, exec_lo, s8
	s_delay_alu instid0(SALU_CYCLE_1)
	s_and_b32 vcc_lo, exec_lo, s7
	s_wait_alu 0xfffe
	s_cbranch_vccz .LBB553_68
.LBB553_16:                             ;   in Loop: Header=BB553_5 Depth=1
	v_dual_mov_b32 v35, 0 :: v_dual_mov_b32 v36, 0
	v_dual_mov_b32 v39, v16 :: v_dual_mov_b32 v38, 0
	v_mov_b32_e32 v37, 0
	s_and_saveexec_b32 s8, s5
	s_cbranch_execz .LBB553_28
; %bb.17:                               ;   in Loop: Header=BB553_5 Depth=1
	s_mul_u64 s[54:55], s[28:29], s[34:35]
	s_mul_u64 s[56:57], s[40:41], s[34:35]
	s_wait_alu 0xfffe
	v_add_co_u32 v40, vcc_lo, v19, s54
	s_wait_alu 0xfffd
	v_add_co_ci_u32_e64 v41, null, s55, v20, vcc_lo
	v_add_co_u32 v42, vcc_lo, v21, s56
	s_wait_alu 0xfffd
	v_add_co_ci_u32_e64 v43, null, s57, v22, vcc_lo
	;; [unrolled: 3-line block ×8, first 2 shown]
	v_dual_mov_b32 v35, 0 :: v_dual_mov_b32 v36, 0
	v_dual_mov_b32 v39, v16 :: v_dual_mov_b32 v38, 0
	v_mov_b32_e32 v37, 0
	s_mov_b32 s9, 0
	s_branch .LBB553_22
.LBB553_18:                             ;   in Loop: Header=BB553_22 Depth=2
	s_wait_alu 0xfffe
	s_or_b32 exec_lo, exec_lo, s55
	s_wait_loadcnt 0x2
	v_lshlrev_b32_e32 v9, 16, v70
	v_lshlrev_b32_e32 v8, 16, v71
	s_wait_loadcnt 0x1
	s_delay_alu instid0(VALU_DEP_1) | instskip(NEXT) | instid1(VALU_DEP_1)
	v_dual_fmac_f32 v37, v63, v8 :: v_dual_lshlrev_b32 v8, 16, v69
	v_fmac_f32_e32 v37, v59, v9
	s_delay_alu instid0(VALU_DEP_1) | instskip(SKIP_2) | instid1(VALU_DEP_1)
	v_fmac_f32_e32 v37, v61, v8
	s_wait_loadcnt 0x0
	v_lshlrev_b32_e32 v8, 16, v68
	v_fmac_f32_e32 v37, v57, v8
.LBB553_19:                             ;   in Loop: Header=BB553_22 Depth=2
	s_wait_alu 0xfffe
	s_or_b32 exec_lo, exec_lo, s54
	s_wait_loadcnt 0x3
	v_lshlrev_b32_e32 v8, 16, v67
	s_wait_loadcnt 0x2
	s_delay_alu instid0(VALU_DEP_1) | instskip(SKIP_2) | instid1(VALU_DEP_2)
	v_dual_fmac_f32 v36, v63, v8 :: v_dual_lshlrev_b32 v9, 16, v66
	s_wait_loadcnt 0x1
	v_lshlrev_b32_e32 v8, 16, v65
	v_fmac_f32_e32 v36, v59, v9
	s_delay_alu instid0(VALU_DEP_1) | instskip(SKIP_2) | instid1(VALU_DEP_1)
	v_fmac_f32_e32 v36, v61, v8
	s_wait_loadcnt 0x0
	v_lshlrev_b32_e32 v8, 16, v64
	v_fmac_f32_e32 v36, v57, v8
.LBB553_20:                             ;   in Loop: Header=BB553_22 Depth=2
	s_or_b32 exec_lo, exec_lo, s53
	s_wait_loadcnt 0x2
	v_lshlrev_b32_e32 v9, 16, v60
	v_lshlrev_b32_e32 v8, 16, v62
	s_wait_loadcnt 0x1
	s_delay_alu instid0(VALU_DEP_1) | instskip(NEXT) | instid1(VALU_DEP_1)
	v_dual_fmac_f32 v35, v63, v8 :: v_dual_lshlrev_b32 v8, 16, v58
	v_fmac_f32_e32 v35, v59, v9
	s_delay_alu instid0(VALU_DEP_1) | instskip(SKIP_2) | instid1(VALU_DEP_1)
	v_fmac_f32_e32 v35, v61, v8
	s_wait_loadcnt 0x0
	v_lshlrev_b32_e32 v8, 16, v56
	v_fmac_f32_e32 v35, v57, v8
.LBB553_21:                             ;   in Loop: Header=BB553_22 Depth=2
	s_wait_alu 0xfffe
	s_or_b32 exec_lo, exec_lo, s7
	v_add_co_u32 v40, vcc_lo, v40, s16
	s_wait_alu 0xfffd
	v_add_co_ci_u32_e64 v41, null, s17, v41, vcc_lo
	v_add_co_u32 v42, vcc_lo, v42, s42
	s_wait_alu 0xfffd
	v_add_co_ci_u32_e64 v43, null, s43, v43, vcc_lo
	;; [unrolled: 3-line block ×4, first 2 shown]
	v_add_co_u32 v48, vcc_lo, v48, s42
	v_add_nc_u32_e32 v39, 64, v39
	s_wait_alu 0xfffd
	v_add_co_ci_u32_e64 v49, null, s43, v49, vcc_lo
	v_add_co_u32 v50, vcc_lo, v50, s16
	s_wait_alu 0xfffd
	v_add_co_ci_u32_e64 v51, null, s17, v51, vcc_lo
	v_add_co_u32 v52, vcc_lo, v52, s16
	s_wait_alu 0xfffd
	v_add_co_ci_u32_e64 v53, null, s17, v53, vcc_lo
	v_cmp_le_i32_e32 vcc_lo, s50, v39
	v_add_co_u32 v54, s7, v54, s42
	s_wait_alu 0xf1ff
	v_add_co_ci_u32_e64 v55, null, s43, v55, s7
	s_or_b32 s9, vcc_lo, s9
	s_wait_alu 0xfffe
	s_and_not1_b32 exec_lo, exec_lo, s9
	s_cbranch_execz .LBB553_27
.LBB553_22:                             ;   Parent Loop BB553_5 Depth=1
                                        ; =>  This Inner Loop Header: Depth=2
	s_and_saveexec_b32 s7, s1
	s_cbranch_execz .LBB553_21
; %bb.23:                               ;   in Loop: Header=BB553_22 Depth=2
	v_add_co_u32 v8, vcc_lo, v40, s10
	s_wait_alu 0xfffd
	v_add_co_ci_u32_e64 v9, null, s11, v41, vcc_lo
	v_add_co_u32 v10, vcc_lo, v52, s10
	s_wait_alu 0xfffd
	v_add_co_ci_u32_e64 v11, null, s11, v53, vcc_lo
	;; [unrolled: 3-line block ×4, first 2 shown]
	global_load_u16 v57, v[8:9], off
	global_load_u16 v59, v[10:11], off
	;; [unrolled: 1-line block ×4, first 2 shown]
	v_add_co_u32 v8, vcc_lo, v46, v4
	s_wait_alu 0xfffd
	v_add_co_ci_u32_e64 v9, null, v47, v5, vcc_lo
	v_add_co_u32 v12, vcc_lo, v54, v4
	s_wait_alu 0xfffd
	v_add_co_ci_u32_e64 v13, null, v55, v5, vcc_lo
	;; [unrolled: 3-line block ×4, first 2 shown]
	global_load_u16 v62, v[8:9], off
	global_load_u16 v60, v[12:13], off
	;; [unrolled: 1-line block ×4, first 2 shown]
	s_wait_loadcnt 0x7
	v_lshlrev_b32_e32 v63, 16, v57
	s_wait_loadcnt 0x6
	v_lshlrev_b32_e32 v59, 16, v59
	;; [unrolled: 2-line block ×4, first 2 shown]
	s_and_saveexec_b32 s53, s2
	s_cbranch_execz .LBB553_20
; %bb.24:                               ;   in Loop: Header=BB553_22 Depth=2
	global_load_u16 v67, v[8:9], off offset:128
	global_load_u16 v66, v[12:13], off offset:128
	global_load_u16 v65, v[10:11], off offset:128
	global_load_u16 v64, v[14:15], off offset:128
	s_and_saveexec_b32 s54, s3
	s_cbranch_execz .LBB553_19
; %bb.25:                               ;   in Loop: Header=BB553_22 Depth=2
	global_load_u16 v71, v[8:9], off offset:256
	global_load_u16 v70, v[12:13], off offset:256
	global_load_u16 v69, v[10:11], off offset:256
	global_load_u16 v68, v[14:15], off offset:256
	;; [unrolled: 7-line block ×3, first 2 shown]
	s_wait_loadcnt 0x3
	v_lshlrev_b32_e32 v8, 16, v8
	s_wait_loadcnt 0x2
	s_delay_alu instid0(VALU_DEP_1) | instskip(SKIP_3) | instid1(VALU_DEP_2)
	v_dual_fmac_f32 v38, v63, v8 :: v_dual_lshlrev_b32 v9, 16, v9
	s_wait_loadcnt 0x1
	v_lshlrev_b32_e32 v8, 16, v10
	s_wait_loadcnt 0x0
	v_dual_fmac_f32 v38, v59, v9 :: v_dual_lshlrev_b32 v9, 16, v11
	s_delay_alu instid0(VALU_DEP_1) | instskip(NEXT) | instid1(VALU_DEP_1)
	v_fmac_f32_e32 v38, v61, v8
	v_fmac_f32_e32 v38, v57, v9
	s_branch .LBB553_18
.LBB553_27:                             ;   in Loop: Header=BB553_5 Depth=1
	s_or_b32 exec_lo, exec_lo, s9
.LBB553_28:                             ;   in Loop: Header=BB553_5 Depth=1
	s_wait_alu 0xfffe
	s_or_b32 exec_lo, exec_lo, s8
	s_delay_alu instid0(SALU_CYCLE_1)
	s_and_not1_b32 vcc_lo, exec_lo, s51
	s_wait_alu 0xfffe
	s_cbranch_vccnz .LBB553_46
; %bb.29:                               ;   in Loop: Header=BB553_5 Depth=1
	v_cmp_gt_i32_e32 vcc_lo, s37, v39
	v_dual_mov_b32 v41, 0 :: v_dual_mov_b32 v40, 0
	v_or_b32_e32 v8, 1, v39
	v_dual_mov_b32 v43, 0 :: v_dual_mov_b32 v42, 0
	s_and_saveexec_b32 s53, vcc_lo
	s_cbranch_execz .LBB553_37
; %bb.30:                               ;   in Loop: Header=BB553_5 Depth=1
	v_mad_co_u64_u32 v[9:10], null, s20, v39, 0
	s_mul_u64 s[8:9], s[22:23], s[34:35]
	v_dual_mov_b32 v42, 0 :: v_dual_mov_b32 v41, 0
	s_wait_alu 0xfffe
	s_lshl_b64 s[8:9], s[8:9], 1
	v_mov_b32_e32 v40, 0
	s_wait_alu 0xfffe
	s_add_nc_u64 s[8:9], s[26:27], s[8:9]
	v_mad_co_u64_u32 v[10:11], null, s21, v39, v[10:11]
	s_mov_b32 s54, exec_lo
	v_lshlrev_b64_e32 v[9:10], 1, v[9:10]
	s_wait_alu 0xfffe
	s_delay_alu instid0(VALU_DEP_1) | instskip(SKIP_1) | instid1(VALU_DEP_2)
	v_add_co_u32 v9, s7, s8, v9
	s_wait_alu 0xf1ff
	v_add_co_ci_u32_e64 v10, null, s9, v10, s7
	global_load_u16 v9, v[9:10], off
	v_cmpx_gt_i32_e64 s37, v8
	s_cbranch_execz .LBB553_36
; %bb.31:                               ;   in Loop: Header=BB553_5 Depth=1
	v_mad_co_u64_u32 v[10:11], null, s20, v8, 0
	v_dual_mov_b32 v40, 0 :: v_dual_mov_b32 v41, 0
	s_mov_b32 s55, exec_lo
	s_delay_alu instid0(VALU_DEP_2) | instskip(NEXT) | instid1(VALU_DEP_1)
	v_mad_co_u64_u32 v[11:12], null, s21, v8, v[11:12]
	v_lshlrev_b64_e32 v[10:11], 1, v[10:11]
	s_delay_alu instid0(VALU_DEP_1) | instskip(SKIP_1) | instid1(VALU_DEP_2)
	v_add_co_u32 v10, s7, s8, v10
	s_wait_alu 0xf1ff
	v_add_co_ci_u32_e64 v11, null, s9, v11, s7
	global_load_u16 v10, v[10:11], off
	v_or_b32_e32 v11, 2, v39
	s_delay_alu instid0(VALU_DEP_1)
	v_cmpx_gt_i32_e64 s37, v11
	s_cbranch_execz .LBB553_35
; %bb.32:                               ;   in Loop: Header=BB553_5 Depth=1
	v_mad_co_u64_u32 v[12:13], null, s20, v11, 0
	v_mov_b32_e32 v40, 0
	s_mov_b32 s56, exec_lo
	s_delay_alu instid0(VALU_DEP_2) | instskip(NEXT) | instid1(VALU_DEP_1)
	v_mad_co_u64_u32 v[13:14], null, s21, v11, v[13:14]
	v_lshlrev_b64_e32 v[11:12], 1, v[12:13]
	s_delay_alu instid0(VALU_DEP_1) | instskip(SKIP_1) | instid1(VALU_DEP_2)
	v_add_co_u32 v11, s7, s8, v11
	s_wait_alu 0xf1ff
	v_add_co_ci_u32_e64 v12, null, s9, v12, s7
	global_load_u16 v11, v[11:12], off
	v_or_b32_e32 v12, 3, v39
	s_delay_alu instid0(VALU_DEP_1)
	v_cmpx_gt_i32_e64 s37, v12
	s_cbranch_execz .LBB553_34
; %bb.33:                               ;   in Loop: Header=BB553_5 Depth=1
	v_mad_co_u64_u32 v[13:14], null, s20, v12, 0
	s_delay_alu instid0(VALU_DEP_1) | instskip(NEXT) | instid1(VALU_DEP_1)
	v_mad_co_u64_u32 v[14:15], null, s21, v12, v[14:15]
	v_lshlrev_b64_e32 v[12:13], 1, v[13:14]
	s_delay_alu instid0(VALU_DEP_1) | instskip(SKIP_1) | instid1(VALU_DEP_2)
	v_add_co_u32 v12, s7, s8, v12
	s_wait_alu 0xf1ff
	v_add_co_ci_u32_e64 v13, null, s9, v13, s7
	global_load_u16 v12, v[12:13], off
	s_wait_loadcnt 0x0
	v_lshlrev_b32_e32 v40, 16, v12
.LBB553_34:                             ;   in Loop: Header=BB553_5 Depth=1
	s_wait_alu 0xfffe
	s_or_b32 exec_lo, exec_lo, s56
	s_wait_loadcnt 0x0
	v_lshlrev_b32_e32 v41, 16, v11
.LBB553_35:                             ;   in Loop: Header=BB553_5 Depth=1
	s_wait_alu 0xfffe
	s_or_b32 exec_lo, exec_lo, s55
	s_wait_loadcnt 0x0
	v_lshlrev_b32_e32 v42, 16, v10
.LBB553_36:                             ;   in Loop: Header=BB553_5 Depth=1
	s_or_b32 exec_lo, exec_lo, s54
	s_wait_loadcnt 0x0
	v_lshlrev_b32_e32 v43, 16, v9
.LBB553_37:                             ;   in Loop: Header=BB553_5 Depth=1
	s_or_b32 exec_lo, exec_lo, s53
	s_and_saveexec_b32 s9, s1
	s_cbranch_execz .LBB553_45
; %bb.38:                               ;   in Loop: Header=BB553_5 Depth=1
	v_mad_co_u64_u32 v[9:10], null, s12, v39, 0
	v_mad_co_u64_u32 v[11:12], null, s12, v8, 0
	v_or_b32_e32 v48, 2, v39
	v_or_b32_e32 v49, 3, v39
	s_mul_u64 s[54:55], s[14:15], s[34:35]
	s_wait_alu 0xfffe
	s_lshl_b64 s[54:55], s[54:55], 1
	v_cmp_gt_i32_e64 s7, s37, v48
	s_delay_alu instid0(VALU_DEP_4) | instskip(SKIP_4) | instid1(VALU_DEP_2)
	v_mad_co_u64_u32 v[13:14], null, s13, v39, v[10:11]
	v_mad_co_u64_u32 v[14:15], null, s12, v48, 0
	v_mad_co_u64_u32 v[44:45], null, s12, v49, 0
	s_wait_alu 0xfffe
	s_add_nc_u64 s[54:55], s[18:19], s[54:55]
	v_dual_cndmask_b32 v10, 0, v13 :: v_dual_mov_b32 v13, v15
	s_delay_alu instid0(VALU_DEP_2) | instskip(NEXT) | instid1(VALU_DEP_2)
	v_mov_b32_e32 v15, v45
	v_mad_co_u64_u32 v[46:47], null, s13, v8, v[12:13]
	v_cndmask_b32_e32 v9, 0, v9, vcc_lo
	v_cmp_gt_i32_e32 vcc_lo, s37, v8
	s_wait_alu 0xfffd
	s_delay_alu instid0(VALU_DEP_3) | instskip(NEXT) | instid1(VALU_DEP_3)
	v_dual_cndmask_b32 v11, 0, v11 :: v_dual_cndmask_b32 v12, 0, v46
	v_lshlrev_b64_e32 v[9:10], 1, v[9:10]
	s_wait_alu 0xfffe
	s_delay_alu instid0(VALU_DEP_1) | instskip(SKIP_1) | instid1(VALU_DEP_2)
	v_add_co_u32 v8, s8, s54, v9
	s_wait_alu 0xf1ff
	v_add_co_ci_u32_e64 v9, null, s55, v10, s8
	v_lshlrev_b64_e32 v[10:11], 1, v[11:12]
	s_delay_alu instid0(VALU_DEP_3) | instskip(SKIP_1) | instid1(VALU_DEP_3)
	v_add_co_u32 v8, vcc_lo, v8, v4
	s_wait_alu 0xfffd
	v_add_co_ci_u32_e64 v9, null, v9, v5, vcc_lo
	v_cmp_gt_i32_e32 vcc_lo, s37, v49
	v_cndmask_b32_e64 v12, 0, v14, s7
	s_wait_alu 0xfffd
	v_cndmask_b32_e32 v44, 0, v44, vcc_lo
	v_mad_co_u64_u32 v[47:48], null, s13, v48, v[13:14]
	v_mad_co_u64_u32 v[14:15], null, s13, v49, v[15:16]
	s_delay_alu instid0(VALU_DEP_2) | instskip(SKIP_1) | instid1(VALU_DEP_3)
	v_cndmask_b32_e64 v13, 0, v47, s7
	v_add_co_u32 v10, s7, s54, v10
	v_cndmask_b32_e32 v45, 0, v14, vcc_lo
	s_wait_alu 0xf1ff
	v_add_co_ci_u32_e64 v11, null, s55, v11, s7
	v_lshlrev_b64_e32 v[12:13], 1, v[12:13]
	v_add_co_u32 v10, vcc_lo, v10, v4
	v_lshlrev_b64_e32 v[14:15], 1, v[44:45]
	s_wait_alu 0xfffd
	v_add_co_ci_u32_e64 v11, null, v11, v5, vcc_lo
	s_delay_alu instid0(VALU_DEP_4)
	v_add_co_u32 v12, vcc_lo, s54, v12
	s_wait_alu 0xfffd
	v_add_co_ci_u32_e64 v13, null, s55, v13, vcc_lo
	v_add_co_u32 v14, vcc_lo, s54, v14
	s_wait_alu 0xfffd
	v_add_co_ci_u32_e64 v15, null, s55, v15, vcc_lo
	;; [unrolled: 3-line block ×4, first 2 shown]
	s_clause 0x3
	global_load_u16 v46, v[8:9], off
	global_load_u16 v45, v[10:11], off
	;; [unrolled: 1-line block ×4, first 2 shown]
	s_and_saveexec_b32 s7, s2
	s_cbranch_execz .LBB553_44
; %bb.39:                               ;   in Loop: Header=BB553_5 Depth=1
	s_clause 0x3
	global_load_u16 v50, v[8:9], off offset:128
	global_load_u16 v49, v[10:11], off offset:128
	global_load_u16 v48, v[12:13], off offset:128
	global_load_u16 v47, v[14:15], off offset:128
	s_and_saveexec_b32 s8, s3
	s_cbranch_execz .LBB553_43
; %bb.40:                               ;   in Loop: Header=BB553_5 Depth=1
	s_clause 0x3
	global_load_u16 v54, v[8:9], off offset:256
	global_load_u16 v53, v[10:11], off offset:256
	global_load_u16 v52, v[12:13], off offset:256
	global_load_u16 v51, v[14:15], off offset:256
	;; [unrolled: 8-line block ×3, first 2 shown]
	s_wait_loadcnt 0x3
	v_lshlrev_b32_e32 v8, 16, v8
	s_wait_loadcnt 0x2
	s_delay_alu instid0(VALU_DEP_1) | instskip(SKIP_3) | instid1(VALU_DEP_2)
	v_dual_fmac_f32 v38, v43, v8 :: v_dual_lshlrev_b32 v9, 16, v9
	s_wait_loadcnt 0x1
	v_lshlrev_b32_e32 v8, 16, v10
	s_wait_loadcnt 0x0
	v_dual_fmac_f32 v38, v42, v9 :: v_dual_lshlrev_b32 v9, 16, v11
	s_delay_alu instid0(VALU_DEP_1) | instskip(NEXT) | instid1(VALU_DEP_1)
	v_fmac_f32_e32 v38, v41, v8
	v_fmac_f32_e32 v38, v40, v9
.LBB553_42:                             ;   in Loop: Header=BB553_5 Depth=1
	s_or_b32 exec_lo, exec_lo, s53
	s_wait_loadcnt 0x2
	v_lshlrev_b32_e32 v9, 16, v53
	v_lshlrev_b32_e32 v8, 16, v54
	s_delay_alu instid0(VALU_DEP_1) | instskip(SKIP_1) | instid1(VALU_DEP_1)
	v_fmac_f32_e32 v37, v43, v8
	s_wait_loadcnt 0x1
	v_dual_fmac_f32 v37, v42, v9 :: v_dual_lshlrev_b32 v8, 16, v52
	s_wait_loadcnt 0x0
	s_delay_alu instid0(VALU_DEP_1) | instskip(NEXT) | instid1(VALU_DEP_1)
	v_dual_fmac_f32 v37, v41, v8 :: v_dual_lshlrev_b32 v8, 16, v51
	v_fmac_f32_e32 v37, v40, v8
.LBB553_43:                             ;   in Loop: Header=BB553_5 Depth=1
	s_wait_alu 0xfffe
	s_or_b32 exec_lo, exec_lo, s8
	s_wait_loadcnt 0x3
	v_lshlrev_b32_e32 v8, 16, v50
	s_wait_loadcnt 0x2
	s_delay_alu instid0(VALU_DEP_1) | instskip(SKIP_2) | instid1(VALU_DEP_2)
	v_dual_fmac_f32 v36, v43, v8 :: v_dual_lshlrev_b32 v9, 16, v49
	s_wait_loadcnt 0x1
	v_lshlrev_b32_e32 v8, 16, v48
	v_fmac_f32_e32 v36, v42, v9
	s_delay_alu instid0(VALU_DEP_1) | instskip(SKIP_2) | instid1(VALU_DEP_1)
	v_fmac_f32_e32 v36, v41, v8
	s_wait_loadcnt 0x0
	v_lshlrev_b32_e32 v8, 16, v47
	v_fmac_f32_e32 v36, v40, v8
.LBB553_44:                             ;   in Loop: Header=BB553_5 Depth=1
	s_wait_alu 0xfffe
	s_or_b32 exec_lo, exec_lo, s7
	s_wait_loadcnt 0x2
	v_lshlrev_b32_e32 v9, 16, v45
	v_lshlrev_b32_e32 v8, 16, v46
	s_delay_alu instid0(VALU_DEP_1) | instskip(SKIP_1) | instid1(VALU_DEP_1)
	v_fmac_f32_e32 v35, v43, v8
	s_wait_loadcnt 0x1
	v_dual_fmac_f32 v35, v42, v9 :: v_dual_lshlrev_b32 v8, 16, v44
	s_wait_loadcnt 0x0
	s_delay_alu instid0(VALU_DEP_1) | instskip(NEXT) | instid1(VALU_DEP_1)
	v_dual_fmac_f32 v35, v41, v8 :: v_dual_lshlrev_b32 v8, 16, v39
	v_fmac_f32_e32 v35, v40, v8
.LBB553_45:                             ;   in Loop: Header=BB553_5 Depth=1
	s_wait_alu 0xfffe
	s_or_b32 exec_lo, exec_lo, s9
.LBB553_46:                             ;   in Loop: Header=BB553_5 Depth=1
	ds_store_2addr_stride64_b32 v17, v35, v36 offset1:1
	ds_store_2addr_stride64_b32 v17, v37, v38 offset0:2 offset1:3
	s_wait_dscnt 0x0
	s_barrier_signal -1
	s_barrier_wait -1
	global_inv scope:SCOPE_SE
                                        ; implicit-def: $vgpr10
	s_and_saveexec_b32 s7, s0
	s_cbranch_execz .LBB553_66
; %bb.47:                               ;   in Loop: Header=BB553_5 Depth=1
	ds_load_2addr_stride64_b32 v[8:9], v18 offset1:4
	ds_load_2addr_stride64_b32 v[10:11], v18 offset0:8 offset1:12
	ds_load_2addr_stride64_b32 v[12:13], v18 offset0:16 offset1:20
	s_mov_b32 s9, s52
	s_wait_dscnt 0x2
	v_add_f32_e32 v14, v8, v9
	ds_load_2addr_stride64_b32 v[8:9], v18 offset0:24 offset1:28
	s_wait_dscnt 0x2
	v_add_f32_e32 v10, v10, v14
	s_delay_alu instid0(VALU_DEP_1) | instskip(SKIP_3) | instid1(VALU_DEP_1)
	v_add_f32_e32 v14, v11, v10
	ds_load_2addr_stride64_b32 v[10:11], v18 offset0:32 offset1:36
	s_wait_dscnt 0x2
	v_add_f32_e32 v12, v12, v14
	v_add_f32_e32 v14, v13, v12
	ds_load_2addr_stride64_b32 v[12:13], v18 offset0:40 offset1:44
	s_wait_dscnt 0x2
	v_add_f32_e32 v8, v8, v14
	s_delay_alu instid0(VALU_DEP_1) | instskip(SKIP_1) | instid1(VALU_DEP_1)
	v_add_f32_e32 v8, v9, v8
	s_wait_dscnt 0x1
	v_add_f32_e32 v10, v10, v8
	ds_load_2addr_stride64_b32 v[8:9], v18 offset0:48 offset1:52
	v_add_f32_e32 v10, v11, v10
	s_wait_dscnt 0x1
	s_delay_alu instid0(VALU_DEP_1) | instskip(SKIP_3) | instid1(VALU_DEP_1)
	v_add_f32_e32 v12, v12, v10
	ds_load_2addr_stride64_b32 v[10:11], v18 offset0:56 offset1:60
	v_add_f32_e32 v12, v13, v12
	s_wait_dscnt 0x1
	v_add_f32_e32 v8, v8, v12
	s_delay_alu instid0(VALU_DEP_1) | instskip(SKIP_1) | instid1(VALU_DEP_1)
	v_add_f32_e32 v8, v9, v8
	s_wait_dscnt 0x0
	v_add_f32_e32 v8, v10, v8
                                        ; implicit-def: $vgpr10
	s_delay_alu instid0(VALU_DEP_1)
	v_add_f32_e32 v8, v11, v8
	ds_store_b32 v18, v8
	s_and_saveexec_b32 s8, s6
	s_cbranch_execz .LBB553_65
; %bb.48:                               ;   in Loop: Header=BB553_5 Depth=1
	v_mul_f32_e32 v8, s38, v8
	s_and_b32 vcc_lo, exec_lo, s49
	s_mov_b32 s9, -1
                                        ; implicit-def: $vgpr9
	s_wait_alu 0xfffe
	s_cbranch_vccz .LBB553_54
; %bb.49:                               ;   in Loop: Header=BB553_5 Depth=1
	v_and_b32_e32 v9, 0x7f800000, v8
	s_delay_alu instid0(VALU_DEP_1)
	v_cmp_ne_u32_e32 vcc_lo, 0x7f800000, v9
                                        ; implicit-def: $vgpr9
	s_and_saveexec_b32 s9, vcc_lo
	s_wait_alu 0xfffe
	s_xor_b32 s9, exec_lo, s9
; %bb.50:                               ;   in Loop: Header=BB553_5 Depth=1
	v_bfe_u32 v9, v8, 16, 1
	s_delay_alu instid0(VALU_DEP_1)
	v_add3_u32 v9, v8, v9, 0x7fff
; %bb.51:                               ;   in Loop: Header=BB553_5 Depth=1
	s_wait_alu 0xfffe
	s_and_not1_saveexec_b32 s9, s9
; %bb.52:                               ;   in Loop: Header=BB553_5 Depth=1
	v_and_b32_e32 v9, 0xffff, v8
	v_or_b32_e32 v10, 0x10000, v8
	s_delay_alu instid0(VALU_DEP_2) | instskip(SKIP_1) | instid1(VALU_DEP_2)
	v_cmp_eq_u32_e32 vcc_lo, 0, v9
	s_wait_alu 0xfffd
	v_cndmask_b32_e32 v9, v10, v8, vcc_lo
; %bb.53:                               ;   in Loop: Header=BB553_5 Depth=1
	s_wait_alu 0xfffe
	s_or_b32 exec_lo, exec_lo, s9
	s_mov_b32 s9, 0
.LBB553_54:                             ;   in Loop: Header=BB553_5 Depth=1
	s_wait_alu 0xfffe
	s_and_not1_b32 vcc_lo, exec_lo, s9
	s_wait_alu 0xfffe
	s_cbranch_vccnz .LBB553_64
; %bb.55:                               ;   in Loop: Header=BB553_5 Depth=1
	v_lshlrev_b64_e32 v[9:10], 1, v[2:3]
	s_delay_alu instid0(VALU_DEP_1) | instskip(SKIP_1) | instid1(VALU_DEP_2)
	v_add_co_u32 v9, vcc_lo, s44, v9
	s_wait_alu 0xfffd
	v_add_co_ci_u32_e64 v10, null, s45, v10, vcc_lo
	global_load_u16 v9, v[9:10], off
	s_wait_loadcnt 0x0
	v_lshlrev_b32_e32 v9, 16, v9
	s_delay_alu instid0(VALU_DEP_1) | instskip(NEXT) | instid1(VALU_DEP_1)
	v_mul_f32_e32 v9, s39, v9
	v_and_b32_e32 v10, 0x7f800000, v9
	s_delay_alu instid0(VALU_DEP_1)
	v_cmp_ne_u32_e32 vcc_lo, 0x7f800000, v10
                                        ; implicit-def: $vgpr10
	s_and_saveexec_b32 s9, vcc_lo
	s_wait_alu 0xfffe
	s_xor_b32 s9, exec_lo, s9
; %bb.56:                               ;   in Loop: Header=BB553_5 Depth=1
	v_bfe_u32 v10, v9, 16, 1
	s_delay_alu instid0(VALU_DEP_1)
	v_add3_u32 v10, v9, v10, 0x7fff
                                        ; implicit-def: $vgpr9
; %bb.57:                               ;   in Loop: Header=BB553_5 Depth=1
	s_wait_alu 0xfffe
	s_and_not1_saveexec_b32 s9, s9
; %bb.58:                               ;   in Loop: Header=BB553_5 Depth=1
	v_and_b32_e32 v10, 0xffff, v9
	v_or_b32_e32 v11, 0x10000, v9
	s_delay_alu instid0(VALU_DEP_2) | instskip(SKIP_1) | instid1(VALU_DEP_2)
	v_cmp_eq_u32_e32 vcc_lo, 0, v10
	s_wait_alu 0xfffd
	v_cndmask_b32_e32 v10, v11, v9, vcc_lo
; %bb.59:                               ;   in Loop: Header=BB553_5 Depth=1
	s_wait_alu 0xfffe
	s_or_b32 exec_lo, exec_lo, s9
	s_delay_alu instid0(VALU_DEP_1) | instskip(NEXT) | instid1(VALU_DEP_1)
	v_and_b32_e32 v9, 0xffff0000, v10
	v_add_f32_e32 v8, v8, v9
	s_delay_alu instid0(VALU_DEP_1) | instskip(NEXT) | instid1(VALU_DEP_1)
	v_and_b32_e32 v9, 0x7f800000, v8
	v_cmp_ne_u32_e32 vcc_lo, 0x7f800000, v9
                                        ; implicit-def: $vgpr9
	s_and_saveexec_b32 s9, vcc_lo
	s_wait_alu 0xfffe
	s_xor_b32 s9, exec_lo, s9
; %bb.60:                               ;   in Loop: Header=BB553_5 Depth=1
	v_bfe_u32 v9, v8, 16, 1
	s_delay_alu instid0(VALU_DEP_1)
	v_add3_u32 v9, v8, v9, 0x7fff
                                        ; implicit-def: $vgpr8
; %bb.61:                               ;   in Loop: Header=BB553_5 Depth=1
	s_wait_alu 0xfffe
	s_and_not1_saveexec_b32 s9, s9
; %bb.62:                               ;   in Loop: Header=BB553_5 Depth=1
	v_and_b32_e32 v9, 0xffff, v8
	v_or_b32_e32 v10, 0x10000, v8
	s_delay_alu instid0(VALU_DEP_2) | instskip(SKIP_1) | instid1(VALU_DEP_2)
	v_cmp_eq_u32_e32 vcc_lo, 0, v9
	s_wait_alu 0xfffd
	v_cndmask_b32_e32 v9, v10, v8, vcc_lo
; %bb.63:                               ;   in Loop: Header=BB553_5 Depth=1
	s_wait_alu 0xfffe
	s_or_b32 exec_lo, exec_lo, s9
.LBB553_64:                             ;   in Loop: Header=BB553_5 Depth=1
	s_delay_alu instid0(VALU_DEP_1)
	v_lshrrev_b32_e32 v10, 16, v9
	s_or_b32 s9, s52, exec_lo
.LBB553_65:                             ;   in Loop: Header=BB553_5 Depth=1
	s_wait_alu 0xfffe
	s_or_b32 exec_lo, exec_lo, s8
	s_delay_alu instid0(SALU_CYCLE_1)
	s_and_not1_b32 s8, s52, exec_lo
	s_and_b32 s9, s9, exec_lo
	s_wait_alu 0xfffe
	s_or_b32 s52, s8, s9
.LBB553_66:                             ;   in Loop: Header=BB553_5 Depth=1
	s_wait_alu 0xfffe
	s_or_b32 exec_lo, exec_lo, s7
	v_dual_mov_b32 v9, v3 :: v_dual_mov_b32 v8, v2
	s_and_saveexec_b32 s7, s52
	s_cbranch_execz .LBB553_3
	s_branch .LBB553_69
.LBB553_67:                             ;   in Loop: Header=BB553_5 Depth=1
	v_mov_b32_e32 v10, 0
	s_mov_b32 s52, exec_lo
	s_or_b32 exec_lo, exec_lo, s8
	s_delay_alu instid0(SALU_CYCLE_1)
	s_and_b32 vcc_lo, exec_lo, s7
	s_wait_alu 0xfffe
	s_cbranch_vccnz .LBB553_16
.LBB553_68:                             ;   in Loop: Header=BB553_5 Depth=1
	v_dual_mov_b32 v9, v1 :: v_dual_mov_b32 v8, v0
	s_and_saveexec_b32 s7, s52
	s_cbranch_execz .LBB553_3
.LBB553_69:                             ;   in Loop: Header=BB553_5 Depth=1
	s_delay_alu instid0(VALU_DEP_1) | instskip(SKIP_1) | instid1(VALU_DEP_1)
	v_lshlrev_b64_e32 v[8:9], 1, v[8:9]
	s_wait_alu 0xfffe
	v_add_co_u32 v8, vcc_lo, s44, v8
	s_wait_alu 0xfffd
	s_delay_alu instid0(VALU_DEP_2)
	v_add_co_ci_u32_e64 v9, null, s45, v9, vcc_lo
	global_store_b16 v[8:9], v10, off
	s_branch .LBB553_3
.LBB553_70:
	s_endpgm
	.section	.rodata,"a",@progbits
	.p2align	6, 0x0
	.amdhsa_kernel _ZL20rocblas_gemvn_kernelILi64ELi16El16rocblas_bfloat16fS0_EviiT3_lPKT2_lT1_lS4_lS5_lS1_lPT4_lS5_li
		.amdhsa_group_segment_fixed_size 16384
		.amdhsa_private_segment_fixed_size 0
		.amdhsa_kernarg_size 400
		.amdhsa_user_sgpr_count 2
		.amdhsa_user_sgpr_dispatch_ptr 0
		.amdhsa_user_sgpr_queue_ptr 0
		.amdhsa_user_sgpr_kernarg_segment_ptr 1
		.amdhsa_user_sgpr_dispatch_id 0
		.amdhsa_user_sgpr_private_segment_size 0
		.amdhsa_wavefront_size32 1
		.amdhsa_uses_dynamic_stack 0
		.amdhsa_enable_private_segment 0
		.amdhsa_system_sgpr_workgroup_id_x 1
		.amdhsa_system_sgpr_workgroup_id_y 0
		.amdhsa_system_sgpr_workgroup_id_z 1
		.amdhsa_system_sgpr_workgroup_info 0
		.amdhsa_system_vgpr_workitem_id 1
		.amdhsa_next_free_vgpr 72
		.amdhsa_next_free_sgpr 58
		.amdhsa_reserve_vcc 1
		.amdhsa_float_round_mode_32 0
		.amdhsa_float_round_mode_16_64 0
		.amdhsa_float_denorm_mode_32 3
		.amdhsa_float_denorm_mode_16_64 3
		.amdhsa_fp16_overflow 0
		.amdhsa_workgroup_processor_mode 1
		.amdhsa_memory_ordered 1
		.amdhsa_forward_progress 1
		.amdhsa_inst_pref_size 36
		.amdhsa_round_robin_scheduling 0
		.amdhsa_exception_fp_ieee_invalid_op 0
		.amdhsa_exception_fp_denorm_src 0
		.amdhsa_exception_fp_ieee_div_zero 0
		.amdhsa_exception_fp_ieee_overflow 0
		.amdhsa_exception_fp_ieee_underflow 0
		.amdhsa_exception_fp_ieee_inexact 0
		.amdhsa_exception_int_div_zero 0
	.end_amdhsa_kernel
	.section	.text._ZL20rocblas_gemvn_kernelILi64ELi16El16rocblas_bfloat16fS0_EviiT3_lPKT2_lT1_lS4_lS5_lS1_lPT4_lS5_li,"axG",@progbits,_ZL20rocblas_gemvn_kernelILi64ELi16El16rocblas_bfloat16fS0_EviiT3_lPKT2_lT1_lS4_lS5_lS1_lPT4_lS5_li,comdat
.Lfunc_end553:
	.size	_ZL20rocblas_gemvn_kernelILi64ELi16El16rocblas_bfloat16fS0_EviiT3_lPKT2_lT1_lS4_lS5_lS1_lPT4_lS5_li, .Lfunc_end553-_ZL20rocblas_gemvn_kernelILi64ELi16El16rocblas_bfloat16fS0_EviiT3_lPKT2_lT1_lS4_lS5_lS1_lPT4_lS5_li
                                        ; -- End function
	.set _ZL20rocblas_gemvn_kernelILi64ELi16El16rocblas_bfloat16fS0_EviiT3_lPKT2_lT1_lS4_lS5_lS1_lPT4_lS5_li.num_vgpr, 72
	.set _ZL20rocblas_gemvn_kernelILi64ELi16El16rocblas_bfloat16fS0_EviiT3_lPKT2_lT1_lS4_lS5_lS1_lPT4_lS5_li.num_agpr, 0
	.set _ZL20rocblas_gemvn_kernelILi64ELi16El16rocblas_bfloat16fS0_EviiT3_lPKT2_lT1_lS4_lS5_lS1_lPT4_lS5_li.numbered_sgpr, 58
	.set _ZL20rocblas_gemvn_kernelILi64ELi16El16rocblas_bfloat16fS0_EviiT3_lPKT2_lT1_lS4_lS5_lS1_lPT4_lS5_li.num_named_barrier, 0
	.set _ZL20rocblas_gemvn_kernelILi64ELi16El16rocblas_bfloat16fS0_EviiT3_lPKT2_lT1_lS4_lS5_lS1_lPT4_lS5_li.private_seg_size, 0
	.set _ZL20rocblas_gemvn_kernelILi64ELi16El16rocblas_bfloat16fS0_EviiT3_lPKT2_lT1_lS4_lS5_lS1_lPT4_lS5_li.uses_vcc, 1
	.set _ZL20rocblas_gemvn_kernelILi64ELi16El16rocblas_bfloat16fS0_EviiT3_lPKT2_lT1_lS4_lS5_lS1_lPT4_lS5_li.uses_flat_scratch, 0
	.set _ZL20rocblas_gemvn_kernelILi64ELi16El16rocblas_bfloat16fS0_EviiT3_lPKT2_lT1_lS4_lS5_lS1_lPT4_lS5_li.has_dyn_sized_stack, 0
	.set _ZL20rocblas_gemvn_kernelILi64ELi16El16rocblas_bfloat16fS0_EviiT3_lPKT2_lT1_lS4_lS5_lS1_lPT4_lS5_li.has_recursion, 0
	.set _ZL20rocblas_gemvn_kernelILi64ELi16El16rocblas_bfloat16fS0_EviiT3_lPKT2_lT1_lS4_lS5_lS1_lPT4_lS5_li.has_indirect_call, 0
	.section	.AMDGPU.csdata,"",@progbits
; Kernel info:
; codeLenInByte = 4492
; TotalNumSgprs: 60
; NumVgprs: 72
; ScratchSize: 0
; MemoryBound: 0
; FloatMode: 240
; IeeeMode: 1
; LDSByteSize: 16384 bytes/workgroup (compile time only)
; SGPRBlocks: 0
; VGPRBlocks: 8
; NumSGPRsForWavesPerEU: 60
; NumVGPRsForWavesPerEU: 72
; Occupancy: 16
; WaveLimiterHint : 1
; COMPUTE_PGM_RSRC2:SCRATCH_EN: 0
; COMPUTE_PGM_RSRC2:USER_SGPR: 2
; COMPUTE_PGM_RSRC2:TRAP_HANDLER: 0
; COMPUTE_PGM_RSRC2:TGID_X_EN: 1
; COMPUTE_PGM_RSRC2:TGID_Y_EN: 0
; COMPUTE_PGM_RSRC2:TGID_Z_EN: 1
; COMPUTE_PGM_RSRC2:TIDIG_COMP_CNT: 1
	.section	.text._ZL22rocblas_gemvtsm_kernelILb0ELi256E16rocblas_bfloat16PKfS0_EviiT2_lPKT1_lilS6_lilS3_lPT3_lil,"axG",@progbits,_ZL22rocblas_gemvtsm_kernelILb0ELi256E16rocblas_bfloat16PKfS0_EviiT2_lPKT1_lilS6_lilS3_lPT3_lil,comdat
	.globl	_ZL22rocblas_gemvtsm_kernelILb0ELi256E16rocblas_bfloat16PKfS0_EviiT2_lPKT1_lilS6_lilS3_lPT3_lil ; -- Begin function _ZL22rocblas_gemvtsm_kernelILb0ELi256E16rocblas_bfloat16PKfS0_EviiT2_lPKT1_lilS6_lilS3_lPT3_lil
	.p2align	8
	.type	_ZL22rocblas_gemvtsm_kernelILb0ELi256E16rocblas_bfloat16PKfS0_EviiT2_lPKT1_lilS6_lilS3_lPT3_lil,@function
_ZL22rocblas_gemvtsm_kernelILb0ELi256E16rocblas_bfloat16PKfS0_EviiT2_lPKT1_lilS6_lilS3_lPT3_lil: ; @_ZL22rocblas_gemvtsm_kernelILb0ELi256E16rocblas_bfloat16PKfS0_EviiT2_lPKT1_lilS6_lilS3_lPT3_lil
; %bb.0:
	s_clause 0x1
	s_load_b256 s[4:11], s[0:1], 0x8
	s_load_b256 s[12:19], s[0:1], 0x50
	s_mov_b32 s24, ttmp9
	s_mov_b32 s25, 0
	s_wait_kmcnt 0x0
	s_mul_u64 s[2:3], s[6:7], s[24:25]
	s_delay_alu instid0(SALU_CYCLE_1) | instskip(NEXT) | instid1(SALU_CYCLE_1)
	s_lshl_b64 s[2:3], s[2:3], 2
	s_add_nc_u64 s[2:3], s[4:5], s[2:3]
	s_mul_u64 s[4:5], s[16:17], s[24:25]
	s_load_b32 s26, s[2:3], 0x0
	s_lshl_b64 s[2:3], s[4:5], 2
	s_delay_alu instid0(SALU_CYCLE_1)
	s_add_nc_u64 s[2:3], s[14:15], s[2:3]
	s_load_b32 s23, s[2:3], 0x0
	s_wait_kmcnt 0x0
	s_cmp_eq_f32 s26, 0
	s_cselect_b32 s2, -1, 0
	s_cmp_eq_f32 s23, 1.0
	s_cselect_b32 s3, -1, 0
	s_delay_alu instid0(SALU_CYCLE_1) | instskip(NEXT) | instid1(SALU_CYCLE_1)
	s_and_b32 s2, s2, s3
	s_and_b32 vcc_lo, exec_lo, s2
	s_cbranch_vccnz .LBB554_70
; %bb.1:
	s_clause 0x2
	s_load_b64 s[4:5], s[0:1], 0x80
	s_load_b96 s[20:22], s[0:1], 0x70
	s_load_b64 s[2:3], s[0:1], 0x0
	s_cmp_neq_f32 s26, 0
	s_wait_kmcnt 0x0
	s_mul_u64 s[14:15], s[4:5], s[24:25]
	s_cbranch_scc1 .LBB554_9
; %bb.2:
	s_cmp_gt_i32 s3, 0
	s_cselect_b32 s6, -1, 0
	s_cmp_neq_f32 s23, 0
	v_cndmask_b32_e64 v1, 0, 1, s6
	s_delay_alu instid0(VALU_DEP_1)
	v_cmp_ne_u32_e32 vcc_lo, 1, v1
	s_cbranch_scc1 .LBB554_10
; %bb.3:
	s_and_b32 vcc_lo, exec_lo, vcc_lo
	s_cbranch_vccnz .LBB554_8
; %bb.4:
	v_mad_co_i64_i32 v[1:2], null, s22, v0, 0
	s_lshl_b64 s[16:17], s[20:21], 1
	s_lshl_b64 s[28:29], s[14:15], 1
	s_add_nc_u64 s[16:17], s[18:19], s[16:17]
	v_mov_b32_e32 v3, 0
	s_add_nc_u64 s[16:17], s[16:17], s[28:29]
	s_ashr_i32 s5, s22, 31
	v_lshlrev_b64_e32 v[1:2], 1, v[1:2]
	s_mov_b32 s4, s22
	s_mov_b32 s7, 0
	s_lshl_b64 s[4:5], s[4:5], 9
	s_delay_alu instid0(VALU_DEP_1) | instskip(NEXT) | instid1(VALU_DEP_1)
	v_add_co_u32 v1, vcc_lo, s16, v1
	v_add_co_ci_u32_e64 v2, null, s17, v2, vcc_lo
	s_branch .LBB554_6
.LBB554_5:                              ;   in Loop: Header=BB554_6 Depth=1
	s_wait_alu 0xfffe
	s_or_b32 exec_lo, exec_lo, s16
	v_add_co_u32 v1, vcc_lo, v1, s4
	s_wait_alu 0xfffd
	v_add_co_ci_u32_e64 v2, null, s5, v2, vcc_lo
	s_addk_co_i32 s7, 0x100
	s_wait_alu 0xfffe
	s_cmp_ge_i32 s7, s3
	s_cbranch_scc1 .LBB554_8
.LBB554_6:                              ; =>This Inner Loop Header: Depth=1
	s_wait_alu 0xfffe
	v_add_nc_u32_e32 v4, s7, v0
	s_mov_b32 s16, exec_lo
	s_delay_alu instid0(VALU_DEP_1)
	v_cmpx_gt_i32_e64 s3, v4
	s_cbranch_execz .LBB554_5
; %bb.7:                                ;   in Loop: Header=BB554_6 Depth=1
	global_store_b16 v[1:2], v3, off
	s_branch .LBB554_5
.LBB554_8:
	s_cbranch_execz .LBB554_11
	s_branch .LBB554_20
.LBB554_9:
	s_branch .LBB554_21
.LBB554_10:
.LBB554_11:
	s_and_not1_b32 vcc_lo, exec_lo, s6
	s_wait_alu 0xfffe
	s_cbranch_vccnz .LBB554_20
; %bb.12:
	v_mad_co_i64_i32 v[1:2], null, s22, v0, 0
	s_lshl_b64 s[6:7], s[20:21], 1
	s_lshl_b64 s[16:17], s[14:15], 1
	s_wait_alu 0xfffe
	s_add_nc_u64 s[6:7], s[18:19], s[6:7]
	s_ashr_i32 s5, s22, 31
	s_wait_alu 0xfffe
	s_add_nc_u64 s[6:7], s[6:7], s[16:17]
	s_mov_b32 s4, s22
	v_lshlrev_b64_e32 v[1:2], 1, v[1:2]
	s_wait_alu 0xfffe
	s_lshl_b64 s[4:5], s[4:5], 9
	s_delay_alu instid0(VALU_DEP_1) | instskip(SKIP_1) | instid1(VALU_DEP_2)
	v_add_co_u32 v1, vcc_lo, s6, v1
	s_wait_alu 0xfffd
	v_add_co_ci_u32_e64 v2, null, s7, v2, vcc_lo
	s_mov_b32 s6, 0
	s_branch .LBB554_15
.LBB554_13:                             ;   in Loop: Header=BB554_15 Depth=1
	s_wait_alu 0xfffe
	s_or_b32 exec_lo, exec_lo, s16
	global_store_d16_hi_b16 v[1:2], v4, off
.LBB554_14:                             ;   in Loop: Header=BB554_15 Depth=1
	s_wait_alu 0xfffe
	s_or_b32 exec_lo, exec_lo, s7
	v_add_co_u32 v1, vcc_lo, v1, s4
	s_wait_alu 0xfffd
	v_add_co_ci_u32_e64 v2, null, s5, v2, vcc_lo
	s_addk_co_i32 s6, 0x100
	s_wait_alu 0xfffe
	s_cmp_ge_i32 s6, s3
	s_cbranch_scc1 .LBB554_20
.LBB554_15:                             ; =>This Inner Loop Header: Depth=1
	s_wait_alu 0xfffe
	v_add_nc_u32_e32 v3, s6, v0
	s_mov_b32 s7, exec_lo
	s_delay_alu instid0(VALU_DEP_1)
	v_cmpx_gt_i32_e64 s3, v3
	s_cbranch_execz .LBB554_14
; %bb.16:                               ;   in Loop: Header=BB554_15 Depth=1
	global_load_u16 v3, v[1:2], off
	s_wait_loadcnt 0x0
	v_lshlrev_b32_e32 v3, 16, v3
	s_delay_alu instid0(VALU_DEP_1) | instskip(NEXT) | instid1(VALU_DEP_1)
	v_mul_f32_e32 v3, s23, v3
	v_and_b32_e32 v4, 0x7f800000, v3
	s_delay_alu instid0(VALU_DEP_1)
	v_cmp_ne_u32_e32 vcc_lo, 0x7f800000, v4
                                        ; implicit-def: $vgpr4
	s_and_saveexec_b32 s16, vcc_lo
	s_wait_alu 0xfffe
	s_xor_b32 s16, exec_lo, s16
; %bb.17:                               ;   in Loop: Header=BB554_15 Depth=1
	v_bfe_u32 v4, v3, 16, 1
	s_delay_alu instid0(VALU_DEP_1)
	v_add3_u32 v4, v3, v4, 0x7fff
                                        ; implicit-def: $vgpr3
; %bb.18:                               ;   in Loop: Header=BB554_15 Depth=1
	s_wait_alu 0xfffe
	s_and_not1_saveexec_b32 s16, s16
	s_cbranch_execz .LBB554_13
; %bb.19:                               ;   in Loop: Header=BB554_15 Depth=1
	v_and_b32_e32 v4, 0xffff, v3
	v_or_b32_e32 v5, 0x10000, v3
	s_delay_alu instid0(VALU_DEP_2) | instskip(SKIP_1) | instid1(VALU_DEP_2)
	v_cmp_eq_u32_e32 vcc_lo, 0, v4
	s_wait_alu 0xfffd
	v_cndmask_b32_e32 v4, v5, v3, vcc_lo
	s_branch .LBB554_13
.LBB554_20:
	s_cbranch_execnz .LBB554_70
.LBB554_21:
	s_clause 0x1
	s_load_b128 s[4:7], s[0:1], 0x30
	s_load_b64 s[16:17], s[0:1], 0x40
	s_mov_b32 s27, exec_lo
	v_cmpx_gt_i32_e64 s2, v0
	s_cbranch_execz .LBB554_27
; %bb.22:
	s_load_b32 s28, s[0:1], 0x48
	s_mul_u64 s[12:13], s[12:13], s[24:25]
	s_wait_kmcnt 0x0
	s_lshl_b64 s[16:17], s[16:17], 1
	s_lshl_b64 s[12:13], s[12:13], 1
	s_delay_alu instid0(SALU_CYCLE_1) | instskip(SKIP_3) | instid1(VALU_DEP_1)
	s_add_nc_u64 s[6:7], s[6:7], s[12:13]
	s_wait_alu 0xfffe
	s_add_nc_u64 s[6:7], s[6:7], s[16:17]
	v_mad_co_i64_i32 v[1:2], null, s28, v0, 0
	v_lshlrev_b64_e32 v[1:2], 1, v[1:2]
	s_wait_alu 0xfffe
	s_delay_alu instid0(VALU_DEP_1) | instskip(SKIP_1) | instid1(VALU_DEP_2)
	v_add_co_u32 v1, vcc_lo, s6, v1
	s_wait_alu 0xfffd
	v_add_co_ci_u32_e64 v2, null, s7, v2, vcc_lo
	global_load_u16 v1, v[1:2], off
	s_wait_loadcnt 0x0
	v_lshlrev_b32_e32 v1, 16, v1
	s_delay_alu instid0(VALU_DEP_1) | instskip(NEXT) | instid1(VALU_DEP_1)
	v_mul_f32_e32 v1, s26, v1
	v_and_b32_e32 v2, 0x7f800000, v1
	s_delay_alu instid0(VALU_DEP_1)
	v_cmp_ne_u32_e32 vcc_lo, 0x7f800000, v2
                                        ; implicit-def: $vgpr2
	s_and_saveexec_b32 s6, vcc_lo
	s_wait_alu 0xfffe
	s_xor_b32 s6, exec_lo, s6
; %bb.23:
	v_bfe_u32 v2, v1, 16, 1
	s_delay_alu instid0(VALU_DEP_1)
	v_add3_u32 v2, v1, v2, 0x7fff
                                        ; implicit-def: $vgpr1
; %bb.24:
	s_wait_alu 0xfffe
	s_and_not1_saveexec_b32 s6, s6
; %bb.25:
	v_and_b32_e32 v2, 0xffff, v1
	v_or_b32_e32 v3, 0x10000, v1
	s_delay_alu instid0(VALU_DEP_2) | instskip(SKIP_1) | instid1(VALU_DEP_2)
	v_cmp_eq_u32_e32 vcc_lo, 0, v2
	s_wait_alu 0xfffd
	v_cndmask_b32_e32 v2, v3, v1, vcc_lo
; %bb.26:
	s_wait_alu 0xfffe
	s_or_b32 exec_lo, exec_lo, s6
	s_delay_alu instid0(VALU_DEP_1)
	v_and_b32_e32 v1, 0xffff0000, v2
	v_lshlrev_b32_e32 v2, 2, v0
	ds_store_b32 v2, v1
.LBB554_27:
	s_or_b32 exec_lo, exec_lo, s27
	s_cmp_lt_i32 s3, 1
	s_wait_storecnt_dscnt 0x0
	s_barrier_signal -1
	s_barrier_wait -1
	global_inv scope:SCOPE_SE
	s_cbranch_scc1 .LBB554_70
; %bb.28:
	s_wait_kmcnt 0x0
	s_load_b32 s16, s[0:1], 0x28
	s_lshl_b64 s[0:1], s[14:15], 1
	s_lshl_b64 s[12:13], s[20:21], 1
	s_ashr_i32 s6, s22, 31
	s_add_nc_u64 s[0:1], s[18:19], s[0:1]
	s_mul_u64 s[4:5], s[4:5], s[24:25]
	s_add_nc_u64 s[0:1], s[0:1], s[12:13]
	s_wait_kmcnt 0x0
	s_ashr_i32 s17, s16, 31
	s_cmp_neq_f32 s23, 0
	v_mad_co_i64_i32 v[1:2], null, s16, v0, 0
	s_cselect_b32 s7, -1, 0
	s_cmp_gt_i32 s2, 0
	s_cselect_b32 s12, -1, 0
	s_and_b32 s13, s2, 3
	s_cmp_gt_u32 s2, 3
	v_lshlrev_b64_e32 v[1:2], 1, v[1:2]
	s_cselect_b32 s14, -1, 0
	s_and_b32 s2, s2, 0x7ffffffc
	s_cmp_lg_u32 s13, 0
	s_cselect_b32 s15, -1, 0
	s_lshl_b64 s[10:11], s[10:11], 1
	s_wait_alu 0xfffe
	s_lshl_b64 s[4:5], s[4:5], 1
	s_add_nc_u64 s[8:9], s[8:9], s[10:11]
	s_wait_alu 0xfffe
	s_add_nc_u64 s[4:5], s[8:9], s[4:5]
	s_mov_b32 s8, s22
	s_wait_alu 0xfffe
	v_add_co_u32 v7, vcc_lo, s4, v1
	s_wait_alu 0xfffd
	v_add_co_ci_u32_e64 v8, null, s5, v2, vcc_lo
	s_mov_b32 s9, 0
	v_add_co_u32 v1, vcc_lo, v7, 4
	s_wait_alu 0xfffd
	v_add_co_ci_u32_e64 v2, null, 0, v8, vcc_lo
	s_lshl_b64 s[4:5], s[16:17], 9
	s_branch .LBB554_31
.LBB554_29:                             ;   in Loop: Header=BB554_31 Depth=1
	s_wait_alu 0xfffe
	s_or_b32 exec_lo, exec_lo, s11
	v_add_co_u32 v3, vcc_lo, s0, v3
	s_wait_alu 0xfffd
	v_add_co_ci_u32_e64 v4, null, s1, v4, vcc_lo
	global_store_d16_hi_b16 v[3:4], v5, off
.LBB554_30:                             ;   in Loop: Header=BB554_31 Depth=1
	s_wait_alu 0xfffe
	s_or_b32 exec_lo, exec_lo, s10
	v_add_co_u32 v1, vcc_lo, v1, s4
	s_wait_alu 0xfffd
	v_add_co_ci_u32_e64 v2, null, s5, v2, vcc_lo
	v_add_co_u32 v7, vcc_lo, v7, s4
	s_wait_alu 0xfffd
	v_add_co_ci_u32_e64 v8, null, s5, v8, vcc_lo
	s_addk_co_i32 s9, 0x100
	s_wait_alu 0xfffe
	s_cmp_ge_i32 s9, s3
	s_cbranch_scc1 .LBB554_70
.LBB554_31:                             ; =>This Loop Header: Depth=1
                                        ;     Child Loop BB554_42 Depth 2
                                        ;     Child Loop BB554_62 Depth 2
	v_add_nc_u32_e32 v3, s9, v0
	s_mov_b32 s10, exec_lo
	s_delay_alu instid0(VALU_DEP_1)
	v_cmpx_gt_i32_e64 s3, v3
	s_cbranch_execz .LBB554_30
; %bb.32:                               ;   in Loop: Header=BB554_31 Depth=1
	v_mad_co_u64_u32 v[4:5], null, v3, s8, 0
	s_and_not1_b32 vcc_lo, exec_lo, s7
	v_mad_co_u64_u32 v[5:6], null, v3, s6, v[5:6]
	s_delay_alu instid0(VALU_DEP_1)
	v_lshlrev_b64_e32 v[3:4], 1, v[4:5]
	s_wait_alu 0xfffe
	s_cbranch_vccnz .LBB554_38
; %bb.33:                               ;   in Loop: Header=BB554_31 Depth=1
	s_delay_alu instid0(VALU_DEP_1) | instskip(SKIP_1) | instid1(VALU_DEP_2)
	v_add_co_u32 v5, vcc_lo, s0, v3
	s_wait_alu 0xfffd
	v_add_co_ci_u32_e64 v6, null, s1, v4, vcc_lo
	global_load_u16 v5, v[5:6], off
	s_wait_loadcnt 0x0
	v_lshlrev_b32_e32 v5, 16, v5
	s_delay_alu instid0(VALU_DEP_1) | instskip(NEXT) | instid1(VALU_DEP_1)
	v_mul_f32_e32 v5, s23, v5
	v_and_b32_e32 v6, 0x7f800000, v5
	s_delay_alu instid0(VALU_DEP_1)
	v_cmp_ne_u32_e32 vcc_lo, 0x7f800000, v6
                                        ; implicit-def: $vgpr6
	s_and_saveexec_b32 s11, vcc_lo
	s_wait_alu 0xfffe
	s_xor_b32 s11, exec_lo, s11
; %bb.34:                               ;   in Loop: Header=BB554_31 Depth=1
	v_bfe_u32 v6, v5, 16, 1
	s_delay_alu instid0(VALU_DEP_1)
	v_add3_u32 v6, v5, v6, 0x7fff
                                        ; implicit-def: $vgpr5
; %bb.35:                               ;   in Loop: Header=BB554_31 Depth=1
	s_wait_alu 0xfffe
	s_and_not1_saveexec_b32 s11, s11
; %bb.36:                               ;   in Loop: Header=BB554_31 Depth=1
	v_and_b32_e32 v6, 0xffff, v5
	v_or_b32_e32 v9, 0x10000, v5
	s_delay_alu instid0(VALU_DEP_2) | instskip(SKIP_1) | instid1(VALU_DEP_2)
	v_cmp_eq_u32_e32 vcc_lo, 0, v6
	s_wait_alu 0xfffd
	v_cndmask_b32_e32 v6, v9, v5, vcc_lo
; %bb.37:                               ;   in Loop: Header=BB554_31 Depth=1
	s_wait_alu 0xfffe
	s_or_b32 exec_lo, exec_lo, s11
	s_delay_alu instid0(VALU_DEP_1) | instskip(NEXT) | instid1(VALU_DEP_1)
	v_and_b32_e32 v5, 0xffff0000, v6
	v_cvt_i32_f32_e32 v5, v5
	s_delay_alu instid0(VALU_DEP_1)
	v_cvt_f32_i32_e32 v9, v5
	s_and_not1_b32 vcc_lo, exec_lo, s12
	s_wait_alu 0xfffe
	s_cbranch_vccz .LBB554_39
	s_branch .LBB554_66
.LBB554_38:                             ;   in Loop: Header=BB554_31 Depth=1
	v_mov_b32_e32 v9, 0
	s_and_not1_b32 vcc_lo, exec_lo, s12
	s_wait_alu 0xfffe
	s_cbranch_vccnz .LBB554_66
.LBB554_39:                             ;   in Loop: Header=BB554_31 Depth=1
	s_and_not1_b32 vcc_lo, exec_lo, s14
	s_mov_b32 s11, 0
	s_wait_alu 0xfffe
	s_cbranch_vccnz .LBB554_59
; %bb.40:                               ;   in Loop: Header=BB554_31 Depth=1
	v_dual_mov_b32 v6, v2 :: v_dual_mov_b32 v5, v1
	s_mov_b32 s16, 0
	s_branch .LBB554_42
.LBB554_41:                             ;   in Loop: Header=BB554_42 Depth=2
	s_wait_alu 0xfffe
	s_or_b32 exec_lo, exec_lo, s17
	v_and_b32_e32 v11, 0xffff0000, v11
	v_and_b32_e32 v10, 0xffff0000, v10
	v_add_co_u32 v5, vcc_lo, v5, 8
	s_wait_alu 0xfffd
	v_add_co_ci_u32_e64 v6, null, 0, v6, vcc_lo
	s_delay_alu instid0(VALU_DEP_3)
	v_dual_add_f32 v9, v9, v10 :: v_dual_and_b32 v10, 0xffff0000, v12
	s_add_co_i32 s16, s16, 4
	s_add_co_i32 s11, s11, 16
	s_wait_alu 0xfffe
	s_cmp_eq_u32 s2, s16
	v_add_f32_e32 v9, v9, v11
	v_and_b32_e32 v11, 0xffff0000, v13
	s_delay_alu instid0(VALU_DEP_2) | instskip(NEXT) | instid1(VALU_DEP_1)
	v_add_f32_e32 v9, v9, v10
	v_add_f32_e32 v9, v9, v11
	s_cbranch_scc1 .LBB554_58
.LBB554_42:                             ;   Parent Loop BB554_31 Depth=1
                                        ; =>  This Inner Loop Header: Depth=2
	global_load_u16 v10, v[5:6], off offset:-4
	s_wait_loadcnt 0x0
	v_dual_mov_b32 v11, s11 :: v_dual_lshlrev_b32 v10, 16, v10
	ds_load_b32 v11, v11
	s_wait_dscnt 0x0
	v_mul_f32_e32 v11, v11, v10
	s_delay_alu instid0(VALU_DEP_1) | instskip(NEXT) | instid1(VALU_DEP_1)
	v_and_b32_e32 v10, 0x7f800000, v11
	v_cmp_ne_u32_e32 vcc_lo, 0x7f800000, v10
                                        ; implicit-def: $vgpr10
	s_and_saveexec_b32 s17, vcc_lo
	s_wait_alu 0xfffe
	s_xor_b32 s17, exec_lo, s17
; %bb.43:                               ;   in Loop: Header=BB554_42 Depth=2
	v_bfe_u32 v10, v11, 16, 1
	s_delay_alu instid0(VALU_DEP_1)
	v_add3_u32 v10, v11, v10, 0x7fff
                                        ; implicit-def: $vgpr11
; %bb.44:                               ;   in Loop: Header=BB554_42 Depth=2
	s_wait_alu 0xfffe
	s_and_not1_saveexec_b32 s17, s17
; %bb.45:                               ;   in Loop: Header=BB554_42 Depth=2
	v_and_b32_e32 v10, 0xffff, v11
	v_or_b32_e32 v12, 0x10000, v11
	s_delay_alu instid0(VALU_DEP_2) | instskip(SKIP_1) | instid1(VALU_DEP_2)
	v_cmp_eq_u32_e32 vcc_lo, 0, v10
	s_wait_alu 0xfffd
	v_cndmask_b32_e32 v10, v12, v11, vcc_lo
; %bb.46:                               ;   in Loop: Header=BB554_42 Depth=2
	s_wait_alu 0xfffe
	s_or_b32 exec_lo, exec_lo, s17
	global_load_u16 v11, v[5:6], off offset:-2
	s_wait_loadcnt 0x0
	v_dual_mov_b32 v12, s11 :: v_dual_lshlrev_b32 v11, 16, v11
	ds_load_b32 v12, v12 offset:4
	s_wait_dscnt 0x0
	v_mul_f32_e32 v12, v12, v11
	s_delay_alu instid0(VALU_DEP_1) | instskip(NEXT) | instid1(VALU_DEP_1)
	v_and_b32_e32 v11, 0x7f800000, v12
	v_cmp_ne_u32_e32 vcc_lo, 0x7f800000, v11
                                        ; implicit-def: $vgpr11
	s_and_saveexec_b32 s17, vcc_lo
	s_wait_alu 0xfffe
	s_xor_b32 s17, exec_lo, s17
; %bb.47:                               ;   in Loop: Header=BB554_42 Depth=2
	v_bfe_u32 v11, v12, 16, 1
	s_delay_alu instid0(VALU_DEP_1)
	v_add3_u32 v11, v12, v11, 0x7fff
                                        ; implicit-def: $vgpr12
; %bb.48:                               ;   in Loop: Header=BB554_42 Depth=2
	s_wait_alu 0xfffe
	s_and_not1_saveexec_b32 s17, s17
; %bb.49:                               ;   in Loop: Header=BB554_42 Depth=2
	v_and_b32_e32 v11, 0xffff, v12
	v_or_b32_e32 v13, 0x10000, v12
	s_delay_alu instid0(VALU_DEP_2) | instskip(SKIP_1) | instid1(VALU_DEP_2)
	v_cmp_eq_u32_e32 vcc_lo, 0, v11
	s_wait_alu 0xfffd
	v_cndmask_b32_e32 v11, v13, v12, vcc_lo
; %bb.50:                               ;   in Loop: Header=BB554_42 Depth=2
	s_wait_alu 0xfffe
	s_or_b32 exec_lo, exec_lo, s17
	global_load_u16 v12, v[5:6], off
	s_wait_loadcnt 0x0
	v_dual_mov_b32 v13, s11 :: v_dual_lshlrev_b32 v12, 16, v12
	ds_load_b32 v13, v13 offset:8
	s_wait_dscnt 0x0
	v_mul_f32_e32 v13, v13, v12
	s_delay_alu instid0(VALU_DEP_1) | instskip(NEXT) | instid1(VALU_DEP_1)
	v_and_b32_e32 v12, 0x7f800000, v13
	v_cmp_ne_u32_e32 vcc_lo, 0x7f800000, v12
                                        ; implicit-def: $vgpr12
	s_and_saveexec_b32 s17, vcc_lo
	s_wait_alu 0xfffe
	s_xor_b32 s17, exec_lo, s17
; %bb.51:                               ;   in Loop: Header=BB554_42 Depth=2
	v_bfe_u32 v12, v13, 16, 1
	s_delay_alu instid0(VALU_DEP_1)
	v_add3_u32 v12, v13, v12, 0x7fff
                                        ; implicit-def: $vgpr13
; %bb.52:                               ;   in Loop: Header=BB554_42 Depth=2
	s_wait_alu 0xfffe
	s_and_not1_saveexec_b32 s17, s17
; %bb.53:                               ;   in Loop: Header=BB554_42 Depth=2
	v_and_b32_e32 v12, 0xffff, v13
	v_or_b32_e32 v14, 0x10000, v13
	s_delay_alu instid0(VALU_DEP_2) | instskip(SKIP_1) | instid1(VALU_DEP_2)
	v_cmp_eq_u32_e32 vcc_lo, 0, v12
	s_wait_alu 0xfffd
	v_cndmask_b32_e32 v12, v14, v13, vcc_lo
; %bb.54:                               ;   in Loop: Header=BB554_42 Depth=2
	s_wait_alu 0xfffe
	s_or_b32 exec_lo, exec_lo, s17
	global_load_u16 v13, v[5:6], off offset:2
	s_wait_loadcnt 0x0
	v_dual_mov_b32 v14, s11 :: v_dual_lshlrev_b32 v13, 16, v13
	ds_load_b32 v14, v14 offset:12
	s_wait_dscnt 0x0
	v_mul_f32_e32 v14, v14, v13
	s_delay_alu instid0(VALU_DEP_1) | instskip(NEXT) | instid1(VALU_DEP_1)
	v_and_b32_e32 v13, 0x7f800000, v14
	v_cmp_ne_u32_e32 vcc_lo, 0x7f800000, v13
                                        ; implicit-def: $vgpr13
	s_and_saveexec_b32 s17, vcc_lo
	s_wait_alu 0xfffe
	s_xor_b32 s17, exec_lo, s17
; %bb.55:                               ;   in Loop: Header=BB554_42 Depth=2
	v_bfe_u32 v13, v14, 16, 1
	s_delay_alu instid0(VALU_DEP_1)
	v_add3_u32 v13, v14, v13, 0x7fff
                                        ; implicit-def: $vgpr14
; %bb.56:                               ;   in Loop: Header=BB554_42 Depth=2
	s_wait_alu 0xfffe
	s_and_not1_saveexec_b32 s17, s17
	s_cbranch_execz .LBB554_41
; %bb.57:                               ;   in Loop: Header=BB554_42 Depth=2
	v_and_b32_e32 v13, 0xffff, v14
	v_or_b32_e32 v15, 0x10000, v14
	s_delay_alu instid0(VALU_DEP_2) | instskip(SKIP_1) | instid1(VALU_DEP_2)
	v_cmp_eq_u32_e32 vcc_lo, 0, v13
	s_wait_alu 0xfffd
	v_cndmask_b32_e32 v13, v15, v14, vcc_lo
	s_branch .LBB554_41
.LBB554_58:                             ;   in Loop: Header=BB554_31 Depth=1
	s_mov_b32 s11, s2
.LBB554_59:                             ;   in Loop: Header=BB554_31 Depth=1
	s_and_not1_b32 vcc_lo, exec_lo, s15
	s_wait_alu 0xfffe
	s_cbranch_vccnz .LBB554_66
; %bb.60:                               ;   in Loop: Header=BB554_31 Depth=1
	s_lshl_b32 s16, s11, 1
	s_lshl_b32 s11, s11, 2
	s_wait_alu 0xfffe
	v_add_co_u32 v5, vcc_lo, v7, s16
	s_wait_alu 0xfffd
	v_add_co_ci_u32_e64 v6, null, 0, v8, vcc_lo
	s_mov_b32 s16, s13
	s_branch .LBB554_62
.LBB554_61:                             ;   in Loop: Header=BB554_62 Depth=2
	s_wait_alu 0xfffe
	s_or_b32 exec_lo, exec_lo, s17
	s_delay_alu instid0(VALU_DEP_1) | instskip(SKIP_3) | instid1(VALU_DEP_3)
	v_and_b32_e32 v10, 0xffff0000, v11
	v_add_co_u32 v5, vcc_lo, v5, 2
	s_wait_alu 0xfffd
	v_add_co_ci_u32_e64 v6, null, 0, v6, vcc_lo
	v_add_f32_e32 v9, v9, v10
	s_add_co_i32 s16, s16, -1
	s_add_co_i32 s11, s11, 4
	s_wait_alu 0xfffe
	s_cmp_lg_u32 s16, 0
	s_cbranch_scc0 .LBB554_66
.LBB554_62:                             ;   Parent Loop BB554_31 Depth=1
                                        ; =>  This Inner Loop Header: Depth=2
	global_load_u16 v10, v[5:6], off
	s_wait_loadcnt 0x0
	v_dual_mov_b32 v11, s11 :: v_dual_lshlrev_b32 v10, 16, v10
	ds_load_b32 v11, v11
	s_wait_dscnt 0x0
	v_mul_f32_e32 v10, v11, v10
	s_delay_alu instid0(VALU_DEP_1) | instskip(NEXT) | instid1(VALU_DEP_1)
	v_and_b32_e32 v11, 0x7f800000, v10
	v_cmp_ne_u32_e32 vcc_lo, 0x7f800000, v11
                                        ; implicit-def: $vgpr11
	s_and_saveexec_b32 s17, vcc_lo
	s_wait_alu 0xfffe
	s_xor_b32 s17, exec_lo, s17
; %bb.63:                               ;   in Loop: Header=BB554_62 Depth=2
	v_bfe_u32 v11, v10, 16, 1
	s_delay_alu instid0(VALU_DEP_1)
	v_add3_u32 v11, v10, v11, 0x7fff
                                        ; implicit-def: $vgpr10
; %bb.64:                               ;   in Loop: Header=BB554_62 Depth=2
	s_wait_alu 0xfffe
	s_and_not1_saveexec_b32 s17, s17
	s_cbranch_execz .LBB554_61
; %bb.65:                               ;   in Loop: Header=BB554_62 Depth=2
	v_and_b32_e32 v11, 0xffff, v10
	v_or_b32_e32 v12, 0x10000, v10
	s_delay_alu instid0(VALU_DEP_2) | instskip(SKIP_1) | instid1(VALU_DEP_2)
	v_cmp_eq_u32_e32 vcc_lo, 0, v11
	s_wait_alu 0xfffd
	v_cndmask_b32_e32 v11, v12, v10, vcc_lo
	s_branch .LBB554_61
.LBB554_66:                             ;   in Loop: Header=BB554_31 Depth=1
	s_delay_alu instid0(VALU_DEP_1) | instskip(NEXT) | instid1(VALU_DEP_1)
	v_and_b32_e32 v5, 0x7f800000, v9
	v_cmp_ne_u32_e32 vcc_lo, 0x7f800000, v5
                                        ; implicit-def: $vgpr5
	s_and_saveexec_b32 s11, vcc_lo
	s_wait_alu 0xfffe
	s_xor_b32 s11, exec_lo, s11
; %bb.67:                               ;   in Loop: Header=BB554_31 Depth=1
	v_bfe_u32 v5, v9, 16, 1
	s_delay_alu instid0(VALU_DEP_1)
	v_add3_u32 v5, v9, v5, 0x7fff
                                        ; implicit-def: $vgpr9
; %bb.68:                               ;   in Loop: Header=BB554_31 Depth=1
	s_wait_alu 0xfffe
	s_and_not1_saveexec_b32 s11, s11
	s_cbranch_execz .LBB554_29
; %bb.69:                               ;   in Loop: Header=BB554_31 Depth=1
	v_and_b32_e32 v5, 0xffff, v9
	v_or_b32_e32 v6, 0x10000, v9
	s_delay_alu instid0(VALU_DEP_2) | instskip(SKIP_1) | instid1(VALU_DEP_2)
	v_cmp_eq_u32_e32 vcc_lo, 0, v5
	s_wait_alu 0xfffd
	v_cndmask_b32_e32 v5, v6, v9, vcc_lo
	s_branch .LBB554_29
.LBB554_70:
	s_endpgm
	.section	.rodata,"a",@progbits
	.p2align	6, 0x0
	.amdhsa_kernel _ZL22rocblas_gemvtsm_kernelILb0ELi256E16rocblas_bfloat16PKfS0_EviiT2_lPKT1_lilS6_lilS3_lPT3_lil
		.amdhsa_group_segment_fixed_size 256
		.amdhsa_private_segment_fixed_size 0
		.amdhsa_kernarg_size 136
		.amdhsa_user_sgpr_count 2
		.amdhsa_user_sgpr_dispatch_ptr 0
		.amdhsa_user_sgpr_queue_ptr 0
		.amdhsa_user_sgpr_kernarg_segment_ptr 1
		.amdhsa_user_sgpr_dispatch_id 0
		.amdhsa_user_sgpr_private_segment_size 0
		.amdhsa_wavefront_size32 1
		.amdhsa_uses_dynamic_stack 0
		.amdhsa_enable_private_segment 0
		.amdhsa_system_sgpr_workgroup_id_x 1
		.amdhsa_system_sgpr_workgroup_id_y 0
		.amdhsa_system_sgpr_workgroup_id_z 0
		.amdhsa_system_sgpr_workgroup_info 0
		.amdhsa_system_vgpr_workitem_id 0
		.amdhsa_next_free_vgpr 16
		.amdhsa_next_free_sgpr 30
		.amdhsa_reserve_vcc 1
		.amdhsa_float_round_mode_32 0
		.amdhsa_float_round_mode_16_64 0
		.amdhsa_float_denorm_mode_32 3
		.amdhsa_float_denorm_mode_16_64 3
		.amdhsa_fp16_overflow 0
		.amdhsa_workgroup_processor_mode 1
		.amdhsa_memory_ordered 1
		.amdhsa_forward_progress 1
		.amdhsa_inst_pref_size 21
		.amdhsa_round_robin_scheduling 0
		.amdhsa_exception_fp_ieee_invalid_op 0
		.amdhsa_exception_fp_denorm_src 0
		.amdhsa_exception_fp_ieee_div_zero 0
		.amdhsa_exception_fp_ieee_overflow 0
		.amdhsa_exception_fp_ieee_underflow 0
		.amdhsa_exception_fp_ieee_inexact 0
		.amdhsa_exception_int_div_zero 0
	.end_amdhsa_kernel
	.section	.text._ZL22rocblas_gemvtsm_kernelILb0ELi256E16rocblas_bfloat16PKfS0_EviiT2_lPKT1_lilS6_lilS3_lPT3_lil,"axG",@progbits,_ZL22rocblas_gemvtsm_kernelILb0ELi256E16rocblas_bfloat16PKfS0_EviiT2_lPKT1_lilS6_lilS3_lPT3_lil,comdat
.Lfunc_end554:
	.size	_ZL22rocblas_gemvtsm_kernelILb0ELi256E16rocblas_bfloat16PKfS0_EviiT2_lPKT1_lilS6_lilS3_lPT3_lil, .Lfunc_end554-_ZL22rocblas_gemvtsm_kernelILb0ELi256E16rocblas_bfloat16PKfS0_EviiT2_lPKT1_lilS6_lilS3_lPT3_lil
                                        ; -- End function
	.set _ZL22rocblas_gemvtsm_kernelILb0ELi256E16rocblas_bfloat16PKfS0_EviiT2_lPKT1_lilS6_lilS3_lPT3_lil.num_vgpr, 16
	.set _ZL22rocblas_gemvtsm_kernelILb0ELi256E16rocblas_bfloat16PKfS0_EviiT2_lPKT1_lilS6_lilS3_lPT3_lil.num_agpr, 0
	.set _ZL22rocblas_gemvtsm_kernelILb0ELi256E16rocblas_bfloat16PKfS0_EviiT2_lPKT1_lilS6_lilS3_lPT3_lil.numbered_sgpr, 30
	.set _ZL22rocblas_gemvtsm_kernelILb0ELi256E16rocblas_bfloat16PKfS0_EviiT2_lPKT1_lilS6_lilS3_lPT3_lil.num_named_barrier, 0
	.set _ZL22rocblas_gemvtsm_kernelILb0ELi256E16rocblas_bfloat16PKfS0_EviiT2_lPKT1_lilS6_lilS3_lPT3_lil.private_seg_size, 0
	.set _ZL22rocblas_gemvtsm_kernelILb0ELi256E16rocblas_bfloat16PKfS0_EviiT2_lPKT1_lilS6_lilS3_lPT3_lil.uses_vcc, 1
	.set _ZL22rocblas_gemvtsm_kernelILb0ELi256E16rocblas_bfloat16PKfS0_EviiT2_lPKT1_lilS6_lilS3_lPT3_lil.uses_flat_scratch, 0
	.set _ZL22rocblas_gemvtsm_kernelILb0ELi256E16rocblas_bfloat16PKfS0_EviiT2_lPKT1_lilS6_lilS3_lPT3_lil.has_dyn_sized_stack, 0
	.set _ZL22rocblas_gemvtsm_kernelILb0ELi256E16rocblas_bfloat16PKfS0_EviiT2_lPKT1_lilS6_lilS3_lPT3_lil.has_recursion, 0
	.set _ZL22rocblas_gemvtsm_kernelILb0ELi256E16rocblas_bfloat16PKfS0_EviiT2_lPKT1_lilS6_lilS3_lPT3_lil.has_indirect_call, 0
	.section	.AMDGPU.csdata,"",@progbits
; Kernel info:
; codeLenInByte = 2648
; TotalNumSgprs: 32
; NumVgprs: 16
; ScratchSize: 0
; MemoryBound: 0
; FloatMode: 240
; IeeeMode: 1
; LDSByteSize: 256 bytes/workgroup (compile time only)
; SGPRBlocks: 0
; VGPRBlocks: 1
; NumSGPRsForWavesPerEU: 32
; NumVGPRsForWavesPerEU: 16
; Occupancy: 16
; WaveLimiterHint : 1
; COMPUTE_PGM_RSRC2:SCRATCH_EN: 0
; COMPUTE_PGM_RSRC2:USER_SGPR: 2
; COMPUTE_PGM_RSRC2:TRAP_HANDLER: 0
; COMPUTE_PGM_RSRC2:TGID_X_EN: 1
; COMPUTE_PGM_RSRC2:TGID_Y_EN: 0
; COMPUTE_PGM_RSRC2:TGID_Z_EN: 0
; COMPUTE_PGM_RSRC2:TIDIG_COMP_CNT: 0
	.section	.text._ZL22rocblas_gemvtsm_kernelILb0ELi256E16rocblas_bfloat16fS0_EviiT2_lPKT1_lilS4_lilS1_lPT3_lil,"axG",@progbits,_ZL22rocblas_gemvtsm_kernelILb0ELi256E16rocblas_bfloat16fS0_EviiT2_lPKT1_lilS4_lilS1_lPT3_lil,comdat
	.globl	_ZL22rocblas_gemvtsm_kernelILb0ELi256E16rocblas_bfloat16fS0_EviiT2_lPKT1_lilS4_lilS1_lPT3_lil ; -- Begin function _ZL22rocblas_gemvtsm_kernelILb0ELi256E16rocblas_bfloat16fS0_EviiT2_lPKT1_lilS4_lilS1_lPT3_lil
	.p2align	8
	.type	_ZL22rocblas_gemvtsm_kernelILb0ELi256E16rocblas_bfloat16fS0_EviiT2_lPKT1_lilS4_lilS1_lPT3_lil,@function
_ZL22rocblas_gemvtsm_kernelILb0ELi256E16rocblas_bfloat16fS0_EviiT2_lPKT1_lilS4_lilS1_lPT3_lil: ; @_ZL22rocblas_gemvtsm_kernelILb0ELi256E16rocblas_bfloat16fS0_EviiT2_lPKT1_lilS4_lilS1_lPT3_lil
; %bb.0:
	s_clause 0x1
	s_load_b96 s[12:14], s[0:1], 0x0
	s_load_b32 s15, s[0:1], 0x58
	s_mov_b32 s19, 0
	s_wait_kmcnt 0x0
	s_cmp_eq_f32 s14, 0
	s_cselect_b32 s2, -1, 0
	s_cmp_eq_f32 s15, 1.0
	s_cselect_b32 s3, -1, 0
	s_delay_alu instid0(SALU_CYCLE_1) | instskip(NEXT) | instid1(SALU_CYCLE_1)
	s_and_b32 s2, s2, s3
	s_and_b32 vcc_lo, exec_lo, s2
	s_cbranch_vccnz .LBB555_70
; %bb.1:
	s_clause 0x2
	s_load_b64 s[2:3], s[0:1], 0x80
	s_load_b128 s[4:7], s[0:1], 0x68
	s_load_b32 s16, s[0:1], 0x78
	s_mov_b32 s18, ttmp9
	s_cmp_neq_f32 s14, 0
	s_wait_kmcnt 0x0
	s_mul_u64 s[20:21], s[2:3], s[18:19]
	s_cbranch_scc1 .LBB555_9
; %bb.2:
	s_cmp_gt_i32 s13, 0
	s_cselect_b32 s8, -1, 0
	s_cmp_neq_f32 s15, 0
	v_cndmask_b32_e64 v1, 0, 1, s8
	s_delay_alu instid0(VALU_DEP_1)
	v_cmp_ne_u32_e32 vcc_lo, 1, v1
	s_cbranch_scc1 .LBB555_10
; %bb.3:
	s_and_b32 vcc_lo, exec_lo, vcc_lo
	s_cbranch_vccnz .LBB555_8
; %bb.4:
	v_mad_co_i64_i32 v[1:2], null, s16, v0, 0
	s_lshl_b64 s[2:3], s[6:7], 1
	s_lshl_b64 s[10:11], s[20:21], 1
	s_add_nc_u64 s[2:3], s[4:5], s[2:3]
	v_mov_b32_e32 v3, 0
	s_add_nc_u64 s[2:3], s[2:3], s[10:11]
	s_ashr_i32 s17, s16, 31
	v_lshlrev_b64_e32 v[1:2], 1, v[1:2]
	s_mov_b32 s9, 0
	s_delay_alu instid0(VALU_DEP_1) | instskip(NEXT) | instid1(VALU_DEP_1)
	v_add_co_u32 v1, vcc_lo, s2, v1
	v_add_co_ci_u32_e64 v2, null, s3, v2, vcc_lo
	s_wait_alu 0xfffe
	s_lshl_b64 s[2:3], s[16:17], 9
	s_branch .LBB555_6
.LBB555_5:                              ;   in Loop: Header=BB555_6 Depth=1
	s_or_b32 exec_lo, exec_lo, s10
	s_wait_alu 0xfffe
	v_add_co_u32 v1, vcc_lo, v1, s2
	s_wait_alu 0xfffd
	v_add_co_ci_u32_e64 v2, null, s3, v2, vcc_lo
	s_addk_co_i32 s9, 0x100
	s_wait_alu 0xfffe
	s_cmp_ge_i32 s9, s13
	s_cbranch_scc1 .LBB555_8
.LBB555_6:                              ; =>This Inner Loop Header: Depth=1
	v_add_nc_u32_e32 v4, s9, v0
	s_mov_b32 s10, exec_lo
	s_delay_alu instid0(VALU_DEP_1)
	v_cmpx_gt_i32_e64 s13, v4
	s_cbranch_execz .LBB555_5
; %bb.7:                                ;   in Loop: Header=BB555_6 Depth=1
	global_store_b16 v[1:2], v3, off
	s_branch .LBB555_5
.LBB555_8:
	s_cbranch_execz .LBB555_11
	s_branch .LBB555_20
.LBB555_9:
	s_branch .LBB555_21
.LBB555_10:
.LBB555_11:
	s_and_not1_b32 vcc_lo, exec_lo, s8
	s_wait_alu 0xfffe
	s_cbranch_vccnz .LBB555_20
; %bb.12:
	v_mad_co_i64_i32 v[1:2], null, s16, v0, 0
	s_lshl_b64 s[2:3], s[6:7], 1
	s_lshl_b64 s[8:9], s[20:21], 1
	s_wait_alu 0xfffe
	s_add_nc_u64 s[2:3], s[4:5], s[2:3]
	s_ashr_i32 s17, s16, 31
	s_wait_alu 0xfffe
	s_add_nc_u64 s[2:3], s[2:3], s[8:9]
	s_mov_b32 s8, 0
	v_lshlrev_b64_e32 v[1:2], 1, v[1:2]
	s_wait_alu 0xfffe
	s_delay_alu instid0(VALU_DEP_1) | instskip(SKIP_1) | instid1(VALU_DEP_2)
	v_add_co_u32 v1, vcc_lo, s2, v1
	s_wait_alu 0xfffd
	v_add_co_ci_u32_e64 v2, null, s3, v2, vcc_lo
	s_lshl_b64 s[2:3], s[16:17], 9
	s_branch .LBB555_15
.LBB555_13:                             ;   in Loop: Header=BB555_15 Depth=1
	s_or_b32 exec_lo, exec_lo, s10
	global_store_d16_hi_b16 v[1:2], v4, off
.LBB555_14:                             ;   in Loop: Header=BB555_15 Depth=1
	s_wait_alu 0xfffe
	s_or_b32 exec_lo, exec_lo, s9
	v_add_co_u32 v1, vcc_lo, v1, s2
	s_wait_alu 0xfffd
	v_add_co_ci_u32_e64 v2, null, s3, v2, vcc_lo
	s_addk_co_i32 s8, 0x100
	s_wait_alu 0xfffe
	s_cmp_ge_i32 s8, s13
	s_cbranch_scc1 .LBB555_20
.LBB555_15:                             ; =>This Inner Loop Header: Depth=1
	v_add_nc_u32_e32 v3, s8, v0
	s_mov_b32 s9, exec_lo
	s_delay_alu instid0(VALU_DEP_1)
	v_cmpx_gt_i32_e64 s13, v3
	s_cbranch_execz .LBB555_14
; %bb.16:                               ;   in Loop: Header=BB555_15 Depth=1
	global_load_u16 v3, v[1:2], off
	s_wait_loadcnt 0x0
	v_lshlrev_b32_e32 v3, 16, v3
	s_delay_alu instid0(VALU_DEP_1) | instskip(NEXT) | instid1(VALU_DEP_1)
	v_mul_f32_e32 v3, s15, v3
	v_and_b32_e32 v4, 0x7f800000, v3
	s_delay_alu instid0(VALU_DEP_1) | instskip(SKIP_1) | instid1(SALU_CYCLE_1)
	v_cmp_ne_u32_e32 vcc_lo, 0x7f800000, v4
                                        ; implicit-def: $vgpr4
	s_and_saveexec_b32 s10, vcc_lo
	s_xor_b32 s10, exec_lo, s10
; %bb.17:                               ;   in Loop: Header=BB555_15 Depth=1
	v_bfe_u32 v4, v3, 16, 1
	s_delay_alu instid0(VALU_DEP_1)
	v_add3_u32 v4, v3, v4, 0x7fff
                                        ; implicit-def: $vgpr3
; %bb.18:                               ;   in Loop: Header=BB555_15 Depth=1
	s_and_not1_saveexec_b32 s10, s10
	s_cbranch_execz .LBB555_13
; %bb.19:                               ;   in Loop: Header=BB555_15 Depth=1
	v_and_b32_e32 v4, 0xffff, v3
	v_or_b32_e32 v5, 0x10000, v3
	s_delay_alu instid0(VALU_DEP_2) | instskip(SKIP_1) | instid1(VALU_DEP_2)
	v_cmp_eq_u32_e32 vcc_lo, 0, v4
	s_wait_alu 0xfffd
	v_cndmask_b32_e32 v4, v5, v3, vcc_lo
	s_branch .LBB555_13
.LBB555_20:
	s_cbranch_execnz .LBB555_70
.LBB555_21:
	s_clause 0x1
	s_load_b128 s[8:11], s[0:1], 0x30
	s_load_b64 s[2:3], s[0:1], 0x40
	s_mov_b32 s17, exec_lo
	v_cmpx_gt_i32_e64 s12, v0
	s_cbranch_execz .LBB555_27
; %bb.22:
	s_clause 0x1
	s_load_b32 s24, s[0:1], 0x48
	s_load_b64 s[22:23], s[0:1], 0x50
	s_wait_kmcnt 0x0
	s_lshl_b64 s[2:3], s[2:3], 1
	v_mad_co_i64_i32 v[1:2], null, s24, v0, 0
	s_mul_u64 s[22:23], s[22:23], s[18:19]
	s_delay_alu instid0(SALU_CYCLE_1) | instskip(NEXT) | instid1(SALU_CYCLE_1)
	s_lshl_b64 s[22:23], s[22:23], 1
	s_add_nc_u64 s[10:11], s[10:11], s[22:23]
	s_wait_alu 0xfffe
	s_add_nc_u64 s[2:3], s[10:11], s[2:3]
	v_lshlrev_b64_e32 v[1:2], 1, v[1:2]
	s_wait_alu 0xfffe
	s_delay_alu instid0(VALU_DEP_1) | instskip(SKIP_1) | instid1(VALU_DEP_2)
	v_add_co_u32 v1, vcc_lo, s2, v1
	s_wait_alu 0xfffd
	v_add_co_ci_u32_e64 v2, null, s3, v2, vcc_lo
	global_load_u16 v1, v[1:2], off
	s_wait_loadcnt 0x0
	v_lshlrev_b32_e32 v1, 16, v1
	s_delay_alu instid0(VALU_DEP_1) | instskip(NEXT) | instid1(VALU_DEP_1)
	v_mul_f32_e32 v1, s14, v1
	v_and_b32_e32 v2, 0x7f800000, v1
	s_delay_alu instid0(VALU_DEP_1)
	v_cmp_ne_u32_e32 vcc_lo, 0x7f800000, v2
                                        ; implicit-def: $vgpr2
	s_and_saveexec_b32 s2, vcc_lo
	s_wait_alu 0xfffe
	s_xor_b32 s2, exec_lo, s2
; %bb.23:
	v_bfe_u32 v2, v1, 16, 1
	s_delay_alu instid0(VALU_DEP_1)
	v_add3_u32 v2, v1, v2, 0x7fff
                                        ; implicit-def: $vgpr1
; %bb.24:
	s_wait_alu 0xfffe
	s_and_not1_saveexec_b32 s2, s2
; %bb.25:
	v_and_b32_e32 v2, 0xffff, v1
	v_or_b32_e32 v3, 0x10000, v1
	s_delay_alu instid0(VALU_DEP_2) | instskip(SKIP_1) | instid1(VALU_DEP_2)
	v_cmp_eq_u32_e32 vcc_lo, 0, v2
	s_wait_alu 0xfffd
	v_cndmask_b32_e32 v2, v3, v1, vcc_lo
; %bb.26:
	s_wait_alu 0xfffe
	s_or_b32 exec_lo, exec_lo, s2
	s_delay_alu instid0(VALU_DEP_1)
	v_and_b32_e32 v1, 0xffff0000, v2
	v_lshlrev_b32_e32 v2, 2, v0
	ds_store_b32 v2, v1
.LBB555_27:
	s_wait_alu 0xfffe
	s_or_b32 exec_lo, exec_lo, s17
	s_cmp_lt_i32 s13, 1
	s_wait_storecnt_dscnt 0x0
	s_barrier_signal -1
	s_barrier_wait -1
	global_inv scope:SCOPE_SE
	s_cbranch_scc1 .LBB555_70
; %bb.28:
	s_load_b32 s22, s[0:1], 0x28
	s_wait_kmcnt 0x0
	s_load_b128 s[0:3], s[0:1], 0x18
	s_lshl_b64 s[10:11], s[20:21], 1
	s_lshl_b64 s[20:21], s[6:7], 1
	s_ashr_i32 s6, s16, 31
	s_add_nc_u64 s[24:25], s[4:5], s[10:11]
	s_mul_u64 s[18:19], s[8:9], s[18:19]
	s_mov_b32 s11, 0
	s_ashr_i32 s23, s22, 31
	s_cmp_neq_f32 s15, 0
	v_mad_co_i64_i32 v[1:2], null, s22, v0, 0
	s_cselect_b32 s4, -1, 0
	s_cmp_gt_i32 s12, 0
	s_cselect_b32 s5, -1, 0
	s_and_b32 s7, s12, 3
	s_cmp_gt_u32 s12, 3
	v_lshlrev_b64_e32 v[1:2], 1, v[1:2]
	s_cselect_b32 s8, -1, 0
	s_and_b32 s9, s12, 0x7ffffffc
	s_cmp_lg_u32 s7, 0
	s_cselect_b32 s10, -1, 0
	s_wait_kmcnt 0x0
	s_lshl_b64 s[2:3], s[2:3], 1
	s_lshl_b64 s[18:19], s[18:19], 1
	s_wait_alu 0xfffe
	s_add_nc_u64 s[0:1], s[0:1], s[2:3]
	s_lshl_b64 s[2:3], s[22:23], 9
	s_add_nc_u64 s[0:1], s[0:1], s[18:19]
	s_delay_alu instid0(SALU_CYCLE_1)
	v_add_co_u32 v7, vcc_lo, s0, v1
	s_wait_alu 0xfffd
	v_add_co_ci_u32_e64 v8, null, s1, v2, vcc_lo
	s_add_nc_u64 s[0:1], s[24:25], s[20:21]
	v_add_co_u32 v1, vcc_lo, v7, 4
	s_wait_alu 0xfffd
	v_add_co_ci_u32_e64 v2, null, 0, v8, vcc_lo
	s_branch .LBB555_31
.LBB555_29:                             ;   in Loop: Header=BB555_31 Depth=1
	s_wait_alu 0xfffe
	s_or_b32 exec_lo, exec_lo, s14
	v_add_co_u32 v3, vcc_lo, s0, v3
	s_wait_alu 0xfffd
	v_add_co_ci_u32_e64 v4, null, s1, v4, vcc_lo
	global_store_d16_hi_b16 v[3:4], v5, off
.LBB555_30:                             ;   in Loop: Header=BB555_31 Depth=1
	s_wait_alu 0xfffe
	s_or_b32 exec_lo, exec_lo, s12
	v_add_co_u32 v1, vcc_lo, v1, s2
	s_wait_alu 0xfffd
	v_add_co_ci_u32_e64 v2, null, s3, v2, vcc_lo
	v_add_co_u32 v7, vcc_lo, v7, s2
	s_wait_alu 0xfffd
	v_add_co_ci_u32_e64 v8, null, s3, v8, vcc_lo
	s_addk_co_i32 s11, 0x100
	s_wait_alu 0xfffe
	s_cmp_ge_i32 s11, s13
	s_cbranch_scc1 .LBB555_70
.LBB555_31:                             ; =>This Loop Header: Depth=1
                                        ;     Child Loop BB555_42 Depth 2
                                        ;     Child Loop BB555_62 Depth 2
	v_add_nc_u32_e32 v3, s11, v0
	s_mov_b32 s12, exec_lo
	s_delay_alu instid0(VALU_DEP_1)
	v_cmpx_gt_i32_e64 s13, v3
	s_cbranch_execz .LBB555_30
; %bb.32:                               ;   in Loop: Header=BB555_31 Depth=1
	v_mad_co_u64_u32 v[4:5], null, v3, s16, 0
	s_and_not1_b32 vcc_lo, exec_lo, s4
	v_mad_co_u64_u32 v[5:6], null, v3, s6, v[5:6]
	s_delay_alu instid0(VALU_DEP_1)
	v_lshlrev_b64_e32 v[3:4], 1, v[4:5]
	s_wait_alu 0xfffe
	s_cbranch_vccnz .LBB555_38
; %bb.33:                               ;   in Loop: Header=BB555_31 Depth=1
	s_delay_alu instid0(VALU_DEP_1) | instskip(SKIP_1) | instid1(VALU_DEP_2)
	v_add_co_u32 v5, vcc_lo, s0, v3
	s_wait_alu 0xfffd
	v_add_co_ci_u32_e64 v6, null, s1, v4, vcc_lo
	global_load_u16 v5, v[5:6], off
	s_wait_loadcnt 0x0
	v_lshlrev_b32_e32 v5, 16, v5
	s_delay_alu instid0(VALU_DEP_1) | instskip(NEXT) | instid1(VALU_DEP_1)
	v_mul_f32_e32 v5, s15, v5
	v_and_b32_e32 v6, 0x7f800000, v5
	s_delay_alu instid0(VALU_DEP_1)
	v_cmp_ne_u32_e32 vcc_lo, 0x7f800000, v6
                                        ; implicit-def: $vgpr6
	s_and_saveexec_b32 s14, vcc_lo
	s_wait_alu 0xfffe
	s_xor_b32 s14, exec_lo, s14
; %bb.34:                               ;   in Loop: Header=BB555_31 Depth=1
	v_bfe_u32 v6, v5, 16, 1
	s_delay_alu instid0(VALU_DEP_1)
	v_add3_u32 v6, v5, v6, 0x7fff
                                        ; implicit-def: $vgpr5
; %bb.35:                               ;   in Loop: Header=BB555_31 Depth=1
	s_wait_alu 0xfffe
	s_and_not1_saveexec_b32 s14, s14
; %bb.36:                               ;   in Loop: Header=BB555_31 Depth=1
	v_and_b32_e32 v6, 0xffff, v5
	v_or_b32_e32 v9, 0x10000, v5
	s_delay_alu instid0(VALU_DEP_2) | instskip(SKIP_1) | instid1(VALU_DEP_2)
	v_cmp_eq_u32_e32 vcc_lo, 0, v6
	s_wait_alu 0xfffd
	v_cndmask_b32_e32 v6, v9, v5, vcc_lo
; %bb.37:                               ;   in Loop: Header=BB555_31 Depth=1
	s_wait_alu 0xfffe
	s_or_b32 exec_lo, exec_lo, s14
	s_delay_alu instid0(VALU_DEP_1) | instskip(NEXT) | instid1(VALU_DEP_1)
	v_and_b32_e32 v5, 0xffff0000, v6
	v_cvt_i32_f32_e32 v5, v5
	s_delay_alu instid0(VALU_DEP_1)
	v_cvt_f32_i32_e32 v9, v5
	s_and_not1_b32 vcc_lo, exec_lo, s5
	s_wait_alu 0xfffe
	s_cbranch_vccz .LBB555_39
	s_branch .LBB555_66
.LBB555_38:                             ;   in Loop: Header=BB555_31 Depth=1
	v_mov_b32_e32 v9, 0
	s_and_not1_b32 vcc_lo, exec_lo, s5
	s_wait_alu 0xfffe
	s_cbranch_vccnz .LBB555_66
.LBB555_39:                             ;   in Loop: Header=BB555_31 Depth=1
	s_and_not1_b32 vcc_lo, exec_lo, s8
	s_mov_b32 s14, 0
	s_wait_alu 0xfffe
	s_cbranch_vccnz .LBB555_59
; %bb.40:                               ;   in Loop: Header=BB555_31 Depth=1
	v_dual_mov_b32 v6, v2 :: v_dual_mov_b32 v5, v1
	s_mov_b32 s17, 0
	s_branch .LBB555_42
.LBB555_41:                             ;   in Loop: Header=BB555_42 Depth=2
	s_or_b32 exec_lo, exec_lo, s18
	v_and_b32_e32 v11, 0xffff0000, v11
	v_and_b32_e32 v10, 0xffff0000, v10
	v_add_co_u32 v5, vcc_lo, v5, 8
	s_wait_alu 0xfffd
	v_add_co_ci_u32_e64 v6, null, 0, v6, vcc_lo
	s_delay_alu instid0(VALU_DEP_3)
	v_dual_add_f32 v9, v9, v10 :: v_dual_and_b32 v10, 0xffff0000, v12
	s_wait_alu 0xfffe
	s_add_co_i32 s17, s17, 4
	s_add_co_i32 s14, s14, 16
	s_wait_alu 0xfffe
	s_cmp_eq_u32 s9, s17
	v_add_f32_e32 v9, v9, v11
	v_and_b32_e32 v11, 0xffff0000, v13
	s_delay_alu instid0(VALU_DEP_2) | instskip(NEXT) | instid1(VALU_DEP_1)
	v_add_f32_e32 v9, v9, v10
	v_add_f32_e32 v9, v9, v11
	s_cbranch_scc1 .LBB555_58
.LBB555_42:                             ;   Parent Loop BB555_31 Depth=1
                                        ; =>  This Inner Loop Header: Depth=2
	global_load_u16 v10, v[5:6], off offset:-4
	s_wait_loadcnt 0x0
	v_dual_mov_b32 v11, s14 :: v_dual_lshlrev_b32 v10, 16, v10
	ds_load_b32 v11, v11
	s_wait_dscnt 0x0
	v_mul_f32_e32 v11, v11, v10
	s_delay_alu instid0(VALU_DEP_1) | instskip(NEXT) | instid1(VALU_DEP_1)
	v_and_b32_e32 v10, 0x7f800000, v11
	v_cmp_ne_u32_e32 vcc_lo, 0x7f800000, v10
                                        ; implicit-def: $vgpr10
	s_and_saveexec_b32 s18, vcc_lo
	s_delay_alu instid0(SALU_CYCLE_1)
	s_xor_b32 s18, exec_lo, s18
; %bb.43:                               ;   in Loop: Header=BB555_42 Depth=2
	v_bfe_u32 v10, v11, 16, 1
	s_delay_alu instid0(VALU_DEP_1)
	v_add3_u32 v10, v11, v10, 0x7fff
                                        ; implicit-def: $vgpr11
; %bb.44:                               ;   in Loop: Header=BB555_42 Depth=2
	s_and_not1_saveexec_b32 s18, s18
; %bb.45:                               ;   in Loop: Header=BB555_42 Depth=2
	v_and_b32_e32 v10, 0xffff, v11
	v_or_b32_e32 v12, 0x10000, v11
	s_delay_alu instid0(VALU_DEP_2) | instskip(SKIP_1) | instid1(VALU_DEP_2)
	v_cmp_eq_u32_e32 vcc_lo, 0, v10
	s_wait_alu 0xfffd
	v_cndmask_b32_e32 v10, v12, v11, vcc_lo
; %bb.46:                               ;   in Loop: Header=BB555_42 Depth=2
	s_or_b32 exec_lo, exec_lo, s18
	global_load_u16 v11, v[5:6], off offset:-2
	s_wait_loadcnt 0x0
	v_dual_mov_b32 v12, s14 :: v_dual_lshlrev_b32 v11, 16, v11
	ds_load_b32 v12, v12 offset:4
	s_wait_dscnt 0x0
	v_mul_f32_e32 v12, v12, v11
	s_delay_alu instid0(VALU_DEP_1) | instskip(NEXT) | instid1(VALU_DEP_1)
	v_and_b32_e32 v11, 0x7f800000, v12
	v_cmp_ne_u32_e32 vcc_lo, 0x7f800000, v11
                                        ; implicit-def: $vgpr11
	s_and_saveexec_b32 s18, vcc_lo
	s_delay_alu instid0(SALU_CYCLE_1)
	s_xor_b32 s18, exec_lo, s18
; %bb.47:                               ;   in Loop: Header=BB555_42 Depth=2
	v_bfe_u32 v11, v12, 16, 1
	s_delay_alu instid0(VALU_DEP_1)
	v_add3_u32 v11, v12, v11, 0x7fff
                                        ; implicit-def: $vgpr12
; %bb.48:                               ;   in Loop: Header=BB555_42 Depth=2
	s_and_not1_saveexec_b32 s18, s18
; %bb.49:                               ;   in Loop: Header=BB555_42 Depth=2
	v_and_b32_e32 v11, 0xffff, v12
	v_or_b32_e32 v13, 0x10000, v12
	s_delay_alu instid0(VALU_DEP_2) | instskip(SKIP_1) | instid1(VALU_DEP_2)
	v_cmp_eq_u32_e32 vcc_lo, 0, v11
	s_wait_alu 0xfffd
	v_cndmask_b32_e32 v11, v13, v12, vcc_lo
; %bb.50:                               ;   in Loop: Header=BB555_42 Depth=2
	s_or_b32 exec_lo, exec_lo, s18
	global_load_u16 v12, v[5:6], off
	s_wait_loadcnt 0x0
	v_dual_mov_b32 v13, s14 :: v_dual_lshlrev_b32 v12, 16, v12
	ds_load_b32 v13, v13 offset:8
	s_wait_dscnt 0x0
	v_mul_f32_e32 v13, v13, v12
	s_delay_alu instid0(VALU_DEP_1) | instskip(NEXT) | instid1(VALU_DEP_1)
	v_and_b32_e32 v12, 0x7f800000, v13
	v_cmp_ne_u32_e32 vcc_lo, 0x7f800000, v12
                                        ; implicit-def: $vgpr12
	s_and_saveexec_b32 s18, vcc_lo
	s_delay_alu instid0(SALU_CYCLE_1)
	s_xor_b32 s18, exec_lo, s18
; %bb.51:                               ;   in Loop: Header=BB555_42 Depth=2
	v_bfe_u32 v12, v13, 16, 1
	s_delay_alu instid0(VALU_DEP_1)
	v_add3_u32 v12, v13, v12, 0x7fff
                                        ; implicit-def: $vgpr13
; %bb.52:                               ;   in Loop: Header=BB555_42 Depth=2
	s_and_not1_saveexec_b32 s18, s18
; %bb.53:                               ;   in Loop: Header=BB555_42 Depth=2
	v_and_b32_e32 v12, 0xffff, v13
	v_or_b32_e32 v14, 0x10000, v13
	s_delay_alu instid0(VALU_DEP_2) | instskip(SKIP_1) | instid1(VALU_DEP_2)
	v_cmp_eq_u32_e32 vcc_lo, 0, v12
	s_wait_alu 0xfffd
	v_cndmask_b32_e32 v12, v14, v13, vcc_lo
; %bb.54:                               ;   in Loop: Header=BB555_42 Depth=2
	s_or_b32 exec_lo, exec_lo, s18
	global_load_u16 v13, v[5:6], off offset:2
	s_wait_loadcnt 0x0
	v_dual_mov_b32 v14, s14 :: v_dual_lshlrev_b32 v13, 16, v13
	ds_load_b32 v14, v14 offset:12
	s_wait_dscnt 0x0
	v_mul_f32_e32 v14, v14, v13
	s_delay_alu instid0(VALU_DEP_1) | instskip(NEXT) | instid1(VALU_DEP_1)
	v_and_b32_e32 v13, 0x7f800000, v14
	v_cmp_ne_u32_e32 vcc_lo, 0x7f800000, v13
                                        ; implicit-def: $vgpr13
	s_and_saveexec_b32 s18, vcc_lo
	s_delay_alu instid0(SALU_CYCLE_1)
	s_xor_b32 s18, exec_lo, s18
; %bb.55:                               ;   in Loop: Header=BB555_42 Depth=2
	v_bfe_u32 v13, v14, 16, 1
	s_delay_alu instid0(VALU_DEP_1)
	v_add3_u32 v13, v14, v13, 0x7fff
                                        ; implicit-def: $vgpr14
; %bb.56:                               ;   in Loop: Header=BB555_42 Depth=2
	s_and_not1_saveexec_b32 s18, s18
	s_cbranch_execz .LBB555_41
; %bb.57:                               ;   in Loop: Header=BB555_42 Depth=2
	v_and_b32_e32 v13, 0xffff, v14
	v_or_b32_e32 v15, 0x10000, v14
	s_delay_alu instid0(VALU_DEP_2) | instskip(SKIP_1) | instid1(VALU_DEP_2)
	v_cmp_eq_u32_e32 vcc_lo, 0, v13
	s_wait_alu 0xfffd
	v_cndmask_b32_e32 v13, v15, v14, vcc_lo
	s_branch .LBB555_41
.LBB555_58:                             ;   in Loop: Header=BB555_31 Depth=1
	s_mov_b32 s14, s9
.LBB555_59:                             ;   in Loop: Header=BB555_31 Depth=1
	s_and_not1_b32 vcc_lo, exec_lo, s10
	s_wait_alu 0xfffe
	s_cbranch_vccnz .LBB555_66
; %bb.60:                               ;   in Loop: Header=BB555_31 Depth=1
	s_lshl_b32 s17, s14, 1
	s_lshl_b32 s14, s14, 2
	s_wait_alu 0xfffe
	v_add_co_u32 v5, vcc_lo, v7, s17
	s_wait_alu 0xfffd
	v_add_co_ci_u32_e64 v6, null, 0, v8, vcc_lo
	s_mov_b32 s17, s7
	s_branch .LBB555_62
.LBB555_61:                             ;   in Loop: Header=BB555_62 Depth=2
	s_or_b32 exec_lo, exec_lo, s18
	s_delay_alu instid0(VALU_DEP_1) | instskip(SKIP_3) | instid1(VALU_DEP_3)
	v_and_b32_e32 v10, 0xffff0000, v11
	v_add_co_u32 v5, vcc_lo, v5, 2
	s_wait_alu 0xfffd
	v_add_co_ci_u32_e64 v6, null, 0, v6, vcc_lo
	v_add_f32_e32 v9, v9, v10
	s_wait_alu 0xfffe
	s_add_co_i32 s17, s17, -1
	s_add_co_i32 s14, s14, 4
	s_wait_alu 0xfffe
	s_cmp_lg_u32 s17, 0
	s_cbranch_scc0 .LBB555_66
.LBB555_62:                             ;   Parent Loop BB555_31 Depth=1
                                        ; =>  This Inner Loop Header: Depth=2
	global_load_u16 v10, v[5:6], off
	s_wait_loadcnt 0x0
	v_dual_mov_b32 v11, s14 :: v_dual_lshlrev_b32 v10, 16, v10
	ds_load_b32 v11, v11
	s_wait_dscnt 0x0
	v_mul_f32_e32 v10, v11, v10
	s_delay_alu instid0(VALU_DEP_1) | instskip(NEXT) | instid1(VALU_DEP_1)
	v_and_b32_e32 v11, 0x7f800000, v10
	v_cmp_ne_u32_e32 vcc_lo, 0x7f800000, v11
                                        ; implicit-def: $vgpr11
	s_and_saveexec_b32 s18, vcc_lo
	s_delay_alu instid0(SALU_CYCLE_1)
	s_xor_b32 s18, exec_lo, s18
; %bb.63:                               ;   in Loop: Header=BB555_62 Depth=2
	v_bfe_u32 v11, v10, 16, 1
	s_delay_alu instid0(VALU_DEP_1)
	v_add3_u32 v11, v10, v11, 0x7fff
                                        ; implicit-def: $vgpr10
; %bb.64:                               ;   in Loop: Header=BB555_62 Depth=2
	s_and_not1_saveexec_b32 s18, s18
	s_cbranch_execz .LBB555_61
; %bb.65:                               ;   in Loop: Header=BB555_62 Depth=2
	v_and_b32_e32 v11, 0xffff, v10
	v_or_b32_e32 v12, 0x10000, v10
	s_delay_alu instid0(VALU_DEP_2) | instskip(SKIP_1) | instid1(VALU_DEP_2)
	v_cmp_eq_u32_e32 vcc_lo, 0, v11
	s_wait_alu 0xfffd
	v_cndmask_b32_e32 v11, v12, v10, vcc_lo
	s_branch .LBB555_61
.LBB555_66:                             ;   in Loop: Header=BB555_31 Depth=1
	s_delay_alu instid0(VALU_DEP_1) | instskip(NEXT) | instid1(VALU_DEP_1)
	v_and_b32_e32 v5, 0x7f800000, v9
	v_cmp_ne_u32_e32 vcc_lo, 0x7f800000, v5
                                        ; implicit-def: $vgpr5
	s_and_saveexec_b32 s14, vcc_lo
	s_wait_alu 0xfffe
	s_xor_b32 s14, exec_lo, s14
; %bb.67:                               ;   in Loop: Header=BB555_31 Depth=1
	v_bfe_u32 v5, v9, 16, 1
	s_delay_alu instid0(VALU_DEP_1)
	v_add3_u32 v5, v9, v5, 0x7fff
                                        ; implicit-def: $vgpr9
; %bb.68:                               ;   in Loop: Header=BB555_31 Depth=1
	s_wait_alu 0xfffe
	s_and_not1_saveexec_b32 s14, s14
	s_cbranch_execz .LBB555_29
; %bb.69:                               ;   in Loop: Header=BB555_31 Depth=1
	v_and_b32_e32 v5, 0xffff, v9
	v_or_b32_e32 v6, 0x10000, v9
	s_delay_alu instid0(VALU_DEP_2) | instskip(SKIP_1) | instid1(VALU_DEP_2)
	v_cmp_eq_u32_e32 vcc_lo, 0, v5
	s_wait_alu 0xfffd
	v_cndmask_b32_e32 v5, v6, v9, vcc_lo
	s_branch .LBB555_29
.LBB555_70:
	s_endpgm
	.section	.rodata,"a",@progbits
	.p2align	6, 0x0
	.amdhsa_kernel _ZL22rocblas_gemvtsm_kernelILb0ELi256E16rocblas_bfloat16fS0_EviiT2_lPKT1_lilS4_lilS1_lPT3_lil
		.amdhsa_group_segment_fixed_size 256
		.amdhsa_private_segment_fixed_size 0
		.amdhsa_kernarg_size 136
		.amdhsa_user_sgpr_count 2
		.amdhsa_user_sgpr_dispatch_ptr 0
		.amdhsa_user_sgpr_queue_ptr 0
		.amdhsa_user_sgpr_kernarg_segment_ptr 1
		.amdhsa_user_sgpr_dispatch_id 0
		.amdhsa_user_sgpr_private_segment_size 0
		.amdhsa_wavefront_size32 1
		.amdhsa_uses_dynamic_stack 0
		.amdhsa_enable_private_segment 0
		.amdhsa_system_sgpr_workgroup_id_x 1
		.amdhsa_system_sgpr_workgroup_id_y 0
		.amdhsa_system_sgpr_workgroup_id_z 0
		.amdhsa_system_sgpr_workgroup_info 0
		.amdhsa_system_vgpr_workitem_id 0
		.amdhsa_next_free_vgpr 16
		.amdhsa_next_free_sgpr 26
		.amdhsa_reserve_vcc 1
		.amdhsa_float_round_mode_32 0
		.amdhsa_float_round_mode_16_64 0
		.amdhsa_float_denorm_mode_32 3
		.amdhsa_float_denorm_mode_16_64 3
		.amdhsa_fp16_overflow 0
		.amdhsa_workgroup_processor_mode 1
		.amdhsa_memory_ordered 1
		.amdhsa_forward_progress 1
		.amdhsa_inst_pref_size 20
		.amdhsa_round_robin_scheduling 0
		.amdhsa_exception_fp_ieee_invalid_op 0
		.amdhsa_exception_fp_denorm_src 0
		.amdhsa_exception_fp_ieee_div_zero 0
		.amdhsa_exception_fp_ieee_overflow 0
		.amdhsa_exception_fp_ieee_underflow 0
		.amdhsa_exception_fp_ieee_inexact 0
		.amdhsa_exception_int_div_zero 0
	.end_amdhsa_kernel
	.section	.text._ZL22rocblas_gemvtsm_kernelILb0ELi256E16rocblas_bfloat16fS0_EviiT2_lPKT1_lilS4_lilS1_lPT3_lil,"axG",@progbits,_ZL22rocblas_gemvtsm_kernelILb0ELi256E16rocblas_bfloat16fS0_EviiT2_lPKT1_lilS4_lilS1_lPT3_lil,comdat
.Lfunc_end555:
	.size	_ZL22rocblas_gemvtsm_kernelILb0ELi256E16rocblas_bfloat16fS0_EviiT2_lPKT1_lilS4_lilS1_lPT3_lil, .Lfunc_end555-_ZL22rocblas_gemvtsm_kernelILb0ELi256E16rocblas_bfloat16fS0_EviiT2_lPKT1_lilS4_lilS1_lPT3_lil
                                        ; -- End function
	.set _ZL22rocblas_gemvtsm_kernelILb0ELi256E16rocblas_bfloat16fS0_EviiT2_lPKT1_lilS4_lilS1_lPT3_lil.num_vgpr, 16
	.set _ZL22rocblas_gemvtsm_kernelILb0ELi256E16rocblas_bfloat16fS0_EviiT2_lPKT1_lilS4_lilS1_lPT3_lil.num_agpr, 0
	.set _ZL22rocblas_gemvtsm_kernelILb0ELi256E16rocblas_bfloat16fS0_EviiT2_lPKT1_lilS4_lilS1_lPT3_lil.numbered_sgpr, 26
	.set _ZL22rocblas_gemvtsm_kernelILb0ELi256E16rocblas_bfloat16fS0_EviiT2_lPKT1_lilS4_lilS1_lPT3_lil.num_named_barrier, 0
	.set _ZL22rocblas_gemvtsm_kernelILb0ELi256E16rocblas_bfloat16fS0_EviiT2_lPKT1_lilS4_lilS1_lPT3_lil.private_seg_size, 0
	.set _ZL22rocblas_gemvtsm_kernelILb0ELi256E16rocblas_bfloat16fS0_EviiT2_lPKT1_lilS4_lilS1_lPT3_lil.uses_vcc, 1
	.set _ZL22rocblas_gemvtsm_kernelILb0ELi256E16rocblas_bfloat16fS0_EviiT2_lPKT1_lilS4_lilS1_lPT3_lil.uses_flat_scratch, 0
	.set _ZL22rocblas_gemvtsm_kernelILb0ELi256E16rocblas_bfloat16fS0_EviiT2_lPKT1_lilS4_lilS1_lPT3_lil.has_dyn_sized_stack, 0
	.set _ZL22rocblas_gemvtsm_kernelILb0ELi256E16rocblas_bfloat16fS0_EviiT2_lPKT1_lilS4_lilS1_lPT3_lil.has_recursion, 0
	.set _ZL22rocblas_gemvtsm_kernelILb0ELi256E16rocblas_bfloat16fS0_EviiT2_lPKT1_lilS4_lilS1_lPT3_lil.has_indirect_call, 0
	.section	.AMDGPU.csdata,"",@progbits
; Kernel info:
; codeLenInByte = 2556
; TotalNumSgprs: 28
; NumVgprs: 16
; ScratchSize: 0
; MemoryBound: 0
; FloatMode: 240
; IeeeMode: 1
; LDSByteSize: 256 bytes/workgroup (compile time only)
; SGPRBlocks: 0
; VGPRBlocks: 1
; NumSGPRsForWavesPerEU: 28
; NumVGPRsForWavesPerEU: 16
; Occupancy: 16
; WaveLimiterHint : 1
; COMPUTE_PGM_RSRC2:SCRATCH_EN: 0
; COMPUTE_PGM_RSRC2:USER_SGPR: 2
; COMPUTE_PGM_RSRC2:TRAP_HANDLER: 0
; COMPUTE_PGM_RSRC2:TGID_X_EN: 1
; COMPUTE_PGM_RSRC2:TGID_Y_EN: 0
; COMPUTE_PGM_RSRC2:TGID_Z_EN: 0
; COMPUTE_PGM_RSRC2:TIDIG_COMP_CNT: 0
	.section	.text._ZL23rocblas_gemvt_sn_kernelILb0ELi256ELi4Ei16rocblas_bfloat16PKffEviiT4_lPKT3_lilS6_lilPT5_i,"axG",@progbits,_ZL23rocblas_gemvt_sn_kernelILb0ELi256ELi4Ei16rocblas_bfloat16PKffEviiT4_lPKT3_lilS6_lilPT5_i,comdat
	.globl	_ZL23rocblas_gemvt_sn_kernelILb0ELi256ELi4Ei16rocblas_bfloat16PKffEviiT4_lPKT3_lilS6_lilPT5_i ; -- Begin function _ZL23rocblas_gemvt_sn_kernelILb0ELi256ELi4Ei16rocblas_bfloat16PKffEviiT4_lPKT3_lilS6_lilPT5_i
	.p2align	8
	.type	_ZL23rocblas_gemvt_sn_kernelILb0ELi256ELi4Ei16rocblas_bfloat16PKffEviiT4_lPKT3_lilS6_lilPT5_i,@function
_ZL23rocblas_gemvt_sn_kernelILb0ELi256ELi4Ei16rocblas_bfloat16PKffEviiT4_lPKT3_lilS6_lilPT5_i: ; @_ZL23rocblas_gemvt_sn_kernelILb0ELi256ELi4Ei16rocblas_bfloat16PKffEviiT4_lPKT3_lilS6_lilPT5_i
; %bb.0:
	s_load_b32 s11, s[0:1], 0x60
	s_lshr_b32 s28, ttmp7, 16
	s_wait_kmcnt 0x0
	s_cmp_ge_u32 s28, s11
	s_cbranch_scc1 .LBB556_83
; %bb.1:
	s_clause 0x6
	s_load_b96 s[8:10], s[0:1], 0x40
	s_load_b256 s[12:19], s[0:1], 0x8
	s_load_b64 s[34:35], s[0:1], 0x0
	s_load_b128 s[20:23], s[0:1], 0x30
	s_load_b32 s36, s[0:1], 0x68
	s_load_b32 s38, s[0:1], 0x28
	s_load_b128 s[24:27], s[0:1], 0x50
	v_cmp_eq_u32_e64 s0, 0, v0
	v_mbcnt_lo_u32_b32 v28, -1, 0
	s_mov_b32 s41, 0
	s_mov_b32 s30, ttmp9
	s_mov_b32 s37, s41
	s_mov_b32 s31, s41
	v_lshl_or_b32 v29, v28, 2, 64
	s_mov_b32 s39, s41
	s_mov_b32 s49, s41
	s_wait_kmcnt 0x0
	s_lshl_b64 s[2:3], s[8:9], 1
	s_lshl_b64 s[4:5], s[18:19], 1
	s_ashr_i32 s7, s35, 31
	s_cmp_gt_i32 s35, 0
	s_add_nc_u64 s[18:19], s[22:23], s[2:3]
	s_add_nc_u64 s[2:3], s[16:17], s[4:5]
	s_cselect_b32 s1, -1, 0
	s_lshl_b32 s4, ttmp9, 10
	s_lshr_b32 s5, s7, 30
	v_lshl_or_b32 v1, v0, 2, s4
	s_ashr_i32 s4, s34, 31
	s_and_b32 s33, s0, s1
	s_wait_alu 0xfffe
	s_lshr_b32 s4, s4, 30
	s_add_co_i32 s1, s35, s5
	v_ashrrev_i32_e32 v2, 31, v1
	s_wait_alu 0xfffe
	s_add_co_i32 s4, s34, s4
	s_and_b32 s70, s1, -4
	s_wait_alu 0xfffe
	s_and_b32 s1, s4, -4
	v_mul_lo_u32 v5, s10, v1
	v_lshlrev_b64_e32 v[2:3], 1, v[1:2]
	s_sub_co_i32 s71, s34, s1
	v_add_nc_u32_e32 v4, 4, v1
	v_add_nc_u32_e32 v1, s71, v1
	v_cmp_gt_u32_e64 s5, 8, v0
	s_cmp_gt_i32 s70, 0
	v_add_co_u32 v24, vcc_lo, s2, v2
	s_delay_alu instid0(VALU_DEP_1)
	v_add_co_ci_u32_e64 v25, null, s3, v3, vcc_lo
	v_cmp_ge_i32_e64 s1, s34, v4
	v_and_b32_e32 v2, 31, v0
	v_cmp_gt_u32_e64 s3, 32, v0
	v_lshrrev_b32_e32 v4, 3, v0
	v_mov_b32_e32 v0, 0
	v_cmp_ge_i32_e64 s2, s34, v1
	v_add_nc_u32_e32 v1, s10, v5
	v_cmp_eq_u32_e64 s4, 0, v2
	v_lshlrev_b32_e32 v26, 2, v2
	v_and_b32_e32 v27, 28, v4
	v_ashrrev_i32_e32 v6, 31, v5
	v_add_nc_u32_e32 v3, s10, v1
	v_ashrrev_i32_e32 v2, 31, v1
	s_cselect_b32 s72, -1, 0
	s_cmp_gt_i32 s71, 0
	s_mov_b32 s6, s35
	v_add_nc_u32_e32 v12, s10, v3
	v_ashrrev_i32_e32 v4, 31, v3
	s_cselect_b32 s34, -1, 0
	s_lshl_b32 s40, s38, 1
	v_lshlrev_b64_e32 v[6:7], 1, v[5:6]
	v_ashrrev_i32_e32 v13, 31, v12
	v_lshlrev_b64_e32 v[8:9], 1, v[1:2]
	v_lshlrev_b64_e32 v[10:11], 1, v[3:4]
	s_mul_u64 s[16:17], s[6:7], s[36:37]
	s_lshl_b64 s[22:23], s[30:31], 2
	v_lshlrev_b64_e32 v[12:13], 1, v[12:13]
	s_mov_b64 s[50:51], s[40:41]
	s_mul_i32 s40, s38, 3
	s_add_nc_u64 s[42:43], s[26:27], s[22:23]
	s_lshl_b64 s[44:45], s[16:17], 2
	s_lshl_b64 s[46:47], s[36:37], 2
	s_lshl_b32 s48, s38, 2
	s_mov_b64 s[52:53], s[40:41]
	s_lshl_b64 s[54:55], s[20:21], 1
	s_branch .LBB556_3
.LBB556_2:                              ;   in Loop: Header=BB556_3 Depth=1
	s_add_co_i32 s28, s28, 0x10000
	s_delay_alu instid0(SALU_CYCLE_1)
	s_cmp_lt_u32 s28, s11
	s_cbranch_scc0 .LBB556_83
.LBB556_3:                              ; =>This Loop Header: Depth=1
                                        ;     Child Loop BB556_6 Depth 2
                                        ;     Child Loop BB556_12 Depth 2
                                        ;       Child Loop BB556_43 Depth 3
                                        ;       Child Loop BB556_46 Depth 3
                                        ;     Child Loop BB556_62 Depth 2
                                        ;       Child Loop BB556_75 Depth 3
                                        ;       Child Loop BB556_78 Depth 3
	s_mov_b32 s29, s41
	s_delay_alu instid0(SALU_CYCLE_1)
	s_mul_u64 s[6:7], s[14:15], s[28:29]
	s_wait_alu 0xfffe
	s_lshl_b64 s[6:7], s[6:7], 2
	s_wait_alu 0xfffe
	s_add_nc_u64 s[6:7], s[12:13], s[6:7]
	global_load_b32 v30, v0, s[6:7]
	s_mov_b32 s6, -1
	s_wait_loadcnt 0x0
	v_cmp_neq_f32_e32 vcc_lo, 0, v30
	s_cbranch_vccnz .LBB556_8
; %bb.4:                                ;   in Loop: Header=BB556_3 Depth=1
	s_and_saveexec_b32 s8, s33
	s_cbranch_execz .LBB556_7
; %bb.5:                                ;   in Loop: Header=BB556_3 Depth=1
	s_mul_u64 s[6:7], s[44:45], s[28:29]
	s_mov_b32 s9, s35
	s_wait_alu 0xfffe
	s_add_nc_u64 s[6:7], s[42:43], s[6:7]
.LBB556_6:                              ;   Parent Loop BB556_3 Depth=1
                                        ; =>  This Inner Loop Header: Depth=2
	s_add_co_i32 s9, s9, -1
	global_store_b32 v0, v0, s[6:7]
	s_wait_alu 0xfffe
	s_cmp_eq_u32 s9, 0
	s_add_nc_u64 s[6:7], s[6:7], s[46:47]
	s_cbranch_scc0 .LBB556_6
.LBB556_7:                              ;   in Loop: Header=BB556_3 Depth=1
	s_wait_alu 0xfffe
	s_or_b32 exec_lo, exec_lo, s8
	s_mov_b32 s6, 0
.LBB556_8:                              ;   in Loop: Header=BB556_3 Depth=1
	s_wait_alu 0xfffe
	s_and_not1_b32 vcc_lo, exec_lo, s6
	s_wait_alu 0xfffe
	s_cbranch_vccnz .LBB556_2
; %bb.9:                                ;   in Loop: Header=BB556_3 Depth=1
	s_mul_u64 s[6:7], s[24:25], s[28:29]
	s_mul_u64 s[8:9], s[20:21], s[28:29]
	s_wait_alu 0xfffe
	s_lshl_b64 s[6:7], s[6:7], 1
	s_mul_u64 s[60:61], s[16:17], s[28:29]
	s_wait_alu 0xfffe
	s_add_nc_u64 s[56:57], s[18:19], s[6:7]
	s_lshl_b64 s[6:7], s[8:9], 1
	v_cmp_gt_u32_e64 s9, 24, v28
	s_wait_alu 0xfffe
	v_add_co_u32 v31, vcc_lo, v24, s6
	s_wait_alu 0xfffd
	v_add_co_ci_u32_e64 v32, null, s7, v25, vcc_lo
	v_cmp_gt_u32_e64 s8, 28, v28
	v_cmp_gt_u32_e64 s7, 30, v28
	v_cmp_ne_u32_e64 s6, 31, v28
	s_lshl_b64 s[60:61], s[60:61], 2
	s_mul_u64 s[58:59], s[54:55], s[28:29]
	s_and_not1_b32 vcc_lo, exec_lo, s72
	s_wait_alu 0xfffe
	s_add_nc_u64 s[60:61], s[26:27], s[60:61]
	s_cbranch_vccnz .LBB556_58
; %bb.10:                               ;   in Loop: Header=BB556_3 Depth=1
	v_cndmask_b32_e64 v2, 0, 4, s8
	v_cndmask_b32_e64 v3, 0, 2, s7
	v_add_co_u32 v14, vcc_lo, s56, v6
	s_wait_alu 0xfffd
	v_add_co_ci_u32_e64 v15, null, s57, v7, vcc_lo
	v_add_co_u32 v16, vcc_lo, s56, v8
	v_cndmask_b32_e64 v1, 0, 8, s9
	v_add_co_ci_u32_e64 v4, null, 0, v28, s6
	v_add_lshl_u32 v34, v2, v28, 2
	v_add_lshl_u32 v35, v3, v28, 2
	s_wait_alu 0xfffd
	v_add_co_ci_u32_e64 v17, null, s57, v9, vcc_lo
	v_add_co_u32 v18, vcc_lo, s56, v10
	v_dual_mov_b32 v2, v0 :: v_dual_mov_b32 v3, v0
	s_wait_alu 0xfffd
	v_add_co_ci_u32_e64 v19, null, s57, v11, vcc_lo
	v_add_co_u32 v20, vcc_lo, s56, v12
	v_add_lshl_u32 v33, v1, v28, 2
	v_dual_mov_b32 v1, v0 :: v_dual_lshlrev_b32 v36, 2, v4
	s_wait_alu 0xfffd
	v_add_co_ci_u32_e64 v21, null, s57, v13, vcc_lo
	v_add_co_u32 v37, vcc_lo, v24, s58
	v_mov_b32_e32 v4, v3
	s_wait_alu 0xfffd
	v_add_co_ci_u32_e64 v38, null, s59, v25, vcc_lo
	v_mov_b32_e32 v3, v2
	v_mov_b32_e32 v2, v1
	;; [unrolled: 1-line block ×3, first 2 shown]
	s_mov_b32 s8, 0
	s_mov_b64 s[62:63], s[52:53]
	s_mov_b64 s[64:65], s[50:51]
	;; [unrolled: 1-line block ×3, first 2 shown]
	s_mov_b32 s29, 0
	s_branch .LBB556_12
.LBB556_11:                             ;   in Loop: Header=BB556_12 Depth=2
	s_wait_alu 0xfffe
	s_or_b32 exec_lo, exec_lo, s6
	s_add_co_i32 s29, s29, 4
	s_add_co_i32 s8, s8, s48
	s_add_nc_u64 s[66:67], s[66:67], s[48:49]
	s_add_nc_u64 s[64:65], s[64:65], s[48:49]
	s_cmp_ge_i32 s29, s70
	s_add_nc_u64 s[62:63], s[62:63], s[48:49]
	s_cbranch_scc1 .LBB556_59
.LBB556_12:                             ;   Parent Loop BB556_3 Depth=1
                                        ; =>  This Loop Header: Depth=2
                                        ;       Child Loop BB556_43 Depth 3
                                        ;       Child Loop BB556_46 Depth 3
                                        ; implicit-def: $vgpr39
                                        ; implicit-def: $vgpr40
                                        ; implicit-def: $vgpr41
                                        ; implicit-def: $vgpr42
	s_and_saveexec_b32 s6, s1
	s_wait_alu 0xfffe
	s_xor_b32 s6, exec_lo, s6
	s_cbranch_execnz .LBB556_39
; %bb.13:                               ;   in Loop: Header=BB556_12 Depth=2
	s_wait_alu 0xfffe
	s_and_not1_saveexec_b32 s31, s6
	s_cbranch_execnz .LBB556_40
.LBB556_14:                             ;   in Loop: Header=BB556_12 Depth=2
	s_or_b32 exec_lo, exec_lo, s31
	s_and_saveexec_b32 s6, s3
.LBB556_15:                             ;   in Loop: Header=BB556_12 Depth=2
	ds_store_b32 v26, v0
.LBB556_16:                             ;   in Loop: Header=BB556_12 Depth=2
	s_wait_alu 0xfffe
	s_or_b32 exec_lo, exec_lo, s6
	s_wait_dscnt 0x0
	ds_bpermute_b32 v22, v29, v42
	s_wait_storecnt_dscnt 0x0
	s_barrier_signal -1
	s_barrier_wait -1
	global_inv scope:SCOPE_SE
	v_add_f32_e32 v22, v42, v22
	ds_bpermute_b32 v23, v33, v22
	s_wait_dscnt 0x0
	v_add_f32_e32 v22, v22, v23
	ds_bpermute_b32 v23, v34, v22
	s_wait_dscnt 0x0
	;; [unrolled: 3-line block ×3, first 2 shown]
	v_add_f32_e32 v22, v22, v23
	ds_bpermute_b32 v23, v36, v22
	s_and_saveexec_b32 s6, s4
	s_cbranch_execz .LBB556_18
; %bb.17:                               ;   in Loop: Header=BB556_12 Depth=2
	s_wait_dscnt 0x0
	v_add_f32_e32 v22, v22, v23
	ds_store_b32 v27, v22
.LBB556_18:                             ;   in Loop: Header=BB556_12 Depth=2
	s_wait_alu 0xfffe
	s_or_b32 exec_lo, exec_lo, s6
	v_mov_b32_e32 v22, 0
	s_wait_loadcnt_dscnt 0x0
	s_barrier_signal -1
	s_barrier_wait -1
	global_inv scope:SCOPE_SE
	s_and_saveexec_b32 s6, s5
	s_cbranch_execnz .LBB556_47
; %bb.19:                               ;   in Loop: Header=BB556_12 Depth=2
	s_wait_alu 0xfffe
	s_or_b32 exec_lo, exec_lo, s6
	s_and_saveexec_b32 s6, s3
	s_cbranch_execnz .LBB556_48
.LBB556_20:                             ;   in Loop: Header=BB556_12 Depth=2
	s_wait_alu 0xfffe
	s_or_b32 exec_lo, exec_lo, s6
	s_and_saveexec_b32 s6, s3
.LBB556_21:                             ;   in Loop: Header=BB556_12 Depth=2
	ds_store_b32 v26, v0
.LBB556_22:                             ;   in Loop: Header=BB556_12 Depth=2
	s_wait_alu 0xfffe
	s_or_b32 exec_lo, exec_lo, s6
	ds_bpermute_b32 v23, v29, v41
	s_wait_loadcnt_dscnt 0x0
	s_barrier_signal -1
	s_barrier_wait -1
	global_inv scope:SCOPE_SE
	v_add_f32_e32 v23, v41, v23
	ds_bpermute_b32 v41, v33, v23
	s_wait_dscnt 0x0
	v_add_f32_e32 v23, v23, v41
	ds_bpermute_b32 v41, v34, v23
	s_wait_dscnt 0x0
	;; [unrolled: 3-line block ×3, first 2 shown]
	v_add_f32_e32 v23, v23, v41
	ds_bpermute_b32 v41, v36, v23
	s_and_saveexec_b32 s6, s4
	s_cbranch_execz .LBB556_24
; %bb.23:                               ;   in Loop: Header=BB556_12 Depth=2
	s_wait_dscnt 0x0
	v_add_f32_e32 v23, v23, v41
	ds_store_b32 v27, v23
.LBB556_24:                             ;   in Loop: Header=BB556_12 Depth=2
	s_wait_alu 0xfffe
	s_or_b32 exec_lo, exec_lo, s6
	v_mov_b32_e32 v23, 0
	s_wait_loadcnt_dscnt 0x0
	s_barrier_signal -1
	s_barrier_wait -1
	global_inv scope:SCOPE_SE
	s_and_saveexec_b32 s6, s5
	s_cbranch_execnz .LBB556_49
; %bb.25:                               ;   in Loop: Header=BB556_12 Depth=2
	s_wait_alu 0xfffe
	s_or_b32 exec_lo, exec_lo, s6
	s_and_saveexec_b32 s6, s3
	s_cbranch_execnz .LBB556_50
.LBB556_26:                             ;   in Loop: Header=BB556_12 Depth=2
	s_wait_alu 0xfffe
	s_or_b32 exec_lo, exec_lo, s6
	s_and_saveexec_b32 s6, s3
.LBB556_27:                             ;   in Loop: Header=BB556_12 Depth=2
	ds_store_b32 v26, v0
.LBB556_28:                             ;   in Loop: Header=BB556_12 Depth=2
	s_wait_alu 0xfffe
	s_or_b32 exec_lo, exec_lo, s6
	ds_bpermute_b32 v41, v29, v40
	s_wait_loadcnt_dscnt 0x0
	s_barrier_signal -1
	s_barrier_wait -1
	global_inv scope:SCOPE_SE
	v_add_f32_e32 v40, v40, v41
	ds_bpermute_b32 v41, v33, v40
	s_wait_dscnt 0x0
	v_add_f32_e32 v40, v40, v41
	ds_bpermute_b32 v41, v34, v40
	s_wait_dscnt 0x0
	;; [unrolled: 3-line block ×3, first 2 shown]
	v_add_f32_e32 v40, v40, v41
	ds_bpermute_b32 v41, v36, v40
	s_and_saveexec_b32 s6, s4
	s_cbranch_execz .LBB556_30
; %bb.29:                               ;   in Loop: Header=BB556_12 Depth=2
	s_wait_dscnt 0x0
	v_add_f32_e32 v40, v40, v41
	ds_store_b32 v27, v40
.LBB556_30:                             ;   in Loop: Header=BB556_12 Depth=2
	s_wait_alu 0xfffe
	s_or_b32 exec_lo, exec_lo, s6
	v_mov_b32_e32 v40, 0
	s_wait_loadcnt_dscnt 0x0
	s_barrier_signal -1
	s_barrier_wait -1
	global_inv scope:SCOPE_SE
	s_and_saveexec_b32 s6, s5
	s_cbranch_execnz .LBB556_51
; %bb.31:                               ;   in Loop: Header=BB556_12 Depth=2
	s_wait_alu 0xfffe
	s_or_b32 exec_lo, exec_lo, s6
	s_and_saveexec_b32 s6, s3
	s_cbranch_execnz .LBB556_52
.LBB556_32:                             ;   in Loop: Header=BB556_12 Depth=2
	s_wait_alu 0xfffe
	s_or_b32 exec_lo, exec_lo, s6
	s_and_saveexec_b32 s6, s3
.LBB556_33:                             ;   in Loop: Header=BB556_12 Depth=2
	ds_store_b32 v26, v0
.LBB556_34:                             ;   in Loop: Header=BB556_12 Depth=2
	s_wait_alu 0xfffe
	s_or_b32 exec_lo, exec_lo, s6
	ds_bpermute_b32 v41, v29, v39
	s_wait_loadcnt_dscnt 0x0
	s_barrier_signal -1
	s_barrier_wait -1
	global_inv scope:SCOPE_SE
	v_add_f32_e32 v39, v39, v41
	ds_bpermute_b32 v41, v33, v39
	s_wait_dscnt 0x0
	v_add_f32_e32 v39, v39, v41
	ds_bpermute_b32 v41, v34, v39
	s_wait_dscnt 0x0
	;; [unrolled: 3-line block ×3, first 2 shown]
	v_add_f32_e32 v39, v39, v41
	ds_bpermute_b32 v41, v36, v39
	s_and_saveexec_b32 s6, s4
	s_cbranch_execz .LBB556_36
; %bb.35:                               ;   in Loop: Header=BB556_12 Depth=2
	s_wait_dscnt 0x0
	v_add_f32_e32 v39, v39, v41
	ds_store_b32 v27, v39
.LBB556_36:                             ;   in Loop: Header=BB556_12 Depth=2
	s_wait_alu 0xfffe
	s_or_b32 exec_lo, exec_lo, s6
	v_mov_b32_e32 v39, 0
	s_wait_loadcnt_dscnt 0x0
	s_barrier_signal -1
	s_barrier_wait -1
	global_inv scope:SCOPE_SE
	s_and_saveexec_b32 s6, s5
	s_cbranch_execnz .LBB556_53
; %bb.37:                               ;   in Loop: Header=BB556_12 Depth=2
	s_wait_alu 0xfffe
	s_or_b32 exec_lo, exec_lo, s6
	s_and_saveexec_b32 s6, s3
	s_cbranch_execnz .LBB556_54
.LBB556_38:                             ;   in Loop: Header=BB556_12 Depth=2
	s_wait_alu 0xfffe
	s_or_b32 exec_lo, exec_lo, s6
	s_and_saveexec_b32 s6, s0
	s_cbranch_execz .LBB556_11
	s_branch .LBB556_55
.LBB556_39:                             ;   in Loop: Header=BB556_12 Depth=2
	s_mul_i32 s68, s29, s38
	s_wait_alu 0xfffe
	s_ashr_i32 s69, s68, 31
	s_add_co_i32 s74, s68, s38
	s_wait_alu 0xfffe
	s_lshl_b64 s[68:69], s[68:69], 1
	s_ashr_i32 s75, s74, 31
	s_wait_alu 0xfffe
	v_add_co_u32 v1, vcc_lo, v31, s68
	s_wait_alu 0xfffd
	v_add_co_ci_u32_e64 v2, null, s69, v32, vcc_lo
	s_lshl_b64 s[68:69], s[74:75], 1
	s_wait_alu 0xfffe
	v_add_co_u32 v3, vcc_lo, v31, s68
	s_add_co_i32 s68, s74, s38
	s_wait_alu 0xfffd
	v_add_co_ci_u32_e64 v4, null, s69, v32, vcc_lo
	s_wait_alu 0xfffe
	s_ashr_i32 s69, s68, 31
	s_add_co_i32 s74, s68, s38
	s_wait_alu 0xfffe
	s_lshl_b64 s[68:69], s[68:69], 1
	s_wait_dscnt 0x0
	s_clause 0x1
	global_load_b64 v[22:23], v[1:2], off
	global_load_b64 v[39:40], v[3:4], off
	s_ashr_i32 s75, s74, 31
	s_wait_alu 0xfffe
	v_add_co_u32 v1, vcc_lo, v31, s68
	s_wait_alu 0xfffd
	v_add_co_ci_u32_e64 v2, null, s69, v32, vcc_lo
	s_lshl_b64 s[68:69], s[74:75], 1
	s_clause 0x2
	global_load_u16 v45, v[14:15], off
	global_load_u16 v46, v[16:17], off
	;; [unrolled: 1-line block ×3, first 2 shown]
	s_wait_alu 0xfffe
	v_add_co_u32 v3, vcc_lo, v31, s68
	s_wait_alu 0xfffd
	v_add_co_ci_u32_e64 v4, null, s69, v32, vcc_lo
	s_clause 0x1
	global_load_b64 v[41:42], v[1:2], off
	global_load_b64 v[43:44], v[3:4], off
	global_load_u16 v4, v[20:21], off
	s_wait_loadcnt 0x2
	v_and_b32_e32 v51, 0xffff0000, v41
	v_and_b32_e32 v53, 0xffff0000, v42
	s_wait_loadcnt 0x0
	v_lshlrev_b32_e32 v4, 16, v4
	v_lshlrev_b32_e32 v3, 16, v47
	;; [unrolled: 1-line block ×9, first 2 shown]
	v_and_b32_e32 v43, 0xffff0000, v43
	v_fma_f32 v42, v1, v45, 0
	v_and_b32_e32 v45, 0xffff0000, v44
	v_and_b32_e32 v48, 0xffff0000, v39
	;; [unrolled: 1-line block ×3, first 2 shown]
	s_delay_alu instid0(VALU_DEP_1) | instskip(SKIP_2) | instid1(VALU_DEP_2)
	v_dual_fmac_f32 v42, v2, v22 :: v_dual_lshlrev_b32 v39, 16, v41
	v_fma_f32 v41, v1, v47, 0
	v_lshlrev_b32_e32 v22, 16, v44
	v_fmac_f32_e32 v41, v2, v48
	s_delay_alu instid0(VALU_DEP_1) | instskip(SKIP_2) | instid1(VALU_DEP_2)
	v_dual_fmac_f32 v41, v3, v49 :: v_dual_and_b32 v50, 0xffff0000, v40
	v_fma_f32 v40, v1, v39, 0
	v_fma_f32 v39, v54, v1, 0
	v_fmac_f32_e32 v40, v2, v51
	s_delay_alu instid0(VALU_DEP_2) | instskip(SKIP_1) | instid1(VALU_DEP_3)
	v_fmac_f32_e32 v39, v2, v43
	v_dual_fmac_f32 v41, v4, v50 :: v_dual_lshlrev_b32 v46, 16, v23
	v_fmac_f32_e32 v40, v3, v52
	s_delay_alu instid0(VALU_DEP_1) | instskip(NEXT) | instid1(VALU_DEP_3)
	v_dual_fmac_f32 v40, v4, v53 :: v_dual_and_b32 v23, 0xffff0000, v23
	v_dual_fmac_f32 v42, v3, v46 :: v_dual_fmac_f32 v39, v22, v3
	s_delay_alu instid0(VALU_DEP_1) | instskip(NEXT) | instid1(VALU_DEP_2)
	v_fmac_f32_e32 v42, v4, v23
	v_fmac_f32_e32 v39, v4, v45
	s_and_not1_saveexec_b32 s31, s6
	s_cbranch_execz .LBB556_14
.LBB556_40:                             ;   in Loop: Header=BB556_12 Depth=2
	s_wait_dscnt 0x0
	v_dual_mov_b32 v39, 0 :: v_dual_mov_b32 v40, 0
	v_dual_mov_b32 v41, 0 :: v_dual_mov_b32 v42, 0
	s_and_saveexec_b32 s40, s2
	s_cbranch_execz .LBB556_57
; %bb.41:                               ;   in Loop: Header=BB556_12 Depth=2
	s_and_not1_b32 vcc_lo, exec_lo, s34
	s_wait_alu 0xfffe
	s_cbranch_vccnz .LBB556_44
; %bb.42:                               ;   in Loop: Header=BB556_12 Depth=2
	v_mov_b32_e32 v22, v5
	s_mov_b64 s[68:69], 0
.LBB556_43:                             ;   Parent Loop BB556_3 Depth=1
                                        ;     Parent Loop BB556_12 Depth=2
                                        ; =>    This Inner Loop Header: Depth=3
	s_delay_alu instid0(VALU_DEP_1) | instskip(SKIP_2) | instid1(VALU_DEP_1)
	v_ashrrev_i32_e32 v23, 31, v22
	s_wait_alu 0xfffe
	s_cmp_eq_u32 s68, 3
	v_lshlrev_b64_e32 v[39:40], 1, v[22:23]
	s_delay_alu instid0(VALU_DEP_1) | instskip(SKIP_1) | instid1(VALU_DEP_2)
	v_add_co_u32 v39, vcc_lo, s56, v39
	s_wait_alu 0xfffd
	v_add_co_ci_u32_e64 v40, null, s57, v40, vcc_lo
	s_cselect_b32 vcc_lo, -1, 0
	s_cmp_eq_u32 s68, 2
	s_cselect_b32 s6, -1, 0
	global_load_u16 v23, v[39:40], off
	s_cmp_eq_u32 s68, 1
	s_cselect_b32 s7, -1, 0
	s_cmp_eq_u32 s68, 0
	s_add_nc_u64 s[68:69], s[68:69], 1
	s_wait_loadcnt 0x0
	v_lshlrev_b32_e32 v23, 16, v23
	s_wait_alu 0xfffe
	s_delay_alu instid0(VALU_DEP_1)
	v_cndmask_b32_e32 v4, v4, v23, vcc_lo
	s_cselect_b32 vcc_lo, -1, 0
	s_wait_alu 0xfffe
	v_dual_cndmask_b32 v1, v1, v23 :: v_dual_add_nc_u32 v22, s10, v22
	v_cndmask_b32_e64 v3, v3, v23, s6
	v_cndmask_b32_e64 v2, v2, v23, s7
	s_cmp_eq_u32 s71, s68
	s_cbranch_scc0 .LBB556_43
.LBB556_44:                             ;   in Loop: Header=BB556_12 Depth=2
	s_and_not1_b32 vcc_lo, exec_lo, s34
	s_wait_alu 0xfffe
	s_cbranch_vccnz .LBB556_56
; %bb.45:                               ;   in Loop: Header=BB556_12 Depth=2
	s_ashr_i32 s9, s8, 31
	v_dual_mov_b32 v42, 0 :: v_dual_mov_b32 v41, 0
	s_wait_alu 0xfffe
	s_lshl_b64 s[6:7], s[8:9], 1
	v_dual_mov_b32 v40, 0 :: v_dual_mov_b32 v39, 0
	s_wait_alu 0xfffe
	v_add_co_u32 v22, vcc_lo, v37, s6
	s_wait_alu 0xfffd
	v_add_co_ci_u32_e64 v23, null, s7, v38, vcc_lo
	s_mov_b64 s[68:69], 0
.LBB556_46:                             ;   Parent Loop BB556_3 Depth=1
                                        ;     Parent Loop BB556_12 Depth=2
                                        ; =>    This Inner Loop Header: Depth=3
	s_wait_alu 0xfffe
	s_cmp_eq_u32 s68, 1
	s_cselect_b32 vcc_lo, -1, 0
	s_cmp_eq_u32 s68, 2
	s_wait_alu 0xfffe
	v_cndmask_b32_e32 v43, v1, v2, vcc_lo
	s_cselect_b32 vcc_lo, -1, 0
	s_cmp_eq_u32 s68, 3
	s_wait_alu 0xfffe
	s_delay_alu instid0(VALU_DEP_1)
	v_cndmask_b32_e32 v49, v43, v3, vcc_lo
	s_cselect_b32 vcc_lo, -1, 0
	s_add_co_i32 s6, s66, s68
	s_add_co_i32 s74, s64, s68
	s_wait_alu 0xfffe
	s_ashr_i32 s7, s6, 31
	s_add_co_i32 s76, s62, s68
	s_ashr_i32 s75, s74, 31
	s_wait_alu 0xfffe
	s_lshl_b64 s[6:7], s[6:7], 1
	s_ashr_i32 s77, s76, 31
	s_lshl_b64 s[74:75], s[74:75], 1
	s_wait_alu 0xfffe
	v_add_co_u32 v43, s6, v31, s6
	s_lshl_b64 s[76:77], s[76:77], 1
	v_add_co_ci_u32_e64 v44, null, s7, v32, s6
	v_add_co_u32 v45, s6, v31, s74
	s_wait_alu 0xf1ff
	v_add_co_ci_u32_e64 v46, null, s75, v32, s6
	s_wait_alu 0xfffe
	v_add_co_u32 v47, s6, v31, s76
	s_wait_alu 0xf1ff
	v_add_co_ci_u32_e64 v48, null, s77, v32, s6
	global_load_u16 v50, v[22:23], off
	s_clause 0x2
	global_load_u16 v43, v[43:44], off
	global_load_u16 v44, v[45:46], off
	;; [unrolled: 1-line block ×3, first 2 shown]
	v_cndmask_b32_e32 v46, v49, v4, vcc_lo
	v_add_co_u32 v22, s6, v22, 2
	s_wait_alu 0xf1ff
	v_add_co_ci_u32_e64 v23, null, 0, v23, s6
	s_add_nc_u64 s[68:69], s[68:69], 1
	s_wait_alu 0xfffe
	s_cmp_lg_u32 s71, s68
	s_wait_loadcnt 0x3
	v_lshlrev_b32_e32 v47, 16, v50
	s_wait_loadcnt 0x2
	v_lshlrev_b32_e32 v43, 16, v43
	;; [unrolled: 2-line block ×3, first 2 shown]
	s_wait_loadcnt 0x0
	v_dual_fmac_f32 v42, v46, v47 :: v_dual_lshlrev_b32 v45, 16, v45
	v_fmac_f32_e32 v41, v46, v43
	s_delay_alu instid0(VALU_DEP_3) | instskip(NEXT) | instid1(VALU_DEP_3)
	v_fmac_f32_e32 v40, v46, v44
	v_fmac_f32_e32 v39, v46, v45
	s_cbranch_scc1 .LBB556_46
	s_branch .LBB556_57
.LBB556_47:                             ;   in Loop: Header=BB556_12 Depth=2
	ds_load_b32 v22, v26
	s_wait_alu 0xfffe
	s_or_b32 exec_lo, exec_lo, s6
	s_and_saveexec_b32 s6, s3
	s_cbranch_execz .LBB556_20
.LBB556_48:                             ;   in Loop: Header=BB556_12 Depth=2
	s_wait_dscnt 0x0
	ds_bpermute_b32 v23, v34, v22
	s_wait_dscnt 0x0
	v_add_f32_e32 v22, v22, v23
	ds_bpermute_b32 v23, v35, v22
	s_wait_dscnt 0x0
	v_add_f32_e32 v22, v22, v23
	;; [unrolled: 3-line block ×3, first 2 shown]
	s_wait_alu 0xfffe
	s_or_b32 exec_lo, exec_lo, s6
	s_and_saveexec_b32 s6, s3
	s_cbranch_execnz .LBB556_21
	s_branch .LBB556_22
.LBB556_49:                             ;   in Loop: Header=BB556_12 Depth=2
	ds_load_b32 v23, v26
	s_wait_alu 0xfffe
	s_or_b32 exec_lo, exec_lo, s6
	s_and_saveexec_b32 s6, s3
	s_cbranch_execz .LBB556_26
.LBB556_50:                             ;   in Loop: Header=BB556_12 Depth=2
	s_wait_dscnt 0x0
	ds_bpermute_b32 v41, v34, v23
	s_wait_dscnt 0x0
	v_add_f32_e32 v23, v23, v41
	ds_bpermute_b32 v41, v35, v23
	s_wait_dscnt 0x0
	v_add_f32_e32 v23, v23, v41
	;; [unrolled: 3-line block ×3, first 2 shown]
	s_wait_alu 0xfffe
	s_or_b32 exec_lo, exec_lo, s6
	s_and_saveexec_b32 s6, s3
	s_cbranch_execnz .LBB556_27
	s_branch .LBB556_28
.LBB556_51:                             ;   in Loop: Header=BB556_12 Depth=2
	ds_load_b32 v40, v26
	s_wait_alu 0xfffe
	s_or_b32 exec_lo, exec_lo, s6
	s_and_saveexec_b32 s6, s3
	s_cbranch_execz .LBB556_32
.LBB556_52:                             ;   in Loop: Header=BB556_12 Depth=2
	s_wait_dscnt 0x0
	ds_bpermute_b32 v41, v34, v40
	s_wait_dscnt 0x0
	v_add_f32_e32 v40, v40, v41
	ds_bpermute_b32 v41, v35, v40
	s_wait_dscnt 0x0
	v_add_f32_e32 v40, v40, v41
	;; [unrolled: 3-line block ×3, first 2 shown]
	s_wait_alu 0xfffe
	s_or_b32 exec_lo, exec_lo, s6
	s_and_saveexec_b32 s6, s3
	s_cbranch_execnz .LBB556_33
	s_branch .LBB556_34
.LBB556_53:                             ;   in Loop: Header=BB556_12 Depth=2
	ds_load_b32 v39, v26
	s_wait_alu 0xfffe
	s_or_b32 exec_lo, exec_lo, s6
	s_and_saveexec_b32 s6, s3
	s_cbranch_execz .LBB556_38
.LBB556_54:                             ;   in Loop: Header=BB556_12 Depth=2
	s_wait_dscnt 0x0
	ds_bpermute_b32 v41, v34, v39
	s_wait_dscnt 0x0
	v_add_f32_e32 v39, v39, v41
	ds_bpermute_b32 v41, v35, v39
	s_wait_dscnt 0x0
	v_add_f32_e32 v39, v39, v41
	;; [unrolled: 3-line block ×3, first 2 shown]
	s_wait_alu 0xfffe
	s_or_b32 exec_lo, exec_lo, s6
	s_and_saveexec_b32 s6, s0
	s_cbranch_execz .LBB556_11
.LBB556_55:                             ;   in Loop: Header=BB556_12 Depth=2
	s_mul_i32 s7, s29, s36
	v_mul_f32_e32 v22, v30, v22
	s_wait_alu 0xfffe
	s_add_co_i32 s40, s7, s30
	v_mul_f32_e32 v23, v30, v23
	s_wait_alu 0xfffe
	s_lshl_b64 s[68:69], s[40:41], 2
	s_add_co_i32 s40, s40, s36
	s_wait_alu 0xfffe
	s_add_nc_u64 s[68:69], s[60:61], s[68:69]
	s_lshl_b64 s[74:75], s[40:41], 2
	s_add_co_i32 s40, s40, s36
	s_wait_alu 0xfffe
	s_add_nc_u64 s[74:75], s[60:61], s[74:75]
	s_clause 0x1
	global_store_b32 v0, v22, s[68:69]
	global_store_b32 v0, v23, s[74:75]
	v_mul_f32_e32 v22, v30, v40
	s_lshl_b64 s[68:69], s[40:41], 2
	s_add_co_i32 s40, s40, s36
	s_wait_dscnt 0x0
	v_mul_f32_e32 v23, v30, v39
	s_wait_alu 0xfffe
	s_lshl_b64 s[74:75], s[40:41], 2
	s_add_nc_u64 s[68:69], s[60:61], s[68:69]
	s_wait_alu 0xfffe
	s_add_nc_u64 s[74:75], s[60:61], s[74:75]
	s_clause 0x1
	global_store_b32 v0, v22, s[68:69]
	global_store_b32 v0, v23, s[74:75]
	s_branch .LBB556_11
.LBB556_56:                             ;   in Loop: Header=BB556_12 Depth=2
	v_dual_mov_b32 v39, 0 :: v_dual_mov_b32 v40, 0
	v_dual_mov_b32 v41, 0 :: v_dual_mov_b32 v42, 0
.LBB556_57:                             ;   in Loop: Header=BB556_12 Depth=2
	s_wait_alu 0xfffe
	s_or_b32 exec_lo, exec_lo, s40
	s_delay_alu instid0(SALU_CYCLE_1)
	s_or_b32 exec_lo, exec_lo, s31
	s_and_saveexec_b32 s6, s3
	s_cbranch_execnz .LBB556_15
	s_branch .LBB556_16
.LBB556_58:                             ;   in Loop: Header=BB556_3 Depth=1
	v_mov_b32_e32 v3, v0
	v_dual_mov_b32 v1, v0 :: v_dual_mov_b32 v2, v0
	s_mov_b32 s29, 0
	s_delay_alu instid0(VALU_DEP_2) | instskip(NEXT) | instid1(VALU_DEP_2)
	v_mov_b32_e32 v4, v3
	v_mov_b32_e32 v3, v2
	s_delay_alu instid0(VALU_DEP_3)
	v_mov_b32_e32 v2, v1
	v_mov_b32_e32 v1, v0
.LBB556_59:                             ;   in Loop: Header=BB556_3 Depth=1
	s_cmp_ge_i32 s29, s35
	s_cbranch_scc1 .LBB556_2
; %bb.60:                               ;   in Loop: Header=BB556_3 Depth=1
	v_cmp_gt_u32_e32 vcc_lo, 24, v28
	s_wait_alu 0xfffe
	s_add_nc_u64 s[8:9], s[60:61], s[22:23]
	s_mov_b32 s40, s29
	s_wait_alu 0xfffd
	v_cndmask_b32_e64 v14, 0, 8, vcc_lo
	v_cmp_gt_u32_e32 vcc_lo, 28, v28
	s_delay_alu instid0(VALU_DEP_2) | instskip(SKIP_3) | instid1(VALU_DEP_2)
	v_add_lshl_u32 v33, v14, v28, 2
	s_wait_alu 0xfffd
	v_cndmask_b32_e64 v15, 0, 4, vcc_lo
	v_cmp_gt_u32_e32 vcc_lo, 30, v28
	v_add_lshl_u32 v34, v15, v28, 2
	s_wait_alu 0xfffd
	v_cndmask_b32_e64 v16, 0, 2, vcc_lo
	v_cmp_ne_u32_e32 vcc_lo, 31, v28
	s_delay_alu instid0(VALU_DEP_2)
	v_add_lshl_u32 v35, v16, v28, 2
	s_wait_alu 0xfffd
	v_add_co_ci_u32_e64 v17, null, 0, v28, vcc_lo
	v_add_co_u32 v14, vcc_lo, s56, v6
	s_wait_alu 0xfffd
	v_add_co_ci_u32_e64 v15, null, s57, v7, vcc_lo
	v_add_co_u32 v16, vcc_lo, s56, v8
	v_lshlrev_b32_e32 v36, 2, v17
	s_wait_alu 0xfffd
	v_add_co_ci_u32_e64 v17, null, s57, v9, vcc_lo
	v_add_co_u32 v18, vcc_lo, s56, v10
	s_wait_alu 0xfffd
	v_add_co_ci_u32_e64 v19, null, s57, v11, vcc_lo
	v_add_co_u32 v20, vcc_lo, s56, v12
	;; [unrolled: 3-line block ×3, first 2 shown]
	s_wait_alu 0xfffd
	v_add_co_ci_u32_e64 v38, null, s59, v25, vcc_lo
	s_mul_i32 s58, s38, s29
	s_branch .LBB556_62
.LBB556_61:                             ;   in Loop: Header=BB556_62 Depth=2
	s_wait_alu 0xfffe
	s_or_b32 exec_lo, exec_lo, s6
	s_add_co_i32 s40, s40, 1
	s_add_co_i32 s58, s58, s38
	s_wait_alu 0xfffe
	s_cmp_ge_i32 s40, s35
	s_cbranch_scc1 .LBB556_2
.LBB556_62:                             ;   Parent Loop BB556_3 Depth=1
                                        ; =>  This Loop Header: Depth=2
                                        ;       Child Loop BB556_75 Depth 3
                                        ;       Child Loop BB556_78 Depth 3
	s_wait_dscnt 0x0
	v_mov_b32_e32 v39, s41
	s_and_saveexec_b32 s6, s1
	s_wait_alu 0xfffe
	s_xor_b32 s6, exec_lo, s6
	s_cbranch_execnz .LBB556_71
; %bb.63:                               ;   in Loop: Header=BB556_62 Depth=2
	s_wait_alu 0xfffe
	s_and_not1_saveexec_b32 s29, s6
	s_cbranch_execnz .LBB556_72
.LBB556_64:                             ;   in Loop: Header=BB556_62 Depth=2
	s_or_b32 exec_lo, exec_lo, s29
	s_and_saveexec_b32 s6, s3
.LBB556_65:                             ;   in Loop: Header=BB556_62 Depth=2
	ds_store_b32 v26, v0
.LBB556_66:                             ;   in Loop: Header=BB556_62 Depth=2
	s_wait_alu 0xfffe
	s_or_b32 exec_lo, exec_lo, s6
	ds_bpermute_b32 v22, v29, v39
	s_wait_storecnt 0x0
	s_wait_loadcnt_dscnt 0x0
	s_barrier_signal -1
	s_barrier_wait -1
	global_inv scope:SCOPE_SE
	v_add_f32_e32 v22, v39, v22
	ds_bpermute_b32 v23, v33, v22
	s_wait_dscnt 0x0
	v_add_f32_e32 v22, v22, v23
	ds_bpermute_b32 v23, v34, v22
	s_wait_dscnt 0x0
	;; [unrolled: 3-line block ×3, first 2 shown]
	v_add_f32_e32 v22, v22, v23
	ds_bpermute_b32 v23, v36, v22
	s_and_saveexec_b32 s6, s4
	s_cbranch_execz .LBB556_68
; %bb.67:                               ;   in Loop: Header=BB556_62 Depth=2
	s_wait_dscnt 0x0
	v_add_f32_e32 v22, v22, v23
	ds_store_b32 v27, v22
.LBB556_68:                             ;   in Loop: Header=BB556_62 Depth=2
	s_wait_alu 0xfffe
	s_or_b32 exec_lo, exec_lo, s6
	v_mov_b32_e32 v22, 0
	s_wait_loadcnt_dscnt 0x0
	s_barrier_signal -1
	s_barrier_wait -1
	global_inv scope:SCOPE_SE
	s_and_saveexec_b32 s6, s5
	s_cbranch_execnz .LBB556_80
; %bb.69:                               ;   in Loop: Header=BB556_62 Depth=2
	s_wait_alu 0xfffe
	s_or_b32 exec_lo, exec_lo, s6
	s_and_saveexec_b32 s6, s3
	s_cbranch_execnz .LBB556_81
.LBB556_70:                             ;   in Loop: Header=BB556_62 Depth=2
	s_wait_alu 0xfffe
	s_or_b32 exec_lo, exec_lo, s6
	s_and_saveexec_b32 s6, s0
	s_cbranch_execz .LBB556_61
	s_branch .LBB556_82
.LBB556_71:                             ;   in Loop: Header=BB556_62 Depth=2
	s_mul_i32 s60, s40, s38
	s_wait_alu 0xfffe
	s_ashr_i32 s61, s60, 31
	s_wait_alu 0xfffe
	s_lshl_b64 s[60:61], s[60:61], 1
	s_wait_alu 0xfffe
	v_add_co_u32 v1, vcc_lo, v31, s60
	s_wait_alu 0xfffd
	v_add_co_ci_u32_e64 v2, null, s61, v32, vcc_lo
	global_load_u16 v3, v[14:15], off
	global_load_b64 v[22:23], v[1:2], off
	s_clause 0x2
	global_load_u16 v2, v[16:17], off
	global_load_u16 v4, v[18:19], off
	;; [unrolled: 1-line block ×3, first 2 shown]
	s_wait_loadcnt 0x4
	v_lshlrev_b32_e32 v1, 16, v3
	s_wait_loadcnt 0x3
	v_lshlrev_b32_e32 v3, 16, v22
	v_and_b32_e32 v22, 0xffff0000, v22
	s_delay_alu instid0(VALU_DEP_2)
	v_fma_f32 v39, v1, v3, 0
	s_wait_loadcnt 0x1
	v_lshlrev_b32_e32 v3, 16, v4
	s_wait_loadcnt 0x0
	v_lshlrev_b32_e32 v4, 16, v40
	v_lshlrev_b32_e32 v2, 16, v2
	s_delay_alu instid0(VALU_DEP_1) | instskip(SKIP_1) | instid1(VALU_DEP_2)
	v_dual_fmac_f32 v39, v2, v22 :: v_dual_lshlrev_b32 v22, 16, v23
	v_and_b32_e32 v23, 0xffff0000, v23
	v_fmac_f32_e32 v39, v3, v22
	s_delay_alu instid0(VALU_DEP_1)
	v_fmac_f32_e32 v39, v4, v23
	s_and_not1_saveexec_b32 s29, s6
	s_cbranch_execz .LBB556_64
.LBB556_72:                             ;   in Loop: Header=BB556_62 Depth=2
	s_and_saveexec_b32 s31, s2
	s_cbranch_execz .LBB556_79
; %bb.73:                               ;   in Loop: Header=BB556_62 Depth=2
	s_and_not1_b32 vcc_lo, exec_lo, s34
	s_wait_alu 0xfffe
	s_cbranch_vccnz .LBB556_76
; %bb.74:                               ;   in Loop: Header=BB556_62 Depth=2
	v_mov_b32_e32 v22, v5
	s_mov_b64 s[60:61], 0
.LBB556_75:                             ;   Parent Loop BB556_3 Depth=1
                                        ;     Parent Loop BB556_62 Depth=2
                                        ; =>    This Inner Loop Header: Depth=3
	s_delay_alu instid0(VALU_DEP_1) | instskip(SKIP_2) | instid1(VALU_DEP_1)
	v_ashrrev_i32_e32 v23, 31, v22
	s_wait_alu 0xfffe
	s_cmp_eq_u32 s60, 3
	v_lshlrev_b64_e32 v[40:41], 1, v[22:23]
	s_delay_alu instid0(VALU_DEP_1) | instskip(SKIP_1) | instid1(VALU_DEP_2)
	v_add_co_u32 v40, vcc_lo, s56, v40
	s_wait_alu 0xfffd
	v_add_co_ci_u32_e64 v41, null, s57, v41, vcc_lo
	s_cselect_b32 vcc_lo, -1, 0
	s_cmp_eq_u32 s60, 2
	s_cselect_b32 s6, -1, 0
	global_load_u16 v23, v[40:41], off
	s_cmp_eq_u32 s60, 1
	s_cselect_b32 s7, -1, 0
	s_cmp_eq_u32 s60, 0
	s_add_nc_u64 s[60:61], s[60:61], 1
	s_wait_loadcnt 0x0
	v_lshlrev_b32_e32 v23, 16, v23
	s_wait_alu 0xfffe
	s_delay_alu instid0(VALU_DEP_1)
	v_cndmask_b32_e32 v4, v4, v23, vcc_lo
	s_cselect_b32 vcc_lo, -1, 0
	s_wait_alu 0xfffe
	v_dual_cndmask_b32 v1, v1, v23 :: v_dual_add_nc_u32 v22, s10, v22
	v_cndmask_b32_e64 v3, v3, v23, s6
	v_cndmask_b32_e64 v2, v2, v23, s7
	s_cmp_eq_u32 s71, s60
	s_cbranch_scc0 .LBB556_75
.LBB556_76:                             ;   in Loop: Header=BB556_62 Depth=2
	s_and_not1_b32 vcc_lo, exec_lo, s34
	s_wait_alu 0xfffe
	s_cbranch_vccnz .LBB556_79
; %bb.77:                               ;   in Loop: Header=BB556_62 Depth=2
	s_ashr_i32 s59, s58, 31
	s_wait_alu 0xfffe
	s_lshl_b64 s[6:7], s[58:59], 1
	s_wait_alu 0xfffe
	v_add_co_u32 v22, vcc_lo, v37, s6
	s_wait_alu 0xfffd
	v_add_co_ci_u32_e64 v23, null, s7, v38, vcc_lo
	s_mov_b64 s[6:7], 0
.LBB556_78:                             ;   Parent Loop BB556_3 Depth=1
                                        ;     Parent Loop BB556_62 Depth=2
                                        ; =>    This Inner Loop Header: Depth=3
	global_load_u16 v40, v[22:23], off
	s_wait_alu 0xfffe
	s_cmp_eq_u32 s6, 1
	s_cselect_b32 vcc_lo, -1, 0
	s_cmp_eq_u32 s6, 2
	s_wait_alu 0xfffe
	v_cndmask_b32_e32 v41, v1, v2, vcc_lo
	s_cselect_b32 vcc_lo, -1, 0
	s_cmp_eq_u32 s6, 3
	s_add_nc_u64 s[6:7], s[6:7], 1
	s_wait_loadcnt 0x0
	s_wait_alu 0xfffe
	v_dual_cndmask_b32 v41, v41, v3 :: v_dual_lshlrev_b32 v40, 16, v40
	s_cselect_b32 vcc_lo, -1, 0
	s_cmp_lg_u32 s71, s6
	s_wait_alu 0xfffe
	s_delay_alu instid0(VALU_DEP_1) | instskip(SKIP_3) | instid1(VALU_DEP_3)
	v_cndmask_b32_e32 v41, v41, v4, vcc_lo
	v_add_co_u32 v22, vcc_lo, v22, 2
	s_wait_alu 0xfffd
	v_add_co_ci_u32_e64 v23, null, 0, v23, vcc_lo
	v_fmac_f32_e32 v39, v41, v40
	s_cbranch_scc1 .LBB556_78
.LBB556_79:                             ;   in Loop: Header=BB556_62 Depth=2
	s_or_b32 exec_lo, exec_lo, s31
	s_delay_alu instid0(SALU_CYCLE_1)
	s_or_b32 exec_lo, exec_lo, s29
	s_and_saveexec_b32 s6, s3
	s_cbranch_execnz .LBB556_65
	s_branch .LBB556_66
.LBB556_80:                             ;   in Loop: Header=BB556_62 Depth=2
	ds_load_b32 v22, v26
	s_wait_alu 0xfffe
	s_or_b32 exec_lo, exec_lo, s6
	s_and_saveexec_b32 s6, s3
	s_cbranch_execz .LBB556_70
.LBB556_81:                             ;   in Loop: Header=BB556_62 Depth=2
	s_wait_dscnt 0x0
	ds_bpermute_b32 v23, v34, v22
	s_wait_dscnt 0x0
	v_add_f32_e32 v22, v22, v23
	ds_bpermute_b32 v23, v35, v22
	s_wait_dscnt 0x0
	v_add_f32_e32 v22, v22, v23
	ds_bpermute_b32 v23, v36, v22
	s_wait_dscnt 0x0
	v_add_f32_e32 v22, v22, v23
	s_wait_alu 0xfffe
	s_or_b32 exec_lo, exec_lo, s6
	s_and_saveexec_b32 s6, s0
	s_cbranch_execz .LBB556_61
.LBB556_82:                             ;   in Loop: Header=BB556_62 Depth=2
	s_mul_u64 s[60:61], s[40:41], s[36:37]
	s_wait_dscnt 0x0
	v_mul_f32_e32 v22, v30, v22
	s_wait_alu 0xfffe
	s_lshl_b64 s[60:61], s[60:61], 2
	s_wait_alu 0xfffe
	s_add_nc_u64 s[60:61], s[8:9], s[60:61]
	global_store_b32 v0, v22, s[60:61]
	s_branch .LBB556_61
.LBB556_83:
	s_endpgm
	.section	.rodata,"a",@progbits
	.p2align	6, 0x0
	.amdhsa_kernel _ZL23rocblas_gemvt_sn_kernelILb0ELi256ELi4Ei16rocblas_bfloat16PKffEviiT4_lPKT3_lilS6_lilPT5_i
		.amdhsa_group_segment_fixed_size 128
		.amdhsa_private_segment_fixed_size 0
		.amdhsa_kernarg_size 360
		.amdhsa_user_sgpr_count 2
		.amdhsa_user_sgpr_dispatch_ptr 0
		.amdhsa_user_sgpr_queue_ptr 0
		.amdhsa_user_sgpr_kernarg_segment_ptr 1
		.amdhsa_user_sgpr_dispatch_id 0
		.amdhsa_user_sgpr_private_segment_size 0
		.amdhsa_wavefront_size32 1
		.amdhsa_uses_dynamic_stack 0
		.amdhsa_enable_private_segment 0
		.amdhsa_system_sgpr_workgroup_id_x 1
		.amdhsa_system_sgpr_workgroup_id_y 0
		.amdhsa_system_sgpr_workgroup_id_z 1
		.amdhsa_system_sgpr_workgroup_info 0
		.amdhsa_system_vgpr_workitem_id 0
		.amdhsa_next_free_vgpr 55
		.amdhsa_next_free_sgpr 78
		.amdhsa_reserve_vcc 1
		.amdhsa_float_round_mode_32 0
		.amdhsa_float_round_mode_16_64 0
		.amdhsa_float_denorm_mode_32 3
		.amdhsa_float_denorm_mode_16_64 3
		.amdhsa_fp16_overflow 0
		.amdhsa_workgroup_processor_mode 1
		.amdhsa_memory_ordered 1
		.amdhsa_forward_progress 1
		.amdhsa_inst_pref_size 37
		.amdhsa_round_robin_scheduling 0
		.amdhsa_exception_fp_ieee_invalid_op 0
		.amdhsa_exception_fp_denorm_src 0
		.amdhsa_exception_fp_ieee_div_zero 0
		.amdhsa_exception_fp_ieee_overflow 0
		.amdhsa_exception_fp_ieee_underflow 0
		.amdhsa_exception_fp_ieee_inexact 0
		.amdhsa_exception_int_div_zero 0
	.end_amdhsa_kernel
	.section	.text._ZL23rocblas_gemvt_sn_kernelILb0ELi256ELi4Ei16rocblas_bfloat16PKffEviiT4_lPKT3_lilS6_lilPT5_i,"axG",@progbits,_ZL23rocblas_gemvt_sn_kernelILb0ELi256ELi4Ei16rocblas_bfloat16PKffEviiT4_lPKT3_lilS6_lilPT5_i,comdat
.Lfunc_end556:
	.size	_ZL23rocblas_gemvt_sn_kernelILb0ELi256ELi4Ei16rocblas_bfloat16PKffEviiT4_lPKT3_lilS6_lilPT5_i, .Lfunc_end556-_ZL23rocblas_gemvt_sn_kernelILb0ELi256ELi4Ei16rocblas_bfloat16PKffEviiT4_lPKT3_lilS6_lilPT5_i
                                        ; -- End function
	.set _ZL23rocblas_gemvt_sn_kernelILb0ELi256ELi4Ei16rocblas_bfloat16PKffEviiT4_lPKT3_lilS6_lilPT5_i.num_vgpr, 55
	.set _ZL23rocblas_gemvt_sn_kernelILb0ELi256ELi4Ei16rocblas_bfloat16PKffEviiT4_lPKT3_lilS6_lilPT5_i.num_agpr, 0
	.set _ZL23rocblas_gemvt_sn_kernelILb0ELi256ELi4Ei16rocblas_bfloat16PKffEviiT4_lPKT3_lilS6_lilPT5_i.numbered_sgpr, 78
	.set _ZL23rocblas_gemvt_sn_kernelILb0ELi256ELi4Ei16rocblas_bfloat16PKffEviiT4_lPKT3_lilS6_lilPT5_i.num_named_barrier, 0
	.set _ZL23rocblas_gemvt_sn_kernelILb0ELi256ELi4Ei16rocblas_bfloat16PKffEviiT4_lPKT3_lilS6_lilPT5_i.private_seg_size, 0
	.set _ZL23rocblas_gemvt_sn_kernelILb0ELi256ELi4Ei16rocblas_bfloat16PKffEviiT4_lPKT3_lilS6_lilPT5_i.uses_vcc, 1
	.set _ZL23rocblas_gemvt_sn_kernelILb0ELi256ELi4Ei16rocblas_bfloat16PKffEviiT4_lPKT3_lilS6_lilPT5_i.uses_flat_scratch, 0
	.set _ZL23rocblas_gemvt_sn_kernelILb0ELi256ELi4Ei16rocblas_bfloat16PKffEviiT4_lPKT3_lilS6_lilPT5_i.has_dyn_sized_stack, 0
	.set _ZL23rocblas_gemvt_sn_kernelILb0ELi256ELi4Ei16rocblas_bfloat16PKffEviiT4_lPKT3_lilS6_lilPT5_i.has_recursion, 0
	.set _ZL23rocblas_gemvt_sn_kernelILb0ELi256ELi4Ei16rocblas_bfloat16PKffEviiT4_lPKT3_lilS6_lilPT5_i.has_indirect_call, 0
	.section	.AMDGPU.csdata,"",@progbits
; Kernel info:
; codeLenInByte = 4728
; TotalNumSgprs: 80
; NumVgprs: 55
; ScratchSize: 0
; MemoryBound: 0
; FloatMode: 240
; IeeeMode: 1
; LDSByteSize: 128 bytes/workgroup (compile time only)
; SGPRBlocks: 0
; VGPRBlocks: 6
; NumSGPRsForWavesPerEU: 80
; NumVGPRsForWavesPerEU: 55
; Occupancy: 16
; WaveLimiterHint : 0
; COMPUTE_PGM_RSRC2:SCRATCH_EN: 0
; COMPUTE_PGM_RSRC2:USER_SGPR: 2
; COMPUTE_PGM_RSRC2:TRAP_HANDLER: 0
; COMPUTE_PGM_RSRC2:TGID_X_EN: 1
; COMPUTE_PGM_RSRC2:TGID_Y_EN: 0
; COMPUTE_PGM_RSRC2:TGID_Z_EN: 1
; COMPUTE_PGM_RSRC2:TIDIG_COMP_CNT: 0
	.section	.text._ZL23rocblas_gemvt_sn_kernelILb0ELi256ELi4El16rocblas_bfloat16PKffEviiT4_lPKT3_lilS6_lilPT5_i,"axG",@progbits,_ZL23rocblas_gemvt_sn_kernelILb0ELi256ELi4El16rocblas_bfloat16PKffEviiT4_lPKT3_lilS6_lilPT5_i,comdat
	.globl	_ZL23rocblas_gemvt_sn_kernelILb0ELi256ELi4El16rocblas_bfloat16PKffEviiT4_lPKT3_lilS6_lilPT5_i ; -- Begin function _ZL23rocblas_gemvt_sn_kernelILb0ELi256ELi4El16rocblas_bfloat16PKffEviiT4_lPKT3_lilS6_lilPT5_i
	.p2align	8
	.type	_ZL23rocblas_gemvt_sn_kernelILb0ELi256ELi4El16rocblas_bfloat16PKffEviiT4_lPKT3_lilS6_lilPT5_i,@function
_ZL23rocblas_gemvt_sn_kernelILb0ELi256ELi4El16rocblas_bfloat16PKffEviiT4_lPKT3_lilS6_lilPT5_i: ; @_ZL23rocblas_gemvt_sn_kernelILb0ELi256ELi4El16rocblas_bfloat16PKffEviiT4_lPKT3_lilS6_lilPT5_i
; %bb.0:
	s_load_b32 s33, s[0:1], 0x60
	s_lshr_b32 s10, ttmp7, 16
	s_wait_kmcnt 0x0
	s_cmp_ge_u32 s10, s33
	s_cbranch_scc1 .LBB557_83
; %bb.1:
	s_clause 0x6
	s_load_b32 s30, s[0:1], 0x28
	s_load_b96 s[4:6], s[0:1], 0x40
	s_load_b256 s[12:19], s[0:1], 0x8
	s_load_b64 s[34:35], s[0:1], 0x0
	s_load_b128 s[20:23], s[0:1], 0x30
	s_load_b32 s36, s[0:1], 0x68
	s_load_b128 s[24:27], s[0:1], 0x50
	v_cmp_eq_u32_e64 s0, 0, v0
	v_mbcnt_lo_u32_b32 v33, -1, 0
	s_mov_b32 s29, 0
	s_mov_b32 s28, ttmp9
	s_mov_b32 s37, s29
	s_delay_alu instid0(VALU_DEP_1)
	v_lshl_or_b32 v34, v33, 2, 64
	s_wait_kmcnt 0x0
	s_ashr_i32 s31, s30, 31
	s_ashr_i32 s9, s6, 31
	s_lshl_b64 s[2:3], s[4:5], 1
	s_lshl_b64 s[4:5], s[18:19], 1
	s_ashr_i32 s39, s35, 31
	s_cmp_gt_i32 s35, 0
	s_add_nc_u64 s[18:19], s[22:23], s[2:3]
	s_cselect_b32 s1, -1, 0
	s_lshl_b32 s7, ttmp9, 10
	s_add_nc_u64 s[2:3], s[16:17], s[4:5]
	v_lshl_or_b32 v1, v0, 2, s7
	s_lshr_b32 s4, s39, 30
	s_ashr_i32 s5, s34, 31
	s_and_b32 s64, s0, s1
	s_add_co_i32 s1, s35, s4
	v_ashrrev_i32_e32 v2, 31, v1
	s_lshr_b32 s4, s5, 30
	s_and_b32 s65, s1, -4
	s_add_co_i32 s1, s34, s4
	v_add_nc_u32_e32 v4, 4, v1
	v_lshlrev_b64_e32 v[2:3], 1, v[1:2]
	s_and_b32 s1, s1, -4
	v_cmp_gt_u32_e64 s5, 8, v0
	s_sub_co_i32 s66, s34, s1
	v_cmp_ge_i32_e64 s1, s34, v4
	v_or_b32_e32 v4, 2, v1
	v_add_co_u32 v29, vcc_lo, s2, v2
	v_add_nc_u32_e32 v2, s66, v1
	v_add_co_ci_u32_e64 v30, null, s3, v3, vcc_lo
	v_and_b32_e32 v3, 31, v0
	v_cmp_gt_u32_e64 s3, 32, v0
	s_delay_alu instid0(VALU_DEP_4)
	v_cmp_ge_i32_e64 s2, s34, v2
	v_lshrrev_b32_e32 v2, 3, v0
	v_or_b32_e32 v0, 1, v1
	v_cmp_eq_u32_e64 s4, 0, v3
	v_lshlrev_b32_e32 v31, 2, v3
	v_mad_co_i64_i32 v[11:12], null, s6, v4, 0
	v_and_b32_e32 v32, 28, v2
	v_mad_co_i64_i32 v[2:3], null, s6, v1, 0
	v_mad_co_i64_i32 v[9:10], null, s6, v0, 0
	v_or_b32_e32 v0, 3, v1
	s_cmp_gt_i32 s65, 0
	s_mov_b32 s38, s35
	s_cselect_b32 s67, -1, 0
	s_delay_alu instid0(VALU_DEP_3)
	v_lshlrev_b64_e32 v[5:6], 1, v[2:3]
	v_mad_co_i64_i32 v[1:2], null, s6, v0, 0
	s_cmp_gt_i32 s66, 0
	v_lshlrev_b64_e32 v[9:10], 1, v[9:10]
	v_lshlrev_b64_e32 v[11:12], 1, v[11:12]
	v_add_co_u32 v7, vcc_lo, s18, v5
	s_wait_alu 0xfffd
	v_add_co_ci_u32_e64 v8, null, s19, v6, vcc_lo
	v_lshlrev_b64_e32 v[13:14], 1, v[1:2]
	v_mov_b32_e32 v0, 0
	s_mov_b32 s8, s6
	s_mul_u64 s[16:17], s[38:39], s[36:37]
	s_cselect_b32 s34, -1, 0
	s_lshl_b64 s[22:23], s[28:29], 2
	s_lshl_b64 s[40:41], s[16:17], 2
	s_add_nc_u64 s[38:39], s[26:27], s[22:23]
	s_lshl_b64 s[42:43], s[36:37], 2
	s_lshl_b64 s[44:45], s[24:25], 1
	;; [unrolled: 1-line block ×4, first 2 shown]
	s_mul_u64 s[50:51], s[30:31], 6
	s_lshl_b64 s[52:53], s[30:31], 3
	s_lshl_b64 s[54:55], s[30:31], 1
	;; [unrolled: 1-line block ×3, first 2 shown]
	s_branch .LBB557_3
.LBB557_2:                              ;   in Loop: Header=BB557_3 Depth=1
	s_add_co_i32 s10, s10, 0x10000
	s_wait_alu 0xfffe
	s_cmp_lt_u32 s10, s33
	s_cbranch_scc0 .LBB557_83
.LBB557_3:                              ; =>This Loop Header: Depth=1
                                        ;     Child Loop BB557_6 Depth 2
                                        ;     Child Loop BB557_12 Depth 2
                                        ;       Child Loop BB557_43 Depth 3
                                        ;       Child Loop BB557_46 Depth 3
                                        ;     Child Loop BB557_62 Depth 2
                                        ;       Child Loop BB557_75 Depth 3
                                        ;       Child Loop BB557_78 Depth 3
	s_mov_b32 s11, s29
	s_wait_alu 0xfffe
	s_mul_u64 s[6:7], s[14:15], s[10:11]
	s_wait_alu 0xfffe
	s_lshl_b64 s[6:7], s[6:7], 2
	s_wait_alu 0xfffe
	s_add_nc_u64 s[6:7], s[12:13], s[6:7]
	global_load_b32 v35, v0, s[6:7]
	s_mov_b32 s6, -1
	s_wait_loadcnt 0x0
	v_cmp_neq_f32_e32 vcc_lo, 0, v35
	s_cbranch_vccnz .LBB557_8
; %bb.4:                                ;   in Loop: Header=BB557_3 Depth=1
	s_and_saveexec_b32 s8, s64
	s_cbranch_execz .LBB557_7
; %bb.5:                                ;   in Loop: Header=BB557_3 Depth=1
	s_mul_u64 s[6:7], s[40:41], s[10:11]
	s_mov_b32 s9, s35
	s_wait_alu 0xfffe
	s_add_nc_u64 s[6:7], s[38:39], s[6:7]
.LBB557_6:                              ;   Parent Loop BB557_3 Depth=1
                                        ; =>  This Inner Loop Header: Depth=2
	s_add_co_i32 s9, s9, -1
	global_store_b32 v0, v0, s[6:7]
	s_wait_alu 0xfffe
	s_cmp_eq_u32 s9, 0
	s_add_nc_u64 s[6:7], s[6:7], s[42:43]
	s_cbranch_scc0 .LBB557_6
.LBB557_7:                              ;   in Loop: Header=BB557_3 Depth=1
	s_wait_alu 0xfffe
	s_or_b32 exec_lo, exec_lo, s8
	s_mov_b32 s6, 0
.LBB557_8:                              ;   in Loop: Header=BB557_3 Depth=1
	s_wait_alu 0xfffe
	s_and_not1_b32 vcc_lo, exec_lo, s6
	s_wait_alu 0xfffe
	s_cbranch_vccnz .LBB557_2
; %bb.9:                                ;   in Loop: Header=BB557_3 Depth=1
	v_mad_co_u64_u32 v[15:16], null, s44, s10, v[7:8]
	s_mul_u64 s[68:69], s[20:21], s[10:11]
	s_mul_u64 s[58:59], s[24:25], s[10:11]
	s_wait_alu 0xfffe
	s_lshl_b64 s[68:69], s[68:69], 1
	s_mul_u64 s[62:63], s[16:17], s[10:11]
	s_wait_alu 0xfffe
	v_add_co_u32 v36, vcc_lo, v29, s68
	v_mov_b32_e32 v1, v16
	s_lshl_b64 s[58:59], s[58:59], 1
	s_lshl_b64 s[70:71], s[62:63], 2
	v_cmp_gt_u32_e64 s7, 24, v33
	v_cmp_gt_u32_e64 s8, 28, v33
	v_mad_co_u64_u32 v[1:2], null, s45, s10, v[1:2]
	v_cmp_gt_u32_e64 s6, 30, v33
	s_wait_alu 0xfffd
	v_add_co_ci_u32_e64 v37, null, s69, v30, vcc_lo
	v_cmp_ne_u32_e64 s9, 31, v33
	s_add_nc_u64 s[62:63], s[18:19], s[58:59]
	s_add_nc_u64 s[58:59], s[26:27], s[70:71]
	v_mov_b32_e32 v16, v1
	s_mul_u64 s[60:61], s[48:49], s[10:11]
	s_and_not1_b32 vcc_lo, exec_lo, s67
	s_add_nc_u64 s[58:59], s[58:59], s[22:23]
	s_wait_alu 0xfffe
	s_cbranch_vccnz .LBB557_58
; %bb.10:                               ;   in Loop: Header=BB557_3 Depth=1
	v_cndmask_b32_e64 v3, 0, 2, s6
	v_add_co_u32 v17, vcc_lo, v29, s60
	s_wait_alu 0xfffd
	v_add_co_ci_u32_e64 v18, null, s61, v30, vcc_lo
	v_add_co_u32 v19, vcc_lo, s62, v5
	v_cndmask_b32_e64 v1, 0, 8, s7
	v_cndmask_b32_e64 v2, 0, 4, s8
	v_add_co_ci_u32_e64 v4, null, 0, v33, s9
	v_add_lshl_u32 v40, v3, v33, 2
	s_wait_alu 0xfffd
	v_add_co_ci_u32_e64 v20, null, s63, v6, vcc_lo
	v_add_co_u32 v21, vcc_lo, s62, v9
	v_mov_b32_e32 v3, v0
	s_wait_alu 0xfffd
	v_add_co_ci_u32_e64 v22, null, s63, v10, vcc_lo
	v_add_co_u32 v23, vcc_lo, s62, v11
	v_add_lshl_u32 v38, v1, v33, 2
	v_add_lshl_u32 v39, v2, v33, 2
	v_dual_mov_b32 v2, v0 :: v_dual_lshlrev_b32 v41, 2, v4
	s_wait_alu 0xfffd
	v_add_co_ci_u32_e64 v24, null, s63, v12, vcc_lo
	v_mov_b32_e32 v1, v0
	v_add_co_u32 v25, vcc_lo, s62, v13
	v_mov_b32_e32 v4, v3
	s_wait_alu 0xfffd
	v_add_co_ci_u32_e64 v26, null, s63, v14, vcc_lo
	v_mov_b32_e32 v3, v2
	v_mov_b32_e32 v2, v1
	;; [unrolled: 1-line block ×3, first 2 shown]
	s_mov_b32 s28, 0
	s_branch .LBB557_12
.LBB557_11:                             ;   in Loop: Header=BB557_12 Depth=2
	s_wait_alu 0xfffe
	s_or_b32 exec_lo, exec_lo, s6
	v_add_co_u32 v17, vcc_lo, v17, s52
	s_wait_alu 0xfffd
	v_add_co_ci_u32_e64 v18, null, s53, v18, vcc_lo
	s_add_co_i32 s28, s28, 4
	s_wait_alu 0xfffe
	s_cmp_ge_i32 s28, s65
	s_cbranch_scc1 .LBB557_59
.LBB557_12:                             ;   Parent Loop BB557_3 Depth=1
                                        ; =>  This Loop Header: Depth=2
                                        ;       Child Loop BB557_43 Depth 3
                                        ;       Child Loop BB557_46 Depth 3
                                        ; implicit-def: $vgpr42
                                        ; implicit-def: $vgpr43
                                        ; implicit-def: $vgpr44
                                        ; implicit-def: $vgpr45
	s_and_saveexec_b32 s6, s1
	s_wait_alu 0xfffe
	s_xor_b32 s6, exec_lo, s6
	s_cbranch_execnz .LBB557_39
; %bb.13:                               ;   in Loop: Header=BB557_12 Depth=2
	s_wait_alu 0xfffe
	s_and_not1_saveexec_b32 s11, s6
	s_cbranch_execnz .LBB557_40
.LBB557_14:                             ;   in Loop: Header=BB557_12 Depth=2
	s_wait_alu 0xfffe
	s_or_b32 exec_lo, exec_lo, s11
	s_and_saveexec_b32 s6, s3
.LBB557_15:                             ;   in Loop: Header=BB557_12 Depth=2
	ds_store_b32 v31, v0
.LBB557_16:                             ;   in Loop: Header=BB557_12 Depth=2
	s_wait_alu 0xfffe
	s_or_b32 exec_lo, exec_lo, s6
	s_wait_dscnt 0x0
	ds_bpermute_b32 v27, v34, v45
	s_wait_storecnt_dscnt 0x0
	s_barrier_signal -1
	s_barrier_wait -1
	global_inv scope:SCOPE_SE
	v_add_f32_e32 v27, v45, v27
	ds_bpermute_b32 v28, v38, v27
	s_wait_dscnt 0x0
	v_add_f32_e32 v27, v27, v28
	ds_bpermute_b32 v28, v39, v27
	s_wait_dscnt 0x0
	v_add_f32_e32 v27, v27, v28
	ds_bpermute_b32 v28, v40, v27
	s_wait_dscnt 0x0
	v_add_f32_e32 v27, v27, v28
	ds_bpermute_b32 v28, v41, v27
	s_and_saveexec_b32 s6, s4
	s_cbranch_execz .LBB557_18
; %bb.17:                               ;   in Loop: Header=BB557_12 Depth=2
	s_wait_dscnt 0x0
	v_add_f32_e32 v27, v27, v28
	ds_store_b32 v32, v27
.LBB557_18:                             ;   in Loop: Header=BB557_12 Depth=2
	s_wait_alu 0xfffe
	s_or_b32 exec_lo, exec_lo, s6
	v_mov_b32_e32 v27, 0
	s_wait_loadcnt_dscnt 0x0
	s_barrier_signal -1
	s_barrier_wait -1
	global_inv scope:SCOPE_SE
	s_and_saveexec_b32 s6, s5
	s_cbranch_execnz .LBB557_47
; %bb.19:                               ;   in Loop: Header=BB557_12 Depth=2
	s_wait_alu 0xfffe
	s_or_b32 exec_lo, exec_lo, s6
	s_and_saveexec_b32 s6, s3
	s_cbranch_execnz .LBB557_48
.LBB557_20:                             ;   in Loop: Header=BB557_12 Depth=2
	s_wait_alu 0xfffe
	s_or_b32 exec_lo, exec_lo, s6
	s_and_saveexec_b32 s6, s3
.LBB557_21:                             ;   in Loop: Header=BB557_12 Depth=2
	ds_store_b32 v31, v0
.LBB557_22:                             ;   in Loop: Header=BB557_12 Depth=2
	s_wait_alu 0xfffe
	s_or_b32 exec_lo, exec_lo, s6
	ds_bpermute_b32 v28, v34, v44
	s_wait_loadcnt_dscnt 0x0
	s_barrier_signal -1
	s_barrier_wait -1
	global_inv scope:SCOPE_SE
	v_add_f32_e32 v28, v44, v28
	ds_bpermute_b32 v44, v38, v28
	s_wait_dscnt 0x0
	v_add_f32_e32 v28, v28, v44
	ds_bpermute_b32 v44, v39, v28
	s_wait_dscnt 0x0
	;; [unrolled: 3-line block ×3, first 2 shown]
	v_add_f32_e32 v28, v28, v44
	ds_bpermute_b32 v44, v41, v28
	s_and_saveexec_b32 s6, s4
	s_cbranch_execz .LBB557_24
; %bb.23:                               ;   in Loop: Header=BB557_12 Depth=2
	s_wait_dscnt 0x0
	v_add_f32_e32 v28, v28, v44
	ds_store_b32 v32, v28
.LBB557_24:                             ;   in Loop: Header=BB557_12 Depth=2
	s_wait_alu 0xfffe
	s_or_b32 exec_lo, exec_lo, s6
	v_mov_b32_e32 v28, 0
	s_wait_loadcnt_dscnt 0x0
	s_barrier_signal -1
	s_barrier_wait -1
	global_inv scope:SCOPE_SE
	s_and_saveexec_b32 s6, s5
	s_cbranch_execnz .LBB557_49
; %bb.25:                               ;   in Loop: Header=BB557_12 Depth=2
	s_wait_alu 0xfffe
	s_or_b32 exec_lo, exec_lo, s6
	s_and_saveexec_b32 s6, s3
	s_cbranch_execnz .LBB557_50
.LBB557_26:                             ;   in Loop: Header=BB557_12 Depth=2
	s_wait_alu 0xfffe
	s_or_b32 exec_lo, exec_lo, s6
	s_and_saveexec_b32 s6, s3
.LBB557_27:                             ;   in Loop: Header=BB557_12 Depth=2
	ds_store_b32 v31, v0
.LBB557_28:                             ;   in Loop: Header=BB557_12 Depth=2
	s_wait_alu 0xfffe
	s_or_b32 exec_lo, exec_lo, s6
	ds_bpermute_b32 v44, v34, v43
	s_wait_loadcnt_dscnt 0x0
	s_barrier_signal -1
	s_barrier_wait -1
	global_inv scope:SCOPE_SE
	v_add_f32_e32 v43, v43, v44
	ds_bpermute_b32 v44, v38, v43
	s_wait_dscnt 0x0
	v_add_f32_e32 v43, v43, v44
	ds_bpermute_b32 v44, v39, v43
	s_wait_dscnt 0x0
	;; [unrolled: 3-line block ×3, first 2 shown]
	v_add_f32_e32 v43, v43, v44
	ds_bpermute_b32 v44, v41, v43
	s_and_saveexec_b32 s6, s4
	s_cbranch_execz .LBB557_30
; %bb.29:                               ;   in Loop: Header=BB557_12 Depth=2
	s_wait_dscnt 0x0
	v_add_f32_e32 v43, v43, v44
	ds_store_b32 v32, v43
.LBB557_30:                             ;   in Loop: Header=BB557_12 Depth=2
	s_wait_alu 0xfffe
	s_or_b32 exec_lo, exec_lo, s6
	v_mov_b32_e32 v43, 0
	s_wait_loadcnt_dscnt 0x0
	s_barrier_signal -1
	s_barrier_wait -1
	global_inv scope:SCOPE_SE
	s_and_saveexec_b32 s6, s5
	s_cbranch_execnz .LBB557_51
; %bb.31:                               ;   in Loop: Header=BB557_12 Depth=2
	s_wait_alu 0xfffe
	s_or_b32 exec_lo, exec_lo, s6
	s_and_saveexec_b32 s6, s3
	s_cbranch_execnz .LBB557_52
.LBB557_32:                             ;   in Loop: Header=BB557_12 Depth=2
	s_wait_alu 0xfffe
	s_or_b32 exec_lo, exec_lo, s6
	s_and_saveexec_b32 s6, s3
.LBB557_33:                             ;   in Loop: Header=BB557_12 Depth=2
	ds_store_b32 v31, v0
.LBB557_34:                             ;   in Loop: Header=BB557_12 Depth=2
	s_wait_alu 0xfffe
	s_or_b32 exec_lo, exec_lo, s6
	ds_bpermute_b32 v44, v34, v42
	s_wait_loadcnt_dscnt 0x0
	s_barrier_signal -1
	s_barrier_wait -1
	global_inv scope:SCOPE_SE
	v_add_f32_e32 v42, v42, v44
	ds_bpermute_b32 v44, v38, v42
	s_wait_dscnt 0x0
	v_add_f32_e32 v42, v42, v44
	ds_bpermute_b32 v44, v39, v42
	s_wait_dscnt 0x0
	;; [unrolled: 3-line block ×3, first 2 shown]
	v_add_f32_e32 v42, v42, v44
	ds_bpermute_b32 v44, v41, v42
	s_and_saveexec_b32 s6, s4
	s_cbranch_execz .LBB557_36
; %bb.35:                               ;   in Loop: Header=BB557_12 Depth=2
	s_wait_dscnt 0x0
	v_add_f32_e32 v42, v42, v44
	ds_store_b32 v32, v42
.LBB557_36:                             ;   in Loop: Header=BB557_12 Depth=2
	s_wait_alu 0xfffe
	s_or_b32 exec_lo, exec_lo, s6
	v_mov_b32_e32 v42, 0
	s_wait_loadcnt_dscnt 0x0
	s_barrier_signal -1
	s_barrier_wait -1
	global_inv scope:SCOPE_SE
	s_and_saveexec_b32 s6, s5
	s_cbranch_execnz .LBB557_53
; %bb.37:                               ;   in Loop: Header=BB557_12 Depth=2
	s_wait_alu 0xfffe
	s_or_b32 exec_lo, exec_lo, s6
	s_and_saveexec_b32 s6, s3
	s_cbranch_execnz .LBB557_54
.LBB557_38:                             ;   in Loop: Header=BB557_12 Depth=2
	s_wait_alu 0xfffe
	s_or_b32 exec_lo, exec_lo, s6
	s_and_saveexec_b32 s6, s0
	s_cbranch_execz .LBB557_11
	s_branch .LBB557_55
.LBB557_39:                             ;   in Loop: Header=BB557_12 Depth=2
	s_mul_u64 s[8:9], s[28:29], s[30:31]
	s_or_b32 s68, s28, 2
	s_wait_alu 0xfffe
	s_lshl_b64 s[8:9], s[8:9], 1
	s_mov_b32 s69, s29
	s_wait_alu 0xfffe
	v_add_co_u32 v1, vcc_lo, v36, s8
	s_wait_alu 0xfffd
	v_add_co_ci_u32_e64 v2, null, s9, v37, vcc_lo
	s_or_b32 s8, s28, 1
	s_mov_b32 s9, s29
	s_wait_alu 0xfffe
	s_mul_u64 s[8:9], s[8:9], s[30:31]
	s_wait_dscnt 0x0
	global_load_b64 v[27:28], v[1:2], off
	s_wait_alu 0xfffe
	s_lshl_b64 s[8:9], s[8:9], 1
	s_clause 0x3
	global_load_u16 v50, v[19:20], off
	global_load_u16 v51, v[21:22], off
	;; [unrolled: 1-line block ×4, first 2 shown]
	s_wait_alu 0xfffe
	v_add_co_u32 v1, vcc_lo, v36, s8
	s_wait_alu 0xfffd
	v_add_co_ci_u32_e64 v2, null, s9, v37, vcc_lo
	s_mul_u64 s[8:9], s[68:69], s[30:31]
	s_or_b32 s68, s28, 3
	s_wait_alu 0xfffe
	s_lshl_b64 s[8:9], s[8:9], 1
	s_mul_u64 s[68:69], s[68:69], s[30:31]
	s_wait_alu 0xfffe
	v_add_co_u32 v3, vcc_lo, v36, s8
	s_wait_alu 0xfffd
	v_add_co_ci_u32_e64 v4, null, s9, v37, vcc_lo
	s_lshl_b64 s[8:9], s[68:69], 1
	s_wait_alu 0xfffe
	v_add_co_u32 v42, vcc_lo, v36, s8
	s_wait_alu 0xfffd
	v_add_co_ci_u32_e64 v43, null, s9, v37, vcc_lo
	s_clause 0x2
	global_load_b64 v[44:45], v[1:2], off
	global_load_b64 v[46:47], v[3:4], off
	;; [unrolled: 1-line block ×3, first 2 shown]
	s_wait_loadcnt 0x7
	v_lshlrev_b32_e32 v42, 16, v27
	s_wait_loadcnt 0x2
	v_lshlrev_b32_e32 v54, 16, v45
	v_and_b32_e32 v27, 0xffff0000, v27
	v_lshlrev_b32_e32 v4, 16, v53
	s_wait_loadcnt 0x0
	v_and_b32_e32 v53, 0xffff0000, v48
	v_lshlrev_b32_e32 v3, 16, v52
	v_lshlrev_b32_e32 v2, 16, v51
	;; [unrolled: 1-line block ×3, first 2 shown]
	v_and_b32_e32 v52, 0xffff0000, v44
	v_lshlrev_b32_e32 v1, 16, v50
	v_lshlrev_b32_e32 v48, 16, v48
	v_and_b32_e32 v56, 0xffff0000, v45
	v_lshlrev_b32_e32 v55, 16, v47
	v_lshlrev_b32_e32 v50, 16, v28
	v_fma_f32 v44, v1, v43, 0
	s_delay_alu instid0(VALU_DEP_1) | instskip(SKIP_2) | instid1(VALU_DEP_2)
	v_dual_fmac_f32 v44, v2, v52 :: v_dual_and_b32 v47, 0xffff0000, v47
	v_fma_f32 v45, v1, v42, 0
	v_fma_f32 v42, v48, v1, 0
	v_dual_fmac_f32 v45, v2, v27 :: v_dual_lshlrev_b32 v48, 16, v49
	v_and_b32_e32 v27, 0xffff0000, v49
	s_delay_alu instid0(VALU_DEP_2) | instskip(SKIP_3) | instid1(VALU_DEP_4)
	v_dual_fmac_f32 v45, v3, v50 :: v_dual_fmac_f32 v42, v2, v53
	v_fmac_f32_e32 v44, v3, v54
	v_lshlrev_b32_e32 v51, 16, v46
	v_and_b32_e32 v46, 0xffff0000, v46
	v_fmac_f32_e32 v42, v48, v3
	s_delay_alu instid0(VALU_DEP_4) | instskip(NEXT) | instid1(VALU_DEP_4)
	v_fmac_f32_e32 v44, v4, v56
	v_fma_f32 v43, v1, v51, 0
	s_delay_alu instid0(VALU_DEP_1) | instskip(NEXT) | instid1(VALU_DEP_1)
	v_dual_fmac_f32 v42, v4, v27 :: v_dual_fmac_f32 v43, v2, v46
	v_dual_fmac_f32 v43, v3, v55 :: v_dual_and_b32 v28, 0xffff0000, v28
	s_delay_alu instid0(VALU_DEP_1) | instskip(NEXT) | instid1(VALU_DEP_2)
	v_fmac_f32_e32 v43, v4, v47
	v_fmac_f32_e32 v45, v4, v28
	s_and_not1_saveexec_b32 s11, s6
	s_cbranch_execz .LBB557_14
.LBB557_40:                             ;   in Loop: Header=BB557_12 Depth=2
	s_wait_dscnt 0x0
	v_dual_mov_b32 v42, 0 :: v_dual_mov_b32 v43, 0
	v_dual_mov_b32 v44, 0 :: v_dual_mov_b32 v45, 0
	s_and_saveexec_b32 s68, s2
	s_cbranch_execz .LBB557_57
; %bb.41:                               ;   in Loop: Header=BB557_12 Depth=2
	s_and_not1_b32 vcc_lo, exec_lo, s34
	s_wait_alu 0xfffe
	s_cbranch_vccnz .LBB557_44
; %bb.42:                               ;   in Loop: Header=BB557_12 Depth=2
	v_dual_mov_b32 v28, v16 :: v_dual_mov_b32 v27, v15
	s_mov_b64 s[8:9], 0
.LBB557_43:                             ;   Parent Loop BB557_3 Depth=1
                                        ;     Parent Loop BB557_12 Depth=2
                                        ; =>    This Inner Loop Header: Depth=3
	global_load_u16 v42, v[27:28], off
	s_wait_alu 0xfffe
	s_cmp_eq_u32 s8, 3
	v_add_co_u32 v27, vcc_lo, v27, s46
	s_wait_alu 0xfffd
	v_add_co_ci_u32_e64 v28, null, s47, v28, vcc_lo
	s_cselect_b32 vcc_lo, -1, 0
	s_cmp_eq_u32 s8, 2
	s_cselect_b32 s6, -1, 0
	s_cmp_eq_u32 s8, 1
	s_cselect_b32 s7, -1, 0
	s_cmp_eq_u32 s8, 0
	s_add_nc_u64 s[8:9], s[8:9], 1
	s_wait_loadcnt 0x0
	v_lshlrev_b32_e32 v42, 16, v42
	s_wait_alu 0xfffe
	s_delay_alu instid0(VALU_DEP_1)
	v_cndmask_b32_e32 v4, v4, v42, vcc_lo
	s_cselect_b32 vcc_lo, -1, 0
	v_cndmask_b32_e64 v3, v3, v42, s6
	v_cndmask_b32_e64 v2, v2, v42, s7
	s_wait_alu 0xfffe
	v_cndmask_b32_e32 v1, v1, v42, vcc_lo
	s_cmp_eq_u32 s66, s8
	s_cbranch_scc0 .LBB557_43
.LBB557_44:                             ;   in Loop: Header=BB557_12 Depth=2
	s_and_not1_b32 vcc_lo, exec_lo, s34
	s_wait_alu 0xfffe
	s_cbranch_vccnz .LBB557_56
; %bb.45:                               ;   in Loop: Header=BB557_12 Depth=2
	v_dual_mov_b32 v45, 0 :: v_dual_mov_b32 v28, v18
	v_dual_mov_b32 v27, v17 :: v_dual_mov_b32 v44, 0
	;; [unrolled: 1-line block ×3, first 2 shown]
	s_mov_b64 s[8:9], 0
.LBB557_46:                             ;   Parent Loop BB557_3 Depth=1
                                        ;     Parent Loop BB557_12 Depth=2
                                        ; =>    This Inner Loop Header: Depth=3
	s_delay_alu instid0(VALU_DEP_2)
	v_add_co_u32 v46, vcc_lo, v27, s54
	s_wait_alu 0xfffd
	v_add_co_ci_u32_e64 v47, null, s55, v28, vcc_lo
	v_add_co_u32 v48, vcc_lo, v27, s56
	s_wait_alu 0xfffd
	v_add_co_ci_u32_e64 v49, null, s57, v28, vcc_lo
	;; [unrolled: 3-line block ×3, first 2 shown]
	s_clause 0x3
	global_load_u16 v52, v[27:28], off
	global_load_u16 v46, v[46:47], off
	;; [unrolled: 1-line block ×4, first 2 shown]
	s_wait_alu 0xfffe
	s_cmp_eq_u32 s8, 1
	v_add_co_u32 v27, s6, v27, 2
	s_cselect_b32 vcc_lo, -1, 0
	s_cmp_eq_u32 s8, 2
	s_wait_alu 0xfffe
	v_cndmask_b32_e32 v49, v1, v2, vcc_lo
	s_cselect_b32 vcc_lo, -1, 0
	s_cmp_eq_u32 s8, 3
	v_add_co_ci_u32_e64 v28, null, 0, v28, s6
	s_add_nc_u64 s[8:9], s[8:9], 1
	s_wait_loadcnt 0x3
	s_wait_alu 0xfffe
	v_dual_cndmask_b32 v49, v49, v3 :: v_dual_lshlrev_b32 v50, 16, v52
	s_wait_loadcnt 0x2
	v_lshlrev_b32_e32 v46, 16, v46
	s_cselect_b32 vcc_lo, -1, 0
	s_cmp_lg_u32 s66, s8
	s_wait_alu 0xfffe
	v_cndmask_b32_e32 v49, v49, v4, vcc_lo
	s_wait_loadcnt 0x1
	v_lshlrev_b32_e32 v47, 16, v47
	s_wait_loadcnt 0x0
	s_delay_alu instid0(VALU_DEP_2) | instskip(SKIP_1) | instid1(VALU_DEP_3)
	v_dual_fmac_f32 v45, v49, v50 :: v_dual_lshlrev_b32 v48, 16, v48
	v_fmac_f32_e32 v44, v49, v46
	v_fmac_f32_e32 v43, v49, v47
	s_delay_alu instid0(VALU_DEP_3)
	v_fmac_f32_e32 v42, v49, v48
	s_cbranch_scc1 .LBB557_46
	s_branch .LBB557_57
.LBB557_47:                             ;   in Loop: Header=BB557_12 Depth=2
	ds_load_b32 v27, v31
	s_wait_alu 0xfffe
	s_or_b32 exec_lo, exec_lo, s6
	s_and_saveexec_b32 s6, s3
	s_cbranch_execz .LBB557_20
.LBB557_48:                             ;   in Loop: Header=BB557_12 Depth=2
	s_wait_dscnt 0x0
	ds_bpermute_b32 v28, v39, v27
	s_wait_dscnt 0x0
	v_add_f32_e32 v27, v27, v28
	ds_bpermute_b32 v28, v40, v27
	s_wait_dscnt 0x0
	v_add_f32_e32 v27, v27, v28
	;; [unrolled: 3-line block ×3, first 2 shown]
	s_wait_alu 0xfffe
	s_or_b32 exec_lo, exec_lo, s6
	s_and_saveexec_b32 s6, s3
	s_cbranch_execnz .LBB557_21
	s_branch .LBB557_22
.LBB557_49:                             ;   in Loop: Header=BB557_12 Depth=2
	ds_load_b32 v28, v31
	s_wait_alu 0xfffe
	s_or_b32 exec_lo, exec_lo, s6
	s_and_saveexec_b32 s6, s3
	s_cbranch_execz .LBB557_26
.LBB557_50:                             ;   in Loop: Header=BB557_12 Depth=2
	s_wait_dscnt 0x0
	ds_bpermute_b32 v44, v39, v28
	s_wait_dscnt 0x0
	v_add_f32_e32 v28, v28, v44
	ds_bpermute_b32 v44, v40, v28
	s_wait_dscnt 0x0
	v_add_f32_e32 v28, v28, v44
	ds_bpermute_b32 v44, v41, v28
	s_wait_dscnt 0x0
	v_add_f32_e32 v28, v28, v44
	s_wait_alu 0xfffe
	s_or_b32 exec_lo, exec_lo, s6
	s_and_saveexec_b32 s6, s3
	s_cbranch_execnz .LBB557_27
	s_branch .LBB557_28
.LBB557_51:                             ;   in Loop: Header=BB557_12 Depth=2
	ds_load_b32 v43, v31
	s_wait_alu 0xfffe
	s_or_b32 exec_lo, exec_lo, s6
	s_and_saveexec_b32 s6, s3
	s_cbranch_execz .LBB557_32
.LBB557_52:                             ;   in Loop: Header=BB557_12 Depth=2
	s_wait_dscnt 0x0
	ds_bpermute_b32 v44, v39, v43
	s_wait_dscnt 0x0
	v_add_f32_e32 v43, v43, v44
	ds_bpermute_b32 v44, v40, v43
	s_wait_dscnt 0x0
	v_add_f32_e32 v43, v43, v44
	;; [unrolled: 3-line block ×3, first 2 shown]
	s_wait_alu 0xfffe
	s_or_b32 exec_lo, exec_lo, s6
	s_and_saveexec_b32 s6, s3
	s_cbranch_execnz .LBB557_33
	s_branch .LBB557_34
.LBB557_53:                             ;   in Loop: Header=BB557_12 Depth=2
	ds_load_b32 v42, v31
	s_wait_alu 0xfffe
	s_or_b32 exec_lo, exec_lo, s6
	s_and_saveexec_b32 s6, s3
	s_cbranch_execz .LBB557_38
.LBB557_54:                             ;   in Loop: Header=BB557_12 Depth=2
	s_wait_dscnt 0x0
	ds_bpermute_b32 v44, v39, v42
	s_wait_dscnt 0x0
	v_add_f32_e32 v42, v42, v44
	ds_bpermute_b32 v44, v40, v42
	s_wait_dscnt 0x0
	v_add_f32_e32 v42, v42, v44
	;; [unrolled: 3-line block ×3, first 2 shown]
	s_wait_alu 0xfffe
	s_or_b32 exec_lo, exec_lo, s6
	s_and_saveexec_b32 s6, s0
	s_cbranch_execz .LBB557_11
.LBB557_55:                             ;   in Loop: Header=BB557_12 Depth=2
	s_mul_u64 s[8:9], s[28:29], s[36:37]
	v_mul_f32_e32 v27, v35, v27
	s_or_b32 s68, s28, 1
	s_mov_b32 s69, s29
	s_wait_alu 0xfffe
	s_lshl_b64 s[8:9], s[8:9], 2
	s_mul_u64 s[68:69], s[68:69], s[36:37]
	s_wait_alu 0xfffe
	s_add_nc_u64 s[8:9], s[58:59], s[8:9]
	v_mul_f32_e32 v28, v35, v28
	s_or_b32 s70, s28, 2
	s_mov_b32 s71, s29
	global_store_b32 v0, v27, s[8:9]
	s_lshl_b64 s[8:9], s[68:69], 2
	s_mul_u64 s[68:69], s[70:71], s[36:37]
	s_or_b32 s70, s28, 3
	s_wait_alu 0xfffe
	s_add_nc_u64 s[8:9], s[58:59], s[8:9]
	s_mul_u64 s[70:71], s[70:71], s[36:37]
	v_mul_f32_e32 v27, v35, v43
	global_store_b32 v0, v28, s[8:9]
	s_lshl_b64 s[8:9], s[68:69], 2
	s_wait_dscnt 0x0
	v_mul_f32_e32 v28, v35, v42
	s_lshl_b64 s[68:69], s[70:71], 2
	s_wait_alu 0xfffe
	s_add_nc_u64 s[8:9], s[58:59], s[8:9]
	s_add_nc_u64 s[68:69], s[58:59], s[68:69]
	s_clause 0x1
	global_store_b32 v0, v27, s[8:9]
	global_store_b32 v0, v28, s[68:69]
	s_branch .LBB557_11
.LBB557_56:                             ;   in Loop: Header=BB557_12 Depth=2
	v_dual_mov_b32 v42, 0 :: v_dual_mov_b32 v43, 0
	v_dual_mov_b32 v44, 0 :: v_dual_mov_b32 v45, 0
.LBB557_57:                             ;   in Loop: Header=BB557_12 Depth=2
	s_wait_alu 0xfffe
	s_or_b32 exec_lo, exec_lo, s68
	s_delay_alu instid0(SALU_CYCLE_1)
	s_or_b32 exec_lo, exec_lo, s11
	s_and_saveexec_b32 s6, s3
	s_cbranch_execnz .LBB557_15
	s_branch .LBB557_16
.LBB557_58:                             ;   in Loop: Header=BB557_3 Depth=1
	v_mov_b32_e32 v3, v0
	v_dual_mov_b32 v1, v0 :: v_dual_mov_b32 v2, v0
	s_mov_b32 s28, 0
	s_delay_alu instid0(VALU_DEP_2) | instskip(NEXT) | instid1(VALU_DEP_2)
	v_mov_b32_e32 v4, v3
	v_mov_b32_e32 v3, v2
	s_delay_alu instid0(VALU_DEP_3)
	v_mov_b32_e32 v2, v1
	v_mov_b32_e32 v1, v0
.LBB557_59:                             ;   in Loop: Header=BB557_3 Depth=1
	s_wait_alu 0xfffe
	s_cmp_ge_i32 s28, s35
	s_cbranch_scc1 .LBB557_2
; %bb.60:                               ;   in Loop: Header=BB557_3 Depth=1
	v_cmp_gt_u32_e32 vcc_lo, 24, v33
	s_mul_u64 s[6:7], s[54:55], s[28:29]
	s_wait_alu 0xfffe
	s_add_nc_u64 s[6:7], s[6:7], s[60:61]
	s_wait_alu 0xfffd
	v_cndmask_b32_e64 v17, 0, 8, vcc_lo
	v_cmp_gt_u32_e32 vcc_lo, 28, v33
	s_delay_alu instid0(VALU_DEP_2) | instskip(SKIP_3) | instid1(VALU_DEP_2)
	v_add_lshl_u32 v38, v17, v33, 2
	s_wait_alu 0xfffd
	v_cndmask_b32_e64 v18, 0, 4, vcc_lo
	v_cmp_gt_u32_e32 vcc_lo, 30, v33
	v_add_lshl_u32 v39, v18, v33, 2
	s_wait_alu 0xfffd
	v_cndmask_b32_e64 v19, 0, 2, vcc_lo
	v_cmp_ne_u32_e32 vcc_lo, 31, v33
	s_delay_alu instid0(VALU_DEP_2)
	v_add_lshl_u32 v40, v19, v33, 2
	s_wait_alu 0xfffd
	v_add_co_ci_u32_e64 v20, null, 0, v33, vcc_lo
	v_add_co_u32 v17, vcc_lo, s62, v5
	s_wait_alu 0xfffd
	v_add_co_ci_u32_e64 v18, null, s63, v6, vcc_lo
	v_add_co_u32 v19, vcc_lo, s62, v9
	v_lshlrev_b32_e32 v41, 2, v20
	s_wait_alu 0xfffd
	v_add_co_ci_u32_e64 v20, null, s63, v10, vcc_lo
	v_add_co_u32 v21, vcc_lo, s62, v11
	s_wait_alu 0xfffd
	v_add_co_ci_u32_e64 v22, null, s63, v12, vcc_lo
	v_add_co_u32 v23, vcc_lo, s62, v13
	s_wait_alu 0xfffd
	v_add_co_ci_u32_e64 v24, null, s63, v14, vcc_lo
	s_wait_alu 0xfffe
	v_add_co_u32 v25, vcc_lo, v29, s6
	s_wait_alu 0xfffd
	v_add_co_ci_u32_e64 v26, null, s7, v30, vcc_lo
	s_branch .LBB557_62
.LBB557_61:                             ;   in Loop: Header=BB557_62 Depth=2
	s_wait_alu 0xfffe
	s_or_b32 exec_lo, exec_lo, s6
	v_add_co_u32 v25, vcc_lo, v25, s54
	s_wait_alu 0xfffd
	v_add_co_ci_u32_e64 v26, null, s55, v26, vcc_lo
	s_add_co_i32 s28, s28, 1
	s_wait_alu 0xfffe
	s_cmp_ge_i32 s28, s35
	s_cbranch_scc1 .LBB557_2
.LBB557_62:                             ;   Parent Loop BB557_3 Depth=1
                                        ; =>  This Loop Header: Depth=2
                                        ;       Child Loop BB557_75 Depth 3
                                        ;       Child Loop BB557_78 Depth 3
	s_wait_dscnt 0x0
	v_mov_b32_e32 v42, s29
	s_and_saveexec_b32 s6, s1
	s_wait_alu 0xfffe
	s_xor_b32 s6, exec_lo, s6
	s_cbranch_execnz .LBB557_71
; %bb.63:                               ;   in Loop: Header=BB557_62 Depth=2
	s_wait_alu 0xfffe
	s_and_not1_saveexec_b32 s11, s6
	s_cbranch_execnz .LBB557_72
.LBB557_64:                             ;   in Loop: Header=BB557_62 Depth=2
	s_wait_alu 0xfffe
	s_or_b32 exec_lo, exec_lo, s11
	s_and_saveexec_b32 s6, s3
.LBB557_65:                             ;   in Loop: Header=BB557_62 Depth=2
	ds_store_b32 v31, v0
.LBB557_66:                             ;   in Loop: Header=BB557_62 Depth=2
	s_wait_alu 0xfffe
	s_or_b32 exec_lo, exec_lo, s6
	ds_bpermute_b32 v27, v34, v42
	s_wait_storecnt 0x0
	s_wait_loadcnt_dscnt 0x0
	s_barrier_signal -1
	s_barrier_wait -1
	global_inv scope:SCOPE_SE
	v_add_f32_e32 v27, v42, v27
	ds_bpermute_b32 v28, v38, v27
	s_wait_dscnt 0x0
	v_add_f32_e32 v27, v27, v28
	ds_bpermute_b32 v28, v39, v27
	s_wait_dscnt 0x0
	;; [unrolled: 3-line block ×3, first 2 shown]
	v_add_f32_e32 v27, v27, v28
	ds_bpermute_b32 v28, v41, v27
	s_and_saveexec_b32 s6, s4
	s_cbranch_execz .LBB557_68
; %bb.67:                               ;   in Loop: Header=BB557_62 Depth=2
	s_wait_dscnt 0x0
	v_add_f32_e32 v27, v27, v28
	ds_store_b32 v32, v27
.LBB557_68:                             ;   in Loop: Header=BB557_62 Depth=2
	s_wait_alu 0xfffe
	s_or_b32 exec_lo, exec_lo, s6
	v_mov_b32_e32 v27, 0
	s_wait_loadcnt_dscnt 0x0
	s_barrier_signal -1
	s_barrier_wait -1
	global_inv scope:SCOPE_SE
	s_and_saveexec_b32 s6, s5
	s_cbranch_execnz .LBB557_80
; %bb.69:                               ;   in Loop: Header=BB557_62 Depth=2
	s_wait_alu 0xfffe
	s_or_b32 exec_lo, exec_lo, s6
	s_and_saveexec_b32 s6, s3
	s_cbranch_execnz .LBB557_81
.LBB557_70:                             ;   in Loop: Header=BB557_62 Depth=2
	s_wait_alu 0xfffe
	s_or_b32 exec_lo, exec_lo, s6
	s_and_saveexec_b32 s6, s0
	s_cbranch_execz .LBB557_61
	s_branch .LBB557_82
.LBB557_71:                             ;   in Loop: Header=BB557_62 Depth=2
	s_mul_u64 s[8:9], s[28:29], s[30:31]
	s_wait_alu 0xfffe
	s_lshl_b64 s[8:9], s[8:9], 1
	s_wait_alu 0xfffe
	v_add_co_u32 v1, vcc_lo, v36, s8
	s_wait_alu 0xfffd
	v_add_co_ci_u32_e64 v2, null, s9, v37, vcc_lo
	global_load_u16 v3, v[17:18], off
	global_load_b64 v[27:28], v[1:2], off
	s_clause 0x2
	global_load_u16 v2, v[19:20], off
	global_load_u16 v4, v[21:22], off
	;; [unrolled: 1-line block ×3, first 2 shown]
	s_wait_loadcnt 0x4
	v_lshlrev_b32_e32 v1, 16, v3
	s_wait_loadcnt 0x3
	v_lshlrev_b32_e32 v3, 16, v27
	;; [unrolled: 2-line block ×3, first 2 shown]
	v_and_b32_e32 v27, 0xffff0000, v27
	s_delay_alu instid0(VALU_DEP_3)
	v_fma_f32 v42, v1, v3, 0
	s_wait_loadcnt 0x1
	v_lshlrev_b32_e32 v3, 16, v4
	s_wait_loadcnt 0x0
	v_lshlrev_b32_e32 v4, 16, v43
	v_dual_fmac_f32 v42, v2, v27 :: v_dual_lshlrev_b32 v27, 16, v28
	v_and_b32_e32 v28, 0xffff0000, v28
	s_delay_alu instid0(VALU_DEP_2) | instskip(NEXT) | instid1(VALU_DEP_1)
	v_fmac_f32_e32 v42, v3, v27
	v_fmac_f32_e32 v42, v4, v28
	s_and_not1_saveexec_b32 s11, s6
	s_cbranch_execz .LBB557_64
.LBB557_72:                             ;   in Loop: Header=BB557_62 Depth=2
	s_and_saveexec_b32 s60, s2
	s_cbranch_execz .LBB557_79
; %bb.73:                               ;   in Loop: Header=BB557_62 Depth=2
	s_and_not1_b32 vcc_lo, exec_lo, s34
	s_wait_alu 0xfffe
	s_cbranch_vccnz .LBB557_76
; %bb.74:                               ;   in Loop: Header=BB557_62 Depth=2
	v_dual_mov_b32 v28, v16 :: v_dual_mov_b32 v27, v15
	s_mov_b64 s[8:9], 0
.LBB557_75:                             ;   Parent Loop BB557_3 Depth=1
                                        ;     Parent Loop BB557_62 Depth=2
                                        ; =>    This Inner Loop Header: Depth=3
	global_load_u16 v43, v[27:28], off
	s_wait_alu 0xfffe
	s_cmp_eq_u32 s8, 3
	v_add_co_u32 v27, vcc_lo, v27, s46
	s_wait_alu 0xfffd
	v_add_co_ci_u32_e64 v28, null, s47, v28, vcc_lo
	s_cselect_b32 vcc_lo, -1, 0
	s_cmp_eq_u32 s8, 2
	s_cselect_b32 s6, -1, 0
	s_cmp_eq_u32 s8, 1
	s_cselect_b32 s7, -1, 0
	s_cmp_eq_u32 s8, 0
	s_add_nc_u64 s[8:9], s[8:9], 1
	s_wait_loadcnt 0x0
	v_lshlrev_b32_e32 v43, 16, v43
	s_wait_alu 0xfffe
	s_delay_alu instid0(VALU_DEP_1)
	v_cndmask_b32_e32 v4, v4, v43, vcc_lo
	s_cselect_b32 vcc_lo, -1, 0
	v_cndmask_b32_e64 v3, v3, v43, s6
	v_cndmask_b32_e64 v2, v2, v43, s7
	s_wait_alu 0xfffe
	v_cndmask_b32_e32 v1, v1, v43, vcc_lo
	s_cmp_eq_u32 s66, s8
	s_cbranch_scc0 .LBB557_75
.LBB557_76:                             ;   in Loop: Header=BB557_62 Depth=2
	s_and_not1_b32 vcc_lo, exec_lo, s34
	s_wait_alu 0xfffe
	s_cbranch_vccnz .LBB557_79
; %bb.77:                               ;   in Loop: Header=BB557_62 Depth=2
	v_dual_mov_b32 v28, v26 :: v_dual_mov_b32 v27, v25
	s_mov_b64 s[6:7], 0
.LBB557_78:                             ;   Parent Loop BB557_3 Depth=1
                                        ;     Parent Loop BB557_62 Depth=2
                                        ; =>    This Inner Loop Header: Depth=3
	global_load_u16 v43, v[27:28], off
	s_wait_alu 0xfffe
	s_cmp_eq_u32 s6, 1
	s_cselect_b32 vcc_lo, -1, 0
	s_cmp_eq_u32 s6, 2
	s_wait_alu 0xfffe
	v_cndmask_b32_e32 v44, v1, v2, vcc_lo
	s_cselect_b32 vcc_lo, -1, 0
	s_cmp_eq_u32 s6, 3
	s_add_nc_u64 s[6:7], s[6:7], 1
	s_wait_loadcnt 0x0
	v_lshlrev_b32_e32 v43, 16, v43
	s_wait_alu 0xfffe
	v_cndmask_b32_e32 v44, v44, v3, vcc_lo
	s_cselect_b32 vcc_lo, -1, 0
	s_cmp_lg_u32 s66, s6
	s_wait_alu 0xfffe
	s_delay_alu instid0(VALU_DEP_1) | instskip(SKIP_3) | instid1(VALU_DEP_3)
	v_cndmask_b32_e32 v44, v44, v4, vcc_lo
	v_add_co_u32 v27, vcc_lo, v27, 2
	s_wait_alu 0xfffd
	v_add_co_ci_u32_e64 v28, null, 0, v28, vcc_lo
	v_fmac_f32_e32 v42, v44, v43
	s_cbranch_scc1 .LBB557_78
.LBB557_79:                             ;   in Loop: Header=BB557_62 Depth=2
	s_wait_alu 0xfffe
	s_or_b32 exec_lo, exec_lo, s60
	s_delay_alu instid0(SALU_CYCLE_1)
	s_or_b32 exec_lo, exec_lo, s11
	s_and_saveexec_b32 s6, s3
	s_cbranch_execnz .LBB557_65
	s_branch .LBB557_66
.LBB557_80:                             ;   in Loop: Header=BB557_62 Depth=2
	ds_load_b32 v27, v31
	s_wait_alu 0xfffe
	s_or_b32 exec_lo, exec_lo, s6
	s_and_saveexec_b32 s6, s3
	s_cbranch_execz .LBB557_70
.LBB557_81:                             ;   in Loop: Header=BB557_62 Depth=2
	s_wait_dscnt 0x0
	ds_bpermute_b32 v28, v39, v27
	s_wait_dscnt 0x0
	v_add_f32_e32 v27, v27, v28
	ds_bpermute_b32 v28, v40, v27
	s_wait_dscnt 0x0
	v_add_f32_e32 v27, v27, v28
	;; [unrolled: 3-line block ×3, first 2 shown]
	s_wait_alu 0xfffe
	s_or_b32 exec_lo, exec_lo, s6
	s_and_saveexec_b32 s6, s0
	s_cbranch_execz .LBB557_61
.LBB557_82:                             ;   in Loop: Header=BB557_62 Depth=2
	s_mul_u64 s[8:9], s[28:29], s[36:37]
	s_wait_dscnt 0x0
	v_mul_f32_e32 v27, v35, v27
	s_wait_alu 0xfffe
	s_lshl_b64 s[8:9], s[8:9], 2
	s_wait_alu 0xfffe
	s_add_nc_u64 s[8:9], s[58:59], s[8:9]
	global_store_b32 v0, v27, s[8:9]
	s_branch .LBB557_61
.LBB557_83:
	s_endpgm
	.section	.rodata,"a",@progbits
	.p2align	6, 0x0
	.amdhsa_kernel _ZL23rocblas_gemvt_sn_kernelILb0ELi256ELi4El16rocblas_bfloat16PKffEviiT4_lPKT3_lilS6_lilPT5_i
		.amdhsa_group_segment_fixed_size 128
		.amdhsa_private_segment_fixed_size 0
		.amdhsa_kernarg_size 360
		.amdhsa_user_sgpr_count 2
		.amdhsa_user_sgpr_dispatch_ptr 0
		.amdhsa_user_sgpr_queue_ptr 0
		.amdhsa_user_sgpr_kernarg_segment_ptr 1
		.amdhsa_user_sgpr_dispatch_id 0
		.amdhsa_user_sgpr_private_segment_size 0
		.amdhsa_wavefront_size32 1
		.amdhsa_uses_dynamic_stack 0
		.amdhsa_enable_private_segment 0
		.amdhsa_system_sgpr_workgroup_id_x 1
		.amdhsa_system_sgpr_workgroup_id_y 0
		.amdhsa_system_sgpr_workgroup_id_z 1
		.amdhsa_system_sgpr_workgroup_info 0
		.amdhsa_system_vgpr_workitem_id 0
		.amdhsa_next_free_vgpr 57
		.amdhsa_next_free_sgpr 72
		.amdhsa_reserve_vcc 1
		.amdhsa_float_round_mode_32 0
		.amdhsa_float_round_mode_16_64 0
		.amdhsa_float_denorm_mode_32 3
		.amdhsa_float_denorm_mode_16_64 3
		.amdhsa_fp16_overflow 0
		.amdhsa_workgroup_processor_mode 1
		.amdhsa_memory_ordered 1
		.amdhsa_forward_progress 1
		.amdhsa_inst_pref_size 37
		.amdhsa_round_robin_scheduling 0
		.amdhsa_exception_fp_ieee_invalid_op 0
		.amdhsa_exception_fp_denorm_src 0
		.amdhsa_exception_fp_ieee_div_zero 0
		.amdhsa_exception_fp_ieee_overflow 0
		.amdhsa_exception_fp_ieee_underflow 0
		.amdhsa_exception_fp_ieee_inexact 0
		.amdhsa_exception_int_div_zero 0
	.end_amdhsa_kernel
	.section	.text._ZL23rocblas_gemvt_sn_kernelILb0ELi256ELi4El16rocblas_bfloat16PKffEviiT4_lPKT3_lilS6_lilPT5_i,"axG",@progbits,_ZL23rocblas_gemvt_sn_kernelILb0ELi256ELi4El16rocblas_bfloat16PKffEviiT4_lPKT3_lilS6_lilPT5_i,comdat
.Lfunc_end557:
	.size	_ZL23rocblas_gemvt_sn_kernelILb0ELi256ELi4El16rocblas_bfloat16PKffEviiT4_lPKT3_lilS6_lilPT5_i, .Lfunc_end557-_ZL23rocblas_gemvt_sn_kernelILb0ELi256ELi4El16rocblas_bfloat16PKffEviiT4_lPKT3_lilS6_lilPT5_i
                                        ; -- End function
	.set _ZL23rocblas_gemvt_sn_kernelILb0ELi256ELi4El16rocblas_bfloat16PKffEviiT4_lPKT3_lilS6_lilPT5_i.num_vgpr, 57
	.set _ZL23rocblas_gemvt_sn_kernelILb0ELi256ELi4El16rocblas_bfloat16PKffEviiT4_lPKT3_lilS6_lilPT5_i.num_agpr, 0
	.set _ZL23rocblas_gemvt_sn_kernelILb0ELi256ELi4El16rocblas_bfloat16PKffEviiT4_lPKT3_lilS6_lilPT5_i.numbered_sgpr, 72
	.set _ZL23rocblas_gemvt_sn_kernelILb0ELi256ELi4El16rocblas_bfloat16PKffEviiT4_lPKT3_lilS6_lilPT5_i.num_named_barrier, 0
	.set _ZL23rocblas_gemvt_sn_kernelILb0ELi256ELi4El16rocblas_bfloat16PKffEviiT4_lPKT3_lilS6_lilPT5_i.private_seg_size, 0
	.set _ZL23rocblas_gemvt_sn_kernelILb0ELi256ELi4El16rocblas_bfloat16PKffEviiT4_lPKT3_lilS6_lilPT5_i.uses_vcc, 1
	.set _ZL23rocblas_gemvt_sn_kernelILb0ELi256ELi4El16rocblas_bfloat16PKffEviiT4_lPKT3_lilS6_lilPT5_i.uses_flat_scratch, 0
	.set _ZL23rocblas_gemvt_sn_kernelILb0ELi256ELi4El16rocblas_bfloat16PKffEviiT4_lPKT3_lilS6_lilPT5_i.has_dyn_sized_stack, 0
	.set _ZL23rocblas_gemvt_sn_kernelILb0ELi256ELi4El16rocblas_bfloat16PKffEviiT4_lPKT3_lilS6_lilPT5_i.has_recursion, 0
	.set _ZL23rocblas_gemvt_sn_kernelILb0ELi256ELi4El16rocblas_bfloat16PKffEviiT4_lPKT3_lilS6_lilPT5_i.has_indirect_call, 0
	.section	.AMDGPU.csdata,"",@progbits
; Kernel info:
; codeLenInByte = 4668
; TotalNumSgprs: 74
; NumVgprs: 57
; ScratchSize: 0
; MemoryBound: 0
; FloatMode: 240
; IeeeMode: 1
; LDSByteSize: 128 bytes/workgroup (compile time only)
; SGPRBlocks: 0
; VGPRBlocks: 7
; NumSGPRsForWavesPerEU: 74
; NumVGPRsForWavesPerEU: 57
; Occupancy: 16
; WaveLimiterHint : 0
; COMPUTE_PGM_RSRC2:SCRATCH_EN: 0
; COMPUTE_PGM_RSRC2:USER_SGPR: 2
; COMPUTE_PGM_RSRC2:TRAP_HANDLER: 0
; COMPUTE_PGM_RSRC2:TGID_X_EN: 1
; COMPUTE_PGM_RSRC2:TGID_Y_EN: 0
; COMPUTE_PGM_RSRC2:TGID_Z_EN: 1
; COMPUTE_PGM_RSRC2:TIDIG_COMP_CNT: 0
	.section	.text._ZL23rocblas_gemvt_sn_reduceILi256ELi8EfPKf16rocblas_bfloat16EviT2_lPT3_lilPT1_i,"axG",@progbits,_ZL23rocblas_gemvt_sn_reduceILi256ELi8EfPKf16rocblas_bfloat16EviT2_lPT3_lilPT1_i,comdat
	.globl	_ZL23rocblas_gemvt_sn_reduceILi256ELi8EfPKf16rocblas_bfloat16EviT2_lPT3_lilPT1_i ; -- Begin function _ZL23rocblas_gemvt_sn_reduceILi256ELi8EfPKf16rocblas_bfloat16EviT2_lPT3_lilPT1_i
	.p2align	8
	.type	_ZL23rocblas_gemvt_sn_reduceILi256ELi8EfPKf16rocblas_bfloat16EviT2_lPT3_lilPT1_i,@function
_ZL23rocblas_gemvt_sn_reduceILi256ELi8EfPKf16rocblas_bfloat16EviT2_lPT3_lilPT1_i: ; @_ZL23rocblas_gemvt_sn_reduceILi256ELi8EfPKf16rocblas_bfloat16EviT2_lPT3_lilPT1_i
; %bb.0:
	s_load_b32 s28, s[0:1], 0x40
	s_lshr_b32 s20, ttmp7, 16
	s_wait_kmcnt 0x0
	s_cmp_ge_u32 s20, s28
	s_cbranch_scc1 .LBB558_32
; %bb.1:
	s_clause 0x5
	s_load_b32 s22, s[0:1], 0x0
	s_load_b32 s29, s[0:1], 0x4c
	;; [unrolled: 1-line block ×4, first 2 shown]
	s_load_b256 s[8:15], s[0:1], 0x8
	s_load_b128 s[16:19], s[0:1], 0x30
	v_mbcnt_lo_u32_b32 v4, -1, 0
	v_and_b32_e32 v3, 31, v0
	v_dual_mov_b32 v2, 0 :: v_dual_lshlrev_b32 v7, 3, v0
	v_cmp_gt_u32_e64 s0, 32, v0
	s_delay_alu instid0(VALU_DEP_4) | instskip(NEXT) | instid1(VALU_DEP_4)
	v_cmp_gt_u32_e32 vcc_lo, 24, v4
	v_lshlrev_b32_e32 v8, 2, v3
	v_cmp_eq_u32_e64 s5, 0, v0
	v_lshl_or_b32 v9, v4, 2, 64
	s_mov_b32 s21, 0
	v_cndmask_b32_e64 v5, 0, 8, vcc_lo
	v_cmp_gt_u32_e32 vcc_lo, 28, v4
	s_and_b32 s24, ttmp7, 0xffff
	s_mov_b32 s25, s21
	s_wait_kmcnt 0x0
	s_ashr_i32 s23, s22, 31
	v_xad_u32 v1, v0, -1, s22
	s_lshr_b32 s1, s23, 29
	s_wait_alu 0xfffd
	v_cndmask_b32_e64 v6, 0, 4, vcc_lo
	v_cmp_gt_u32_e32 vcc_lo, 30, v4
	s_lshl_b64 s[2:3], s[14:15], 1
	s_add_co_i32 s1, s22, s1
	s_add_nc_u64 s[12:13], s[12:13], s[2:3]
	v_cmp_eq_u32_e64 s3, 0, v3
	v_lshlrev_b32_e32 v3, 5, v0
	s_and_b32 s30, s1, -8
	s_wait_alu 0xfffd
	v_cndmask_b32_e64 v12, 0, 2, vcc_lo
	v_cmp_ne_u32_e32 vcc_lo, 31, v4
	s_sub_co_i32 s2, s22, s30
	s_and_b32 s26, s4, 0xffff
	v_cmp_gt_u32_e64 s2, s2, v0
	v_add_lshl_u32 v10, v5, v4, 2
	v_lshrrev_b32_e32 v5, 3, v0
	v_cmp_gt_u32_e64 s4, 8, v0
	v_add_co_u32 v0, s14, s18, v3
	s_wait_alu 0xfffd
	v_add_co_ci_u32_e64 v13, null, 0, v4, vcc_lo
	v_add_lshl_u32 v11, v6, v4, 2
	v_add_lshl_u32 v12, v12, v4, 2
	v_add_co_ci_u32_e64 v4, null, s19, 0, s14
	v_add_co_u32 v3, vcc_lo, v0, 28
	s_ashr_i32 s7, s6, 31
	v_lshlrev_b64_e32 v[0:1], 2, v[1:2]
	v_cmp_gt_i32_e64 s1, s30, v7
	v_lshlrev_b32_e32 v13, 2, v13
	v_and_b32_e32 v14, 28, v5
	s_wait_alu 0xfffd
	v_add_co_ci_u32_e64 v4, null, 0, v4, vcc_lo
	s_mul_u64 s[6:7], s[6:7], s[24:25]
	s_mul_i32 s25, s20, s29
	s_lshl_b32 s31, s26, 3
	s_lshl_b64 s[14:15], s[22:23], 2
	s_add_co_i32 s25, s24, s25
	s_lshl_b32 s33, s29, 16
	s_lshl_b32 s34, s26, 5
	s_lshl_b64 s[26:27], s[6:7], 1
	s_branch .LBB558_5
.LBB558_2:                              ;   in Loop: Header=BB558_5 Depth=1
	s_wait_alu 0xfffe
	s_or_b32 exec_lo, exec_lo, s36
.LBB558_3:                              ;   in Loop: Header=BB558_5 Depth=1
	global_store_d16_hi_b16 v2, v6, s[6:7]
.LBB558_4:                              ;   in Loop: Header=BB558_5 Depth=1
	s_wait_alu 0xfffe
	s_or_b32 exec_lo, exec_lo, s35
	s_add_co_i32 s20, s20, 0x10000
	s_add_co_i32 s25, s25, s33
	s_cmp_lt_u32 s20, s28
	s_cbranch_scc0 .LBB558_32
.LBB558_5:                              ; =>This Loop Header: Depth=1
                                        ;     Child Loop BB558_15 Depth 2
	s_mul_u64 s[6:7], s[10:11], s[20:21]
	v_mov_b32_e32 v16, 0
	s_lshl_b64 s[6:7], s[6:7], 2
	s_delay_alu instid0(SALU_CYCLE_1)
	s_add_nc_u64 s[6:7], s[8:9], s[6:7]
	global_load_b32 v15, v2, s[6:7]
	s_and_saveexec_b32 s7, s1
	s_cbranch_execnz .LBB558_14
; %bb.6:                                ;   in Loop: Header=BB558_5 Depth=1
	s_or_b32 exec_lo, exec_lo, s7
	s_and_saveexec_b32 s6, s2
	s_cbranch_execnz .LBB558_17
.LBB558_7:                              ;   in Loop: Header=BB558_5 Depth=1
	s_or_b32 exec_lo, exec_lo, s6
	s_and_saveexec_b32 s6, s0
.LBB558_8:                              ;   in Loop: Header=BB558_5 Depth=1
	ds_store_b32 v8, v2
.LBB558_9:                              ;   in Loop: Header=BB558_5 Depth=1
	s_or_b32 exec_lo, exec_lo, s6
	s_wait_dscnt 0x0
	ds_bpermute_b32 v5, v9, v16
	s_wait_loadcnt_dscnt 0x0
	s_barrier_signal -1
	s_barrier_wait -1
	global_inv scope:SCOPE_SE
	v_add_f32_e32 v5, v16, v5
	ds_bpermute_b32 v6, v10, v5
	s_wait_dscnt 0x0
	v_add_f32_e32 v5, v5, v6
	ds_bpermute_b32 v6, v11, v5
	s_wait_dscnt 0x0
	;; [unrolled: 3-line block ×3, first 2 shown]
	v_add_f32_e32 v5, v5, v6
	ds_bpermute_b32 v6, v13, v5
	s_and_saveexec_b32 s6, s3
	s_cbranch_execz .LBB558_11
; %bb.10:                               ;   in Loop: Header=BB558_5 Depth=1
	s_wait_dscnt 0x0
	v_add_f32_e32 v5, v5, v6
	ds_store_b32 v14, v5
.LBB558_11:                             ;   in Loop: Header=BB558_5 Depth=1
	s_or_b32 exec_lo, exec_lo, s6
	v_mov_b32_e32 v5, 0
	s_wait_loadcnt_dscnt 0x0
	s_barrier_signal -1
	s_barrier_wait -1
	global_inv scope:SCOPE_SE
	s_and_saveexec_b32 s6, s4
	s_cbranch_execnz .LBB558_18
; %bb.12:                               ;   in Loop: Header=BB558_5 Depth=1
	s_or_b32 exec_lo, exec_lo, s6
	s_and_saveexec_b32 s6, s0
	s_cbranch_execnz .LBB558_19
.LBB558_13:                             ;   in Loop: Header=BB558_5 Depth=1
	s_or_b32 exec_lo, exec_lo, s6
	s_and_saveexec_b32 s35, s5
	s_cbranch_execz .LBB558_4
	s_branch .LBB558_20
.LBB558_14:                             ;   in Loop: Header=BB558_5 Depth=1
	s_wait_dscnt 0x0
	s_wait_alu 0xfffe
	v_mad_co_u64_u32 v[5:6], null, s14, s25, v[3:4]
	v_mov_b32_e32 v16, 0
	s_mov_b32 s35, 0
	s_delay_alu instid0(VALU_DEP_2) | instskip(NEXT) | instid1(VALU_DEP_1)
	v_mad_co_u64_u32 v[17:18], null, s15, s25, v[6:7]
	v_dual_mov_b32 v6, v17 :: v_dual_mov_b32 v17, v7
.LBB558_15:                             ;   Parent Loop BB558_5 Depth=1
                                        ; =>  This Inner Loop Header: Depth=2
	s_clause 0x1
	global_load_b128 v[18:21], v[5:6], off offset:-28
	global_load_b128 v[22:25], v[5:6], off offset:-12
	v_add_co_u32 v5, vcc_lo, v5, s34
	s_wait_alu 0xfffd
	v_add_co_ci_u32_e64 v6, null, 0, v6, vcc_lo
	v_add_nc_u32_e32 v17, s31, v17
	s_delay_alu instid0(VALU_DEP_1) | instskip(SKIP_4) | instid1(VALU_DEP_1)
	v_cmp_le_i32_e64 s6, s30, v17
	s_wait_alu 0xfffe
	s_or_b32 s35, s6, s35
	s_wait_loadcnt 0x1
	v_add_f32_e32 v16, v16, v18
	v_add_f32_e32 v16, v16, v19
	s_delay_alu instid0(VALU_DEP_1) | instskip(NEXT) | instid1(VALU_DEP_1)
	v_add_f32_e32 v16, v16, v20
	v_add_f32_e32 v16, v16, v21
	s_wait_loadcnt 0x0
	s_delay_alu instid0(VALU_DEP_1) | instskip(NEXT) | instid1(VALU_DEP_1)
	v_add_f32_e32 v16, v16, v22
	v_add_f32_e32 v16, v16, v23
	s_delay_alu instid0(VALU_DEP_1) | instskip(NEXT) | instid1(VALU_DEP_1)
	v_add_f32_e32 v16, v16, v24
	v_add_f32_e32 v16, v16, v25
	s_wait_alu 0xfffe
	s_and_not1_b32 exec_lo, exec_lo, s35
	s_cbranch_execnz .LBB558_15
; %bb.16:                               ;   in Loop: Header=BB558_5 Depth=1
	s_or_b32 exec_lo, exec_lo, s35
	s_delay_alu instid0(SALU_CYCLE_1)
	s_or_b32 exec_lo, exec_lo, s7
	s_and_saveexec_b32 s6, s2
	s_cbranch_execz .LBB558_7
.LBB558_17:                             ;   in Loop: Header=BB558_5 Depth=1
	s_mul_i32 s7, s29, s20
	s_mov_b32 s37, s21
	s_add_co_i32 s36, s7, s24
	s_wait_alu 0xfffe
	s_mul_u64 s[36:37], s[36:37], s[22:23]
	s_wait_alu 0xfffe
	s_lshl_b64 s[36:37], s[36:37], 2
	s_wait_alu 0xfffe
	s_add_nc_u64 s[36:37], s[18:19], s[36:37]
	s_wait_dscnt 0x0
	s_wait_alu 0xfffe
	v_add_co_u32 v5, vcc_lo, s36, v0
	s_wait_alu 0xfffd
	v_add_co_ci_u32_e64 v6, null, s37, v1, vcc_lo
	global_load_b32 v5, v[5:6], off
	s_wait_loadcnt 0x0
	v_add_f32_e32 v16, v16, v5
	s_or_b32 exec_lo, exec_lo, s6
	s_and_saveexec_b32 s6, s0
	s_cbranch_execnz .LBB558_8
	s_branch .LBB558_9
.LBB558_18:                             ;   in Loop: Header=BB558_5 Depth=1
	ds_load_b32 v5, v8
	s_or_b32 exec_lo, exec_lo, s6
	s_and_saveexec_b32 s6, s0
	s_cbranch_execz .LBB558_13
.LBB558_19:                             ;   in Loop: Header=BB558_5 Depth=1
	s_wait_dscnt 0x0
	ds_bpermute_b32 v6, v11, v5
	s_wait_dscnt 0x0
	v_add_f32_e32 v5, v5, v6
	ds_bpermute_b32 v6, v12, v5
	s_wait_dscnt 0x0
	v_add_f32_e32 v5, v5, v6
	;; [unrolled: 3-line block ×3, first 2 shown]
	s_or_b32 exec_lo, exec_lo, s6
	s_and_saveexec_b32 s35, s5
	s_cbranch_execz .LBB558_4
.LBB558_20:                             ;   in Loop: Header=BB558_5 Depth=1
	v_cmp_eq_f32_e32 vcc_lo, 0, v15
	s_cbranch_vccz .LBB558_26
; %bb.21:                               ;   in Loop: Header=BB558_5 Depth=1
	s_wait_dscnt 0x0
	v_and_b32_e32 v6, 0x7f800000, v5
	s_delay_alu instid0(VALU_DEP_1) | instskip(SKIP_1) | instid1(SALU_CYCLE_1)
	v_cmp_ne_u32_e32 vcc_lo, 0x7f800000, v6
                                        ; implicit-def: $vgpr6
	s_and_saveexec_b32 s6, vcc_lo
	s_xor_b32 s6, exec_lo, s6
; %bb.22:                               ;   in Loop: Header=BB558_5 Depth=1
	v_bfe_u32 v6, v5, 16, 1
	s_delay_alu instid0(VALU_DEP_1)
	v_add3_u32 v6, v5, v6, 0x7fff
; %bb.23:                               ;   in Loop: Header=BB558_5 Depth=1
	s_and_not1_saveexec_b32 s6, s6
; %bb.24:                               ;   in Loop: Header=BB558_5 Depth=1
	v_and_b32_e32 v6, 0xffff, v5
	v_or_b32_e32 v16, 0x10000, v5
	s_delay_alu instid0(VALU_DEP_2) | instskip(SKIP_1) | instid1(VALU_DEP_2)
	v_cmp_eq_u32_e32 vcc_lo, 0, v6
	s_wait_alu 0xfffd
	v_cndmask_b32_e32 v6, v16, v5, vcc_lo
; %bb.25:                               ;   in Loop: Header=BB558_5 Depth=1
	s_or_b32 exec_lo, exec_lo, s6
	s_mov_b32 s6, 0
	s_branch .LBB558_27
.LBB558_26:                             ;   in Loop: Header=BB558_5 Depth=1
	s_mov_b32 s6, -1
                                        ; implicit-def: $vgpr6
.LBB558_27:                             ;   in Loop: Header=BB558_5 Depth=1
	s_mul_u64 s[36:37], s[16:17], s[20:21]
	s_and_not1_b32 vcc_lo, exec_lo, s6
	s_wait_alu 0xfffe
	s_lshl_b64 s[36:37], s[36:37], 1
	s_wait_alu 0xfffe
	s_add_nc_u64 s[36:37], s[12:13], s[36:37]
	s_wait_alu 0xfffe
	s_add_nc_u64 s[6:7], s[36:37], s[26:27]
	s_cbranch_vccnz .LBB558_3
; %bb.28:                               ;   in Loop: Header=BB558_5 Depth=1
	global_load_u16 v6, v2, s[6:7]
	s_wait_loadcnt 0x0
	v_lshlrev_b32_e32 v6, 16, v6
	s_wait_dscnt 0x0
	s_delay_alu instid0(VALU_DEP_1) | instskip(NEXT) | instid1(VALU_DEP_1)
	v_fmac_f32_e32 v5, v15, v6
	v_and_b32_e32 v6, 0x7f800000, v5
	s_delay_alu instid0(VALU_DEP_1)
	v_cmp_ne_u32_e32 vcc_lo, 0x7f800000, v6
                                        ; implicit-def: $vgpr6
	s_and_saveexec_b32 s36, vcc_lo
	s_wait_alu 0xfffe
	s_xor_b32 s36, exec_lo, s36
; %bb.29:                               ;   in Loop: Header=BB558_5 Depth=1
	v_bfe_u32 v6, v5, 16, 1
	s_delay_alu instid0(VALU_DEP_1)
	v_add3_u32 v6, v5, v6, 0x7fff
                                        ; implicit-def: $vgpr5
; %bb.30:                               ;   in Loop: Header=BB558_5 Depth=1
	s_wait_alu 0xfffe
	s_and_not1_saveexec_b32 s36, s36
	s_cbranch_execz .LBB558_2
; %bb.31:                               ;   in Loop: Header=BB558_5 Depth=1
	v_and_b32_e32 v6, 0xffff, v5
	v_or_b32_e32 v15, 0x10000, v5
	s_delay_alu instid0(VALU_DEP_2) | instskip(SKIP_1) | instid1(VALU_DEP_2)
	v_cmp_eq_u32_e32 vcc_lo, 0, v6
	s_wait_alu 0xfffd
	v_cndmask_b32_e32 v6, v15, v5, vcc_lo
	s_branch .LBB558_2
.LBB558_32:
	s_endpgm
	.section	.rodata,"a",@progbits
	.p2align	6, 0x0
	.amdhsa_kernel _ZL23rocblas_gemvt_sn_reduceILi256ELi8EfPKf16rocblas_bfloat16EviT2_lPT3_lilPT1_i
		.amdhsa_group_segment_fixed_size 128
		.amdhsa_private_segment_fixed_size 0
		.amdhsa_kernarg_size 328
		.amdhsa_user_sgpr_count 2
		.amdhsa_user_sgpr_dispatch_ptr 0
		.amdhsa_user_sgpr_queue_ptr 0
		.amdhsa_user_sgpr_kernarg_segment_ptr 1
		.amdhsa_user_sgpr_dispatch_id 0
		.amdhsa_user_sgpr_private_segment_size 0
		.amdhsa_wavefront_size32 1
		.amdhsa_uses_dynamic_stack 0
		.amdhsa_enable_private_segment 0
		.amdhsa_system_sgpr_workgroup_id_x 1
		.amdhsa_system_sgpr_workgroup_id_y 1
		.amdhsa_system_sgpr_workgroup_id_z 1
		.amdhsa_system_sgpr_workgroup_info 0
		.amdhsa_system_vgpr_workitem_id 0
		.amdhsa_next_free_vgpr 26
		.amdhsa_next_free_sgpr 38
		.amdhsa_reserve_vcc 1
		.amdhsa_float_round_mode_32 0
		.amdhsa_float_round_mode_16_64 0
		.amdhsa_float_denorm_mode_32 3
		.amdhsa_float_denorm_mode_16_64 3
		.amdhsa_fp16_overflow 0
		.amdhsa_workgroup_processor_mode 1
		.amdhsa_memory_ordered 1
		.amdhsa_forward_progress 1
		.amdhsa_inst_pref_size 11
		.amdhsa_round_robin_scheduling 0
		.amdhsa_exception_fp_ieee_invalid_op 0
		.amdhsa_exception_fp_denorm_src 0
		.amdhsa_exception_fp_ieee_div_zero 0
		.amdhsa_exception_fp_ieee_overflow 0
		.amdhsa_exception_fp_ieee_underflow 0
		.amdhsa_exception_fp_ieee_inexact 0
		.amdhsa_exception_int_div_zero 0
	.end_amdhsa_kernel
	.section	.text._ZL23rocblas_gemvt_sn_reduceILi256ELi8EfPKf16rocblas_bfloat16EviT2_lPT3_lilPT1_i,"axG",@progbits,_ZL23rocblas_gemvt_sn_reduceILi256ELi8EfPKf16rocblas_bfloat16EviT2_lPT3_lilPT1_i,comdat
.Lfunc_end558:
	.size	_ZL23rocblas_gemvt_sn_reduceILi256ELi8EfPKf16rocblas_bfloat16EviT2_lPT3_lilPT1_i, .Lfunc_end558-_ZL23rocblas_gemvt_sn_reduceILi256ELi8EfPKf16rocblas_bfloat16EviT2_lPT3_lilPT1_i
                                        ; -- End function
	.set _ZL23rocblas_gemvt_sn_reduceILi256ELi8EfPKf16rocblas_bfloat16EviT2_lPT3_lilPT1_i.num_vgpr, 26
	.set _ZL23rocblas_gemvt_sn_reduceILi256ELi8EfPKf16rocblas_bfloat16EviT2_lPT3_lilPT1_i.num_agpr, 0
	.set _ZL23rocblas_gemvt_sn_reduceILi256ELi8EfPKf16rocblas_bfloat16EviT2_lPT3_lilPT1_i.numbered_sgpr, 38
	.set _ZL23rocblas_gemvt_sn_reduceILi256ELi8EfPKf16rocblas_bfloat16EviT2_lPT3_lilPT1_i.num_named_barrier, 0
	.set _ZL23rocblas_gemvt_sn_reduceILi256ELi8EfPKf16rocblas_bfloat16EviT2_lPT3_lilPT1_i.private_seg_size, 0
	.set _ZL23rocblas_gemvt_sn_reduceILi256ELi8EfPKf16rocblas_bfloat16EviT2_lPT3_lilPT1_i.uses_vcc, 1
	.set _ZL23rocblas_gemvt_sn_reduceILi256ELi8EfPKf16rocblas_bfloat16EviT2_lPT3_lilPT1_i.uses_flat_scratch, 0
	.set _ZL23rocblas_gemvt_sn_reduceILi256ELi8EfPKf16rocblas_bfloat16EviT2_lPT3_lilPT1_i.has_dyn_sized_stack, 0
	.set _ZL23rocblas_gemvt_sn_reduceILi256ELi8EfPKf16rocblas_bfloat16EviT2_lPT3_lilPT1_i.has_recursion, 0
	.set _ZL23rocblas_gemvt_sn_reduceILi256ELi8EfPKf16rocblas_bfloat16EviT2_lPT3_lilPT1_i.has_indirect_call, 0
	.section	.AMDGPU.csdata,"",@progbits
; Kernel info:
; codeLenInByte = 1388
; TotalNumSgprs: 40
; NumVgprs: 26
; ScratchSize: 0
; MemoryBound: 0
; FloatMode: 240
; IeeeMode: 1
; LDSByteSize: 128 bytes/workgroup (compile time only)
; SGPRBlocks: 0
; VGPRBlocks: 3
; NumSGPRsForWavesPerEU: 40
; NumVGPRsForWavesPerEU: 26
; Occupancy: 16
; WaveLimiterHint : 0
; COMPUTE_PGM_RSRC2:SCRATCH_EN: 0
; COMPUTE_PGM_RSRC2:USER_SGPR: 2
; COMPUTE_PGM_RSRC2:TRAP_HANDLER: 0
; COMPUTE_PGM_RSRC2:TGID_X_EN: 1
; COMPUTE_PGM_RSRC2:TGID_Y_EN: 1
; COMPUTE_PGM_RSRC2:TGID_Z_EN: 1
; COMPUTE_PGM_RSRC2:TIDIG_COMP_CNT: 0
	.section	.text._ZL23rocblas_gemvt_sn_kernelILb0ELi256ELi4Ei16rocblas_bfloat16ffEviiT4_lPKT3_lilS4_lilPT5_i,"axG",@progbits,_ZL23rocblas_gemvt_sn_kernelILb0ELi256ELi4Ei16rocblas_bfloat16ffEviiT4_lPKT3_lilS4_lilPT5_i,comdat
	.globl	_ZL23rocblas_gemvt_sn_kernelILb0ELi256ELi4Ei16rocblas_bfloat16ffEviiT4_lPKT3_lilS4_lilPT5_i ; -- Begin function _ZL23rocblas_gemvt_sn_kernelILb0ELi256ELi4Ei16rocblas_bfloat16ffEviiT4_lPKT3_lilS4_lilPT5_i
	.p2align	8
	.type	_ZL23rocblas_gemvt_sn_kernelILb0ELi256ELi4Ei16rocblas_bfloat16ffEviiT4_lPKT3_lilS4_lilPT5_i,@function
_ZL23rocblas_gemvt_sn_kernelILb0ELi256ELi4Ei16rocblas_bfloat16ffEviiT4_lPKT3_lilS4_lilPT5_i: ; @_ZL23rocblas_gemvt_sn_kernelILb0ELi256ELi4Ei16rocblas_bfloat16ffEviiT4_lPKT3_lilS4_lilPT5_i
; %bb.0:
	s_load_b32 s11, s[0:1], 0x60
	s_lshr_b32 s24, ttmp7, 16
	s_wait_kmcnt 0x0
	s_cmp_ge_u32 s24, s11
	s_cbranch_scc1 .LBB559_83
; %bb.1:
	s_clause 0x6
	s_load_b96 s[8:10], s[0:1], 0x40
	s_load_b128 s[4:7], s[0:1], 0x18
	s_load_b96 s[20:22], s[0:1], 0x0
	s_load_b128 s[12:15], s[0:1], 0x30
	s_load_b32 s28, s[0:1], 0x68
	s_load_b32 s30, s[0:1], 0x28
	s_load_b128 s[16:19], s[0:1], 0x50
	v_cmp_eq_u32_e64 s0, 0, v0
	v_mbcnt_lo_u32_b32 v28, -1, 0
	s_mov_b32 s35, 0
	s_mov_b32 s26, ttmp9
	s_mov_b32 s29, s35
	s_mov_b32 s27, s35
	v_lshl_or_b32 v29, v28, 2, 64
	s_mov_b32 s31, s35
	s_mov_b32 s47, s35
	s_wait_kmcnt 0x0
	s_lshl_b64 s[2:3], s[8:9], 1
	s_lshl_b64 s[6:7], s[6:7], 1
	s_ashr_i32 s9, s21, 31
	s_cmp_eq_f32 s22, 0
	s_add_nc_u64 s[14:15], s[14:15], s[2:3]
	s_add_nc_u64 s[2:3], s[4:5], s[6:7]
	s_mov_b32 s8, s21
	s_cselect_b32 s23, -1, 0
	s_cmp_gt_i32 s21, 0
	s_mul_u64 s[36:37], s[8:9], s[28:29]
	s_cselect_b32 s1, -1, 0
	s_lshl_b32 s4, ttmp9, 10
	s_lshr_b32 s5, s9, 30
	v_lshl_or_b32 v1, v0, 2, s4
	s_ashr_i32 s6, s20, 31
	s_and_b32 s33, s0, s1
	s_add_co_i32 s1, s21, s5
	s_lshr_b32 s4, s6, 30
	v_ashrrev_i32_e32 v2, 31, v1
	s_and_b32 s68, s1, -4
	s_wait_alu 0xfffe
	s_add_co_i32 s1, s20, s4
	v_mul_lo_u32 v5, s10, v1
	s_and_b32 s1, s1, -4
	v_lshlrev_b64_e32 v[2:3], 1, v[1:2]
	s_sub_co_i32 s69, s20, s1
	v_add_nc_u32_e32 v4, 4, v1
	v_add_nc_u32_e32 v1, s69, v1
	v_cmp_gt_u32_e64 s5, 8, v0
	s_cmp_gt_i32 s68, 0
	v_add_co_u32 v24, vcc_lo, s2, v2
	v_cmp_ge_i32_e64 s1, s20, v4
	v_add_co_ci_u32_e64 v25, null, s3, v3, vcc_lo
	v_and_b32_e32 v2, 31, v0
	v_cmp_gt_u32_e64 s3, 32, v0
	v_lshrrev_b32_e32 v4, 3, v0
	v_mov_b32_e32 v0, 0
	v_cmp_ge_i32_e64 s2, s20, v1
	v_add_nc_u32_e32 v1, s10, v5
	v_cmp_eq_u32_e64 s4, 0, v2
	v_lshlrev_b32_e32 v26, 2, v2
	v_and_b32_e32 v27, 28, v4
	v_ashrrev_i32_e32 v6, 31, v5
	v_add_nc_u32_e32 v3, s10, v1
	v_ashrrev_i32_e32 v2, 31, v1
	s_cselect_b32 s70, -1, 0
	s_cmp_gt_i32 s69, 0
	v_lshlrev_b64_e32 v[6:7], 1, v[5:6]
	v_add_nc_u32_e32 v12, s10, v3
	v_ashrrev_i32_e32 v4, 31, v3
	s_cselect_b32 s20, -1, 0
	s_lshl_b32 s34, s30, 1
	v_lshlrev_b64_e32 v[8:9], 1, v[1:2]
	v_ashrrev_i32_e32 v13, 31, v12
	v_lshlrev_b64_e32 v[10:11], 1, v[3:4]
	s_lshl_b64 s[38:39], s[26:27], 2
	s_mov_b64 s[48:49], s[34:35]
	s_mul_i32 s34, s30, 3
	v_lshlrev_b64_e32 v[12:13], 1, v[12:13]
	s_add_nc_u64 s[40:41], s[18:19], s[38:39]
	s_lshl_b64 s[42:43], s[36:37], 2
	s_lshl_b64 s[44:45], s[28:29], 2
	s_lshl_b32 s46, s30, 2
	s_mov_b64 s[50:51], s[34:35]
	s_lshl_b64 s[52:53], s[12:13], 1
	s_branch .LBB559_3
.LBB559_2:                              ;   in Loop: Header=BB559_3 Depth=1
	s_add_co_i32 s24, s24, 0x10000
	s_delay_alu instid0(SALU_CYCLE_1)
	s_cmp_lt_u32 s24, s11
	s_cbranch_scc0 .LBB559_83
.LBB559_3:                              ; =>This Loop Header: Depth=1
                                        ;     Child Loop BB559_6 Depth 2
                                        ;     Child Loop BB559_12 Depth 2
                                        ;       Child Loop BB559_43 Depth 3
                                        ;       Child Loop BB559_46 Depth 3
                                        ;     Child Loop BB559_62 Depth 2
                                        ;       Child Loop BB559_75 Depth 3
                                        ;       Child Loop BB559_78 Depth 3
	s_mov_b32 s25, s35
	s_and_not1_b32 vcc_lo, exec_lo, s23
	s_mov_b32 s6, -1
	s_wait_alu 0xfffe
	s_cbranch_vccnz .LBB559_8
; %bb.4:                                ;   in Loop: Header=BB559_3 Depth=1
	s_and_saveexec_b32 s8, s33
	s_cbranch_execz .LBB559_7
; %bb.5:                                ;   in Loop: Header=BB559_3 Depth=1
	s_mul_u64 s[6:7], s[42:43], s[24:25]
	s_mov_b32 s9, s21
	s_wait_alu 0xfffe
	s_add_nc_u64 s[6:7], s[40:41], s[6:7]
.LBB559_6:                              ;   Parent Loop BB559_3 Depth=1
                                        ; =>  This Inner Loop Header: Depth=2
	s_add_co_i32 s9, s9, -1
	global_store_b32 v0, v0, s[6:7]
	s_wait_alu 0xfffe
	s_cmp_eq_u32 s9, 0
	s_add_nc_u64 s[6:7], s[6:7], s[44:45]
	s_cbranch_scc0 .LBB559_6
.LBB559_7:                              ;   in Loop: Header=BB559_3 Depth=1
	s_wait_alu 0xfffe
	s_or_b32 exec_lo, exec_lo, s8
	s_mov_b32 s6, 0
.LBB559_8:                              ;   in Loop: Header=BB559_3 Depth=1
	s_wait_alu 0xfffe
	s_and_not1_b32 vcc_lo, exec_lo, s6
	s_wait_alu 0xfffe
	s_cbranch_vccnz .LBB559_2
; %bb.9:                                ;   in Loop: Header=BB559_3 Depth=1
	s_mul_u64 s[6:7], s[16:17], s[24:25]
	s_mul_u64 s[8:9], s[12:13], s[24:25]
	s_wait_alu 0xfffe
	s_lshl_b64 s[6:7], s[6:7], 1
	s_mul_u64 s[58:59], s[36:37], s[24:25]
	s_wait_alu 0xfffe
	s_add_nc_u64 s[54:55], s[14:15], s[6:7]
	s_lshl_b64 s[6:7], s[8:9], 1
	v_cmp_gt_u32_e64 s9, 24, v28
	s_wait_alu 0xfffe
	v_add_co_u32 v30, vcc_lo, v24, s6
	s_wait_alu 0xfffd
	v_add_co_ci_u32_e64 v31, null, s7, v25, vcc_lo
	v_cmp_gt_u32_e64 s8, 28, v28
	v_cmp_gt_u32_e64 s7, 30, v28
	v_cmp_ne_u32_e64 s6, 31, v28
	s_lshl_b64 s[58:59], s[58:59], 2
	s_mul_u64 s[56:57], s[52:53], s[24:25]
	s_and_not1_b32 vcc_lo, exec_lo, s70
	s_wait_alu 0xfffe
	s_add_nc_u64 s[58:59], s[18:19], s[58:59]
	s_cbranch_vccnz .LBB559_58
; %bb.10:                               ;   in Loop: Header=BB559_3 Depth=1
	v_cndmask_b32_e64 v3, 0, 2, s7
	v_add_co_u32 v14, vcc_lo, s54, v6
	s_wait_alu 0xfffd
	v_add_co_ci_u32_e64 v15, null, s55, v7, vcc_lo
	v_add_co_u32 v16, vcc_lo, s54, v8
	v_cndmask_b32_e64 v1, 0, 8, s9
	v_cndmask_b32_e64 v2, 0, 4, s8
	v_add_co_ci_u32_e64 v4, null, 0, v28, s6
	v_add_lshl_u32 v34, v3, v28, 2
	s_wait_alu 0xfffd
	v_add_co_ci_u32_e64 v17, null, s55, v9, vcc_lo
	v_add_co_u32 v18, vcc_lo, s54, v10
	v_mov_b32_e32 v3, v0
	s_wait_alu 0xfffd
	v_add_co_ci_u32_e64 v19, null, s55, v11, vcc_lo
	v_add_co_u32 v20, vcc_lo, s54, v12
	v_add_lshl_u32 v32, v1, v28, 2
	v_add_lshl_u32 v33, v2, v28, 2
	v_dual_mov_b32 v2, v0 :: v_dual_lshlrev_b32 v35, 2, v4
	s_wait_alu 0xfffd
	v_add_co_ci_u32_e64 v21, null, s55, v13, vcc_lo
	v_mov_b32_e32 v1, v0
	v_add_co_u32 v36, vcc_lo, v24, s56
	v_mov_b32_e32 v4, v3
	s_wait_alu 0xfffd
	v_add_co_ci_u32_e64 v37, null, s57, v25, vcc_lo
	v_mov_b32_e32 v3, v2
	v_mov_b32_e32 v2, v1
	;; [unrolled: 1-line block ×3, first 2 shown]
	s_mov_b32 s8, 0
	s_mov_b64 s[60:61], s[50:51]
	s_mov_b64 s[62:63], s[48:49]
	;; [unrolled: 1-line block ×3, first 2 shown]
	s_mov_b32 s25, 0
	s_branch .LBB559_12
.LBB559_11:                             ;   in Loop: Header=BB559_12 Depth=2
	s_wait_alu 0xfffe
	s_or_b32 exec_lo, exec_lo, s6
	s_add_co_i32 s25, s25, 4
	s_add_co_i32 s8, s8, s46
	s_add_nc_u64 s[64:65], s[64:65], s[46:47]
	s_add_nc_u64 s[62:63], s[62:63], s[46:47]
	s_cmp_ge_i32 s25, s68
	s_add_nc_u64 s[60:61], s[60:61], s[46:47]
	s_cbranch_scc1 .LBB559_59
.LBB559_12:                             ;   Parent Loop BB559_3 Depth=1
                                        ; =>  This Loop Header: Depth=2
                                        ;       Child Loop BB559_43 Depth 3
                                        ;       Child Loop BB559_46 Depth 3
                                        ; implicit-def: $vgpr38
                                        ; implicit-def: $vgpr39
                                        ; implicit-def: $vgpr40
                                        ; implicit-def: $vgpr41
	s_and_saveexec_b32 s6, s1
	s_wait_alu 0xfffe
	s_xor_b32 s6, exec_lo, s6
	s_cbranch_execnz .LBB559_39
; %bb.13:                               ;   in Loop: Header=BB559_12 Depth=2
	s_wait_alu 0xfffe
	s_and_not1_saveexec_b32 s27, s6
	s_cbranch_execnz .LBB559_40
.LBB559_14:                             ;   in Loop: Header=BB559_12 Depth=2
	s_or_b32 exec_lo, exec_lo, s27
	s_and_saveexec_b32 s6, s3
.LBB559_15:                             ;   in Loop: Header=BB559_12 Depth=2
	ds_store_b32 v26, v0
.LBB559_16:                             ;   in Loop: Header=BB559_12 Depth=2
	s_wait_alu 0xfffe
	s_or_b32 exec_lo, exec_lo, s6
	s_wait_dscnt 0x0
	ds_bpermute_b32 v22, v29, v41
	s_wait_storecnt_dscnt 0x0
	s_barrier_signal -1
	s_barrier_wait -1
	global_inv scope:SCOPE_SE
	v_add_f32_e32 v22, v41, v22
	ds_bpermute_b32 v23, v32, v22
	s_wait_dscnt 0x0
	v_add_f32_e32 v22, v22, v23
	ds_bpermute_b32 v23, v33, v22
	s_wait_dscnt 0x0
	;; [unrolled: 3-line block ×3, first 2 shown]
	v_add_f32_e32 v22, v22, v23
	ds_bpermute_b32 v23, v35, v22
	s_and_saveexec_b32 s6, s4
	s_cbranch_execz .LBB559_18
; %bb.17:                               ;   in Loop: Header=BB559_12 Depth=2
	s_wait_dscnt 0x0
	v_add_f32_e32 v22, v22, v23
	ds_store_b32 v27, v22
.LBB559_18:                             ;   in Loop: Header=BB559_12 Depth=2
	s_wait_alu 0xfffe
	s_or_b32 exec_lo, exec_lo, s6
	v_mov_b32_e32 v22, 0
	s_wait_loadcnt_dscnt 0x0
	s_barrier_signal -1
	s_barrier_wait -1
	global_inv scope:SCOPE_SE
	s_and_saveexec_b32 s6, s5
	s_cbranch_execnz .LBB559_47
; %bb.19:                               ;   in Loop: Header=BB559_12 Depth=2
	s_wait_alu 0xfffe
	s_or_b32 exec_lo, exec_lo, s6
	s_and_saveexec_b32 s6, s3
	s_cbranch_execnz .LBB559_48
.LBB559_20:                             ;   in Loop: Header=BB559_12 Depth=2
	s_wait_alu 0xfffe
	s_or_b32 exec_lo, exec_lo, s6
	s_and_saveexec_b32 s6, s3
.LBB559_21:                             ;   in Loop: Header=BB559_12 Depth=2
	ds_store_b32 v26, v0
.LBB559_22:                             ;   in Loop: Header=BB559_12 Depth=2
	s_wait_alu 0xfffe
	s_or_b32 exec_lo, exec_lo, s6
	ds_bpermute_b32 v23, v29, v40
	s_wait_loadcnt_dscnt 0x0
	s_barrier_signal -1
	s_barrier_wait -1
	global_inv scope:SCOPE_SE
	v_add_f32_e32 v23, v40, v23
	ds_bpermute_b32 v40, v32, v23
	s_wait_dscnt 0x0
	v_add_f32_e32 v23, v23, v40
	ds_bpermute_b32 v40, v33, v23
	s_wait_dscnt 0x0
	v_add_f32_e32 v23, v23, v40
	ds_bpermute_b32 v40, v34, v23
	s_wait_dscnt 0x0
	v_add_f32_e32 v23, v23, v40
	ds_bpermute_b32 v40, v35, v23
	s_and_saveexec_b32 s6, s4
	s_cbranch_execz .LBB559_24
; %bb.23:                               ;   in Loop: Header=BB559_12 Depth=2
	s_wait_dscnt 0x0
	v_add_f32_e32 v23, v23, v40
	ds_store_b32 v27, v23
.LBB559_24:                             ;   in Loop: Header=BB559_12 Depth=2
	s_wait_alu 0xfffe
	s_or_b32 exec_lo, exec_lo, s6
	v_mov_b32_e32 v23, 0
	s_wait_loadcnt_dscnt 0x0
	s_barrier_signal -1
	s_barrier_wait -1
	global_inv scope:SCOPE_SE
	s_and_saveexec_b32 s6, s5
	s_cbranch_execnz .LBB559_49
; %bb.25:                               ;   in Loop: Header=BB559_12 Depth=2
	s_wait_alu 0xfffe
	s_or_b32 exec_lo, exec_lo, s6
	s_and_saveexec_b32 s6, s3
	s_cbranch_execnz .LBB559_50
.LBB559_26:                             ;   in Loop: Header=BB559_12 Depth=2
	s_wait_alu 0xfffe
	s_or_b32 exec_lo, exec_lo, s6
	s_and_saveexec_b32 s6, s3
.LBB559_27:                             ;   in Loop: Header=BB559_12 Depth=2
	ds_store_b32 v26, v0
.LBB559_28:                             ;   in Loop: Header=BB559_12 Depth=2
	s_wait_alu 0xfffe
	s_or_b32 exec_lo, exec_lo, s6
	ds_bpermute_b32 v40, v29, v39
	s_wait_loadcnt_dscnt 0x0
	s_barrier_signal -1
	s_barrier_wait -1
	global_inv scope:SCOPE_SE
	v_add_f32_e32 v39, v39, v40
	ds_bpermute_b32 v40, v32, v39
	s_wait_dscnt 0x0
	v_add_f32_e32 v39, v39, v40
	ds_bpermute_b32 v40, v33, v39
	s_wait_dscnt 0x0
	;; [unrolled: 3-line block ×3, first 2 shown]
	v_add_f32_e32 v39, v39, v40
	ds_bpermute_b32 v40, v35, v39
	s_and_saveexec_b32 s6, s4
	s_cbranch_execz .LBB559_30
; %bb.29:                               ;   in Loop: Header=BB559_12 Depth=2
	s_wait_dscnt 0x0
	v_add_f32_e32 v39, v39, v40
	ds_store_b32 v27, v39
.LBB559_30:                             ;   in Loop: Header=BB559_12 Depth=2
	s_wait_alu 0xfffe
	s_or_b32 exec_lo, exec_lo, s6
	v_mov_b32_e32 v39, 0
	s_wait_loadcnt_dscnt 0x0
	s_barrier_signal -1
	s_barrier_wait -1
	global_inv scope:SCOPE_SE
	s_and_saveexec_b32 s6, s5
	s_cbranch_execnz .LBB559_51
; %bb.31:                               ;   in Loop: Header=BB559_12 Depth=2
	s_wait_alu 0xfffe
	s_or_b32 exec_lo, exec_lo, s6
	s_and_saveexec_b32 s6, s3
	s_cbranch_execnz .LBB559_52
.LBB559_32:                             ;   in Loop: Header=BB559_12 Depth=2
	s_wait_alu 0xfffe
	s_or_b32 exec_lo, exec_lo, s6
	s_and_saveexec_b32 s6, s3
.LBB559_33:                             ;   in Loop: Header=BB559_12 Depth=2
	ds_store_b32 v26, v0
.LBB559_34:                             ;   in Loop: Header=BB559_12 Depth=2
	s_wait_alu 0xfffe
	s_or_b32 exec_lo, exec_lo, s6
	ds_bpermute_b32 v40, v29, v38
	s_wait_loadcnt_dscnt 0x0
	s_barrier_signal -1
	s_barrier_wait -1
	global_inv scope:SCOPE_SE
	v_add_f32_e32 v38, v38, v40
	ds_bpermute_b32 v40, v32, v38
	s_wait_dscnt 0x0
	v_add_f32_e32 v38, v38, v40
	ds_bpermute_b32 v40, v33, v38
	s_wait_dscnt 0x0
	;; [unrolled: 3-line block ×3, first 2 shown]
	v_add_f32_e32 v38, v38, v40
	ds_bpermute_b32 v40, v35, v38
	s_and_saveexec_b32 s6, s4
	s_cbranch_execz .LBB559_36
; %bb.35:                               ;   in Loop: Header=BB559_12 Depth=2
	s_wait_dscnt 0x0
	v_add_f32_e32 v38, v38, v40
	ds_store_b32 v27, v38
.LBB559_36:                             ;   in Loop: Header=BB559_12 Depth=2
	s_wait_alu 0xfffe
	s_or_b32 exec_lo, exec_lo, s6
	v_mov_b32_e32 v38, 0
	s_wait_loadcnt_dscnt 0x0
	s_barrier_signal -1
	s_barrier_wait -1
	global_inv scope:SCOPE_SE
	s_and_saveexec_b32 s6, s5
	s_cbranch_execnz .LBB559_53
; %bb.37:                               ;   in Loop: Header=BB559_12 Depth=2
	s_wait_alu 0xfffe
	s_or_b32 exec_lo, exec_lo, s6
	s_and_saveexec_b32 s6, s3
	s_cbranch_execnz .LBB559_54
.LBB559_38:                             ;   in Loop: Header=BB559_12 Depth=2
	s_wait_alu 0xfffe
	s_or_b32 exec_lo, exec_lo, s6
	s_and_saveexec_b32 s6, s0
	s_cbranch_execz .LBB559_11
	s_branch .LBB559_55
.LBB559_39:                             ;   in Loop: Header=BB559_12 Depth=2
	s_mul_i32 s66, s25, s30
	s_wait_alu 0xfffe
	s_ashr_i32 s67, s66, 31
	s_add_co_i32 s72, s66, s30
	s_wait_alu 0xfffe
	s_lshl_b64 s[66:67], s[66:67], 1
	s_ashr_i32 s73, s72, 31
	s_wait_alu 0xfffe
	v_add_co_u32 v1, vcc_lo, v30, s66
	s_wait_alu 0xfffd
	v_add_co_ci_u32_e64 v2, null, s67, v31, vcc_lo
	s_lshl_b64 s[66:67], s[72:73], 1
	s_wait_alu 0xfffe
	v_add_co_u32 v3, vcc_lo, v30, s66
	s_add_co_i32 s66, s72, s30
	s_wait_alu 0xfffd
	v_add_co_ci_u32_e64 v4, null, s67, v31, vcc_lo
	s_wait_alu 0xfffe
	s_ashr_i32 s67, s66, 31
	s_add_co_i32 s72, s66, s30
	s_wait_alu 0xfffe
	s_lshl_b64 s[66:67], s[66:67], 1
	s_wait_dscnt 0x0
	s_clause 0x1
	global_load_b64 v[22:23], v[1:2], off
	global_load_b64 v[38:39], v[3:4], off
	s_ashr_i32 s73, s72, 31
	s_wait_alu 0xfffe
	v_add_co_u32 v1, vcc_lo, v30, s66
	s_wait_alu 0xfffd
	v_add_co_ci_u32_e64 v2, null, s67, v31, vcc_lo
	s_lshl_b64 s[66:67], s[72:73], 1
	s_clause 0x2
	global_load_u16 v44, v[14:15], off
	global_load_u16 v45, v[16:17], off
	global_load_u16 v46, v[18:19], off
	s_wait_alu 0xfffe
	v_add_co_u32 v3, vcc_lo, v30, s66
	s_wait_alu 0xfffd
	v_add_co_ci_u32_e64 v4, null, s67, v31, vcc_lo
	s_clause 0x1
	global_load_b64 v[40:41], v[1:2], off
	global_load_b64 v[42:43], v[3:4], off
	global_load_u16 v4, v[20:21], off
	s_wait_loadcnt 0x6
	v_and_b32_e32 v49, 0xffff0000, v39
	s_wait_loadcnt 0x2
	v_and_b32_e32 v52, 0xffff0000, v41
	v_and_b32_e32 v50, 0xffff0000, v40
	s_wait_loadcnt 0x0
	v_lshlrev_b32_e32 v4, 16, v4
	v_lshlrev_b32_e32 v3, 16, v46
	;; [unrolled: 1-line block ×6, first 2 shown]
	v_and_b32_e32 v47, 0xffff0000, v38
	v_lshlrev_b32_e32 v1, 16, v44
	v_lshlrev_b32_e32 v38, 16, v40
	v_lshlrev_b32_e32 v53, 16, v42
	v_and_b32_e32 v42, 0xffff0000, v42
	s_delay_alu instid0(VALU_DEP_4) | instskip(NEXT) | instid1(VALU_DEP_1)
	v_fma_f32 v40, v1, v46, 0
	v_fmac_f32_e32 v40, v2, v47
	v_fma_f32 v39, v1, v38, 0
	v_fma_f32 v38, v53, v1, 0
	s_delay_alu instid0(VALU_DEP_2) | instskip(NEXT) | instid1(VALU_DEP_1)
	v_dual_fmac_f32 v40, v3, v48 :: v_dual_fmac_f32 v39, v2, v50
	v_dual_fmac_f32 v40, v4, v49 :: v_dual_fmac_f32 v39, v3, v51
	s_delay_alu instid0(VALU_DEP_3) | instskip(NEXT) | instid1(VALU_DEP_2)
	v_dual_fmac_f32 v38, v2, v42 :: v_dual_lshlrev_b32 v45, 16, v23
	v_dual_fmac_f32 v39, v4, v52 :: v_dual_lshlrev_b32 v44, 16, v22
	s_delay_alu instid0(VALU_DEP_1) | instskip(SKIP_3) | instid1(VALU_DEP_1)
	v_fma_f32 v41, v1, v44, 0
	v_and_b32_e32 v44, 0xffff0000, v43
	v_and_b32_e32 v23, 0xffff0000, v23
	;; [unrolled: 1-line block ×3, first 2 shown]
	v_dual_fmac_f32 v41, v2, v22 :: v_dual_lshlrev_b32 v22, 16, v43
	s_delay_alu instid0(VALU_DEP_1) | instskip(NEXT) | instid1(VALU_DEP_1)
	v_dual_fmac_f32 v41, v3, v45 :: v_dual_fmac_f32 v38, v22, v3
	v_fmac_f32_e32 v38, v4, v44
	s_delay_alu instid0(VALU_DEP_2)
	v_fmac_f32_e32 v41, v4, v23
	s_and_not1_saveexec_b32 s27, s6
	s_cbranch_execz .LBB559_14
.LBB559_40:                             ;   in Loop: Header=BB559_12 Depth=2
	s_wait_dscnt 0x0
	v_dual_mov_b32 v38, 0 :: v_dual_mov_b32 v39, 0
	v_dual_mov_b32 v40, 0 :: v_dual_mov_b32 v41, 0
	s_and_saveexec_b32 s34, s2
	s_cbranch_execz .LBB559_57
; %bb.41:                               ;   in Loop: Header=BB559_12 Depth=2
	s_and_not1_b32 vcc_lo, exec_lo, s20
	s_wait_alu 0xfffe
	s_cbranch_vccnz .LBB559_44
; %bb.42:                               ;   in Loop: Header=BB559_12 Depth=2
	v_mov_b32_e32 v22, v5
	s_mov_b64 s[66:67], 0
.LBB559_43:                             ;   Parent Loop BB559_3 Depth=1
                                        ;     Parent Loop BB559_12 Depth=2
                                        ; =>    This Inner Loop Header: Depth=3
	s_delay_alu instid0(VALU_DEP_1) | instskip(SKIP_2) | instid1(VALU_DEP_1)
	v_ashrrev_i32_e32 v23, 31, v22
	s_wait_alu 0xfffe
	s_cmp_eq_u32 s66, 3
	v_lshlrev_b64_e32 v[38:39], 1, v[22:23]
	s_delay_alu instid0(VALU_DEP_1) | instskip(SKIP_1) | instid1(VALU_DEP_2)
	v_add_co_u32 v38, vcc_lo, s54, v38
	s_wait_alu 0xfffd
	v_add_co_ci_u32_e64 v39, null, s55, v39, vcc_lo
	s_cselect_b32 vcc_lo, -1, 0
	s_cmp_eq_u32 s66, 2
	s_cselect_b32 s6, -1, 0
	global_load_u16 v23, v[38:39], off
	s_cmp_eq_u32 s66, 1
	s_cselect_b32 s7, -1, 0
	s_cmp_eq_u32 s66, 0
	s_add_nc_u64 s[66:67], s[66:67], 1
	s_wait_loadcnt 0x0
	v_lshlrev_b32_e32 v23, 16, v23
	s_wait_alu 0xfffe
	s_delay_alu instid0(VALU_DEP_1)
	v_cndmask_b32_e32 v4, v4, v23, vcc_lo
	s_cselect_b32 vcc_lo, -1, 0
	s_wait_alu 0xfffe
	v_dual_cndmask_b32 v1, v1, v23 :: v_dual_add_nc_u32 v22, s10, v22
	v_cndmask_b32_e64 v3, v3, v23, s6
	v_cndmask_b32_e64 v2, v2, v23, s7
	s_cmp_eq_u32 s69, s66
	s_cbranch_scc0 .LBB559_43
.LBB559_44:                             ;   in Loop: Header=BB559_12 Depth=2
	s_and_not1_b32 vcc_lo, exec_lo, s20
	s_wait_alu 0xfffe
	s_cbranch_vccnz .LBB559_56
; %bb.45:                               ;   in Loop: Header=BB559_12 Depth=2
	s_ashr_i32 s9, s8, 31
	v_dual_mov_b32 v41, 0 :: v_dual_mov_b32 v40, 0
	s_wait_alu 0xfffe
	s_lshl_b64 s[6:7], s[8:9], 1
	v_dual_mov_b32 v39, 0 :: v_dual_mov_b32 v38, 0
	s_wait_alu 0xfffe
	v_add_co_u32 v22, vcc_lo, v36, s6
	s_wait_alu 0xfffd
	v_add_co_ci_u32_e64 v23, null, s7, v37, vcc_lo
	s_mov_b64 s[66:67], 0
.LBB559_46:                             ;   Parent Loop BB559_3 Depth=1
                                        ;     Parent Loop BB559_12 Depth=2
                                        ; =>    This Inner Loop Header: Depth=3
	s_wait_alu 0xfffe
	s_cmp_eq_u32 s66, 1
	s_cselect_b32 vcc_lo, -1, 0
	s_cmp_eq_u32 s66, 2
	s_wait_alu 0xfffe
	v_cndmask_b32_e32 v42, v1, v2, vcc_lo
	s_cselect_b32 vcc_lo, -1, 0
	s_cmp_eq_u32 s66, 3
	s_wait_alu 0xfffe
	s_delay_alu instid0(VALU_DEP_1)
	v_cndmask_b32_e32 v48, v42, v3, vcc_lo
	s_cselect_b32 vcc_lo, -1, 0
	s_add_co_i32 s6, s64, s66
	s_add_co_i32 s72, s62, s66
	s_wait_alu 0xfffe
	s_ashr_i32 s7, s6, 31
	s_add_co_i32 s74, s60, s66
	s_ashr_i32 s73, s72, 31
	s_wait_alu 0xfffe
	s_lshl_b64 s[6:7], s[6:7], 1
	s_ashr_i32 s75, s74, 31
	s_lshl_b64 s[72:73], s[72:73], 1
	s_wait_alu 0xfffe
	v_add_co_u32 v42, s6, v30, s6
	s_lshl_b64 s[74:75], s[74:75], 1
	v_add_co_ci_u32_e64 v43, null, s7, v31, s6
	v_add_co_u32 v44, s6, v30, s72
	s_wait_alu 0xf1ff
	v_add_co_ci_u32_e64 v45, null, s73, v31, s6
	s_wait_alu 0xfffe
	v_add_co_u32 v46, s6, v30, s74
	s_wait_alu 0xf1ff
	v_add_co_ci_u32_e64 v47, null, s75, v31, s6
	global_load_u16 v49, v[22:23], off
	s_clause 0x2
	global_load_u16 v42, v[42:43], off
	global_load_u16 v43, v[44:45], off
	;; [unrolled: 1-line block ×3, first 2 shown]
	v_cndmask_b32_e32 v45, v48, v4, vcc_lo
	v_add_co_u32 v22, s6, v22, 2
	s_wait_alu 0xf1ff
	v_add_co_ci_u32_e64 v23, null, 0, v23, s6
	s_add_nc_u64 s[66:67], s[66:67], 1
	s_wait_alu 0xfffe
	s_cmp_lg_u32 s69, s66
	s_wait_loadcnt 0x2
	v_lshlrev_b32_e32 v42, 16, v42
	s_wait_loadcnt 0x1
	v_lshlrev_b32_e32 v43, 16, v43
	;; [unrolled: 2-line block ×3, first 2 shown]
	v_fmac_f32_e32 v40, v45, v42
	s_delay_alu instid0(VALU_DEP_3) | instskip(NEXT) | instid1(VALU_DEP_3)
	v_dual_fmac_f32 v39, v45, v43 :: v_dual_lshlrev_b32 v46, 16, v49
	v_fmac_f32_e32 v38, v45, v44
	s_delay_alu instid0(VALU_DEP_2)
	v_fmac_f32_e32 v41, v45, v46
	s_cbranch_scc1 .LBB559_46
	s_branch .LBB559_57
.LBB559_47:                             ;   in Loop: Header=BB559_12 Depth=2
	ds_load_b32 v22, v26
	s_wait_alu 0xfffe
	s_or_b32 exec_lo, exec_lo, s6
	s_and_saveexec_b32 s6, s3
	s_cbranch_execz .LBB559_20
.LBB559_48:                             ;   in Loop: Header=BB559_12 Depth=2
	s_wait_dscnt 0x0
	ds_bpermute_b32 v23, v33, v22
	s_wait_dscnt 0x0
	v_add_f32_e32 v22, v22, v23
	ds_bpermute_b32 v23, v34, v22
	s_wait_dscnt 0x0
	v_add_f32_e32 v22, v22, v23
	;; [unrolled: 3-line block ×3, first 2 shown]
	s_wait_alu 0xfffe
	s_or_b32 exec_lo, exec_lo, s6
	s_and_saveexec_b32 s6, s3
	s_cbranch_execnz .LBB559_21
	s_branch .LBB559_22
.LBB559_49:                             ;   in Loop: Header=BB559_12 Depth=2
	ds_load_b32 v23, v26
	s_wait_alu 0xfffe
	s_or_b32 exec_lo, exec_lo, s6
	s_and_saveexec_b32 s6, s3
	s_cbranch_execz .LBB559_26
.LBB559_50:                             ;   in Loop: Header=BB559_12 Depth=2
	s_wait_dscnt 0x0
	ds_bpermute_b32 v40, v33, v23
	s_wait_dscnt 0x0
	v_add_f32_e32 v23, v23, v40
	ds_bpermute_b32 v40, v34, v23
	s_wait_dscnt 0x0
	v_add_f32_e32 v23, v23, v40
	;; [unrolled: 3-line block ×3, first 2 shown]
	s_wait_alu 0xfffe
	s_or_b32 exec_lo, exec_lo, s6
	s_and_saveexec_b32 s6, s3
	s_cbranch_execnz .LBB559_27
	s_branch .LBB559_28
.LBB559_51:                             ;   in Loop: Header=BB559_12 Depth=2
	ds_load_b32 v39, v26
	s_wait_alu 0xfffe
	s_or_b32 exec_lo, exec_lo, s6
	s_and_saveexec_b32 s6, s3
	s_cbranch_execz .LBB559_32
.LBB559_52:                             ;   in Loop: Header=BB559_12 Depth=2
	s_wait_dscnt 0x0
	ds_bpermute_b32 v40, v33, v39
	s_wait_dscnt 0x0
	v_add_f32_e32 v39, v39, v40
	ds_bpermute_b32 v40, v34, v39
	s_wait_dscnt 0x0
	v_add_f32_e32 v39, v39, v40
	;; [unrolled: 3-line block ×3, first 2 shown]
	s_wait_alu 0xfffe
	s_or_b32 exec_lo, exec_lo, s6
	s_and_saveexec_b32 s6, s3
	s_cbranch_execnz .LBB559_33
	s_branch .LBB559_34
.LBB559_53:                             ;   in Loop: Header=BB559_12 Depth=2
	ds_load_b32 v38, v26
	s_wait_alu 0xfffe
	s_or_b32 exec_lo, exec_lo, s6
	s_and_saveexec_b32 s6, s3
	s_cbranch_execz .LBB559_38
.LBB559_54:                             ;   in Loop: Header=BB559_12 Depth=2
	s_wait_dscnt 0x0
	ds_bpermute_b32 v40, v33, v38
	s_wait_dscnt 0x0
	v_add_f32_e32 v38, v38, v40
	ds_bpermute_b32 v40, v34, v38
	s_wait_dscnt 0x0
	v_add_f32_e32 v38, v38, v40
	;; [unrolled: 3-line block ×3, first 2 shown]
	s_wait_alu 0xfffe
	s_or_b32 exec_lo, exec_lo, s6
	s_and_saveexec_b32 s6, s0
	s_cbranch_execz .LBB559_11
.LBB559_55:                             ;   in Loop: Header=BB559_12 Depth=2
	s_mul_i32 s7, s25, s28
	v_dual_mul_f32 v22, s22, v22 :: v_dual_mul_f32 v23, s22, v23
	s_wait_alu 0xfffe
	s_add_co_i32 s34, s7, s26
	s_wait_alu 0xfffe
	s_lshl_b64 s[66:67], s[34:35], 2
	s_add_co_i32 s34, s34, s28
	s_wait_alu 0xfffe
	s_add_nc_u64 s[66:67], s[58:59], s[66:67]
	s_lshl_b64 s[72:73], s[34:35], 2
	s_add_co_i32 s34, s34, s28
	s_wait_alu 0xfffe
	s_add_nc_u64 s[72:73], s[58:59], s[72:73]
	s_clause 0x1
	global_store_b32 v0, v22, s[66:67]
	global_store_b32 v0, v23, s[72:73]
	s_wait_dscnt 0x0
	v_dual_mul_f32 v22, s22, v39 :: v_dual_mul_f32 v23, s22, v38
	s_lshl_b64 s[66:67], s[34:35], 2
	s_add_co_i32 s34, s34, s28
	s_wait_alu 0xfffe
	s_add_nc_u64 s[66:67], s[58:59], s[66:67]
	s_lshl_b64 s[72:73], s[34:35], 2
	s_wait_alu 0xfffe
	s_add_nc_u64 s[72:73], s[58:59], s[72:73]
	s_clause 0x1
	global_store_b32 v0, v22, s[66:67]
	global_store_b32 v0, v23, s[72:73]
	s_branch .LBB559_11
.LBB559_56:                             ;   in Loop: Header=BB559_12 Depth=2
	v_dual_mov_b32 v38, 0 :: v_dual_mov_b32 v39, 0
	v_dual_mov_b32 v40, 0 :: v_dual_mov_b32 v41, 0
.LBB559_57:                             ;   in Loop: Header=BB559_12 Depth=2
	s_wait_alu 0xfffe
	s_or_b32 exec_lo, exec_lo, s34
	s_delay_alu instid0(SALU_CYCLE_1)
	s_or_b32 exec_lo, exec_lo, s27
	s_and_saveexec_b32 s6, s3
	s_cbranch_execnz .LBB559_15
	s_branch .LBB559_16
.LBB559_58:                             ;   in Loop: Header=BB559_3 Depth=1
	v_mov_b32_e32 v3, v0
	v_dual_mov_b32 v1, v0 :: v_dual_mov_b32 v2, v0
	s_mov_b32 s25, 0
	s_delay_alu instid0(VALU_DEP_2) | instskip(NEXT) | instid1(VALU_DEP_2)
	v_mov_b32_e32 v4, v3
	v_mov_b32_e32 v3, v2
	s_delay_alu instid0(VALU_DEP_3)
	v_mov_b32_e32 v2, v1
	v_mov_b32_e32 v1, v0
.LBB559_59:                             ;   in Loop: Header=BB559_3 Depth=1
	s_cmp_ge_i32 s25, s21
	s_cbranch_scc1 .LBB559_2
; %bb.60:                               ;   in Loop: Header=BB559_3 Depth=1
	v_cmp_gt_u32_e32 vcc_lo, 24, v28
	s_wait_alu 0xfffe
	s_add_nc_u64 s[8:9], s[58:59], s[38:39]
	s_mov_b32 s34, s25
	s_wait_alu 0xfffd
	v_cndmask_b32_e64 v14, 0, 8, vcc_lo
	v_cmp_gt_u32_e32 vcc_lo, 28, v28
	s_delay_alu instid0(VALU_DEP_2) | instskip(SKIP_3) | instid1(VALU_DEP_2)
	v_add_lshl_u32 v32, v14, v28, 2
	s_wait_alu 0xfffd
	v_cndmask_b32_e64 v15, 0, 4, vcc_lo
	v_cmp_gt_u32_e32 vcc_lo, 30, v28
	v_add_lshl_u32 v33, v15, v28, 2
	s_wait_alu 0xfffd
	v_cndmask_b32_e64 v16, 0, 2, vcc_lo
	v_cmp_ne_u32_e32 vcc_lo, 31, v28
	s_delay_alu instid0(VALU_DEP_2)
	v_add_lshl_u32 v34, v16, v28, 2
	s_wait_alu 0xfffd
	v_add_co_ci_u32_e64 v17, null, 0, v28, vcc_lo
	v_add_co_u32 v14, vcc_lo, s54, v6
	s_wait_alu 0xfffd
	v_add_co_ci_u32_e64 v15, null, s55, v7, vcc_lo
	v_add_co_u32 v16, vcc_lo, s54, v8
	v_lshlrev_b32_e32 v35, 2, v17
	s_wait_alu 0xfffd
	v_add_co_ci_u32_e64 v17, null, s55, v9, vcc_lo
	v_add_co_u32 v18, vcc_lo, s54, v10
	s_wait_alu 0xfffd
	v_add_co_ci_u32_e64 v19, null, s55, v11, vcc_lo
	v_add_co_u32 v20, vcc_lo, s54, v12
	;; [unrolled: 3-line block ×3, first 2 shown]
	s_wait_alu 0xfffd
	v_add_co_ci_u32_e64 v37, null, s57, v25, vcc_lo
	s_mul_i32 s56, s30, s25
	s_branch .LBB559_62
.LBB559_61:                             ;   in Loop: Header=BB559_62 Depth=2
	s_wait_alu 0xfffe
	s_or_b32 exec_lo, exec_lo, s6
	s_add_co_i32 s34, s34, 1
	s_add_co_i32 s56, s56, s30
	s_wait_alu 0xfffe
	s_cmp_ge_i32 s34, s21
	s_cbranch_scc1 .LBB559_2
.LBB559_62:                             ;   Parent Loop BB559_3 Depth=1
                                        ; =>  This Loop Header: Depth=2
                                        ;       Child Loop BB559_75 Depth 3
                                        ;       Child Loop BB559_78 Depth 3
	s_wait_dscnt 0x0
	v_mov_b32_e32 v38, s35
	s_and_saveexec_b32 s6, s1
	s_wait_alu 0xfffe
	s_xor_b32 s6, exec_lo, s6
	s_cbranch_execnz .LBB559_71
; %bb.63:                               ;   in Loop: Header=BB559_62 Depth=2
	s_wait_alu 0xfffe
	s_and_not1_saveexec_b32 s25, s6
	s_cbranch_execnz .LBB559_72
.LBB559_64:                             ;   in Loop: Header=BB559_62 Depth=2
	s_or_b32 exec_lo, exec_lo, s25
	s_and_saveexec_b32 s6, s3
.LBB559_65:                             ;   in Loop: Header=BB559_62 Depth=2
	ds_store_b32 v26, v0
.LBB559_66:                             ;   in Loop: Header=BB559_62 Depth=2
	s_wait_alu 0xfffe
	s_or_b32 exec_lo, exec_lo, s6
	ds_bpermute_b32 v22, v29, v38
	s_wait_storecnt 0x0
	s_wait_loadcnt_dscnt 0x0
	s_barrier_signal -1
	s_barrier_wait -1
	global_inv scope:SCOPE_SE
	v_add_f32_e32 v22, v38, v22
	ds_bpermute_b32 v23, v32, v22
	s_wait_dscnt 0x0
	v_add_f32_e32 v22, v22, v23
	ds_bpermute_b32 v23, v33, v22
	s_wait_dscnt 0x0
	;; [unrolled: 3-line block ×3, first 2 shown]
	v_add_f32_e32 v22, v22, v23
	ds_bpermute_b32 v23, v35, v22
	s_and_saveexec_b32 s6, s4
	s_cbranch_execz .LBB559_68
; %bb.67:                               ;   in Loop: Header=BB559_62 Depth=2
	s_wait_dscnt 0x0
	v_add_f32_e32 v22, v22, v23
	ds_store_b32 v27, v22
.LBB559_68:                             ;   in Loop: Header=BB559_62 Depth=2
	s_wait_alu 0xfffe
	s_or_b32 exec_lo, exec_lo, s6
	v_mov_b32_e32 v22, 0
	s_wait_loadcnt_dscnt 0x0
	s_barrier_signal -1
	s_barrier_wait -1
	global_inv scope:SCOPE_SE
	s_and_saveexec_b32 s6, s5
	s_cbranch_execnz .LBB559_80
; %bb.69:                               ;   in Loop: Header=BB559_62 Depth=2
	s_wait_alu 0xfffe
	s_or_b32 exec_lo, exec_lo, s6
	s_and_saveexec_b32 s6, s3
	s_cbranch_execnz .LBB559_81
.LBB559_70:                             ;   in Loop: Header=BB559_62 Depth=2
	s_wait_alu 0xfffe
	s_or_b32 exec_lo, exec_lo, s6
	s_and_saveexec_b32 s6, s0
	s_cbranch_execz .LBB559_61
	s_branch .LBB559_82
.LBB559_71:                             ;   in Loop: Header=BB559_62 Depth=2
	s_mul_i32 s58, s34, s30
	s_wait_alu 0xfffe
	s_ashr_i32 s59, s58, 31
	s_wait_alu 0xfffe
	s_lshl_b64 s[58:59], s[58:59], 1
	s_wait_alu 0xfffe
	v_add_co_u32 v1, vcc_lo, v30, s58
	s_wait_alu 0xfffd
	v_add_co_ci_u32_e64 v2, null, s59, v31, vcc_lo
	global_load_u16 v3, v[14:15], off
	global_load_b64 v[22:23], v[1:2], off
	s_clause 0x2
	global_load_u16 v2, v[16:17], off
	global_load_u16 v4, v[18:19], off
	;; [unrolled: 1-line block ×3, first 2 shown]
	s_wait_loadcnt 0x2
	v_lshlrev_b32_e32 v2, 16, v2
	v_lshlrev_b32_e32 v1, 16, v3
	;; [unrolled: 1-line block ×3, first 2 shown]
	v_and_b32_e32 v22, 0xffff0000, v22
	s_delay_alu instid0(VALU_DEP_2)
	v_fma_f32 v38, v1, v3, 0
	s_wait_loadcnt 0x1
	v_lshlrev_b32_e32 v3, 16, v4
	s_wait_loadcnt 0x0
	v_lshlrev_b32_e32 v4, 16, v39
	v_fmac_f32_e32 v38, v2, v22
	v_lshlrev_b32_e32 v22, 16, v23
	s_delay_alu instid0(VALU_DEP_1) | instskip(NEXT) | instid1(VALU_DEP_1)
	v_dual_fmac_f32 v38, v3, v22 :: v_dual_and_b32 v23, 0xffff0000, v23
	v_fmac_f32_e32 v38, v4, v23
	s_and_not1_saveexec_b32 s25, s6
	s_cbranch_execz .LBB559_64
.LBB559_72:                             ;   in Loop: Header=BB559_62 Depth=2
	s_and_saveexec_b32 s27, s2
	s_cbranch_execz .LBB559_79
; %bb.73:                               ;   in Loop: Header=BB559_62 Depth=2
	s_and_not1_b32 vcc_lo, exec_lo, s20
	s_wait_alu 0xfffe
	s_cbranch_vccnz .LBB559_76
; %bb.74:                               ;   in Loop: Header=BB559_62 Depth=2
	v_mov_b32_e32 v22, v5
	s_mov_b64 s[58:59], 0
.LBB559_75:                             ;   Parent Loop BB559_3 Depth=1
                                        ;     Parent Loop BB559_62 Depth=2
                                        ; =>    This Inner Loop Header: Depth=3
	s_delay_alu instid0(VALU_DEP_1) | instskip(SKIP_2) | instid1(VALU_DEP_1)
	v_ashrrev_i32_e32 v23, 31, v22
	s_wait_alu 0xfffe
	s_cmp_eq_u32 s58, 3
	v_lshlrev_b64_e32 v[39:40], 1, v[22:23]
	s_delay_alu instid0(VALU_DEP_1) | instskip(SKIP_1) | instid1(VALU_DEP_2)
	v_add_co_u32 v39, vcc_lo, s54, v39
	s_wait_alu 0xfffd
	v_add_co_ci_u32_e64 v40, null, s55, v40, vcc_lo
	s_cselect_b32 vcc_lo, -1, 0
	s_cmp_eq_u32 s58, 2
	s_cselect_b32 s6, -1, 0
	global_load_u16 v23, v[39:40], off
	s_cmp_eq_u32 s58, 1
	s_cselect_b32 s7, -1, 0
	s_cmp_eq_u32 s58, 0
	s_add_nc_u64 s[58:59], s[58:59], 1
	s_wait_loadcnt 0x0
	v_lshlrev_b32_e32 v23, 16, v23
	s_wait_alu 0xfffe
	s_delay_alu instid0(VALU_DEP_1)
	v_cndmask_b32_e32 v4, v4, v23, vcc_lo
	s_cselect_b32 vcc_lo, -1, 0
	s_wait_alu 0xfffe
	v_dual_cndmask_b32 v1, v1, v23 :: v_dual_add_nc_u32 v22, s10, v22
	v_cndmask_b32_e64 v3, v3, v23, s6
	v_cndmask_b32_e64 v2, v2, v23, s7
	s_cmp_eq_u32 s69, s58
	s_cbranch_scc0 .LBB559_75
.LBB559_76:                             ;   in Loop: Header=BB559_62 Depth=2
	s_and_not1_b32 vcc_lo, exec_lo, s20
	s_wait_alu 0xfffe
	s_cbranch_vccnz .LBB559_79
; %bb.77:                               ;   in Loop: Header=BB559_62 Depth=2
	s_ashr_i32 s57, s56, 31
	s_wait_alu 0xfffe
	s_lshl_b64 s[6:7], s[56:57], 1
	s_wait_alu 0xfffe
	v_add_co_u32 v22, vcc_lo, v36, s6
	s_wait_alu 0xfffd
	v_add_co_ci_u32_e64 v23, null, s7, v37, vcc_lo
	s_mov_b64 s[6:7], 0
.LBB559_78:                             ;   Parent Loop BB559_3 Depth=1
                                        ;     Parent Loop BB559_62 Depth=2
                                        ; =>    This Inner Loop Header: Depth=3
	global_load_u16 v39, v[22:23], off
	s_wait_alu 0xfffe
	s_cmp_eq_u32 s6, 1
	s_cselect_b32 vcc_lo, -1, 0
	s_cmp_eq_u32 s6, 2
	s_wait_alu 0xfffe
	v_cndmask_b32_e32 v40, v1, v2, vcc_lo
	s_cselect_b32 vcc_lo, -1, 0
	s_cmp_eq_u32 s6, 3
	s_add_nc_u64 s[6:7], s[6:7], 1
	s_wait_loadcnt 0x0
	v_lshlrev_b32_e32 v39, 16, v39
	s_wait_alu 0xfffe
	v_cndmask_b32_e32 v40, v40, v3, vcc_lo
	s_cselect_b32 vcc_lo, -1, 0
	s_cmp_lg_u32 s69, s6
	s_wait_alu 0xfffe
	s_delay_alu instid0(VALU_DEP_1) | instskip(SKIP_3) | instid1(VALU_DEP_3)
	v_cndmask_b32_e32 v40, v40, v4, vcc_lo
	v_add_co_u32 v22, vcc_lo, v22, 2
	s_wait_alu 0xfffd
	v_add_co_ci_u32_e64 v23, null, 0, v23, vcc_lo
	v_fmac_f32_e32 v38, v40, v39
	s_cbranch_scc1 .LBB559_78
.LBB559_79:                             ;   in Loop: Header=BB559_62 Depth=2
	s_or_b32 exec_lo, exec_lo, s27
	s_delay_alu instid0(SALU_CYCLE_1)
	s_or_b32 exec_lo, exec_lo, s25
	s_and_saveexec_b32 s6, s3
	s_cbranch_execnz .LBB559_65
	s_branch .LBB559_66
.LBB559_80:                             ;   in Loop: Header=BB559_62 Depth=2
	ds_load_b32 v22, v26
	s_wait_alu 0xfffe
	s_or_b32 exec_lo, exec_lo, s6
	s_and_saveexec_b32 s6, s3
	s_cbranch_execz .LBB559_70
.LBB559_81:                             ;   in Loop: Header=BB559_62 Depth=2
	s_wait_dscnt 0x0
	ds_bpermute_b32 v23, v33, v22
	s_wait_dscnt 0x0
	v_add_f32_e32 v22, v22, v23
	ds_bpermute_b32 v23, v34, v22
	s_wait_dscnt 0x0
	v_add_f32_e32 v22, v22, v23
	;; [unrolled: 3-line block ×3, first 2 shown]
	s_wait_alu 0xfffe
	s_or_b32 exec_lo, exec_lo, s6
	s_and_saveexec_b32 s6, s0
	s_cbranch_execz .LBB559_61
.LBB559_82:                             ;   in Loop: Header=BB559_62 Depth=2
	s_mul_u64 s[58:59], s[34:35], s[28:29]
	s_wait_dscnt 0x0
	v_mul_f32_e32 v22, s22, v22
	s_wait_alu 0xfffe
	s_lshl_b64 s[58:59], s[58:59], 2
	s_wait_alu 0xfffe
	s_add_nc_u64 s[58:59], s[8:9], s[58:59]
	global_store_b32 v0, v22, s[58:59]
	s_branch .LBB559_61
.LBB559_83:
	s_endpgm
	.section	.rodata,"a",@progbits
	.p2align	6, 0x0
	.amdhsa_kernel _ZL23rocblas_gemvt_sn_kernelILb0ELi256ELi4Ei16rocblas_bfloat16ffEviiT4_lPKT3_lilS4_lilPT5_i
		.amdhsa_group_segment_fixed_size 128
		.amdhsa_private_segment_fixed_size 0
		.amdhsa_kernarg_size 360
		.amdhsa_user_sgpr_count 2
		.amdhsa_user_sgpr_dispatch_ptr 0
		.amdhsa_user_sgpr_queue_ptr 0
		.amdhsa_user_sgpr_kernarg_segment_ptr 1
		.amdhsa_user_sgpr_dispatch_id 0
		.amdhsa_user_sgpr_private_segment_size 0
		.amdhsa_wavefront_size32 1
		.amdhsa_uses_dynamic_stack 0
		.amdhsa_enable_private_segment 0
		.amdhsa_system_sgpr_workgroup_id_x 1
		.amdhsa_system_sgpr_workgroup_id_y 0
		.amdhsa_system_sgpr_workgroup_id_z 1
		.amdhsa_system_sgpr_workgroup_info 0
		.amdhsa_system_vgpr_workitem_id 0
		.amdhsa_next_free_vgpr 54
		.amdhsa_next_free_sgpr 76
		.amdhsa_reserve_vcc 1
		.amdhsa_float_round_mode_32 0
		.amdhsa_float_round_mode_16_64 0
		.amdhsa_float_denorm_mode_32 3
		.amdhsa_float_denorm_mode_16_64 3
		.amdhsa_fp16_overflow 0
		.amdhsa_workgroup_processor_mode 1
		.amdhsa_memory_ordered 1
		.amdhsa_forward_progress 1
		.amdhsa_inst_pref_size 37
		.amdhsa_round_robin_scheduling 0
		.amdhsa_exception_fp_ieee_invalid_op 0
		.amdhsa_exception_fp_denorm_src 0
		.amdhsa_exception_fp_ieee_div_zero 0
		.amdhsa_exception_fp_ieee_overflow 0
		.amdhsa_exception_fp_ieee_underflow 0
		.amdhsa_exception_fp_ieee_inexact 0
		.amdhsa_exception_int_div_zero 0
	.end_amdhsa_kernel
	.section	.text._ZL23rocblas_gemvt_sn_kernelILb0ELi256ELi4Ei16rocblas_bfloat16ffEviiT4_lPKT3_lilS4_lilPT5_i,"axG",@progbits,_ZL23rocblas_gemvt_sn_kernelILb0ELi256ELi4Ei16rocblas_bfloat16ffEviiT4_lPKT3_lilS4_lilPT5_i,comdat
.Lfunc_end559:
	.size	_ZL23rocblas_gemvt_sn_kernelILb0ELi256ELi4Ei16rocblas_bfloat16ffEviiT4_lPKT3_lilS4_lilPT5_i, .Lfunc_end559-_ZL23rocblas_gemvt_sn_kernelILb0ELi256ELi4Ei16rocblas_bfloat16ffEviiT4_lPKT3_lilS4_lilPT5_i
                                        ; -- End function
	.set _ZL23rocblas_gemvt_sn_kernelILb0ELi256ELi4Ei16rocblas_bfloat16ffEviiT4_lPKT3_lilS4_lilPT5_i.num_vgpr, 54
	.set _ZL23rocblas_gemvt_sn_kernelILb0ELi256ELi4Ei16rocblas_bfloat16ffEviiT4_lPKT3_lilS4_lilPT5_i.num_agpr, 0
	.set _ZL23rocblas_gemvt_sn_kernelILb0ELi256ELi4Ei16rocblas_bfloat16ffEviiT4_lPKT3_lilS4_lilPT5_i.numbered_sgpr, 76
	.set _ZL23rocblas_gemvt_sn_kernelILb0ELi256ELi4Ei16rocblas_bfloat16ffEviiT4_lPKT3_lilS4_lilPT5_i.num_named_barrier, 0
	.set _ZL23rocblas_gemvt_sn_kernelILb0ELi256ELi4Ei16rocblas_bfloat16ffEviiT4_lPKT3_lilS4_lilPT5_i.private_seg_size, 0
	.set _ZL23rocblas_gemvt_sn_kernelILb0ELi256ELi4Ei16rocblas_bfloat16ffEviiT4_lPKT3_lilS4_lilPT5_i.uses_vcc, 1
	.set _ZL23rocblas_gemvt_sn_kernelILb0ELi256ELi4Ei16rocblas_bfloat16ffEviiT4_lPKT3_lilS4_lilPT5_i.uses_flat_scratch, 0
	.set _ZL23rocblas_gemvt_sn_kernelILb0ELi256ELi4Ei16rocblas_bfloat16ffEviiT4_lPKT3_lilS4_lilPT5_i.has_dyn_sized_stack, 0
	.set _ZL23rocblas_gemvt_sn_kernelILb0ELi256ELi4Ei16rocblas_bfloat16ffEviiT4_lPKT3_lilS4_lilPT5_i.has_recursion, 0
	.set _ZL23rocblas_gemvt_sn_kernelILb0ELi256ELi4Ei16rocblas_bfloat16ffEviiT4_lPKT3_lilS4_lilPT5_i.has_indirect_call, 0
	.section	.AMDGPU.csdata,"",@progbits
; Kernel info:
; codeLenInByte = 4688
; TotalNumSgprs: 78
; NumVgprs: 54
; ScratchSize: 0
; MemoryBound: 0
; FloatMode: 240
; IeeeMode: 1
; LDSByteSize: 128 bytes/workgroup (compile time only)
; SGPRBlocks: 0
; VGPRBlocks: 6
; NumSGPRsForWavesPerEU: 78
; NumVGPRsForWavesPerEU: 54
; Occupancy: 16
; WaveLimiterHint : 0
; COMPUTE_PGM_RSRC2:SCRATCH_EN: 0
; COMPUTE_PGM_RSRC2:USER_SGPR: 2
; COMPUTE_PGM_RSRC2:TRAP_HANDLER: 0
; COMPUTE_PGM_RSRC2:TGID_X_EN: 1
; COMPUTE_PGM_RSRC2:TGID_Y_EN: 0
; COMPUTE_PGM_RSRC2:TGID_Z_EN: 1
; COMPUTE_PGM_RSRC2:TIDIG_COMP_CNT: 0
	.section	.text._ZL23rocblas_gemvt_sn_kernelILb0ELi256ELi4El16rocblas_bfloat16ffEviiT4_lPKT3_lilS4_lilPT5_i,"axG",@progbits,_ZL23rocblas_gemvt_sn_kernelILb0ELi256ELi4El16rocblas_bfloat16ffEviiT4_lPKT3_lilS4_lilPT5_i,comdat
	.globl	_ZL23rocblas_gemvt_sn_kernelILb0ELi256ELi4El16rocblas_bfloat16ffEviiT4_lPKT3_lilS4_lilPT5_i ; -- Begin function _ZL23rocblas_gemvt_sn_kernelILb0ELi256ELi4El16rocblas_bfloat16ffEviiT4_lPKT3_lilS4_lilPT5_i
	.p2align	8
	.type	_ZL23rocblas_gemvt_sn_kernelILb0ELi256ELi4El16rocblas_bfloat16ffEviiT4_lPKT3_lilS4_lilPT5_i,@function
_ZL23rocblas_gemvt_sn_kernelILb0ELi256ELi4El16rocblas_bfloat16ffEviiT4_lPKT3_lilS4_lilPT5_i: ; @_ZL23rocblas_gemvt_sn_kernelILb0ELi256ELi4El16rocblas_bfloat16ffEviiT4_lPKT3_lilS4_lilPT5_i
; %bb.0:
	s_load_b32 s23, s[0:1], 0x60
	s_lshr_b32 s10, ttmp7, 16
	s_wait_kmcnt 0x0
	s_cmp_ge_u32 s10, s23
	s_cbranch_scc1 .LBB560_83
; %bb.1:
	s_clause 0x6
	s_load_b32 s26, s[0:1], 0x28
	s_load_b96 s[4:6], s[0:1], 0x40
	s_load_b128 s[36:39], s[0:1], 0x18
	s_load_b96 s[20:22], s[0:1], 0x0
	s_load_b128 s[12:15], s[0:1], 0x30
	s_load_b32 s28, s[0:1], 0x68
	s_load_b128 s[16:19], s[0:1], 0x50
	v_cmp_eq_u32_e64 s0, 0, v0
	v_mbcnt_lo_u32_b32 v33, -1, 0
	s_mov_b32 s25, 0
	s_mov_b32 s24, ttmp9
	s_mov_b32 s29, s25
	s_delay_alu instid0(VALU_DEP_1)
	v_lshl_or_b32 v34, v33, 2, 64
	s_wait_kmcnt 0x0
	s_ashr_i32 s27, s26, 31
	s_ashr_i32 s9, s6, 31
	s_lshl_b64 s[2:3], s[4:5], 1
	s_lshl_b64 s[4:5], s[38:39], 1
	s_ashr_i32 s35, s21, 31
	s_cmp_eq_f32 s22, 0
	s_add_nc_u64 s[14:15], s[14:15], s[2:3]
	s_add_nc_u64 s[2:3], s[36:37], s[4:5]
	s_mov_b32 s34, s21
	s_cselect_b32 s33, -1, 0
	s_cmp_gt_i32 s21, 0
	s_mov_b32 s8, s6
	s_cselect_b32 s1, -1, 0
	s_lshl_b32 s4, ttmp9, 10
	s_lshr_b32 s5, s35, 30
	v_lshl_or_b32 v1, v0, 2, s4
	s_ashr_i32 s4, s20, 31
	s_and_b32 s62, s0, s1
	s_wait_alu 0xfffe
	s_lshr_b32 s4, s4, 30
	s_add_co_i32 s1, s21, s5
	v_ashrrev_i32_e32 v2, 31, v1
	s_wait_alu 0xfffe
	s_add_co_i32 s4, s20, s4
	v_add_nc_u32_e32 v4, 4, v1
	v_cmp_gt_u32_e64 s5, 8, v0
	s_and_b32 s63, s1, -4
	v_lshlrev_b64_e32 v[2:3], 1, v[1:2]
	s_wait_alu 0xfffe
	s_and_b32 s1, s4, -4
	s_mul_u64 s[30:31], s[34:35], s[28:29]
	s_sub_co_i32 s64, s20, s1
	v_cmp_ge_i32_e64 s1, s20, v4
	v_add_nc_u32_e32 v5, s64, v1
	v_add_co_u32 v29, vcc_lo, s2, v2
	s_delay_alu instid0(VALU_DEP_1)
	v_add_co_ci_u32_e64 v30, null, s3, v3, vcc_lo
	v_and_b32_e32 v2, 31, v0
	v_lshrrev_b32_e32 v3, 3, v0
	v_cmp_gt_u32_e64 s3, 32, v0
	v_or_b32_e32 v0, 1, v1
	v_or_b32_e32 v4, 2, v1
	v_cmp_eq_u32_e64 s4, 0, v2
	v_lshlrev_b32_e32 v31, 2, v2
	v_and_b32_e32 v32, 28, v3
	v_mad_co_i64_i32 v[2:3], null, s6, v1, 0
	v_mad_co_i64_i32 v[9:10], null, s6, v0, 0
	v_or_b32_e32 v0, 3, v1
	v_cmp_ge_i32_e64 s2, s20, v5
	v_mad_co_i64_i32 v[11:12], null, s6, v4, 0
	v_lshlrev_b64_e32 v[5:6], 1, v[2:3]
	s_delay_alu instid0(VALU_DEP_4)
	v_mad_co_i64_i32 v[1:2], null, s6, v0, 0
	s_cmp_gt_i32 s63, 0
	v_lshlrev_b64_e32 v[9:10], 1, v[9:10]
	s_cselect_b32 s65, -1, 0
	v_add_co_u32 v7, vcc_lo, s14, v5
	s_cmp_gt_i32 s64, 0
	v_lshlrev_b64_e32 v[11:12], 1, v[11:12]
	v_lshlrev_b64_e32 v[13:14], 1, v[1:2]
	s_wait_alu 0xfffd
	v_add_co_ci_u32_e64 v8, null, s15, v6, vcc_lo
	v_mov_b32_e32 v0, 0
	s_cselect_b32 s20, -1, 0
	s_lshl_b64 s[34:35], s[24:25], 2
	s_lshl_b64 s[38:39], s[30:31], 2
	s_add_nc_u64 s[36:37], s[18:19], s[34:35]
	s_lshl_b64 s[40:41], s[28:29], 2
	s_lshl_b64 s[42:43], s[16:17], 1
	;; [unrolled: 1-line block ×4, first 2 shown]
	s_mul_u64 s[48:49], s[26:27], 6
	s_lshl_b64 s[50:51], s[26:27], 3
	s_lshl_b64 s[52:53], s[26:27], 1
	;; [unrolled: 1-line block ×3, first 2 shown]
	s_branch .LBB560_3
.LBB560_2:                              ;   in Loop: Header=BB560_3 Depth=1
	s_add_co_i32 s10, s10, 0x10000
	s_wait_alu 0xfffe
	s_cmp_lt_u32 s10, s23
	s_cbranch_scc0 .LBB560_83
.LBB560_3:                              ; =>This Loop Header: Depth=1
                                        ;     Child Loop BB560_6 Depth 2
                                        ;     Child Loop BB560_12 Depth 2
                                        ;       Child Loop BB560_43 Depth 3
                                        ;       Child Loop BB560_46 Depth 3
                                        ;     Child Loop BB560_62 Depth 2
                                        ;       Child Loop BB560_75 Depth 3
                                        ;       Child Loop BB560_78 Depth 3
	s_mov_b32 s11, s25
	s_and_not1_b32 vcc_lo, exec_lo, s33
	s_mov_b32 s6, -1
	s_wait_alu 0xfffe
	s_cbranch_vccnz .LBB560_8
; %bb.4:                                ;   in Loop: Header=BB560_3 Depth=1
	s_and_saveexec_b32 s8, s62
	s_cbranch_execz .LBB560_7
; %bb.5:                                ;   in Loop: Header=BB560_3 Depth=1
	s_mul_u64 s[6:7], s[38:39], s[10:11]
	s_mov_b32 s9, s21
	s_wait_alu 0xfffe
	s_add_nc_u64 s[6:7], s[36:37], s[6:7]
.LBB560_6:                              ;   Parent Loop BB560_3 Depth=1
                                        ; =>  This Inner Loop Header: Depth=2
	s_add_co_i32 s9, s9, -1
	global_store_b32 v0, v0, s[6:7]
	s_wait_alu 0xfffe
	s_cmp_eq_u32 s9, 0
	s_add_nc_u64 s[6:7], s[6:7], s[40:41]
	s_cbranch_scc0 .LBB560_6
.LBB560_7:                              ;   in Loop: Header=BB560_3 Depth=1
	s_wait_alu 0xfffe
	s_or_b32 exec_lo, exec_lo, s8
	s_mov_b32 s6, 0
.LBB560_8:                              ;   in Loop: Header=BB560_3 Depth=1
	s_wait_alu 0xfffe
	s_and_not1_b32 vcc_lo, exec_lo, s6
	s_wait_alu 0xfffe
	s_cbranch_vccnz .LBB560_2
; %bb.9:                                ;   in Loop: Header=BB560_3 Depth=1
	v_mad_co_u64_u32 v[15:16], null, s42, s10, v[7:8]
	s_mul_u64 s[66:67], s[12:13], s[10:11]
	s_mul_u64 s[56:57], s[16:17], s[10:11]
	s_wait_alu 0xfffe
	s_lshl_b64 s[66:67], s[66:67], 1
	s_mul_u64 s[60:61], s[30:31], s[10:11]
	s_wait_alu 0xfffe
	v_add_co_u32 v35, vcc_lo, v29, s66
	v_mov_b32_e32 v1, v16
	s_lshl_b64 s[56:57], s[56:57], 1
	s_lshl_b64 s[68:69], s[60:61], 2
	v_cmp_gt_u32_e64 s7, 24, v33
	v_cmp_gt_u32_e64 s8, 28, v33
	v_mad_co_u64_u32 v[1:2], null, s43, s10, v[1:2]
	v_cmp_gt_u32_e64 s6, 30, v33
	s_wait_alu 0xfffd
	v_add_co_ci_u32_e64 v36, null, s67, v30, vcc_lo
	v_cmp_ne_u32_e64 s9, 31, v33
	s_add_nc_u64 s[60:61], s[14:15], s[56:57]
	s_add_nc_u64 s[56:57], s[18:19], s[68:69]
	v_mov_b32_e32 v16, v1
	s_mul_u64 s[58:59], s[46:47], s[10:11]
	s_and_not1_b32 vcc_lo, exec_lo, s65
	s_add_nc_u64 s[56:57], s[56:57], s[34:35]
	s_wait_alu 0xfffe
	s_cbranch_vccnz .LBB560_58
; %bb.10:                               ;   in Loop: Header=BB560_3 Depth=1
	v_cndmask_b32_e64 v2, 0, 4, s8
	v_cndmask_b32_e64 v3, 0, 2, s6
	v_add_co_u32 v17, vcc_lo, v29, s58
	s_wait_alu 0xfffd
	v_add_co_ci_u32_e64 v18, null, s59, v30, vcc_lo
	v_add_co_u32 v19, vcc_lo, s60, v5
	v_cndmask_b32_e64 v1, 0, 8, s7
	v_add_co_ci_u32_e64 v4, null, 0, v33, s9
	v_add_lshl_u32 v38, v2, v33, 2
	v_add_lshl_u32 v39, v3, v33, 2
	s_wait_alu 0xfffd
	v_add_co_ci_u32_e64 v20, null, s61, v6, vcc_lo
	v_add_co_u32 v21, vcc_lo, s60, v9
	v_dual_mov_b32 v2, v0 :: v_dual_mov_b32 v3, v0
	s_wait_alu 0xfffd
	v_add_co_ci_u32_e64 v22, null, s61, v10, vcc_lo
	v_add_co_u32 v23, vcc_lo, s60, v11
	v_add_lshl_u32 v37, v1, v33, 2
	v_dual_mov_b32 v1, v0 :: v_dual_lshlrev_b32 v40, 2, v4
	s_wait_alu 0xfffd
	v_add_co_ci_u32_e64 v24, null, s61, v12, vcc_lo
	v_add_co_u32 v25, vcc_lo, s60, v13
	v_mov_b32_e32 v4, v3
	s_wait_alu 0xfffd
	v_add_co_ci_u32_e64 v26, null, s61, v14, vcc_lo
	v_mov_b32_e32 v3, v2
	v_mov_b32_e32 v2, v1
	;; [unrolled: 1-line block ×3, first 2 shown]
	s_mov_b32 s24, 0
	s_branch .LBB560_12
.LBB560_11:                             ;   in Loop: Header=BB560_12 Depth=2
	s_wait_alu 0xfffe
	s_or_b32 exec_lo, exec_lo, s6
	v_add_co_u32 v17, vcc_lo, v17, s50
	s_wait_alu 0xfffd
	v_add_co_ci_u32_e64 v18, null, s51, v18, vcc_lo
	s_add_co_i32 s24, s24, 4
	s_wait_alu 0xfffe
	s_cmp_ge_i32 s24, s63
	s_cbranch_scc1 .LBB560_59
.LBB560_12:                             ;   Parent Loop BB560_3 Depth=1
                                        ; =>  This Loop Header: Depth=2
                                        ;       Child Loop BB560_43 Depth 3
                                        ;       Child Loop BB560_46 Depth 3
                                        ; implicit-def: $vgpr41
                                        ; implicit-def: $vgpr42
                                        ; implicit-def: $vgpr43
                                        ; implicit-def: $vgpr44
	s_and_saveexec_b32 s6, s1
	s_wait_alu 0xfffe
	s_xor_b32 s6, exec_lo, s6
	s_cbranch_execnz .LBB560_39
; %bb.13:                               ;   in Loop: Header=BB560_12 Depth=2
	s_wait_alu 0xfffe
	s_and_not1_saveexec_b32 s11, s6
	s_cbranch_execnz .LBB560_40
.LBB560_14:                             ;   in Loop: Header=BB560_12 Depth=2
	s_wait_alu 0xfffe
	s_or_b32 exec_lo, exec_lo, s11
	s_and_saveexec_b32 s6, s3
.LBB560_15:                             ;   in Loop: Header=BB560_12 Depth=2
	ds_store_b32 v31, v0
.LBB560_16:                             ;   in Loop: Header=BB560_12 Depth=2
	s_wait_alu 0xfffe
	s_or_b32 exec_lo, exec_lo, s6
	s_wait_dscnt 0x0
	ds_bpermute_b32 v27, v34, v44
	s_wait_storecnt_dscnt 0x0
	s_barrier_signal -1
	s_barrier_wait -1
	global_inv scope:SCOPE_SE
	v_add_f32_e32 v27, v44, v27
	ds_bpermute_b32 v28, v37, v27
	s_wait_dscnt 0x0
	v_add_f32_e32 v27, v27, v28
	ds_bpermute_b32 v28, v38, v27
	s_wait_dscnt 0x0
	v_add_f32_e32 v27, v27, v28
	ds_bpermute_b32 v28, v39, v27
	s_wait_dscnt 0x0
	v_add_f32_e32 v27, v27, v28
	ds_bpermute_b32 v28, v40, v27
	s_and_saveexec_b32 s6, s4
	s_cbranch_execz .LBB560_18
; %bb.17:                               ;   in Loop: Header=BB560_12 Depth=2
	s_wait_dscnt 0x0
	v_add_f32_e32 v27, v27, v28
	ds_store_b32 v32, v27
.LBB560_18:                             ;   in Loop: Header=BB560_12 Depth=2
	s_wait_alu 0xfffe
	s_or_b32 exec_lo, exec_lo, s6
	v_mov_b32_e32 v27, 0
	s_wait_loadcnt_dscnt 0x0
	s_barrier_signal -1
	s_barrier_wait -1
	global_inv scope:SCOPE_SE
	s_and_saveexec_b32 s6, s5
	s_cbranch_execnz .LBB560_47
; %bb.19:                               ;   in Loop: Header=BB560_12 Depth=2
	s_wait_alu 0xfffe
	s_or_b32 exec_lo, exec_lo, s6
	s_and_saveexec_b32 s6, s3
	s_cbranch_execnz .LBB560_48
.LBB560_20:                             ;   in Loop: Header=BB560_12 Depth=2
	s_wait_alu 0xfffe
	s_or_b32 exec_lo, exec_lo, s6
	s_and_saveexec_b32 s6, s3
.LBB560_21:                             ;   in Loop: Header=BB560_12 Depth=2
	ds_store_b32 v31, v0
.LBB560_22:                             ;   in Loop: Header=BB560_12 Depth=2
	s_wait_alu 0xfffe
	s_or_b32 exec_lo, exec_lo, s6
	ds_bpermute_b32 v28, v34, v43
	s_wait_loadcnt_dscnt 0x0
	s_barrier_signal -1
	s_barrier_wait -1
	global_inv scope:SCOPE_SE
	v_add_f32_e32 v28, v43, v28
	ds_bpermute_b32 v43, v37, v28
	s_wait_dscnt 0x0
	v_add_f32_e32 v28, v28, v43
	ds_bpermute_b32 v43, v38, v28
	s_wait_dscnt 0x0
	;; [unrolled: 3-line block ×3, first 2 shown]
	v_add_f32_e32 v28, v28, v43
	ds_bpermute_b32 v43, v40, v28
	s_and_saveexec_b32 s6, s4
	s_cbranch_execz .LBB560_24
; %bb.23:                               ;   in Loop: Header=BB560_12 Depth=2
	s_wait_dscnt 0x0
	v_add_f32_e32 v28, v28, v43
	ds_store_b32 v32, v28
.LBB560_24:                             ;   in Loop: Header=BB560_12 Depth=2
	s_wait_alu 0xfffe
	s_or_b32 exec_lo, exec_lo, s6
	v_mov_b32_e32 v28, 0
	s_wait_loadcnt_dscnt 0x0
	s_barrier_signal -1
	s_barrier_wait -1
	global_inv scope:SCOPE_SE
	s_and_saveexec_b32 s6, s5
	s_cbranch_execnz .LBB560_49
; %bb.25:                               ;   in Loop: Header=BB560_12 Depth=2
	s_wait_alu 0xfffe
	s_or_b32 exec_lo, exec_lo, s6
	s_and_saveexec_b32 s6, s3
	s_cbranch_execnz .LBB560_50
.LBB560_26:                             ;   in Loop: Header=BB560_12 Depth=2
	s_wait_alu 0xfffe
	s_or_b32 exec_lo, exec_lo, s6
	s_and_saveexec_b32 s6, s3
.LBB560_27:                             ;   in Loop: Header=BB560_12 Depth=2
	ds_store_b32 v31, v0
.LBB560_28:                             ;   in Loop: Header=BB560_12 Depth=2
	s_wait_alu 0xfffe
	s_or_b32 exec_lo, exec_lo, s6
	ds_bpermute_b32 v43, v34, v42
	s_wait_loadcnt_dscnt 0x0
	s_barrier_signal -1
	s_barrier_wait -1
	global_inv scope:SCOPE_SE
	v_add_f32_e32 v42, v42, v43
	ds_bpermute_b32 v43, v37, v42
	s_wait_dscnt 0x0
	v_add_f32_e32 v42, v42, v43
	ds_bpermute_b32 v43, v38, v42
	s_wait_dscnt 0x0
	v_add_f32_e32 v42, v42, v43
	ds_bpermute_b32 v43, v39, v42
	s_wait_dscnt 0x0
	v_add_f32_e32 v42, v42, v43
	ds_bpermute_b32 v43, v40, v42
	s_and_saveexec_b32 s6, s4
	s_cbranch_execz .LBB560_30
; %bb.29:                               ;   in Loop: Header=BB560_12 Depth=2
	s_wait_dscnt 0x0
	v_add_f32_e32 v42, v42, v43
	ds_store_b32 v32, v42
.LBB560_30:                             ;   in Loop: Header=BB560_12 Depth=2
	s_wait_alu 0xfffe
	s_or_b32 exec_lo, exec_lo, s6
	v_mov_b32_e32 v42, 0
	s_wait_loadcnt_dscnt 0x0
	s_barrier_signal -1
	s_barrier_wait -1
	global_inv scope:SCOPE_SE
	s_and_saveexec_b32 s6, s5
	s_cbranch_execnz .LBB560_51
; %bb.31:                               ;   in Loop: Header=BB560_12 Depth=2
	s_wait_alu 0xfffe
	s_or_b32 exec_lo, exec_lo, s6
	s_and_saveexec_b32 s6, s3
	s_cbranch_execnz .LBB560_52
.LBB560_32:                             ;   in Loop: Header=BB560_12 Depth=2
	s_wait_alu 0xfffe
	s_or_b32 exec_lo, exec_lo, s6
	s_and_saveexec_b32 s6, s3
.LBB560_33:                             ;   in Loop: Header=BB560_12 Depth=2
	ds_store_b32 v31, v0
.LBB560_34:                             ;   in Loop: Header=BB560_12 Depth=2
	s_wait_alu 0xfffe
	s_or_b32 exec_lo, exec_lo, s6
	ds_bpermute_b32 v43, v34, v41
	s_wait_loadcnt_dscnt 0x0
	s_barrier_signal -1
	s_barrier_wait -1
	global_inv scope:SCOPE_SE
	v_add_f32_e32 v41, v41, v43
	ds_bpermute_b32 v43, v37, v41
	s_wait_dscnt 0x0
	v_add_f32_e32 v41, v41, v43
	ds_bpermute_b32 v43, v38, v41
	s_wait_dscnt 0x0
	;; [unrolled: 3-line block ×3, first 2 shown]
	v_add_f32_e32 v41, v41, v43
	ds_bpermute_b32 v43, v40, v41
	s_and_saveexec_b32 s6, s4
	s_cbranch_execz .LBB560_36
; %bb.35:                               ;   in Loop: Header=BB560_12 Depth=2
	s_wait_dscnt 0x0
	v_add_f32_e32 v41, v41, v43
	ds_store_b32 v32, v41
.LBB560_36:                             ;   in Loop: Header=BB560_12 Depth=2
	s_wait_alu 0xfffe
	s_or_b32 exec_lo, exec_lo, s6
	v_mov_b32_e32 v41, 0
	s_wait_loadcnt_dscnt 0x0
	s_barrier_signal -1
	s_barrier_wait -1
	global_inv scope:SCOPE_SE
	s_and_saveexec_b32 s6, s5
	s_cbranch_execnz .LBB560_53
; %bb.37:                               ;   in Loop: Header=BB560_12 Depth=2
	s_wait_alu 0xfffe
	s_or_b32 exec_lo, exec_lo, s6
	s_and_saveexec_b32 s6, s3
	s_cbranch_execnz .LBB560_54
.LBB560_38:                             ;   in Loop: Header=BB560_12 Depth=2
	s_wait_alu 0xfffe
	s_or_b32 exec_lo, exec_lo, s6
	s_and_saveexec_b32 s6, s0
	s_cbranch_execz .LBB560_11
	s_branch .LBB560_55
.LBB560_39:                             ;   in Loop: Header=BB560_12 Depth=2
	s_mul_u64 s[8:9], s[24:25], s[26:27]
	s_or_b32 s66, s24, 2
	s_wait_alu 0xfffe
	s_lshl_b64 s[8:9], s[8:9], 1
	s_mov_b32 s67, s25
	s_wait_alu 0xfffe
	v_add_co_u32 v1, vcc_lo, v35, s8
	s_wait_alu 0xfffd
	v_add_co_ci_u32_e64 v2, null, s9, v36, vcc_lo
	s_or_b32 s8, s24, 1
	s_mov_b32 s9, s25
	s_wait_alu 0xfffe
	s_mul_u64 s[8:9], s[8:9], s[26:27]
	s_wait_dscnt 0x0
	global_load_b64 v[27:28], v[1:2], off
	s_wait_alu 0xfffe
	s_lshl_b64 s[8:9], s[8:9], 1
	s_clause 0x3
	global_load_u16 v49, v[19:20], off
	global_load_u16 v50, v[21:22], off
	;; [unrolled: 1-line block ×4, first 2 shown]
	s_wait_alu 0xfffe
	v_add_co_u32 v1, vcc_lo, v35, s8
	s_wait_alu 0xfffd
	v_add_co_ci_u32_e64 v2, null, s9, v36, vcc_lo
	s_mul_u64 s[8:9], s[66:67], s[26:27]
	s_or_b32 s66, s24, 3
	s_wait_alu 0xfffe
	s_lshl_b64 s[8:9], s[8:9], 1
	s_mul_u64 s[66:67], s[66:67], s[26:27]
	s_wait_alu 0xfffe
	v_add_co_u32 v3, vcc_lo, v35, s8
	s_wait_alu 0xfffd
	v_add_co_ci_u32_e64 v4, null, s9, v36, vcc_lo
	s_lshl_b64 s[8:9], s[66:67], 1
	s_wait_alu 0xfffe
	v_add_co_u32 v41, vcc_lo, v35, s8
	s_wait_alu 0xfffd
	v_add_co_ci_u32_e64 v42, null, s9, v36, vcc_lo
	s_clause 0x2
	global_load_b64 v[43:44], v[1:2], off
	global_load_b64 v[45:46], v[3:4], off
	;; [unrolled: 1-line block ×3, first 2 shown]
	s_wait_loadcnt 0x4
	v_lshlrev_b32_e32 v3, 16, v51
	v_lshlrev_b32_e32 v41, 16, v27
	s_wait_loadcnt 0x2
	v_lshlrev_b32_e32 v53, 16, v44
	v_lshlrev_b32_e32 v2, 16, v50
	s_wait_loadcnt 0x1
	v_lshlrev_b32_e32 v54, 16, v46
	v_and_b32_e32 v27, 0xffff0000, v27
	v_lshlrev_b32_e32 v1, 16, v49
	v_lshlrev_b32_e32 v42, 16, v43
	v_and_b32_e32 v55, 0xffff0000, v44
	v_and_b32_e32 v51, 0xffff0000, v43
	;; [unrolled: 1-line block ×3, first 2 shown]
	v_fma_f32 v44, v1, v41, 0
	s_delay_alu instid0(VALU_DEP_1)
	v_fmac_f32_e32 v44, v2, v27
	v_fma_f32 v43, v1, v42, 0
	v_lshlrev_b32_e32 v4, 16, v52
	s_wait_loadcnt 0x0
	v_and_b32_e32 v52, 0xffff0000, v47
	v_lshlrev_b32_e32 v47, 16, v47
	v_and_b32_e32 v27, 0xffff0000, v48
	v_fmac_f32_e32 v43, v2, v51
	s_delay_alu instid0(VALU_DEP_3) | instskip(SKIP_1) | instid1(VALU_DEP_3)
	v_fma_f32 v41, v47, v1, 0
	v_lshlrev_b32_e32 v47, 16, v48
	v_fmac_f32_e32 v43, v3, v53
	v_lshlrev_b32_e32 v50, 16, v45
	v_and_b32_e32 v45, 0xffff0000, v45
	v_fmac_f32_e32 v41, v2, v52
	s_delay_alu instid0(VALU_DEP_4) | instskip(NEXT) | instid1(VALU_DEP_4)
	v_fmac_f32_e32 v43, v4, v55
	v_fma_f32 v42, v1, v50, 0
	s_delay_alu instid0(VALU_DEP_1) | instskip(NEXT) | instid1(VALU_DEP_1)
	v_dual_fmac_f32 v42, v2, v45 :: v_dual_fmac_f32 v41, v47, v3
	v_dual_fmac_f32 v42, v3, v54 :: v_dual_lshlrev_b32 v49, 16, v28
	s_delay_alu instid0(VALU_DEP_2) | instskip(NEXT) | instid1(VALU_DEP_2)
	v_dual_fmac_f32 v41, v4, v27 :: v_dual_and_b32 v28, 0xffff0000, v28
	v_fmac_f32_e32 v42, v4, v46
	s_delay_alu instid0(VALU_DEP_3) | instskip(NEXT) | instid1(VALU_DEP_1)
	v_fmac_f32_e32 v44, v3, v49
	v_fmac_f32_e32 v44, v4, v28
	s_and_not1_saveexec_b32 s11, s6
	s_cbranch_execz .LBB560_14
.LBB560_40:                             ;   in Loop: Header=BB560_12 Depth=2
	s_wait_dscnt 0x0
	v_dual_mov_b32 v41, 0 :: v_dual_mov_b32 v42, 0
	v_dual_mov_b32 v43, 0 :: v_dual_mov_b32 v44, 0
	s_and_saveexec_b32 s66, s2
	s_cbranch_execz .LBB560_57
; %bb.41:                               ;   in Loop: Header=BB560_12 Depth=2
	s_and_not1_b32 vcc_lo, exec_lo, s20
	s_wait_alu 0xfffe
	s_cbranch_vccnz .LBB560_44
; %bb.42:                               ;   in Loop: Header=BB560_12 Depth=2
	v_dual_mov_b32 v28, v16 :: v_dual_mov_b32 v27, v15
	s_mov_b64 s[8:9], 0
.LBB560_43:                             ;   Parent Loop BB560_3 Depth=1
                                        ;     Parent Loop BB560_12 Depth=2
                                        ; =>    This Inner Loop Header: Depth=3
	global_load_u16 v41, v[27:28], off
	s_wait_alu 0xfffe
	s_cmp_eq_u32 s8, 3
	v_add_co_u32 v27, vcc_lo, v27, s44
	s_wait_alu 0xfffd
	v_add_co_ci_u32_e64 v28, null, s45, v28, vcc_lo
	s_cselect_b32 vcc_lo, -1, 0
	s_cmp_eq_u32 s8, 2
	s_cselect_b32 s6, -1, 0
	s_cmp_eq_u32 s8, 1
	s_cselect_b32 s7, -1, 0
	s_cmp_eq_u32 s8, 0
	s_add_nc_u64 s[8:9], s[8:9], 1
	s_wait_loadcnt 0x0
	v_lshlrev_b32_e32 v41, 16, v41
	s_wait_alu 0xfffe
	s_delay_alu instid0(VALU_DEP_1)
	v_cndmask_b32_e32 v4, v4, v41, vcc_lo
	s_cselect_b32 vcc_lo, -1, 0
	v_cndmask_b32_e64 v3, v3, v41, s6
	v_cndmask_b32_e64 v2, v2, v41, s7
	s_wait_alu 0xfffe
	v_cndmask_b32_e32 v1, v1, v41, vcc_lo
	s_cmp_eq_u32 s64, s8
	s_cbranch_scc0 .LBB560_43
.LBB560_44:                             ;   in Loop: Header=BB560_12 Depth=2
	s_and_not1_b32 vcc_lo, exec_lo, s20
	s_wait_alu 0xfffe
	s_cbranch_vccnz .LBB560_56
; %bb.45:                               ;   in Loop: Header=BB560_12 Depth=2
	v_dual_mov_b32 v28, v18 :: v_dual_mov_b32 v43, 0
	v_dual_mov_b32 v44, 0 :: v_dual_mov_b32 v27, v17
	v_dual_mov_b32 v42, 0 :: v_dual_mov_b32 v41, 0
	s_mov_b64 s[8:9], 0
.LBB560_46:                             ;   Parent Loop BB560_3 Depth=1
                                        ;     Parent Loop BB560_12 Depth=2
                                        ; =>    This Inner Loop Header: Depth=3
	s_delay_alu instid0(VALU_DEP_2)
	v_add_co_u32 v45, vcc_lo, v27, s52
	s_wait_alu 0xfffd
	v_add_co_ci_u32_e64 v46, null, s53, v28, vcc_lo
	v_add_co_u32 v47, vcc_lo, v27, s54
	s_wait_alu 0xfffd
	v_add_co_ci_u32_e64 v48, null, s55, v28, vcc_lo
	;; [unrolled: 3-line block ×3, first 2 shown]
	s_clause 0x3
	global_load_u16 v51, v[27:28], off
	global_load_u16 v45, v[45:46], off
	;; [unrolled: 1-line block ×4, first 2 shown]
	s_wait_alu 0xfffe
	s_cmp_eq_u32 s8, 1
	v_add_co_u32 v27, s6, v27, 2
	s_cselect_b32 vcc_lo, -1, 0
	s_cmp_eq_u32 s8, 2
	s_wait_alu 0xfffe
	v_cndmask_b32_e32 v48, v1, v2, vcc_lo
	s_cselect_b32 vcc_lo, -1, 0
	s_cmp_eq_u32 s8, 3
	v_add_co_ci_u32_e64 v28, null, 0, v28, s6
	s_add_nc_u64 s[8:9], s[8:9], 1
	s_wait_loadcnt 0x3
	v_lshlrev_b32_e32 v49, 16, v51
	s_wait_loadcnt 0x2
	s_wait_alu 0xfffe
	v_dual_cndmask_b32 v48, v48, v3 :: v_dual_lshlrev_b32 v45, 16, v45
	s_cselect_b32 vcc_lo, -1, 0
	s_wait_loadcnt 0x0
	v_lshlrev_b32_e32 v47, 16, v47
	s_cmp_lg_u32 s64, s8
	s_wait_alu 0xfffe
	v_cndmask_b32_e32 v48, v48, v4, vcc_lo
	s_delay_alu instid0(VALU_DEP_1) | instskip(SKIP_1) | instid1(VALU_DEP_2)
	v_dual_fmac_f32 v43, v48, v45 :: v_dual_lshlrev_b32 v46, 16, v46
	v_fmac_f32_e32 v44, v48, v49
	v_fmac_f32_e32 v42, v48, v46
	;; [unrolled: 1-line block ×3, first 2 shown]
	s_cbranch_scc1 .LBB560_46
	s_branch .LBB560_57
.LBB560_47:                             ;   in Loop: Header=BB560_12 Depth=2
	ds_load_b32 v27, v31
	s_wait_alu 0xfffe
	s_or_b32 exec_lo, exec_lo, s6
	s_and_saveexec_b32 s6, s3
	s_cbranch_execz .LBB560_20
.LBB560_48:                             ;   in Loop: Header=BB560_12 Depth=2
	s_wait_dscnt 0x0
	ds_bpermute_b32 v28, v38, v27
	s_wait_dscnt 0x0
	v_add_f32_e32 v27, v27, v28
	ds_bpermute_b32 v28, v39, v27
	s_wait_dscnt 0x0
	v_add_f32_e32 v27, v27, v28
	;; [unrolled: 3-line block ×3, first 2 shown]
	s_wait_alu 0xfffe
	s_or_b32 exec_lo, exec_lo, s6
	s_and_saveexec_b32 s6, s3
	s_cbranch_execnz .LBB560_21
	s_branch .LBB560_22
.LBB560_49:                             ;   in Loop: Header=BB560_12 Depth=2
	ds_load_b32 v28, v31
	s_wait_alu 0xfffe
	s_or_b32 exec_lo, exec_lo, s6
	s_and_saveexec_b32 s6, s3
	s_cbranch_execz .LBB560_26
.LBB560_50:                             ;   in Loop: Header=BB560_12 Depth=2
	s_wait_dscnt 0x0
	ds_bpermute_b32 v43, v38, v28
	s_wait_dscnt 0x0
	v_add_f32_e32 v28, v28, v43
	ds_bpermute_b32 v43, v39, v28
	s_wait_dscnt 0x0
	v_add_f32_e32 v28, v28, v43
	;; [unrolled: 3-line block ×3, first 2 shown]
	s_wait_alu 0xfffe
	s_or_b32 exec_lo, exec_lo, s6
	s_and_saveexec_b32 s6, s3
	s_cbranch_execnz .LBB560_27
	s_branch .LBB560_28
.LBB560_51:                             ;   in Loop: Header=BB560_12 Depth=2
	ds_load_b32 v42, v31
	s_wait_alu 0xfffe
	s_or_b32 exec_lo, exec_lo, s6
	s_and_saveexec_b32 s6, s3
	s_cbranch_execz .LBB560_32
.LBB560_52:                             ;   in Loop: Header=BB560_12 Depth=2
	s_wait_dscnt 0x0
	ds_bpermute_b32 v43, v38, v42
	s_wait_dscnt 0x0
	v_add_f32_e32 v42, v42, v43
	ds_bpermute_b32 v43, v39, v42
	s_wait_dscnt 0x0
	v_add_f32_e32 v42, v42, v43
	;; [unrolled: 3-line block ×3, first 2 shown]
	s_wait_alu 0xfffe
	s_or_b32 exec_lo, exec_lo, s6
	s_and_saveexec_b32 s6, s3
	s_cbranch_execnz .LBB560_33
	s_branch .LBB560_34
.LBB560_53:                             ;   in Loop: Header=BB560_12 Depth=2
	ds_load_b32 v41, v31
	s_wait_alu 0xfffe
	s_or_b32 exec_lo, exec_lo, s6
	s_and_saveexec_b32 s6, s3
	s_cbranch_execz .LBB560_38
.LBB560_54:                             ;   in Loop: Header=BB560_12 Depth=2
	s_wait_dscnt 0x0
	ds_bpermute_b32 v43, v38, v41
	s_wait_dscnt 0x0
	v_add_f32_e32 v41, v41, v43
	ds_bpermute_b32 v43, v39, v41
	s_wait_dscnt 0x0
	v_add_f32_e32 v41, v41, v43
	ds_bpermute_b32 v43, v40, v41
	s_wait_dscnt 0x0
	v_add_f32_e32 v41, v41, v43
	s_wait_alu 0xfffe
	s_or_b32 exec_lo, exec_lo, s6
	s_and_saveexec_b32 s6, s0
	s_cbranch_execz .LBB560_11
.LBB560_55:                             ;   in Loop: Header=BB560_12 Depth=2
	s_mul_u64 s[8:9], s[24:25], s[28:29]
	v_dual_mul_f32 v27, s22, v27 :: v_dual_mul_f32 v28, s22, v28
	s_or_b32 s66, s24, 1
	s_mov_b32 s67, s25
	s_wait_alu 0xfffe
	s_lshl_b64 s[8:9], s[8:9], 2
	s_mul_u64 s[66:67], s[66:67], s[28:29]
	s_wait_alu 0xfffe
	s_add_nc_u64 s[8:9], s[56:57], s[8:9]
	s_or_b32 s68, s24, 2
	s_mov_b32 s69, s25
	global_store_b32 v0, v27, s[8:9]
	s_lshl_b64 s[8:9], s[66:67], 2
	s_mul_u64 s[66:67], s[68:69], s[28:29]
	s_or_b32 s68, s24, 3
	s_wait_alu 0xfffe
	s_add_nc_u64 s[8:9], s[56:57], s[8:9]
	s_mul_u64 s[68:69], s[68:69], s[28:29]
	v_mul_f32_e32 v27, s22, v42
	global_store_b32 v0, v28, s[8:9]
	s_lshl_b64 s[8:9], s[66:67], 2
	s_wait_dscnt 0x0
	v_mul_f32_e32 v28, s22, v41
	s_lshl_b64 s[66:67], s[68:69], 2
	s_wait_alu 0xfffe
	s_add_nc_u64 s[8:9], s[56:57], s[8:9]
	s_add_nc_u64 s[66:67], s[56:57], s[66:67]
	s_clause 0x1
	global_store_b32 v0, v27, s[8:9]
	global_store_b32 v0, v28, s[66:67]
	s_branch .LBB560_11
.LBB560_56:                             ;   in Loop: Header=BB560_12 Depth=2
	v_dual_mov_b32 v41, 0 :: v_dual_mov_b32 v42, 0
	v_dual_mov_b32 v43, 0 :: v_dual_mov_b32 v44, 0
.LBB560_57:                             ;   in Loop: Header=BB560_12 Depth=2
	s_wait_alu 0xfffe
	s_or_b32 exec_lo, exec_lo, s66
	s_delay_alu instid0(SALU_CYCLE_1)
	s_or_b32 exec_lo, exec_lo, s11
	s_and_saveexec_b32 s6, s3
	s_cbranch_execnz .LBB560_15
	s_branch .LBB560_16
.LBB560_58:                             ;   in Loop: Header=BB560_3 Depth=1
	v_mov_b32_e32 v3, v0
	v_dual_mov_b32 v1, v0 :: v_dual_mov_b32 v2, v0
	s_mov_b32 s24, 0
	s_delay_alu instid0(VALU_DEP_2) | instskip(NEXT) | instid1(VALU_DEP_2)
	v_mov_b32_e32 v4, v3
	v_mov_b32_e32 v3, v2
	s_delay_alu instid0(VALU_DEP_3)
	v_mov_b32_e32 v2, v1
	v_mov_b32_e32 v1, v0
.LBB560_59:                             ;   in Loop: Header=BB560_3 Depth=1
	s_wait_alu 0xfffe
	s_cmp_ge_i32 s24, s21
	s_cbranch_scc1 .LBB560_2
; %bb.60:                               ;   in Loop: Header=BB560_3 Depth=1
	v_cmp_gt_u32_e32 vcc_lo, 24, v33
	s_mul_u64 s[6:7], s[52:53], s[24:25]
	s_wait_alu 0xfffe
	s_add_nc_u64 s[6:7], s[6:7], s[58:59]
	s_wait_alu 0xfffd
	v_cndmask_b32_e64 v17, 0, 8, vcc_lo
	v_cmp_gt_u32_e32 vcc_lo, 28, v33
	s_delay_alu instid0(VALU_DEP_2) | instskip(SKIP_3) | instid1(VALU_DEP_2)
	v_add_lshl_u32 v37, v17, v33, 2
	s_wait_alu 0xfffd
	v_cndmask_b32_e64 v18, 0, 4, vcc_lo
	v_cmp_gt_u32_e32 vcc_lo, 30, v33
	v_add_lshl_u32 v38, v18, v33, 2
	s_wait_alu 0xfffd
	v_cndmask_b32_e64 v19, 0, 2, vcc_lo
	v_cmp_ne_u32_e32 vcc_lo, 31, v33
	s_delay_alu instid0(VALU_DEP_2)
	v_add_lshl_u32 v39, v19, v33, 2
	s_wait_alu 0xfffd
	v_add_co_ci_u32_e64 v20, null, 0, v33, vcc_lo
	v_add_co_u32 v17, vcc_lo, s60, v5
	s_wait_alu 0xfffd
	v_add_co_ci_u32_e64 v18, null, s61, v6, vcc_lo
	v_add_co_u32 v19, vcc_lo, s60, v9
	v_lshlrev_b32_e32 v40, 2, v20
	s_wait_alu 0xfffd
	v_add_co_ci_u32_e64 v20, null, s61, v10, vcc_lo
	v_add_co_u32 v21, vcc_lo, s60, v11
	s_wait_alu 0xfffd
	v_add_co_ci_u32_e64 v22, null, s61, v12, vcc_lo
	v_add_co_u32 v23, vcc_lo, s60, v13
	s_wait_alu 0xfffd
	v_add_co_ci_u32_e64 v24, null, s61, v14, vcc_lo
	s_wait_alu 0xfffe
	v_add_co_u32 v25, vcc_lo, v29, s6
	s_wait_alu 0xfffd
	v_add_co_ci_u32_e64 v26, null, s7, v30, vcc_lo
	s_branch .LBB560_62
.LBB560_61:                             ;   in Loop: Header=BB560_62 Depth=2
	s_wait_alu 0xfffe
	s_or_b32 exec_lo, exec_lo, s6
	v_add_co_u32 v25, vcc_lo, v25, s52
	s_wait_alu 0xfffd
	v_add_co_ci_u32_e64 v26, null, s53, v26, vcc_lo
	s_add_co_i32 s24, s24, 1
	s_wait_alu 0xfffe
	s_cmp_ge_i32 s24, s21
	s_cbranch_scc1 .LBB560_2
.LBB560_62:                             ;   Parent Loop BB560_3 Depth=1
                                        ; =>  This Loop Header: Depth=2
                                        ;       Child Loop BB560_75 Depth 3
                                        ;       Child Loop BB560_78 Depth 3
	s_wait_dscnt 0x0
	v_mov_b32_e32 v41, s25
	s_and_saveexec_b32 s6, s1
	s_wait_alu 0xfffe
	s_xor_b32 s6, exec_lo, s6
	s_cbranch_execnz .LBB560_71
; %bb.63:                               ;   in Loop: Header=BB560_62 Depth=2
	s_wait_alu 0xfffe
	s_and_not1_saveexec_b32 s11, s6
	s_cbranch_execnz .LBB560_72
.LBB560_64:                             ;   in Loop: Header=BB560_62 Depth=2
	s_wait_alu 0xfffe
	s_or_b32 exec_lo, exec_lo, s11
	s_and_saveexec_b32 s6, s3
.LBB560_65:                             ;   in Loop: Header=BB560_62 Depth=2
	ds_store_b32 v31, v0
.LBB560_66:                             ;   in Loop: Header=BB560_62 Depth=2
	s_wait_alu 0xfffe
	s_or_b32 exec_lo, exec_lo, s6
	ds_bpermute_b32 v27, v34, v41
	s_wait_storecnt 0x0
	s_wait_loadcnt_dscnt 0x0
	s_barrier_signal -1
	s_barrier_wait -1
	global_inv scope:SCOPE_SE
	v_add_f32_e32 v27, v41, v27
	ds_bpermute_b32 v28, v37, v27
	s_wait_dscnt 0x0
	v_add_f32_e32 v27, v27, v28
	ds_bpermute_b32 v28, v38, v27
	s_wait_dscnt 0x0
	;; [unrolled: 3-line block ×3, first 2 shown]
	v_add_f32_e32 v27, v27, v28
	ds_bpermute_b32 v28, v40, v27
	s_and_saveexec_b32 s6, s4
	s_cbranch_execz .LBB560_68
; %bb.67:                               ;   in Loop: Header=BB560_62 Depth=2
	s_wait_dscnt 0x0
	v_add_f32_e32 v27, v27, v28
	ds_store_b32 v32, v27
.LBB560_68:                             ;   in Loop: Header=BB560_62 Depth=2
	s_wait_alu 0xfffe
	s_or_b32 exec_lo, exec_lo, s6
	v_mov_b32_e32 v27, 0
	s_wait_loadcnt_dscnt 0x0
	s_barrier_signal -1
	s_barrier_wait -1
	global_inv scope:SCOPE_SE
	s_and_saveexec_b32 s6, s5
	s_cbranch_execnz .LBB560_80
; %bb.69:                               ;   in Loop: Header=BB560_62 Depth=2
	s_wait_alu 0xfffe
	s_or_b32 exec_lo, exec_lo, s6
	s_and_saveexec_b32 s6, s3
	s_cbranch_execnz .LBB560_81
.LBB560_70:                             ;   in Loop: Header=BB560_62 Depth=2
	s_wait_alu 0xfffe
	s_or_b32 exec_lo, exec_lo, s6
	s_and_saveexec_b32 s6, s0
	s_cbranch_execz .LBB560_61
	s_branch .LBB560_82
.LBB560_71:                             ;   in Loop: Header=BB560_62 Depth=2
	s_mul_u64 s[8:9], s[24:25], s[26:27]
	s_wait_alu 0xfffe
	s_lshl_b64 s[8:9], s[8:9], 1
	s_wait_alu 0xfffe
	v_add_co_u32 v1, vcc_lo, v35, s8
	s_wait_alu 0xfffd
	v_add_co_ci_u32_e64 v2, null, s9, v36, vcc_lo
	global_load_u16 v3, v[17:18], off
	global_load_b64 v[27:28], v[1:2], off
	s_clause 0x2
	global_load_u16 v2, v[19:20], off
	global_load_u16 v4, v[21:22], off
	global_load_u16 v42, v[23:24], off
	s_wait_loadcnt 0x4
	v_lshlrev_b32_e32 v1, 16, v3
	s_wait_loadcnt 0x3
	v_lshlrev_b32_e32 v3, 16, v27
	v_and_b32_e32 v27, 0xffff0000, v27
	s_delay_alu instid0(VALU_DEP_2) | instskip(SKIP_4) | instid1(VALU_DEP_1)
	v_fma_f32 v41, v1, v3, 0
	s_wait_loadcnt 0x1
	v_lshlrev_b32_e32 v3, 16, v4
	v_lshlrev_b32_e32 v2, 16, v2
	s_wait_loadcnt 0x0
	v_dual_fmac_f32 v41, v2, v27 :: v_dual_lshlrev_b32 v4, 16, v42
	v_lshlrev_b32_e32 v27, 16, v28
	s_delay_alu instid0(VALU_DEP_1) | instskip(NEXT) | instid1(VALU_DEP_1)
	v_dual_fmac_f32 v41, v3, v27 :: v_dual_and_b32 v28, 0xffff0000, v28
	v_fmac_f32_e32 v41, v4, v28
	s_and_not1_saveexec_b32 s11, s6
	s_cbranch_execz .LBB560_64
.LBB560_72:                             ;   in Loop: Header=BB560_62 Depth=2
	s_and_saveexec_b32 s58, s2
	s_cbranch_execz .LBB560_79
; %bb.73:                               ;   in Loop: Header=BB560_62 Depth=2
	s_and_not1_b32 vcc_lo, exec_lo, s20
	s_wait_alu 0xfffe
	s_cbranch_vccnz .LBB560_76
; %bb.74:                               ;   in Loop: Header=BB560_62 Depth=2
	v_dual_mov_b32 v28, v16 :: v_dual_mov_b32 v27, v15
	s_mov_b64 s[8:9], 0
.LBB560_75:                             ;   Parent Loop BB560_3 Depth=1
                                        ;     Parent Loop BB560_62 Depth=2
                                        ; =>    This Inner Loop Header: Depth=3
	global_load_u16 v42, v[27:28], off
	s_wait_alu 0xfffe
	s_cmp_eq_u32 s8, 3
	v_add_co_u32 v27, vcc_lo, v27, s44
	s_wait_alu 0xfffd
	v_add_co_ci_u32_e64 v28, null, s45, v28, vcc_lo
	s_cselect_b32 vcc_lo, -1, 0
	s_cmp_eq_u32 s8, 2
	s_cselect_b32 s6, -1, 0
	s_cmp_eq_u32 s8, 1
	s_cselect_b32 s7, -1, 0
	s_cmp_eq_u32 s8, 0
	s_add_nc_u64 s[8:9], s[8:9], 1
	s_wait_loadcnt 0x0
	v_lshlrev_b32_e32 v42, 16, v42
	s_wait_alu 0xfffe
	s_delay_alu instid0(VALU_DEP_1)
	v_cndmask_b32_e32 v4, v4, v42, vcc_lo
	s_cselect_b32 vcc_lo, -1, 0
	v_cndmask_b32_e64 v3, v3, v42, s6
	v_cndmask_b32_e64 v2, v2, v42, s7
	s_wait_alu 0xfffe
	v_cndmask_b32_e32 v1, v1, v42, vcc_lo
	s_cmp_eq_u32 s64, s8
	s_cbranch_scc0 .LBB560_75
.LBB560_76:                             ;   in Loop: Header=BB560_62 Depth=2
	s_and_not1_b32 vcc_lo, exec_lo, s20
	s_wait_alu 0xfffe
	s_cbranch_vccnz .LBB560_79
; %bb.77:                               ;   in Loop: Header=BB560_62 Depth=2
	v_dual_mov_b32 v28, v26 :: v_dual_mov_b32 v27, v25
	s_mov_b64 s[6:7], 0
.LBB560_78:                             ;   Parent Loop BB560_3 Depth=1
                                        ;     Parent Loop BB560_62 Depth=2
                                        ; =>    This Inner Loop Header: Depth=3
	global_load_u16 v42, v[27:28], off
	s_wait_alu 0xfffe
	s_cmp_eq_u32 s6, 1
	s_cselect_b32 vcc_lo, -1, 0
	s_cmp_eq_u32 s6, 2
	s_wait_alu 0xfffe
	v_cndmask_b32_e32 v43, v1, v2, vcc_lo
	s_cselect_b32 vcc_lo, -1, 0
	s_cmp_eq_u32 s6, 3
	s_add_nc_u64 s[6:7], s[6:7], 1
	s_wait_alu 0xfffe
	v_cndmask_b32_e32 v43, v43, v3, vcc_lo
	s_cselect_b32 vcc_lo, -1, 0
	s_cmp_lg_u32 s64, s6
	s_wait_loadcnt 0x0
	s_wait_alu 0xfffe
	v_dual_cndmask_b32 v43, v43, v4 :: v_dual_lshlrev_b32 v42, 16, v42
	v_add_co_u32 v27, vcc_lo, v27, 2
	s_wait_alu 0xfffd
	v_add_co_ci_u32_e64 v28, null, 0, v28, vcc_lo
	s_delay_alu instid0(VALU_DEP_3)
	v_fmac_f32_e32 v41, v43, v42
	s_cbranch_scc1 .LBB560_78
.LBB560_79:                             ;   in Loop: Header=BB560_62 Depth=2
	s_wait_alu 0xfffe
	s_or_b32 exec_lo, exec_lo, s58
	s_delay_alu instid0(SALU_CYCLE_1)
	s_or_b32 exec_lo, exec_lo, s11
	s_and_saveexec_b32 s6, s3
	s_cbranch_execnz .LBB560_65
	s_branch .LBB560_66
.LBB560_80:                             ;   in Loop: Header=BB560_62 Depth=2
	ds_load_b32 v27, v31
	s_wait_alu 0xfffe
	s_or_b32 exec_lo, exec_lo, s6
	s_and_saveexec_b32 s6, s3
	s_cbranch_execz .LBB560_70
.LBB560_81:                             ;   in Loop: Header=BB560_62 Depth=2
	s_wait_dscnt 0x0
	ds_bpermute_b32 v28, v38, v27
	s_wait_dscnt 0x0
	v_add_f32_e32 v27, v27, v28
	ds_bpermute_b32 v28, v39, v27
	s_wait_dscnt 0x0
	v_add_f32_e32 v27, v27, v28
	;; [unrolled: 3-line block ×3, first 2 shown]
	s_wait_alu 0xfffe
	s_or_b32 exec_lo, exec_lo, s6
	s_and_saveexec_b32 s6, s0
	s_cbranch_execz .LBB560_61
.LBB560_82:                             ;   in Loop: Header=BB560_62 Depth=2
	s_mul_u64 s[8:9], s[24:25], s[28:29]
	s_wait_dscnt 0x0
	v_mul_f32_e32 v27, s22, v27
	s_wait_alu 0xfffe
	s_lshl_b64 s[8:9], s[8:9], 2
	s_wait_alu 0xfffe
	s_add_nc_u64 s[8:9], s[56:57], s[8:9]
	global_store_b32 v0, v27, s[8:9]
	s_branch .LBB560_61
.LBB560_83:
	s_endpgm
	.section	.rodata,"a",@progbits
	.p2align	6, 0x0
	.amdhsa_kernel _ZL23rocblas_gemvt_sn_kernelILb0ELi256ELi4El16rocblas_bfloat16ffEviiT4_lPKT3_lilS4_lilPT5_i
		.amdhsa_group_segment_fixed_size 128
		.amdhsa_private_segment_fixed_size 0
		.amdhsa_kernarg_size 360
		.amdhsa_user_sgpr_count 2
		.amdhsa_user_sgpr_dispatch_ptr 0
		.amdhsa_user_sgpr_queue_ptr 0
		.amdhsa_user_sgpr_kernarg_segment_ptr 1
		.amdhsa_user_sgpr_dispatch_id 0
		.amdhsa_user_sgpr_private_segment_size 0
		.amdhsa_wavefront_size32 1
		.amdhsa_uses_dynamic_stack 0
		.amdhsa_enable_private_segment 0
		.amdhsa_system_sgpr_workgroup_id_x 1
		.amdhsa_system_sgpr_workgroup_id_y 0
		.amdhsa_system_sgpr_workgroup_id_z 1
		.amdhsa_system_sgpr_workgroup_info 0
		.amdhsa_system_vgpr_workitem_id 0
		.amdhsa_next_free_vgpr 56
		.amdhsa_next_free_sgpr 70
		.amdhsa_reserve_vcc 1
		.amdhsa_float_round_mode_32 0
		.amdhsa_float_round_mode_16_64 0
		.amdhsa_float_denorm_mode_32 3
		.amdhsa_float_denorm_mode_16_64 3
		.amdhsa_fp16_overflow 0
		.amdhsa_workgroup_processor_mode 1
		.amdhsa_memory_ordered 1
		.amdhsa_forward_progress 1
		.amdhsa_inst_pref_size 37
		.amdhsa_round_robin_scheduling 0
		.amdhsa_exception_fp_ieee_invalid_op 0
		.amdhsa_exception_fp_denorm_src 0
		.amdhsa_exception_fp_ieee_div_zero 0
		.amdhsa_exception_fp_ieee_overflow 0
		.amdhsa_exception_fp_ieee_underflow 0
		.amdhsa_exception_fp_ieee_inexact 0
		.amdhsa_exception_int_div_zero 0
	.end_amdhsa_kernel
	.section	.text._ZL23rocblas_gemvt_sn_kernelILb0ELi256ELi4El16rocblas_bfloat16ffEviiT4_lPKT3_lilS4_lilPT5_i,"axG",@progbits,_ZL23rocblas_gemvt_sn_kernelILb0ELi256ELi4El16rocblas_bfloat16ffEviiT4_lPKT3_lilS4_lilPT5_i,comdat
.Lfunc_end560:
	.size	_ZL23rocblas_gemvt_sn_kernelILb0ELi256ELi4El16rocblas_bfloat16ffEviiT4_lPKT3_lilS4_lilPT5_i, .Lfunc_end560-_ZL23rocblas_gemvt_sn_kernelILb0ELi256ELi4El16rocblas_bfloat16ffEviiT4_lPKT3_lilS4_lilPT5_i
                                        ; -- End function
	.set _ZL23rocblas_gemvt_sn_kernelILb0ELi256ELi4El16rocblas_bfloat16ffEviiT4_lPKT3_lilS4_lilPT5_i.num_vgpr, 56
	.set _ZL23rocblas_gemvt_sn_kernelILb0ELi256ELi4El16rocblas_bfloat16ffEviiT4_lPKT3_lilS4_lilPT5_i.num_agpr, 0
	.set _ZL23rocblas_gemvt_sn_kernelILb0ELi256ELi4El16rocblas_bfloat16ffEviiT4_lPKT3_lilS4_lilPT5_i.numbered_sgpr, 70
	.set _ZL23rocblas_gemvt_sn_kernelILb0ELi256ELi4El16rocblas_bfloat16ffEviiT4_lPKT3_lilS4_lilPT5_i.num_named_barrier, 0
	.set _ZL23rocblas_gemvt_sn_kernelILb0ELi256ELi4El16rocblas_bfloat16ffEviiT4_lPKT3_lilS4_lilPT5_i.private_seg_size, 0
	.set _ZL23rocblas_gemvt_sn_kernelILb0ELi256ELi4El16rocblas_bfloat16ffEviiT4_lPKT3_lilS4_lilPT5_i.uses_vcc, 1
	.set _ZL23rocblas_gemvt_sn_kernelILb0ELi256ELi4El16rocblas_bfloat16ffEviiT4_lPKT3_lilS4_lilPT5_i.uses_flat_scratch, 0
	.set _ZL23rocblas_gemvt_sn_kernelILb0ELi256ELi4El16rocblas_bfloat16ffEviiT4_lPKT3_lilS4_lilPT5_i.has_dyn_sized_stack, 0
	.set _ZL23rocblas_gemvt_sn_kernelILb0ELi256ELi4El16rocblas_bfloat16ffEviiT4_lPKT3_lilS4_lilPT5_i.has_recursion, 0
	.set _ZL23rocblas_gemvt_sn_kernelILb0ELi256ELi4El16rocblas_bfloat16ffEviiT4_lPKT3_lilS4_lilPT5_i.has_indirect_call, 0
	.section	.AMDGPU.csdata,"",@progbits
; Kernel info:
; codeLenInByte = 4648
; TotalNumSgprs: 72
; NumVgprs: 56
; ScratchSize: 0
; MemoryBound: 0
; FloatMode: 240
; IeeeMode: 1
; LDSByteSize: 128 bytes/workgroup (compile time only)
; SGPRBlocks: 0
; VGPRBlocks: 6
; NumSGPRsForWavesPerEU: 72
; NumVGPRsForWavesPerEU: 56
; Occupancy: 16
; WaveLimiterHint : 0
; COMPUTE_PGM_RSRC2:SCRATCH_EN: 0
; COMPUTE_PGM_RSRC2:USER_SGPR: 2
; COMPUTE_PGM_RSRC2:TRAP_HANDLER: 0
; COMPUTE_PGM_RSRC2:TGID_X_EN: 1
; COMPUTE_PGM_RSRC2:TGID_Y_EN: 0
; COMPUTE_PGM_RSRC2:TGID_Z_EN: 1
; COMPUTE_PGM_RSRC2:TIDIG_COMP_CNT: 0
	.section	.text._ZL23rocblas_gemvt_sn_reduceILi256ELi8Eff16rocblas_bfloat16EviT2_lPT3_lilPT1_i,"axG",@progbits,_ZL23rocblas_gemvt_sn_reduceILi256ELi8Eff16rocblas_bfloat16EviT2_lPT3_lilPT1_i,comdat
	.globl	_ZL23rocblas_gemvt_sn_reduceILi256ELi8Eff16rocblas_bfloat16EviT2_lPT3_lilPT1_i ; -- Begin function _ZL23rocblas_gemvt_sn_reduceILi256ELi8Eff16rocblas_bfloat16EviT2_lPT3_lilPT1_i
	.p2align	8
	.type	_ZL23rocblas_gemvt_sn_reduceILi256ELi8Eff16rocblas_bfloat16EviT2_lPT3_lilPT1_i,@function
_ZL23rocblas_gemvt_sn_reduceILi256ELi8Eff16rocblas_bfloat16EviT2_lPT3_lilPT1_i: ; @_ZL23rocblas_gemvt_sn_reduceILi256ELi8Eff16rocblas_bfloat16EviT2_lPT3_lilPT1_i
; %bb.0:
	s_load_b32 s26, s[0:1], 0x38
	s_lshr_b32 s12, ttmp7, 16
	s_wait_kmcnt 0x0
	s_cmp_ge_u32 s12, s26
	s_cbranch_scc1 .LBB561_32
; %bb.1:
	s_clause 0x5
	s_load_b32 s27, s[0:1], 0x44
	s_load_b32 s4, s[0:1], 0x4c
	;; [unrolled: 1-line block ×3, first 2 shown]
	s_load_b128 s[20:23], s[0:1], 0x10
	s_load_b64 s[6:7], s[0:1], 0x0
	s_load_b128 s[8:11], s[0:1], 0x28
	v_mbcnt_lo_u32_b32 v4, -1, 0
	v_and_b32_e32 v3, 31, v0
	v_dual_mov_b32 v2, 0 :: v_dual_lshlrev_b32 v7, 3, v0
	v_cmp_gt_u32_e64 s0, 32, v0
	s_delay_alu instid0(VALU_DEP_4) | instskip(NEXT) | instid1(VALU_DEP_4)
	v_cmp_gt_u32_e32 vcc_lo, 24, v4
	v_lshlrev_b32_e32 v8, 2, v3
	v_cmp_eq_u32_e64 s5, 0, v0
	v_lshl_or_b32 v9, v4, 2, 64
	s_mov_b32 s13, 0
	v_cndmask_b32_e64 v5, 0, 8, vcc_lo
	v_cmp_gt_u32_e32 vcc_lo, 28, v4
	s_and_b32 s14, ttmp7, 0xffff
	s_mov_b32 s15, s13
	s_delay_alu instid0(VALU_DEP_2)
	v_add_lshl_u32 v10, v5, v4, 2
	s_wait_alu 0xfffd
	v_cndmask_b32_e64 v6, 0, 4, vcc_lo
	v_cmp_gt_u32_e32 vcc_lo, 30, v4
	s_wait_kmcnt 0x0
	s_ashr_i32 s17, s6, 31
	s_lshl_b64 s[2:3], s[22:23], 1
	s_lshr_b32 s1, s17, 29
	s_add_nc_u64 s[18:19], s[20:21], s[2:3]
	s_add_co_i32 s1, s6, s1
	v_cmp_eq_u32_e64 s3, 0, v3
	v_lshlrev_b32_e32 v3, 5, v0
	s_and_b32 s28, s1, -8
	s_wait_alu 0xfffd
	v_cndmask_b32_e64 v12, 0, 2, vcc_lo
	v_cmp_ne_u32_e32 vcc_lo, 31, v4
	s_sub_co_i32 s2, s6, s28
	s_mov_b32 s16, s6
	s_and_b32 s33, s4, 0xffff
	v_xad_u32 v1, v0, -1, s6
	v_cmp_gt_u32_e64 s2, s2, v0
	v_lshrrev_b32_e32 v5, 3, v0
	v_cmp_gt_u32_e64 s4, 8, v0
	v_add_co_u32 v0, s6, s10, v3
	s_wait_alu 0xfffd
	v_add_co_ci_u32_e64 v13, null, 0, v4, vcc_lo
	v_add_lshl_u32 v11, v6, v4, 2
	v_add_lshl_u32 v12, v12, v4, 2
	s_wait_alu 0xf1ff
	v_add_co_ci_u32_e64 v4, null, s11, 0, s6
	s_ashr_i32 s25, s24, 31
	s_lshl_b32 s29, s33, 3
	v_add_co_u32 v3, vcc_lo, v0, 28
	s_cmp_eq_f32 s7, 0
	v_lshlrev_b64_e32 v[0:1], 2, v[1:2]
	v_cmp_gt_i32_e64 s1, s28, v7
	v_lshlrev_b32_e32 v13, 2, v13
	v_and_b32_e32 v14, 28, v5
	s_wait_alu 0xfffd
	v_add_co_ci_u32_e64 v4, null, 0, v4, vcc_lo
	s_mul_u64 s[22:23], s[24:25], s[14:15]
	s_mul_i32 s6, s12, s27
	s_cselect_b32 s30, -1, 0
	s_lshl_b64 s[20:21], s[16:17], 2
	s_wait_alu 0xfffe
	s_add_co_i32 s15, s14, s6
	s_lshl_b32 s31, s27, 16
	s_lshl_b32 s33, s33, 5
	s_lshl_b64 s[22:23], s[22:23], 1
	s_branch .LBB561_5
.LBB561_2:                              ;   in Loop: Header=BB561_5 Depth=1
	s_or_b32 exec_lo, exec_lo, s34
.LBB561_3:                              ;   in Loop: Header=BB561_5 Depth=1
	global_store_d16_hi_b16 v2, v6, s[24:25]
.LBB561_4:                              ;   in Loop: Header=BB561_5 Depth=1
	s_wait_alu 0xfffe
	s_or_b32 exec_lo, exec_lo, s6
	s_add_co_i32 s12, s12, 0x10000
	s_add_co_i32 s15, s15, s31
	s_cmp_lt_u32 s12, s26
	s_cbranch_scc0 .LBB561_32
.LBB561_5:                              ; =>This Loop Header: Depth=1
                                        ;     Child Loop BB561_15 Depth 2
	v_mov_b32_e32 v15, 0
	s_and_saveexec_b32 s24, s1
	s_cbranch_execnz .LBB561_14
; %bb.6:                                ;   in Loop: Header=BB561_5 Depth=1
	s_wait_alu 0xfffe
	s_or_b32 exec_lo, exec_lo, s24
	s_and_saveexec_b32 s6, s2
	s_cbranch_execnz .LBB561_17
.LBB561_7:                              ;   in Loop: Header=BB561_5 Depth=1
	s_wait_alu 0xfffe
	s_or_b32 exec_lo, exec_lo, s6
	s_and_saveexec_b32 s6, s0
.LBB561_8:                              ;   in Loop: Header=BB561_5 Depth=1
	ds_store_b32 v8, v2
.LBB561_9:                              ;   in Loop: Header=BB561_5 Depth=1
	s_wait_alu 0xfffe
	s_or_b32 exec_lo, exec_lo, s6
	s_wait_dscnt 0x0
	ds_bpermute_b32 v5, v9, v15
	s_wait_dscnt 0x0
	s_barrier_signal -1
	s_barrier_wait -1
	global_inv scope:SCOPE_SE
	v_add_f32_e32 v5, v15, v5
	ds_bpermute_b32 v6, v10, v5
	s_wait_dscnt 0x0
	v_add_f32_e32 v5, v5, v6
	ds_bpermute_b32 v6, v11, v5
	s_wait_dscnt 0x0
	;; [unrolled: 3-line block ×3, first 2 shown]
	v_add_f32_e32 v5, v5, v6
	ds_bpermute_b32 v6, v13, v5
	s_and_saveexec_b32 s6, s3
	s_cbranch_execz .LBB561_11
; %bb.10:                               ;   in Loop: Header=BB561_5 Depth=1
	s_wait_dscnt 0x0
	v_add_f32_e32 v5, v5, v6
	ds_store_b32 v14, v5
.LBB561_11:                             ;   in Loop: Header=BB561_5 Depth=1
	s_wait_alu 0xfffe
	s_or_b32 exec_lo, exec_lo, s6
	v_mov_b32_e32 v5, 0
	s_wait_loadcnt_dscnt 0x0
	s_barrier_signal -1
	s_barrier_wait -1
	global_inv scope:SCOPE_SE
	s_and_saveexec_b32 s6, s4
	s_cbranch_execnz .LBB561_18
; %bb.12:                               ;   in Loop: Header=BB561_5 Depth=1
	s_wait_alu 0xfffe
	s_or_b32 exec_lo, exec_lo, s6
	s_and_saveexec_b32 s6, s0
	s_cbranch_execnz .LBB561_19
.LBB561_13:                             ;   in Loop: Header=BB561_5 Depth=1
	s_wait_alu 0xfffe
	s_or_b32 exec_lo, exec_lo, s6
	s_and_saveexec_b32 s6, s5
	s_cbranch_execz .LBB561_4
	s_branch .LBB561_20
.LBB561_14:                             ;   in Loop: Header=BB561_5 Depth=1
	s_wait_dscnt 0x0
	s_wait_alu 0xfffe
	v_mad_co_u64_u32 v[5:6], null, s20, s15, v[3:4]
	s_mov_b32 s25, 0
	v_mad_co_u64_u32 v[16:17], null, s21, s15, v[6:7]
	s_delay_alu instid0(VALU_DEP_1)
	v_dual_mov_b32 v15, 0 :: v_dual_mov_b32 v6, v16
	v_mov_b32_e32 v16, v7
.LBB561_15:                             ;   Parent Loop BB561_5 Depth=1
                                        ; =>  This Inner Loop Header: Depth=2
	s_clause 0x1
	global_load_b128 v[17:20], v[5:6], off offset:-28
	global_load_b128 v[21:24], v[5:6], off offset:-12
	v_add_co_u32 v5, vcc_lo, v5, s33
	s_wait_alu 0xfffd
	v_add_co_ci_u32_e64 v6, null, 0, v6, vcc_lo
	v_add_nc_u32_e32 v16, s29, v16
	s_delay_alu instid0(VALU_DEP_1) | instskip(SKIP_4) | instid1(VALU_DEP_1)
	v_cmp_le_i32_e64 s6, s28, v16
	s_wait_alu 0xfffe
	s_or_b32 s25, s6, s25
	s_wait_loadcnt 0x1
	v_add_f32_e32 v15, v15, v17
	v_add_f32_e32 v15, v15, v18
	s_delay_alu instid0(VALU_DEP_1) | instskip(NEXT) | instid1(VALU_DEP_1)
	v_add_f32_e32 v15, v15, v19
	v_add_f32_e32 v15, v15, v20
	s_wait_loadcnt 0x0
	s_delay_alu instid0(VALU_DEP_1) | instskip(NEXT) | instid1(VALU_DEP_1)
	v_add_f32_e32 v15, v15, v21
	v_add_f32_e32 v15, v15, v22
	s_delay_alu instid0(VALU_DEP_1) | instskip(NEXT) | instid1(VALU_DEP_1)
	v_add_f32_e32 v15, v15, v23
	v_add_f32_e32 v15, v15, v24
	s_wait_alu 0xfffe
	s_and_not1_b32 exec_lo, exec_lo, s25
	s_cbranch_execnz .LBB561_15
; %bb.16:                               ;   in Loop: Header=BB561_5 Depth=1
	s_or_b32 exec_lo, exec_lo, s25
	s_delay_alu instid0(SALU_CYCLE_1)
	s_or_b32 exec_lo, exec_lo, s24
	s_and_saveexec_b32 s6, s2
	s_cbranch_execz .LBB561_7
.LBB561_17:                             ;   in Loop: Header=BB561_5 Depth=1
	s_mul_i32 s24, s27, s12
	s_mov_b32 s25, s13
	s_wait_alu 0xfffe
	s_add_co_i32 s24, s24, s14
	s_wait_alu 0xfffe
	s_mul_u64 s[24:25], s[24:25], s[16:17]
	s_wait_alu 0xfffe
	s_lshl_b64 s[24:25], s[24:25], 2
	s_wait_alu 0xfffe
	s_add_nc_u64 s[24:25], s[10:11], s[24:25]
	s_wait_dscnt 0x0
	s_wait_alu 0xfffe
	v_add_co_u32 v5, vcc_lo, s24, v0
	s_wait_alu 0xfffd
	v_add_co_ci_u32_e64 v6, null, s25, v1, vcc_lo
	global_load_b32 v5, v[5:6], off
	s_wait_loadcnt 0x0
	v_add_f32_e32 v15, v15, v5
	s_or_b32 exec_lo, exec_lo, s6
	s_and_saveexec_b32 s6, s0
	s_cbranch_execnz .LBB561_8
	s_branch .LBB561_9
.LBB561_18:                             ;   in Loop: Header=BB561_5 Depth=1
	ds_load_b32 v5, v8
	s_wait_alu 0xfffe
	s_or_b32 exec_lo, exec_lo, s6
	s_and_saveexec_b32 s6, s0
	s_cbranch_execz .LBB561_13
.LBB561_19:                             ;   in Loop: Header=BB561_5 Depth=1
	s_wait_dscnt 0x0
	ds_bpermute_b32 v6, v11, v5
	s_wait_dscnt 0x0
	v_add_f32_e32 v5, v5, v6
	ds_bpermute_b32 v6, v12, v5
	s_wait_dscnt 0x0
	v_add_f32_e32 v5, v5, v6
	;; [unrolled: 3-line block ×3, first 2 shown]
	s_wait_alu 0xfffe
	s_or_b32 exec_lo, exec_lo, s6
	s_and_saveexec_b32 s6, s5
	s_cbranch_execz .LBB561_4
.LBB561_20:                             ;   in Loop: Header=BB561_5 Depth=1
	s_and_b32 vcc_lo, exec_lo, s30
	s_wait_alu 0xfffe
	s_cbranch_vccz .LBB561_26
; %bb.21:                               ;   in Loop: Header=BB561_5 Depth=1
	s_wait_dscnt 0x0
	v_and_b32_e32 v6, 0x7f800000, v5
	s_delay_alu instid0(VALU_DEP_1)
	v_cmp_ne_u32_e32 vcc_lo, 0x7f800000, v6
                                        ; implicit-def: $vgpr6
	s_and_saveexec_b32 s24, vcc_lo
	s_wait_alu 0xfffe
	s_xor_b32 s24, exec_lo, s24
; %bb.22:                               ;   in Loop: Header=BB561_5 Depth=1
	v_bfe_u32 v6, v5, 16, 1
	s_delay_alu instid0(VALU_DEP_1)
	v_add3_u32 v6, v5, v6, 0x7fff
; %bb.23:                               ;   in Loop: Header=BB561_5 Depth=1
	s_wait_alu 0xfffe
	s_and_not1_saveexec_b32 s24, s24
; %bb.24:                               ;   in Loop: Header=BB561_5 Depth=1
	v_and_b32_e32 v6, 0xffff, v5
	v_or_b32_e32 v15, 0x10000, v5
	s_delay_alu instid0(VALU_DEP_2) | instskip(SKIP_1) | instid1(VALU_DEP_2)
	v_cmp_eq_u32_e32 vcc_lo, 0, v6
	s_wait_alu 0xfffd
	v_cndmask_b32_e32 v6, v15, v5, vcc_lo
; %bb.25:                               ;   in Loop: Header=BB561_5 Depth=1
	s_wait_alu 0xfffe
	s_or_b32 exec_lo, exec_lo, s24
	s_mov_b32 s24, 0
	s_branch .LBB561_27
.LBB561_26:                             ;   in Loop: Header=BB561_5 Depth=1
	s_mov_b32 s24, -1
                                        ; implicit-def: $vgpr6
.LBB561_27:                             ;   in Loop: Header=BB561_5 Depth=1
	s_mul_u64 s[34:35], s[8:9], s[12:13]
	s_wait_alu 0xfffe
	s_and_not1_b32 vcc_lo, exec_lo, s24
	s_lshl_b64 s[34:35], s[34:35], 1
	s_delay_alu instid0(SALU_CYCLE_1) | instskip(NEXT) | instid1(SALU_CYCLE_1)
	s_add_nc_u64 s[34:35], s[18:19], s[34:35]
	s_add_nc_u64 s[24:25], s[34:35], s[22:23]
	s_wait_alu 0xfffe
	s_cbranch_vccnz .LBB561_3
; %bb.28:                               ;   in Loop: Header=BB561_5 Depth=1
	global_load_u16 v6, v2, s[24:25]
	s_wait_loadcnt 0x0
	v_lshlrev_b32_e32 v6, 16, v6
	s_wait_dscnt 0x0
	s_delay_alu instid0(VALU_DEP_1) | instskip(NEXT) | instid1(VALU_DEP_1)
	v_fmac_f32_e32 v5, s7, v6
	v_and_b32_e32 v6, 0x7f800000, v5
	s_delay_alu instid0(VALU_DEP_1) | instskip(SKIP_1) | instid1(SALU_CYCLE_1)
	v_cmp_ne_u32_e32 vcc_lo, 0x7f800000, v6
                                        ; implicit-def: $vgpr6
	s_and_saveexec_b32 s34, vcc_lo
	s_xor_b32 s34, exec_lo, s34
; %bb.29:                               ;   in Loop: Header=BB561_5 Depth=1
	v_bfe_u32 v6, v5, 16, 1
	s_delay_alu instid0(VALU_DEP_1)
	v_add3_u32 v6, v5, v6, 0x7fff
                                        ; implicit-def: $vgpr5
; %bb.30:                               ;   in Loop: Header=BB561_5 Depth=1
	s_and_not1_saveexec_b32 s34, s34
	s_cbranch_execz .LBB561_2
; %bb.31:                               ;   in Loop: Header=BB561_5 Depth=1
	v_and_b32_e32 v6, 0xffff, v5
	v_or_b32_e32 v15, 0x10000, v5
	s_delay_alu instid0(VALU_DEP_2) | instskip(SKIP_1) | instid1(VALU_DEP_2)
	v_cmp_eq_u32_e32 vcc_lo, 0, v6
	s_wait_alu 0xfffd
	v_cndmask_b32_e32 v6, v15, v5, vcc_lo
	s_branch .LBB561_2
.LBB561_32:
	s_endpgm
	.section	.rodata,"a",@progbits
	.p2align	6, 0x0
	.amdhsa_kernel _ZL23rocblas_gemvt_sn_reduceILi256ELi8Eff16rocblas_bfloat16EviT2_lPT3_lilPT1_i
		.amdhsa_group_segment_fixed_size 128
		.amdhsa_private_segment_fixed_size 0
		.amdhsa_kernarg_size 320
		.amdhsa_user_sgpr_count 2
		.amdhsa_user_sgpr_dispatch_ptr 0
		.amdhsa_user_sgpr_queue_ptr 0
		.amdhsa_user_sgpr_kernarg_segment_ptr 1
		.amdhsa_user_sgpr_dispatch_id 0
		.amdhsa_user_sgpr_private_segment_size 0
		.amdhsa_wavefront_size32 1
		.amdhsa_uses_dynamic_stack 0
		.amdhsa_enable_private_segment 0
		.amdhsa_system_sgpr_workgroup_id_x 1
		.amdhsa_system_sgpr_workgroup_id_y 1
		.amdhsa_system_sgpr_workgroup_id_z 1
		.amdhsa_system_sgpr_workgroup_info 0
		.amdhsa_system_vgpr_workitem_id 0
		.amdhsa_next_free_vgpr 25
		.amdhsa_next_free_sgpr 36
		.amdhsa_reserve_vcc 1
		.amdhsa_float_round_mode_32 0
		.amdhsa_float_round_mode_16_64 0
		.amdhsa_float_denorm_mode_32 3
		.amdhsa_float_denorm_mode_16_64 3
		.amdhsa_fp16_overflow 0
		.amdhsa_workgroup_processor_mode 1
		.amdhsa_memory_ordered 1
		.amdhsa_forward_progress 1
		.amdhsa_inst_pref_size 12
		.amdhsa_round_robin_scheduling 0
		.amdhsa_exception_fp_ieee_invalid_op 0
		.amdhsa_exception_fp_denorm_src 0
		.amdhsa_exception_fp_ieee_div_zero 0
		.amdhsa_exception_fp_ieee_overflow 0
		.amdhsa_exception_fp_ieee_underflow 0
		.amdhsa_exception_fp_ieee_inexact 0
		.amdhsa_exception_int_div_zero 0
	.end_amdhsa_kernel
	.section	.text._ZL23rocblas_gemvt_sn_reduceILi256ELi8Eff16rocblas_bfloat16EviT2_lPT3_lilPT1_i,"axG",@progbits,_ZL23rocblas_gemvt_sn_reduceILi256ELi8Eff16rocblas_bfloat16EviT2_lPT3_lilPT1_i,comdat
.Lfunc_end561:
	.size	_ZL23rocblas_gemvt_sn_reduceILi256ELi8Eff16rocblas_bfloat16EviT2_lPT3_lilPT1_i, .Lfunc_end561-_ZL23rocblas_gemvt_sn_reduceILi256ELi8Eff16rocblas_bfloat16EviT2_lPT3_lilPT1_i
                                        ; -- End function
	.set _ZL23rocblas_gemvt_sn_reduceILi256ELi8Eff16rocblas_bfloat16EviT2_lPT3_lilPT1_i.num_vgpr, 25
	.set _ZL23rocblas_gemvt_sn_reduceILi256ELi8Eff16rocblas_bfloat16EviT2_lPT3_lilPT1_i.num_agpr, 0
	.set _ZL23rocblas_gemvt_sn_reduceILi256ELi8Eff16rocblas_bfloat16EviT2_lPT3_lilPT1_i.numbered_sgpr, 36
	.set _ZL23rocblas_gemvt_sn_reduceILi256ELi8Eff16rocblas_bfloat16EviT2_lPT3_lilPT1_i.num_named_barrier, 0
	.set _ZL23rocblas_gemvt_sn_reduceILi256ELi8Eff16rocblas_bfloat16EviT2_lPT3_lilPT1_i.private_seg_size, 0
	.set _ZL23rocblas_gemvt_sn_reduceILi256ELi8Eff16rocblas_bfloat16EviT2_lPT3_lilPT1_i.uses_vcc, 1
	.set _ZL23rocblas_gemvt_sn_reduceILi256ELi8Eff16rocblas_bfloat16EviT2_lPT3_lilPT1_i.uses_flat_scratch, 0
	.set _ZL23rocblas_gemvt_sn_reduceILi256ELi8Eff16rocblas_bfloat16EviT2_lPT3_lilPT1_i.has_dyn_sized_stack, 0
	.set _ZL23rocblas_gemvt_sn_reduceILi256ELi8Eff16rocblas_bfloat16EviT2_lPT3_lilPT1_i.has_recursion, 0
	.set _ZL23rocblas_gemvt_sn_reduceILi256ELi8Eff16rocblas_bfloat16EviT2_lPT3_lilPT1_i.has_indirect_call, 0
	.section	.AMDGPU.csdata,"",@progbits
; Kernel info:
; codeLenInByte = 1424
; TotalNumSgprs: 38
; NumVgprs: 25
; ScratchSize: 0
; MemoryBound: 0
; FloatMode: 240
; IeeeMode: 1
; LDSByteSize: 128 bytes/workgroup (compile time only)
; SGPRBlocks: 0
; VGPRBlocks: 3
; NumSGPRsForWavesPerEU: 38
; NumVGPRsForWavesPerEU: 25
; Occupancy: 16
; WaveLimiterHint : 0
; COMPUTE_PGM_RSRC2:SCRATCH_EN: 0
; COMPUTE_PGM_RSRC2:USER_SGPR: 2
; COMPUTE_PGM_RSRC2:TRAP_HANDLER: 0
; COMPUTE_PGM_RSRC2:TGID_X_EN: 1
; COMPUTE_PGM_RSRC2:TGID_Y_EN: 1
; COMPUTE_PGM_RSRC2:TGID_Z_EN: 1
; COMPUTE_PGM_RSRC2:TIDIG_COMP_CNT: 0
	.section	.text._ZL32rocblas_gemvt_warp_reduce_kernelILb0ELi256Ei16rocblas_bfloat16PKfS0_EviiT3_lPKT2_lT1_lS6_lS7_lS3_lPT4_lS7_li,"axG",@progbits,_ZL32rocblas_gemvt_warp_reduce_kernelILb0ELi256Ei16rocblas_bfloat16PKfS0_EviiT3_lPKT2_lT1_lS6_lS7_lS3_lPT4_lS7_li,comdat
	.globl	_ZL32rocblas_gemvt_warp_reduce_kernelILb0ELi256Ei16rocblas_bfloat16PKfS0_EviiT3_lPKT2_lT1_lS6_lS7_lS3_lPT4_lS7_li ; -- Begin function _ZL32rocblas_gemvt_warp_reduce_kernelILb0ELi256Ei16rocblas_bfloat16PKfS0_EviiT3_lPKT2_lT1_lS6_lS7_lS3_lPT4_lS7_li
	.p2align	8
	.type	_ZL32rocblas_gemvt_warp_reduce_kernelILb0ELi256Ei16rocblas_bfloat16PKfS0_EviiT3_lPKT2_lT1_lS6_lS7_lS3_lPT4_lS7_li,@function
_ZL32rocblas_gemvt_warp_reduce_kernelILb0ELi256Ei16rocblas_bfloat16PKfS0_EviiT3_lPKT2_lT1_lS6_lS7_lS3_lPT4_lS7_li: ; @_ZL32rocblas_gemvt_warp_reduce_kernelILb0ELi256Ei16rocblas_bfloat16PKfS0_EviiT3_lPKT2_lT1_lS6_lS7_lS3_lPT4_lS7_li
; %bb.0:
	s_load_b32 s7, s[0:1], 0x88
	s_lshr_b32 s28, ttmp7, 16
	s_wait_kmcnt 0x0
	s_cmp_ge_u32 s28, s7
	s_cbranch_scc1 .LBB562_59
; %bb.1:
	s_clause 0x7
	s_load_b96 s[4:6], s[0:1], 0x40
	s_load_b96 s[36:38], s[0:1], 0x70
	s_load_b256 s[8:15], s[0:1], 0x8
	s_load_b32 s33, s[0:1], 0x0
	s_load_b32 s39, s[0:1], 0x28
	s_load_b128 s[24:27], s[0:1], 0x30
	s_load_b256 s[16:23], s[0:1], 0x50
	s_load_b64 s[30:31], s[0:1], 0x80
	v_mov_b32_e32 v9, 0
	v_mbcnt_lo_u32_b32 v14, -1, 0
	v_cmp_eq_u32_e64 s0, 0, v0
	s_mov_b32 s29, 0
	v_lshl_or_b32 v16, v14, 2, 64
	s_wait_kmcnt 0x0
	s_lshl_b64 s[2:3], s[4:5], 1
	s_lshl_b64 s[4:5], s[36:37], 1
	;; [unrolled: 1-line block ×3, first 2 shown]
	v_cmp_gt_i32_e32 vcc_lo, s33, v0
	s_ashr_i32 s1, s33, 31
	s_add_nc_u64 s[14:15], s[26:27], s[2:3]
	s_lshr_b32 s1, s1, 24
	s_add_nc_u64 s[2:3], s[12:13], s[34:35]
	s_add_co_i32 s1, s33, s1
	v_cndmask_b32_e32 v1, 0, v0, vcc_lo
	s_and_b32 s26, s1, 0xffffff00
	s_mul_i32 s36, s38, ttmp9
	v_or_b32_e32 v2, s26, v0
	s_mul_i32 s38, s39, ttmp9
	v_lshlrev_b32_e32 v1, 1, v1
	s_ashr_i32 s39, s38, 31
	v_mul_lo_u32 v15, v0, s6
	v_mul_lo_u32 v3, s6, v2
	s_lshl_b64 s[38:39], s[38:39], 1
	v_add_co_u32 v4, s1, s2, v1
	s_delay_alu instid0(VALU_DEP_1)
	v_add_co_ci_u32_e64 v5, null, s3, 0, s1
	s_add_nc_u64 s[34:35], s[34:35], s[38:39]
	v_add_co_u32 v10, vcc_lo, v4, s38
	v_ashrrev_i32_e32 v4, 31, v3
	s_wait_alu 0xfffd
	v_add_co_ci_u32_e64 v11, null, s39, v5, vcc_lo
	v_cmp_gt_i32_e64 s2, s33, v2
	v_and_b32_e32 v2, 31, v0
	v_lshrrev_b32_e32 v5, 3, v0
	s_add_nc_u64 s[12:13], s[12:13], s[34:35]
	v_lshlrev_b64_e32 v[3:4], 1, v[3:4]
	v_add_co_u32 v1, s12, s12, v1
	s_add_nc_u64 s[22:23], s[22:23], s[4:5]
	v_cmp_gt_i32_e64 s1, s26, v0
	v_cmp_gt_u32_e64 s3, 32, v0
	v_lshlrev_b32_e32 v12, 2, v2
	v_cmp_eq_u32_e64 s4, 0, v2
	v_and_b32_e32 v13, 28, v5
	v_cmp_gt_u32_e64 s5, 8, v0
	s_wait_alu 0xf1ff
	v_add_co_ci_u32_e64 v2, null, s13, 0, s12
	s_ashr_i32 s37, s36, 31
	s_ashr_i32 s27, s26, 31
	s_lshl_b64 s[12:13], s[24:25], 1
	s_lshl_b32 s33, s6, 8
	s_lshl_b64 s[34:35], s[36:37], 1
	s_wait_alu 0xfffe
	s_lshl_b64 s[36:37], s[26:27], 1
	s_branch .LBB562_4
.LBB562_2:                              ;   in Loop: Header=BB562_4 Depth=1
	s_wait_alu 0xfffe
	s_or_b32 exec_lo, exec_lo, s6
.LBB562_3:                              ;   in Loop: Header=BB562_4 Depth=1
	s_add_co_i32 s28, s28, 0x10000
	s_wait_alu 0xfffe
	s_cmp_lt_u32 s28, s7
	s_cbranch_scc0 .LBB562_59
.LBB562_4:                              ; =>This Loop Header: Depth=1
                                        ;     Child Loop BB562_26 Depth 2
	s_mul_u64 s[38:39], s[10:11], s[28:29]
	s_mul_u64 s[40:41], s[20:21], s[28:29]
	s_wait_alu 0xfffe
	s_lshl_b64 s[38:39], s[38:39], 2
	s_lshl_b64 s[40:41], s[40:41], 2
	s_wait_alu 0xfffe
	s_add_nc_u64 s[38:39], s[8:9], s[38:39]
	s_add_nc_u64 s[40:41], s[18:19], s[40:41]
	s_clause 0x1
	global_load_b32 v17, v9, s[38:39]
	global_load_b32 v5, v9, s[40:41]
	s_wait_loadcnt 0x1
	v_cmp_eq_f32_e32 vcc_lo, 0, v17
	s_wait_loadcnt 0x0
	v_cmp_eq_f32_e64 s6, 1.0, v5
	v_readfirstlane_b32 s42, v5
	s_and_b32 s6, vcc_lo, s6
	s_wait_alu 0xfffe
	s_and_b32 vcc_lo, exec_lo, s6
	s_wait_alu 0xfffe
	s_cbranch_vccnz .LBB562_3
; %bb.5:                                ;   in Loop: Header=BB562_4 Depth=1
	v_cmp_neq_f32_e32 vcc_lo, 0, v17
	s_mul_u64 s[38:39], s[30:31], s[28:29]
	s_wait_alu 0xfffe
	s_lshl_b64 s[38:39], s[38:39], 1
	s_wait_alu 0xfffe
	s_add_nc_u64 s[38:39], s[22:23], s[38:39]
	s_cbranch_vccnz .LBB562_13
; %bb.6:                                ;   in Loop: Header=BB562_4 Depth=1
	s_mov_b32 s6, 0
	s_mov_b32 s27, 0
                                        ; implicit-def: $sgpr41
	s_and_saveexec_b32 s40, s0
	s_cbranch_execz .LBB562_14
; %bb.7:                                ;   in Loop: Header=BB562_4 Depth=1
	s_cmp_eq_f32 s42, 0
	s_cbranch_scc1 .LBB562_44
; %bb.8:                                ;   in Loop: Header=BB562_4 Depth=1
	s_wait_alu 0xfffe
	s_add_nc_u64 s[44:45], s[38:39], s[34:35]
	s_mov_b32 s43, -1
	global_load_u16 v5, v9, s[44:45]
	s_wait_loadcnt 0x0
	v_readfirstlane_b32 s27, v5
	s_lshl_b32 s27, s27, 16
	s_wait_alu 0xfffe
	s_mul_f32 s27, s42, s27
	s_wait_alu 0xfffe
	s_delay_alu instid0(SALU_CYCLE_2)
	s_and_b32 s41, s27, 0x7f800000
	s_wait_alu 0xfffe
	s_cmp_eq_u32 s41, 0x7f800000
                                        ; implicit-def: $sgpr41
	s_cbranch_scc1 .LBB562_10
; %bb.9:                                ;   in Loop: Header=BB562_4 Depth=1
	s_bfe_u32 s41, s27, 0x10010
	s_mov_b32 s43, 0
	s_wait_alu 0xfffe
	s_add_co_i32 s41, s27, s41
	s_wait_alu 0xfffe
	s_addk_co_i32 s41, 0x7fff
.LBB562_10:                             ;   in Loop: Header=BB562_4 Depth=1
	s_and_not1_b32 vcc_lo, exec_lo, s43
	s_wait_alu 0xfffe
	s_cbranch_vccnz .LBB562_12
; %bb.11:                               ;   in Loop: Header=BB562_4 Depth=1
	s_and_b32 s41, s27, 0xffff
	s_or_b32 s43, s27, 0x10000
	s_wait_alu 0xfffe
	s_cmp_eq_u32 s41, 0
	s_cselect_b32 s41, s27, s43
.LBB562_12:                             ;   in Loop: Header=BB562_4 Depth=1
	s_wait_alu 0xfffe
	s_lshr_b32 s41, s41, 16
	s_mov_b32 s27, exec_lo
	s_or_b32 exec_lo, exec_lo, s40
	s_delay_alu instid0(SALU_CYCLE_1)
	s_and_b32 vcc_lo, exec_lo, s6
	s_wait_alu 0xfffe
	s_cbranch_vccnz .LBB562_15
	s_branch .LBB562_45
.LBB562_13:                             ;   in Loop: Header=BB562_4 Depth=1
	s_mov_b32 s27, 0
                                        ; implicit-def: $sgpr41
	s_cbranch_execnz .LBB562_15
	s_branch .LBB562_45
.LBB562_14:                             ;   in Loop: Header=BB562_4 Depth=1
	s_wait_alu 0xfffe
	s_or_b32 exec_lo, exec_lo, s40
	s_delay_alu instid0(SALU_CYCLE_1)
	s_and_b32 vcc_lo, exec_lo, s6
	s_wait_alu 0xfffe
	s_cbranch_vccz .LBB562_45
.LBB562_15:                             ;   in Loop: Header=BB562_4 Depth=1
	s_mul_u64 s[40:41], s[16:17], s[28:29]
	v_mov_b32_e32 v18, 0
	s_wait_alu 0xfffe
	s_lshl_b64 s[40:41], s[40:41], 1
	s_wait_alu 0xfffe
	s_add_nc_u64 s[40:41], s[14:15], s[40:41]
	s_and_saveexec_b32 s43, s1
	s_cbranch_execnz .LBB562_24
; %bb.16:                               ;   in Loop: Header=BB562_4 Depth=1
	s_or_b32 exec_lo, exec_lo, s43
	s_and_saveexec_b32 s6, s2
	s_cbranch_execnz .LBB562_39
.LBB562_17:                             ;   in Loop: Header=BB562_4 Depth=1
	s_wait_alu 0xfffe
	s_or_b32 exec_lo, exec_lo, s6
	s_and_saveexec_b32 s6, s3
.LBB562_18:                             ;   in Loop: Header=BB562_4 Depth=1
	ds_store_b32 v12, v9
.LBB562_19:                             ;   in Loop: Header=BB562_4 Depth=1
	s_wait_alu 0xfffe
	s_or_b32 exec_lo, exec_lo, s6
	ds_bpermute_b32 v5, v16, v18
	v_cmp_gt_u32_e32 vcc_lo, 24, v14
	s_wait_dscnt 0x0
	s_barrier_signal -1
	s_barrier_wait -1
	global_inv scope:SCOPE_SE
	s_wait_alu 0xfffd
	v_cndmask_b32_e64 v6, 0, 8, vcc_lo
	v_cmp_gt_u32_e32 vcc_lo, 28, v14
	s_delay_alu instid0(VALU_DEP_2)
	v_add_lshl_u32 v6, v6, v14, 2
	v_add_f32_e32 v7, v18, v5
	s_wait_alu 0xfffd
	v_cndmask_b32_e64 v5, 0, 4, vcc_lo
	v_cmp_gt_u32_e32 vcc_lo, 30, v14
	ds_bpermute_b32 v6, v6, v7
	v_add_lshl_u32 v5, v5, v14, 2
	s_wait_dscnt 0x0
	v_add_f32_e32 v7, v7, v6
	s_wait_alu 0xfffd
	v_cndmask_b32_e64 v6, 0, 2, vcc_lo
	v_cmp_ne_u32_e32 vcc_lo, 31, v14
	ds_bpermute_b32 v8, v5, v7
	v_add_lshl_u32 v6, v6, v14, 2
	s_wait_alu 0xfffd
	v_add_co_ci_u32_e64 v18, null, 0, v14, vcc_lo
	s_wait_dscnt 0x0
	v_add_f32_e32 v7, v7, v8
	ds_bpermute_b32 v8, v6, v7
	s_wait_dscnt 0x0
	v_dual_add_f32 v8, v7, v8 :: v_dual_lshlrev_b32 v7, 2, v18
	ds_bpermute_b32 v18, v7, v8
	s_and_saveexec_b32 s6, s4
	s_cbranch_execz .LBB562_21
; %bb.20:                               ;   in Loop: Header=BB562_4 Depth=1
	s_wait_dscnt 0x0
	v_add_f32_e32 v8, v8, v18
	ds_store_b32 v13, v8
.LBB562_21:                             ;   in Loop: Header=BB562_4 Depth=1
	s_wait_alu 0xfffe
	s_or_b32 exec_lo, exec_lo, s6
	v_mov_b32_e32 v8, 0
	s_wait_loadcnt_dscnt 0x0
	s_barrier_signal -1
	s_barrier_wait -1
	global_inv scope:SCOPE_SE
	s_and_saveexec_b32 s6, s5
	s_cbranch_execnz .LBB562_30
; %bb.22:                               ;   in Loop: Header=BB562_4 Depth=1
	s_wait_alu 0xfffe
	s_or_b32 exec_lo, exec_lo, s6
	s_and_saveexec_b32 s6, s3
	s_cbranch_execnz .LBB562_31
.LBB562_23:                             ;   in Loop: Header=BB562_4 Depth=1
	s_wait_alu 0xfffe
	s_or_b32 exec_lo, exec_lo, s6
                                        ; implicit-def: $vgpr5
	s_and_saveexec_b32 s6, s0
	s_cbranch_execnz .LBB562_32
	s_branch .LBB562_57
.LBB562_24:                             ;   in Loop: Header=BB562_4 Depth=1
	v_mad_co_u64_u32 v[5:6], null, s12, s28, v[1:2]
	v_dual_mov_b32 v18, 0 :: v_dual_mov_b32 v19, v0
	s_mov_b32 s44, 0
	s_delay_alu instid0(VALU_DEP_2)
	v_mad_co_u64_u32 v[6:7], null, s13, s28, v[6:7]
	v_mov_b32_e32 v7, v15
	s_branch .LBB562_26
.LBB562_25:                             ;   in Loop: Header=BB562_26 Depth=2
	s_wait_alu 0xfffe
	s_or_b32 exec_lo, exec_lo, s6
	s_delay_alu instid0(VALU_DEP_1)
	v_and_b32_e32 v8, 0xffff0000, v20
	v_add_nc_u32_e32 v19, 0x100, v19
	v_add_co_u32 v5, s6, 0x200, v5
	s_wait_alu 0xf1ff
	v_add_co_ci_u32_e64 v6, null, 0, v6, s6
	v_add_f32_e32 v18, v18, v8
	v_cmp_le_i32_e32 vcc_lo, s26, v19
	v_add_nc_u32_e32 v7, s33, v7
	s_or_b32 s44, vcc_lo, s44
	s_wait_alu 0xfffe
	s_and_not1_b32 exec_lo, exec_lo, s44
	s_cbranch_execz .LBB562_38
.LBB562_26:                             ;   Parent Loop BB562_4 Depth=1
                                        ; =>  This Inner Loop Header: Depth=2
	s_wait_dscnt 0x0
	s_delay_alu instid0(VALU_DEP_1) | instskip(NEXT) | instid1(VALU_DEP_1)
	v_ashrrev_i32_e32 v8, 31, v7
	v_lshlrev_b64_e32 v[20:21], 1, v[7:8]
	s_wait_alu 0xfffe
	s_delay_alu instid0(VALU_DEP_1) | instskip(SKIP_1) | instid1(VALU_DEP_2)
	v_add_co_u32 v20, vcc_lo, s40, v20
	s_wait_alu 0xfffd
	v_add_co_ci_u32_e64 v21, null, s41, v21, vcc_lo
	global_load_u16 v8, v[5:6], off
	global_load_u16 v20, v[20:21], off
	s_wait_loadcnt 0x1
	v_lshlrev_b32_e32 v8, 16, v8
	s_wait_loadcnt 0x0
	v_lshlrev_b32_e32 v20, 16, v20
	s_delay_alu instid0(VALU_DEP_1) | instskip(NEXT) | instid1(VALU_DEP_1)
	v_mul_f32_e32 v8, v8, v20
	v_and_b32_e32 v20, 0x7f800000, v8
	s_delay_alu instid0(VALU_DEP_1)
	v_cmp_ne_u32_e32 vcc_lo, 0x7f800000, v20
                                        ; implicit-def: $vgpr20
	s_and_saveexec_b32 s6, vcc_lo
	s_wait_alu 0xfffe
	s_xor_b32 s6, exec_lo, s6
; %bb.27:                               ;   in Loop: Header=BB562_26 Depth=2
	v_bfe_u32 v20, v8, 16, 1
	s_delay_alu instid0(VALU_DEP_1)
	v_add3_u32 v20, v8, v20, 0x7fff
                                        ; implicit-def: $vgpr8
; %bb.28:                               ;   in Loop: Header=BB562_26 Depth=2
	s_wait_alu 0xfffe
	s_and_not1_saveexec_b32 s6, s6
	s_cbranch_execz .LBB562_25
; %bb.29:                               ;   in Loop: Header=BB562_26 Depth=2
	v_and_b32_e32 v20, 0xffff, v8
	v_or_b32_e32 v21, 0x10000, v8
	s_delay_alu instid0(VALU_DEP_2) | instskip(SKIP_1) | instid1(VALU_DEP_2)
	v_cmp_eq_u32_e32 vcc_lo, 0, v20
	s_wait_alu 0xfffd
	v_cndmask_b32_e32 v20, v21, v8, vcc_lo
	s_branch .LBB562_25
.LBB562_30:                             ;   in Loop: Header=BB562_4 Depth=1
	ds_load_b32 v8, v12
	s_wait_alu 0xfffe
	s_or_b32 exec_lo, exec_lo, s6
	s_and_saveexec_b32 s6, s3
	s_cbranch_execz .LBB562_23
.LBB562_31:                             ;   in Loop: Header=BB562_4 Depth=1
	s_wait_dscnt 0x0
	ds_bpermute_b32 v5, v5, v8
	s_wait_dscnt 0x0
	v_add_f32_e32 v5, v8, v5
	ds_bpermute_b32 v6, v6, v5
	s_wait_dscnt 0x0
	v_add_f32_e32 v5, v5, v6
	;; [unrolled: 3-line block ×3, first 2 shown]
	s_wait_alu 0xfffe
	s_or_b32 exec_lo, exec_lo, s6
                                        ; implicit-def: $vgpr5
	s_and_saveexec_b32 s6, s0
	s_cbranch_execz .LBB562_57
.LBB562_32:                             ;   in Loop: Header=BB562_4 Depth=1
	s_wait_dscnt 0x0
	v_mul_f32_e32 v5, v17, v8
	s_cmp_eq_f32 s42, 0
	s_cbranch_scc0 .LBB562_46
; %bb.33:                               ;   in Loop: Header=BB562_4 Depth=1
	s_delay_alu instid0(VALU_DEP_1) | instskip(NEXT) | instid1(VALU_DEP_1)
	v_and_b32_e32 v6, 0x7f800000, v5
	v_cmp_ne_u32_e32 vcc_lo, 0x7f800000, v6
                                        ; implicit-def: $vgpr6
	s_and_saveexec_b32 s40, vcc_lo
	s_wait_alu 0xfffe
	s_xor_b32 s40, exec_lo, s40
; %bb.34:                               ;   in Loop: Header=BB562_4 Depth=1
	v_bfe_u32 v6, v5, 16, 1
	s_delay_alu instid0(VALU_DEP_1)
	v_add3_u32 v6, v5, v6, 0x7fff
; %bb.35:                               ;   in Loop: Header=BB562_4 Depth=1
	s_wait_alu 0xfffe
	s_and_not1_saveexec_b32 s40, s40
; %bb.36:                               ;   in Loop: Header=BB562_4 Depth=1
	v_and_b32_e32 v6, 0xffff, v5
	v_or_b32_e32 v7, 0x10000, v5
	s_delay_alu instid0(VALU_DEP_2) | instskip(SKIP_1) | instid1(VALU_DEP_2)
	v_cmp_eq_u32_e32 vcc_lo, 0, v6
	s_wait_alu 0xfffd
	v_cndmask_b32_e32 v6, v7, v5, vcc_lo
; %bb.37:                               ;   in Loop: Header=BB562_4 Depth=1
	s_wait_alu 0xfffe
	s_or_b32 exec_lo, exec_lo, s40
	s_cbranch_execz .LBB562_47
	s_branch .LBB562_56
.LBB562_38:                             ;   in Loop: Header=BB562_4 Depth=1
	s_or_b32 exec_lo, exec_lo, s44
	s_delay_alu instid0(SALU_CYCLE_1)
	s_or_b32 exec_lo, exec_lo, s43
	s_and_saveexec_b32 s6, s2
	s_cbranch_execz .LBB562_17
.LBB562_39:                             ;   in Loop: Header=BB562_4 Depth=1
	s_mul_u64 s[44:45], s[24:25], s[28:29]
	s_wait_alu 0xfffe
	s_lshl_b64 s[44:45], s[44:45], 1
	s_wait_alu 0xfffe
	v_add_co_u32 v5, vcc_lo, v10, s44
	s_wait_alu 0xfffd
	v_add_co_ci_u32_e64 v6, null, s45, v11, vcc_lo
	s_delay_alu instid0(VALU_DEP_2) | instskip(SKIP_1) | instid1(VALU_DEP_2)
	v_add_co_u32 v5, vcc_lo, v5, s36
	s_wait_alu 0xfffd
	v_add_co_ci_u32_e64 v6, null, s37, v6, vcc_lo
	v_add_co_u32 v7, vcc_lo, s40, v3
	s_wait_dscnt 0x0
	s_wait_alu 0xfffd
	v_add_co_ci_u32_e64 v8, null, s41, v4, vcc_lo
	global_load_u16 v5, v[5:6], off
	global_load_u16 v6, v[7:8], off
	s_wait_loadcnt 0x1
	v_lshlrev_b32_e32 v5, 16, v5
	s_wait_loadcnt 0x0
	v_lshlrev_b32_e32 v6, 16, v6
	s_delay_alu instid0(VALU_DEP_1) | instskip(NEXT) | instid1(VALU_DEP_1)
	v_mul_f32_e32 v5, v5, v6
	v_and_b32_e32 v6, 0x7f800000, v5
	s_delay_alu instid0(VALU_DEP_1)
	v_cmp_ne_u32_e32 vcc_lo, 0x7f800000, v6
                                        ; implicit-def: $vgpr6
	s_and_saveexec_b32 s40, vcc_lo
	s_wait_alu 0xfffe
	s_xor_b32 s40, exec_lo, s40
; %bb.40:                               ;   in Loop: Header=BB562_4 Depth=1
	v_bfe_u32 v6, v5, 16, 1
	s_delay_alu instid0(VALU_DEP_1)
	v_add3_u32 v6, v5, v6, 0x7fff
                                        ; implicit-def: $vgpr5
; %bb.41:                               ;   in Loop: Header=BB562_4 Depth=1
	s_wait_alu 0xfffe
	s_and_not1_saveexec_b32 s40, s40
; %bb.42:                               ;   in Loop: Header=BB562_4 Depth=1
	v_and_b32_e32 v6, 0xffff, v5
	v_or_b32_e32 v7, 0x10000, v5
	s_delay_alu instid0(VALU_DEP_2) | instskip(SKIP_1) | instid1(VALU_DEP_2)
	v_cmp_eq_u32_e32 vcc_lo, 0, v6
	s_wait_alu 0xfffd
	v_cndmask_b32_e32 v6, v7, v5, vcc_lo
; %bb.43:                               ;   in Loop: Header=BB562_4 Depth=1
	s_wait_alu 0xfffe
	s_or_b32 exec_lo, exec_lo, s40
	s_delay_alu instid0(VALU_DEP_1) | instskip(NEXT) | instid1(VALU_DEP_1)
	v_and_b32_e32 v5, 0xffff0000, v6
	v_add_f32_e32 v18, v18, v5
	s_or_b32 exec_lo, exec_lo, s6
	s_and_saveexec_b32 s6, s3
	s_cbranch_execnz .LBB562_18
	s_branch .LBB562_19
.LBB562_44:                             ;   in Loop: Header=BB562_4 Depth=1
	s_mov_b32 s41, 0
	s_mov_b32 s27, exec_lo
	s_wait_alu 0xfffe
	s_or_b32 exec_lo, exec_lo, s40
	s_delay_alu instid0(SALU_CYCLE_1)
	s_and_b32 vcc_lo, exec_lo, s6
	s_wait_alu 0xfffe
	s_cbranch_vccnz .LBB562_15
.LBB562_45:                             ;   in Loop: Header=BB562_4 Depth=1
	v_mov_b32_e32 v5, s41
	s_wait_alu 0xfffe
	s_and_saveexec_b32 s6, s27
	s_cbranch_execz .LBB562_2
	s_branch .LBB562_58
.LBB562_46:                             ;   in Loop: Header=BB562_4 Depth=1
                                        ; implicit-def: $vgpr6
.LBB562_47:                             ;   in Loop: Header=BB562_4 Depth=1
	s_add_nc_u64 s[40:41], s[38:39], s[34:35]
	global_load_u16 v6, v9, s[40:41]
	s_wait_loadcnt 0x0
	v_readfirstlane_b32 s40, v6
	s_wait_alu 0xfffe
	s_lshl_b32 s40, s40, 16
	s_wait_alu 0xfffe
	s_mul_f32 s40, s42, s40
	s_mov_b32 s42, -1
	s_wait_alu 0xfffe
	s_delay_alu instid0(SALU_CYCLE_1)
	s_and_b32 s41, s40, 0x7f800000
	s_wait_alu 0xfffe
	s_cmp_eq_u32 s41, 0x7f800000
                                        ; implicit-def: $sgpr41
	s_cbranch_scc1 .LBB562_49
; %bb.48:                               ;   in Loop: Header=BB562_4 Depth=1
	s_bfe_u32 s41, s40, 0x10010
	s_mov_b32 s42, 0
	s_wait_alu 0xfffe
	s_add_co_i32 s41, s40, s41
	s_wait_alu 0xfffe
	s_addk_co_i32 s41, 0x7fff
.LBB562_49:                             ;   in Loop: Header=BB562_4 Depth=1
	s_and_not1_b32 vcc_lo, exec_lo, s42
	s_wait_alu 0xfffe
	s_cbranch_vccnz .LBB562_51
; %bb.50:                               ;   in Loop: Header=BB562_4 Depth=1
	s_and_b32 s41, s40, 0xffff
	s_or_b32 s42, s40, 0x10000
	s_wait_alu 0xfffe
	s_cmp_eq_u32 s41, 0
	s_cselect_b32 s41, s40, s42
.LBB562_51:                             ;   in Loop: Header=BB562_4 Depth=1
	s_wait_alu 0xfffe
	s_and_b32 s40, s41, 0xffff0000
	s_wait_alu 0xfffe
	v_add_f32_e32 v5, s40, v5
	s_delay_alu instid0(VALU_DEP_1) | instskip(NEXT) | instid1(VALU_DEP_1)
	v_and_b32_e32 v6, 0x7f800000, v5
	v_cmp_ne_u32_e32 vcc_lo, 0x7f800000, v6
                                        ; implicit-def: $vgpr6
	s_and_saveexec_b32 s40, vcc_lo
	s_wait_alu 0xfffe
	s_xor_b32 s40, exec_lo, s40
; %bb.52:                               ;   in Loop: Header=BB562_4 Depth=1
	v_bfe_u32 v6, v5, 16, 1
	s_delay_alu instid0(VALU_DEP_1)
	v_add3_u32 v6, v5, v6, 0x7fff
                                        ; implicit-def: $vgpr5
; %bb.53:                               ;   in Loop: Header=BB562_4 Depth=1
	s_wait_alu 0xfffe
	s_and_not1_saveexec_b32 s40, s40
; %bb.54:                               ;   in Loop: Header=BB562_4 Depth=1
	v_and_b32_e32 v6, 0xffff, v5
	v_or_b32_e32 v7, 0x10000, v5
	s_delay_alu instid0(VALU_DEP_2) | instskip(SKIP_1) | instid1(VALU_DEP_2)
	v_cmp_eq_u32_e32 vcc_lo, 0, v6
	s_wait_alu 0xfffd
	v_cndmask_b32_e32 v6, v7, v5, vcc_lo
; %bb.55:                               ;   in Loop: Header=BB562_4 Depth=1
	s_wait_alu 0xfffe
	s_or_b32 exec_lo, exec_lo, s40
.LBB562_56:                             ;   in Loop: Header=BB562_4 Depth=1
	s_delay_alu instid0(VALU_DEP_1)
	v_lshrrev_b32_e32 v5, 16, v6
	s_or_b32 s27, s27, exec_lo
.LBB562_57:                             ;   in Loop: Header=BB562_4 Depth=1
	s_wait_alu 0xfffe
	s_or_b32 exec_lo, exec_lo, s6
	s_and_saveexec_b32 s6, s27
	s_cbranch_execz .LBB562_2
.LBB562_58:                             ;   in Loop: Header=BB562_4 Depth=1
	s_add_nc_u64 s[38:39], s[38:39], s[34:35]
	global_store_b16 v9, v5, s[38:39]
	s_branch .LBB562_2
.LBB562_59:
	s_endpgm
	.section	.rodata,"a",@progbits
	.p2align	6, 0x0
	.amdhsa_kernel _ZL32rocblas_gemvt_warp_reduce_kernelILb0ELi256Ei16rocblas_bfloat16PKfS0_EviiT3_lPKT2_lT1_lS6_lS7_lS3_lPT4_lS7_li
		.amdhsa_group_segment_fixed_size 128
		.amdhsa_private_segment_fixed_size 0
		.amdhsa_kernarg_size 140
		.amdhsa_user_sgpr_count 2
		.amdhsa_user_sgpr_dispatch_ptr 0
		.amdhsa_user_sgpr_queue_ptr 0
		.amdhsa_user_sgpr_kernarg_segment_ptr 1
		.amdhsa_user_sgpr_dispatch_id 0
		.amdhsa_user_sgpr_private_segment_size 0
		.amdhsa_wavefront_size32 1
		.amdhsa_uses_dynamic_stack 0
		.amdhsa_enable_private_segment 0
		.amdhsa_system_sgpr_workgroup_id_x 1
		.amdhsa_system_sgpr_workgroup_id_y 0
		.amdhsa_system_sgpr_workgroup_id_z 1
		.amdhsa_system_sgpr_workgroup_info 0
		.amdhsa_system_vgpr_workitem_id 0
		.amdhsa_next_free_vgpr 22
		.amdhsa_next_free_sgpr 46
		.amdhsa_reserve_vcc 1
		.amdhsa_float_round_mode_32 0
		.amdhsa_float_round_mode_16_64 0
		.amdhsa_float_denorm_mode_32 3
		.amdhsa_float_denorm_mode_16_64 3
		.amdhsa_fp16_overflow 0
		.amdhsa_workgroup_processor_mode 1
		.amdhsa_memory_ordered 1
		.amdhsa_forward_progress 1
		.amdhsa_inst_pref_size 19
		.amdhsa_round_robin_scheduling 0
		.amdhsa_exception_fp_ieee_invalid_op 0
		.amdhsa_exception_fp_denorm_src 0
		.amdhsa_exception_fp_ieee_div_zero 0
		.amdhsa_exception_fp_ieee_overflow 0
		.amdhsa_exception_fp_ieee_underflow 0
		.amdhsa_exception_fp_ieee_inexact 0
		.amdhsa_exception_int_div_zero 0
	.end_amdhsa_kernel
	.section	.text._ZL32rocblas_gemvt_warp_reduce_kernelILb0ELi256Ei16rocblas_bfloat16PKfS0_EviiT3_lPKT2_lT1_lS6_lS7_lS3_lPT4_lS7_li,"axG",@progbits,_ZL32rocblas_gemvt_warp_reduce_kernelILb0ELi256Ei16rocblas_bfloat16PKfS0_EviiT3_lPKT2_lT1_lS6_lS7_lS3_lPT4_lS7_li,comdat
.Lfunc_end562:
	.size	_ZL32rocblas_gemvt_warp_reduce_kernelILb0ELi256Ei16rocblas_bfloat16PKfS0_EviiT3_lPKT2_lT1_lS6_lS7_lS3_lPT4_lS7_li, .Lfunc_end562-_ZL32rocblas_gemvt_warp_reduce_kernelILb0ELi256Ei16rocblas_bfloat16PKfS0_EviiT3_lPKT2_lT1_lS6_lS7_lS3_lPT4_lS7_li
                                        ; -- End function
	.set _ZL32rocblas_gemvt_warp_reduce_kernelILb0ELi256Ei16rocblas_bfloat16PKfS0_EviiT3_lPKT2_lT1_lS6_lS7_lS3_lPT4_lS7_li.num_vgpr, 22
	.set _ZL32rocblas_gemvt_warp_reduce_kernelILb0ELi256Ei16rocblas_bfloat16PKfS0_EviiT3_lPKT2_lT1_lS6_lS7_lS3_lPT4_lS7_li.num_agpr, 0
	.set _ZL32rocblas_gemvt_warp_reduce_kernelILb0ELi256Ei16rocblas_bfloat16PKfS0_EviiT3_lPKT2_lT1_lS6_lS7_lS3_lPT4_lS7_li.numbered_sgpr, 46
	.set _ZL32rocblas_gemvt_warp_reduce_kernelILb0ELi256Ei16rocblas_bfloat16PKfS0_EviiT3_lPKT2_lT1_lS6_lS7_lS3_lPT4_lS7_li.num_named_barrier, 0
	.set _ZL32rocblas_gemvt_warp_reduce_kernelILb0ELi256Ei16rocblas_bfloat16PKfS0_EviiT3_lPKT2_lT1_lS6_lS7_lS3_lPT4_lS7_li.private_seg_size, 0
	.set _ZL32rocblas_gemvt_warp_reduce_kernelILb0ELi256Ei16rocblas_bfloat16PKfS0_EviiT3_lPKT2_lT1_lS6_lS7_lS3_lPT4_lS7_li.uses_vcc, 1
	.set _ZL32rocblas_gemvt_warp_reduce_kernelILb0ELi256Ei16rocblas_bfloat16PKfS0_EviiT3_lPKT2_lT1_lS6_lS7_lS3_lPT4_lS7_li.uses_flat_scratch, 0
	.set _ZL32rocblas_gemvt_warp_reduce_kernelILb0ELi256Ei16rocblas_bfloat16PKfS0_EviiT3_lPKT2_lT1_lS6_lS7_lS3_lPT4_lS7_li.has_dyn_sized_stack, 0
	.set _ZL32rocblas_gemvt_warp_reduce_kernelILb0ELi256Ei16rocblas_bfloat16PKfS0_EviiT3_lPKT2_lT1_lS6_lS7_lS3_lPT4_lS7_li.has_recursion, 0
	.set _ZL32rocblas_gemvt_warp_reduce_kernelILb0ELi256Ei16rocblas_bfloat16PKfS0_EviiT3_lPKT2_lT1_lS6_lS7_lS3_lPT4_lS7_li.has_indirect_call, 0
	.section	.AMDGPU.csdata,"",@progbits
; Kernel info:
; codeLenInByte = 2344
; TotalNumSgprs: 48
; NumVgprs: 22
; ScratchSize: 0
; MemoryBound: 0
; FloatMode: 240
; IeeeMode: 1
; LDSByteSize: 128 bytes/workgroup (compile time only)
; SGPRBlocks: 0
; VGPRBlocks: 2
; NumSGPRsForWavesPerEU: 48
; NumVGPRsForWavesPerEU: 22
; Occupancy: 16
; WaveLimiterHint : 0
; COMPUTE_PGM_RSRC2:SCRATCH_EN: 0
; COMPUTE_PGM_RSRC2:USER_SGPR: 2
; COMPUTE_PGM_RSRC2:TRAP_HANDLER: 0
; COMPUTE_PGM_RSRC2:TGID_X_EN: 1
; COMPUTE_PGM_RSRC2:TGID_Y_EN: 0
; COMPUTE_PGM_RSRC2:TGID_Z_EN: 1
; COMPUTE_PGM_RSRC2:TIDIG_COMP_CNT: 0
	.section	.text._ZL32rocblas_gemvt_warp_reduce_kernelILb0ELi256El16rocblas_bfloat16PKfS0_EviiT3_lPKT2_lT1_lS6_lS7_lS3_lPT4_lS7_li,"axG",@progbits,_ZL32rocblas_gemvt_warp_reduce_kernelILb0ELi256El16rocblas_bfloat16PKfS0_EviiT3_lPKT2_lT1_lS6_lS7_lS3_lPT4_lS7_li,comdat
	.globl	_ZL32rocblas_gemvt_warp_reduce_kernelILb0ELi256El16rocblas_bfloat16PKfS0_EviiT3_lPKT2_lT1_lS6_lS7_lS3_lPT4_lS7_li ; -- Begin function _ZL32rocblas_gemvt_warp_reduce_kernelILb0ELi256El16rocblas_bfloat16PKfS0_EviiT3_lPKT2_lT1_lS6_lS7_lS3_lPT4_lS7_li
	.p2align	8
	.type	_ZL32rocblas_gemvt_warp_reduce_kernelILb0ELi256El16rocblas_bfloat16PKfS0_EviiT3_lPKT2_lT1_lS6_lS7_lS3_lPT4_lS7_li,@function
_ZL32rocblas_gemvt_warp_reduce_kernelILb0ELi256El16rocblas_bfloat16PKfS0_EviiT3_lPKT2_lT1_lS6_lS7_lS3_lPT4_lS7_li: ; @_ZL32rocblas_gemvt_warp_reduce_kernelILb0ELi256El16rocblas_bfloat16PKfS0_EviiT3_lPKT2_lT1_lS6_lS7_lS3_lPT4_lS7_li
; %bb.0:
	s_load_b32 s7, s[0:1], 0x88
	s_lshr_b32 s24, ttmp7, 16
	s_wait_kmcnt 0x0
	s_cmp_ge_u32 s24, s7
	s_cbranch_scc1 .LBB563_59
; %bb.1:
	s_clause 0x2
	s_load_b512 s[8:23], s[0:1], 0x8
	s_load_b512 s[36:51], s[0:1], 0x48
	s_load_b32 s6, s[0:1], 0x0
	s_mov_b32 s2, ttmp9
	s_ashr_i32 s3, ttmp9, 31
	v_mbcnt_lo_u32_b32 v16, -1, 0
	v_cmp_eq_u32_e64 s0, 0, v0
	s_mov_b32 s25, 0
	v_lshl_or_b32 v17, v16, 2, 64
	s_wait_kmcnt 0x0
	s_lshl_b64 s[4:5], s[22:23], 1
	s_lshl_b64 s[26:27], s[14:15], 1
	v_cmp_gt_i32_e32 vcc_lo, s6, v0
	s_ashr_i32 s1, s6, 31
	v_mad_co_u64_u32 v[1:2], null, s36, v0, 0
	s_lshr_b32 s1, s1, 24
	v_cndmask_b32_e32 v3, 0, v0, vcc_lo
	s_add_nc_u64 s[14:15], s[20:21], s[4:5]
	s_add_nc_u64 s[4:5], s[12:13], s[26:27]
	s_add_co_i32 s1, s6, s1
	s_lshl_b64 s[22:23], s[46:47], 1
	v_lshlrev_b32_e32 v7, 1, v3
	s_and_b32 s20, s1, 0xffffff00
	s_mul_u64 s[28:29], s[48:49], s[2:3]
	s_mul_u64 s[2:3], s[16:17], s[2:3]
	v_or_b32_e32 v4, s20, v0
	v_add_co_u32 v3, s1, s4, v7
	s_delay_alu instid0(VALU_DEP_1)
	v_add_co_ci_u32_e64 v5, null, s5, 0, s1
	s_add_nc_u64 s[16:17], s[44:45], s[22:23]
	s_lshl_b64 s[22:23], s[2:3], 1
	v_mul_lo_u32 v8, s37, v4
	v_add_co_u32 v12, vcc_lo, v3, s22
	v_mad_co_u64_u32 v[2:3], null, s37, v0, v[2:3]
	s_wait_alu 0xfffd
	v_add_co_ci_u32_e64 v13, null, s23, v5, vcc_lo
	v_mad_co_u64_u32 v[5:6], null, s36, v4, 0
	v_and_b32_e32 v3, 31, v0
	v_cmp_gt_i32_e64 s2, s6, v4
	v_lshrrev_b32_e32 v4, 3, v0
	s_ashr_i32 s21, s20, 31
	v_dual_mov_b32 v11, 0 :: v_dual_lshlrev_b32 v14, 2, v3
	s_wait_alu 0xfffe
	s_mul_i32 s3, s36, s21
	v_cmp_eq_u32_e64 s4, 0, v3
	v_and_b32_e32 v15, 28, v4
	v_lshlrev_b64_e32 v[3:4], 1, v[1:2]
	v_add3_u32 v6, v6, s3, v8
	s_add_nc_u64 s[22:23], s[22:23], s[26:27]
	v_cmp_gt_i32_e64 s1, s20, v0
	s_wait_alu 0xfffe
	s_add_nc_u64 s[12:13], s[12:13], s[22:23]
	v_cmp_gt_u32_e64 s3, 32, v0
	v_add_co_u32 v1, s6, s12, v7
	v_add_co_u32 v3, vcc_lo, s14, v3
	v_lshlrev_b64_e32 v[5:6], 1, v[5:6]
	v_cmp_gt_u32_e64 s5, 8, v0
	s_wait_alu 0xf1ff
	v_add_co_ci_u32_e64 v2, null, s13, 0, s6
	s_wait_alu 0xfffd
	v_add_co_ci_u32_e64 v4, null, s15, v4, vcc_lo
	s_lshl_b64 s[12:13], s[18:19], 1
	s_lshl_b64 s[22:23], s[38:39], 1
	;; [unrolled: 1-line block ×4, first 2 shown]
	s_branch .LBB563_4
.LBB563_2:                              ;   in Loop: Header=BB563_4 Depth=1
	s_wait_alu 0xfffe
	s_or_b32 exec_lo, exec_lo, s6
.LBB563_3:                              ;   in Loop: Header=BB563_4 Depth=1
	s_add_co_i32 s24, s24, 0x10000
	s_wait_alu 0xfffe
	s_cmp_lt_u32 s24, s7
	s_cbranch_scc0 .LBB563_59
.LBB563_4:                              ; =>This Loop Header: Depth=1
                                        ;     Child Loop BB563_26 Depth 2
	s_mul_u64 s[30:31], s[10:11], s[24:25]
	s_mul_u64 s[34:35], s[42:43], s[24:25]
	s_lshl_b64 s[30:31], s[30:31], 2
	s_wait_alu 0xfffe
	s_lshl_b64 s[34:35], s[34:35], 2
	s_add_nc_u64 s[30:31], s[8:9], s[30:31]
	s_wait_alu 0xfffe
	s_add_nc_u64 s[34:35], s[40:41], s[34:35]
	s_clause 0x1
	global_load_b32 v18, v11, s[30:31]
	global_load_b32 v7, v11, s[34:35]
	s_wait_loadcnt 0x1
	v_cmp_eq_f32_e32 vcc_lo, 0, v18
	s_wait_loadcnt 0x0
	v_cmp_eq_f32_e64 s6, 1.0, v7
	v_readfirstlane_b32 s34, v7
	s_and_b32 s6, vcc_lo, s6
	s_wait_alu 0xfffe
	s_and_b32 vcc_lo, exec_lo, s6
	s_wait_alu 0xfffe
	s_cbranch_vccnz .LBB563_3
; %bb.5:                                ;   in Loop: Header=BB563_4 Depth=1
	v_cmp_neq_f32_e32 vcc_lo, 0, v18
	s_mul_u64 s[30:31], s[50:51], s[24:25]
	s_delay_alu instid0(SALU_CYCLE_1) | instskip(NEXT) | instid1(SALU_CYCLE_1)
	s_lshl_b64 s[30:31], s[30:31], 1
	s_add_nc_u64 s[30:31], s[16:17], s[30:31]
	s_cbranch_vccnz .LBB563_13
; %bb.6:                                ;   in Loop: Header=BB563_4 Depth=1
	s_mov_b32 s6, 0
	s_mov_b32 s33, 0
                                        ; implicit-def: $sgpr36
	s_and_saveexec_b32 s35, s0
	s_cbranch_execz .LBB563_14
; %bb.7:                                ;   in Loop: Header=BB563_4 Depth=1
	s_cmp_eq_f32 s34, 0
	s_cbranch_scc1 .LBB563_44
; %bb.8:                                ;   in Loop: Header=BB563_4 Depth=1
	s_add_nc_u64 s[36:37], s[30:31], s[28:29]
	global_load_u16 v7, v11, s[36:37]
	s_mov_b32 s37, -1
	s_wait_loadcnt 0x0
	v_readfirstlane_b32 s33, v7
	s_lshl_b32 s33, s33, 16
	s_delay_alu instid0(SALU_CYCLE_1) | instskip(NEXT) | instid1(SALU_CYCLE_3)
	s_mul_f32 s33, s34, s33
	s_and_b32 s36, s33, 0x7f800000
	s_wait_alu 0xfffe
	s_cmp_eq_u32 s36, 0x7f800000
                                        ; implicit-def: $sgpr36
	s_cbranch_scc1 .LBB563_10
; %bb.9:                                ;   in Loop: Header=BB563_4 Depth=1
	s_bfe_u32 s36, s33, 0x10010
	s_mov_b32 s37, 0
	s_wait_alu 0xfffe
	s_add_co_i32 s36, s33, s36
	s_wait_alu 0xfffe
	s_addk_co_i32 s36, 0x7fff
.LBB563_10:                             ;   in Loop: Header=BB563_4 Depth=1
	s_and_not1_b32 vcc_lo, exec_lo, s37
	s_wait_alu 0xfffe
	s_cbranch_vccnz .LBB563_12
; %bb.11:                               ;   in Loop: Header=BB563_4 Depth=1
	s_and_b32 s36, s33, 0xffff
	s_or_b32 s37, s33, 0x10000
	s_wait_alu 0xfffe
	s_cmp_eq_u32 s36, 0
	s_cselect_b32 s36, s33, s37
.LBB563_12:                             ;   in Loop: Header=BB563_4 Depth=1
	s_wait_alu 0xfffe
	s_lshr_b32 s36, s36, 16
	s_mov_b32 s33, exec_lo
	s_or_b32 exec_lo, exec_lo, s35
	s_delay_alu instid0(SALU_CYCLE_1)
	s_and_b32 vcc_lo, exec_lo, s6
	s_wait_alu 0xfffe
	s_cbranch_vccnz .LBB563_15
	s_branch .LBB563_45
.LBB563_13:                             ;   in Loop: Header=BB563_4 Depth=1
	s_mov_b32 s33, 0
                                        ; implicit-def: $sgpr36
	s_cbranch_execnz .LBB563_15
	s_branch .LBB563_45
.LBB563_14:                             ;   in Loop: Header=BB563_4 Depth=1
	s_wait_alu 0xfffe
	s_or_b32 exec_lo, exec_lo, s35
	s_delay_alu instid0(SALU_CYCLE_1)
	s_and_b32 vcc_lo, exec_lo, s6
	s_wait_alu 0xfffe
	s_cbranch_vccz .LBB563_45
.LBB563_15:                             ;   in Loop: Header=BB563_4 Depth=1
	v_mov_b32_e32 v19, 0
	s_and_saveexec_b32 s35, s1
	s_cbranch_execnz .LBB563_24
; %bb.16:                               ;   in Loop: Header=BB563_4 Depth=1
	s_wait_alu 0xfffe
	s_or_b32 exec_lo, exec_lo, s35
	s_and_saveexec_b32 s6, s2
	s_cbranch_execnz .LBB563_39
.LBB563_17:                             ;   in Loop: Header=BB563_4 Depth=1
	s_wait_alu 0xfffe
	s_or_b32 exec_lo, exec_lo, s6
	s_and_saveexec_b32 s6, s3
.LBB563_18:                             ;   in Loop: Header=BB563_4 Depth=1
	ds_store_b32 v14, v11
.LBB563_19:                             ;   in Loop: Header=BB563_4 Depth=1
	s_wait_alu 0xfffe
	s_or_b32 exec_lo, exec_lo, s6
	ds_bpermute_b32 v7, v17, v19
	v_cmp_gt_u32_e32 vcc_lo, 24, v16
	s_wait_dscnt 0x0
	s_barrier_signal -1
	s_barrier_wait -1
	global_inv scope:SCOPE_SE
	s_wait_alu 0xfffd
	v_cndmask_b32_e64 v8, 0, 8, vcc_lo
	v_cmp_gt_u32_e32 vcc_lo, 28, v16
	s_delay_alu instid0(VALU_DEP_2)
	v_add_lshl_u32 v8, v8, v16, 2
	v_add_f32_e32 v9, v19, v7
	s_wait_alu 0xfffd
	v_cndmask_b32_e64 v7, 0, 4, vcc_lo
	v_cmp_gt_u32_e32 vcc_lo, 30, v16
	ds_bpermute_b32 v8, v8, v9
	v_add_lshl_u32 v7, v7, v16, 2
	s_wait_dscnt 0x0
	v_add_f32_e32 v9, v9, v8
	s_wait_alu 0xfffd
	v_cndmask_b32_e64 v8, 0, 2, vcc_lo
	v_cmp_ne_u32_e32 vcc_lo, 31, v16
	ds_bpermute_b32 v10, v7, v9
	v_add_lshl_u32 v8, v8, v16, 2
	s_wait_alu 0xfffd
	v_add_co_ci_u32_e64 v19, null, 0, v16, vcc_lo
	s_wait_dscnt 0x0
	v_add_f32_e32 v9, v9, v10
	ds_bpermute_b32 v10, v8, v9
	s_wait_dscnt 0x0
	v_dual_add_f32 v10, v9, v10 :: v_dual_lshlrev_b32 v9, 2, v19
	ds_bpermute_b32 v19, v9, v10
	s_and_saveexec_b32 s6, s4
	s_cbranch_execz .LBB563_21
; %bb.20:                               ;   in Loop: Header=BB563_4 Depth=1
	s_wait_dscnt 0x0
	v_add_f32_e32 v10, v10, v19
	ds_store_b32 v15, v10
.LBB563_21:                             ;   in Loop: Header=BB563_4 Depth=1
	s_wait_alu 0xfffe
	s_or_b32 exec_lo, exec_lo, s6
	v_mov_b32_e32 v10, 0
	s_wait_loadcnt_dscnt 0x0
	s_barrier_signal -1
	s_barrier_wait -1
	global_inv scope:SCOPE_SE
	s_and_saveexec_b32 s6, s5
	s_cbranch_execnz .LBB563_30
; %bb.22:                               ;   in Loop: Header=BB563_4 Depth=1
	s_wait_alu 0xfffe
	s_or_b32 exec_lo, exec_lo, s6
	s_and_saveexec_b32 s6, s3
	s_cbranch_execnz .LBB563_31
.LBB563_23:                             ;   in Loop: Header=BB563_4 Depth=1
	s_wait_alu 0xfffe
	s_or_b32 exec_lo, exec_lo, s6
                                        ; implicit-def: $vgpr7
	s_and_saveexec_b32 s6, s0
	s_cbranch_execnz .LBB563_32
	s_branch .LBB563_57
.LBB563_24:                             ;   in Loop: Header=BB563_4 Depth=1
	v_mad_co_u64_u32 v[7:8], null, s12, s24, v[1:2]
	s_wait_dscnt 0x0
	v_mad_co_u64_u32 v[9:10], null, s22, s24, v[3:4]
	s_mov_b32 s36, 0
	v_mad_co_u64_u32 v[20:21], null, s13, s24, v[8:9]
	v_mad_co_u64_u32 v[21:22], null, s23, s24, v[10:11]
	s_delay_alu instid0(VALU_DEP_2) | instskip(SKIP_1) | instid1(VALU_DEP_3)
	v_dual_mov_b32 v19, 0 :: v_dual_mov_b32 v8, v20
	v_mov_b32_e32 v20, v0
	v_mov_b32_e32 v10, v21
	s_branch .LBB563_26
.LBB563_25:                             ;   in Loop: Header=BB563_26 Depth=2
	s_wait_alu 0xfffe
	s_or_b32 exec_lo, exec_lo, s6
	s_delay_alu instid0(VALU_DEP_1)
	v_and_b32_e32 v21, 0xffff0000, v22
	v_add_nc_u32_e32 v20, 0x100, v20
	v_add_co_u32 v7, vcc_lo, 0x200, v7
	s_wait_alu 0xfffd
	v_add_co_ci_u32_e64 v8, null, 0, v8, vcc_lo
	v_add_f32_e32 v19, v19, v21
	v_cmp_le_i32_e32 vcc_lo, s20, v20
	v_add_co_u32 v9, s6, v9, s26
	s_wait_alu 0xf1ff
	v_add_co_ci_u32_e64 v10, null, s27, v10, s6
	s_or_b32 s36, vcc_lo, s36
	s_wait_alu 0xfffe
	s_and_not1_b32 exec_lo, exec_lo, s36
	s_cbranch_execz .LBB563_38
.LBB563_26:                             ;   Parent Loop BB563_4 Depth=1
                                        ; =>  This Inner Loop Header: Depth=2
	global_load_u16 v21, v[9:10], off
	global_load_u16 v22, v[7:8], off
	s_wait_loadcnt 0x1
	v_lshlrev_b32_e32 v21, 16, v21
	s_wait_loadcnt 0x0
	v_lshlrev_b32_e32 v22, 16, v22
	s_delay_alu instid0(VALU_DEP_1) | instskip(NEXT) | instid1(VALU_DEP_1)
	v_mul_f32_e32 v21, v22, v21
	v_and_b32_e32 v22, 0x7f800000, v21
	s_delay_alu instid0(VALU_DEP_1)
	v_cmp_ne_u32_e32 vcc_lo, 0x7f800000, v22
                                        ; implicit-def: $vgpr22
	s_and_saveexec_b32 s6, vcc_lo
	s_wait_alu 0xfffe
	s_xor_b32 s6, exec_lo, s6
; %bb.27:                               ;   in Loop: Header=BB563_26 Depth=2
	v_bfe_u32 v22, v21, 16, 1
	s_delay_alu instid0(VALU_DEP_1)
	v_add3_u32 v22, v21, v22, 0x7fff
                                        ; implicit-def: $vgpr21
; %bb.28:                               ;   in Loop: Header=BB563_26 Depth=2
	s_wait_alu 0xfffe
	s_and_not1_saveexec_b32 s6, s6
	s_cbranch_execz .LBB563_25
; %bb.29:                               ;   in Loop: Header=BB563_26 Depth=2
	v_and_b32_e32 v22, 0xffff, v21
	v_or_b32_e32 v23, 0x10000, v21
	s_delay_alu instid0(VALU_DEP_2) | instskip(SKIP_1) | instid1(VALU_DEP_2)
	v_cmp_eq_u32_e32 vcc_lo, 0, v22
	s_wait_alu 0xfffd
	v_cndmask_b32_e32 v22, v23, v21, vcc_lo
	s_branch .LBB563_25
.LBB563_30:                             ;   in Loop: Header=BB563_4 Depth=1
	ds_load_b32 v10, v14
	s_wait_alu 0xfffe
	s_or_b32 exec_lo, exec_lo, s6
	s_and_saveexec_b32 s6, s3
	s_cbranch_execz .LBB563_23
.LBB563_31:                             ;   in Loop: Header=BB563_4 Depth=1
	s_wait_dscnt 0x0
	ds_bpermute_b32 v7, v7, v10
	s_wait_dscnt 0x0
	v_add_f32_e32 v7, v10, v7
	ds_bpermute_b32 v8, v8, v7
	s_wait_dscnt 0x0
	v_add_f32_e32 v7, v7, v8
	;; [unrolled: 3-line block ×3, first 2 shown]
	s_wait_alu 0xfffe
	s_or_b32 exec_lo, exec_lo, s6
                                        ; implicit-def: $vgpr7
	s_and_saveexec_b32 s6, s0
	s_cbranch_execz .LBB563_57
.LBB563_32:                             ;   in Loop: Header=BB563_4 Depth=1
	s_wait_dscnt 0x0
	v_mul_f32_e32 v7, v18, v10
	s_cmp_eq_f32 s34, 0
	s_cbranch_scc0 .LBB563_46
; %bb.33:                               ;   in Loop: Header=BB563_4 Depth=1
	s_delay_alu instid0(VALU_DEP_1) | instskip(NEXT) | instid1(VALU_DEP_1)
	v_and_b32_e32 v8, 0x7f800000, v7
	v_cmp_ne_u32_e32 vcc_lo, 0x7f800000, v8
                                        ; implicit-def: $vgpr8
	s_and_saveexec_b32 s35, vcc_lo
	s_wait_alu 0xfffe
	s_xor_b32 s35, exec_lo, s35
; %bb.34:                               ;   in Loop: Header=BB563_4 Depth=1
	v_bfe_u32 v8, v7, 16, 1
	s_delay_alu instid0(VALU_DEP_1)
	v_add3_u32 v8, v7, v8, 0x7fff
; %bb.35:                               ;   in Loop: Header=BB563_4 Depth=1
	s_wait_alu 0xfffe
	s_and_not1_saveexec_b32 s35, s35
; %bb.36:                               ;   in Loop: Header=BB563_4 Depth=1
	v_and_b32_e32 v8, 0xffff, v7
	v_or_b32_e32 v9, 0x10000, v7
	s_delay_alu instid0(VALU_DEP_2) | instskip(SKIP_1) | instid1(VALU_DEP_2)
	v_cmp_eq_u32_e32 vcc_lo, 0, v8
	s_wait_alu 0xfffd
	v_cndmask_b32_e32 v8, v9, v7, vcc_lo
; %bb.37:                               ;   in Loop: Header=BB563_4 Depth=1
	s_wait_alu 0xfffe
	s_or_b32 exec_lo, exec_lo, s35
	s_cbranch_execz .LBB563_47
	s_branch .LBB563_56
.LBB563_38:                             ;   in Loop: Header=BB563_4 Depth=1
	s_or_b32 exec_lo, exec_lo, s36
	s_delay_alu instid0(SALU_CYCLE_1)
	s_or_b32 exec_lo, exec_lo, s35
	s_and_saveexec_b32 s6, s2
	s_cbranch_execz .LBB563_17
.LBB563_39:                             ;   in Loop: Header=BB563_4 Depth=1
	s_mul_u64 s[36:37], s[18:19], s[24:25]
	s_mul_u64 s[44:45], s[38:39], s[24:25]
	s_wait_alu 0xfffe
	s_lshl_b64 s[36:37], s[36:37], 1
	s_lshl_b64 s[44:45], s[44:45], 1
	s_wait_alu 0xfffe
	v_add_co_u32 v9, vcc_lo, v12, s36
	s_wait_dscnt 0x0
	s_wait_alu 0xfffd
	v_add_co_ci_u32_e64 v10, null, s37, v13, vcc_lo
	s_add_nc_u64 s[36:37], s[14:15], s[44:45]
	s_lshl_b64 s[44:45], s[20:21], 1
	s_wait_alu 0xfffe
	v_add_co_u32 v7, vcc_lo, s36, v5
	s_wait_alu 0xfffd
	v_add_co_ci_u32_e64 v8, null, s37, v6, vcc_lo
	v_add_co_u32 v9, vcc_lo, v9, s44
	s_wait_alu 0xfffd
	v_add_co_ci_u32_e64 v10, null, s45, v10, vcc_lo
	global_load_u16 v7, v[7:8], off
	global_load_u16 v8, v[9:10], off
	s_wait_loadcnt 0x1
	v_lshlrev_b32_e32 v7, 16, v7
	s_wait_loadcnt 0x0
	v_lshlrev_b32_e32 v8, 16, v8
	s_delay_alu instid0(VALU_DEP_1) | instskip(NEXT) | instid1(VALU_DEP_1)
	v_mul_f32_e32 v7, v8, v7
	v_and_b32_e32 v8, 0x7f800000, v7
	s_delay_alu instid0(VALU_DEP_1)
	v_cmp_ne_u32_e32 vcc_lo, 0x7f800000, v8
                                        ; implicit-def: $vgpr8
	s_and_saveexec_b32 s35, vcc_lo
	s_wait_alu 0xfffe
	s_xor_b32 s35, exec_lo, s35
; %bb.40:                               ;   in Loop: Header=BB563_4 Depth=1
	v_bfe_u32 v8, v7, 16, 1
	s_delay_alu instid0(VALU_DEP_1)
	v_add3_u32 v8, v7, v8, 0x7fff
                                        ; implicit-def: $vgpr7
; %bb.41:                               ;   in Loop: Header=BB563_4 Depth=1
	s_wait_alu 0xfffe
	s_and_not1_saveexec_b32 s35, s35
; %bb.42:                               ;   in Loop: Header=BB563_4 Depth=1
	v_and_b32_e32 v8, 0xffff, v7
	v_or_b32_e32 v9, 0x10000, v7
	s_delay_alu instid0(VALU_DEP_2) | instskip(SKIP_1) | instid1(VALU_DEP_2)
	v_cmp_eq_u32_e32 vcc_lo, 0, v8
	s_wait_alu 0xfffd
	v_cndmask_b32_e32 v8, v9, v7, vcc_lo
; %bb.43:                               ;   in Loop: Header=BB563_4 Depth=1
	s_wait_alu 0xfffe
	s_or_b32 exec_lo, exec_lo, s35
	s_delay_alu instid0(VALU_DEP_1) | instskip(NEXT) | instid1(VALU_DEP_1)
	v_and_b32_e32 v7, 0xffff0000, v8
	v_add_f32_e32 v19, v19, v7
	s_or_b32 exec_lo, exec_lo, s6
	s_and_saveexec_b32 s6, s3
	s_cbranch_execnz .LBB563_18
	s_branch .LBB563_19
.LBB563_44:                             ;   in Loop: Header=BB563_4 Depth=1
	s_mov_b32 s36, 0
	s_mov_b32 s33, exec_lo
	s_wait_alu 0xfffe
	s_or_b32 exec_lo, exec_lo, s35
	s_delay_alu instid0(SALU_CYCLE_1)
	s_and_b32 vcc_lo, exec_lo, s6
	s_wait_alu 0xfffe
	s_cbranch_vccnz .LBB563_15
.LBB563_45:                             ;   in Loop: Header=BB563_4 Depth=1
	v_mov_b32_e32 v7, s36
	s_and_saveexec_b32 s6, s33
	s_cbranch_execz .LBB563_2
	s_branch .LBB563_58
.LBB563_46:                             ;   in Loop: Header=BB563_4 Depth=1
                                        ; implicit-def: $vgpr8
.LBB563_47:                             ;   in Loop: Header=BB563_4 Depth=1
	s_add_nc_u64 s[36:37], s[30:31], s[28:29]
	global_load_u16 v8, v11, s[36:37]
	s_mov_b32 s36, -1
	s_wait_loadcnt 0x0
	v_readfirstlane_b32 s35, v8
	s_lshl_b32 s35, s35, 16
	s_wait_alu 0xfffe
	s_mul_f32 s34, s34, s35
	s_wait_alu 0xfffe
	s_delay_alu instid0(SALU_CYCLE_2)
	s_and_b32 s35, s34, 0x7f800000
	s_wait_alu 0xfffe
	s_cmp_eq_u32 s35, 0x7f800000
                                        ; implicit-def: $sgpr35
	s_cbranch_scc1 .LBB563_49
; %bb.48:                               ;   in Loop: Header=BB563_4 Depth=1
	s_bfe_u32 s35, s34, 0x10010
	s_mov_b32 s36, 0
	s_wait_alu 0xfffe
	s_add_co_i32 s35, s34, s35
	s_wait_alu 0xfffe
	s_addk_co_i32 s35, 0x7fff
.LBB563_49:                             ;   in Loop: Header=BB563_4 Depth=1
	s_wait_alu 0xfffe
	s_and_not1_b32 vcc_lo, exec_lo, s36
	s_wait_alu 0xfffe
	s_cbranch_vccnz .LBB563_51
; %bb.50:                               ;   in Loop: Header=BB563_4 Depth=1
	s_and_b32 s35, s34, 0xffff
	s_or_b32 s36, s34, 0x10000
	s_wait_alu 0xfffe
	s_cmp_eq_u32 s35, 0
	s_cselect_b32 s35, s34, s36
.LBB563_51:                             ;   in Loop: Header=BB563_4 Depth=1
	s_wait_alu 0xfffe
	s_and_b32 s34, s35, 0xffff0000
	s_wait_alu 0xfffe
	v_add_f32_e32 v7, s34, v7
	s_delay_alu instid0(VALU_DEP_1) | instskip(NEXT) | instid1(VALU_DEP_1)
	v_and_b32_e32 v8, 0x7f800000, v7
	v_cmp_ne_u32_e32 vcc_lo, 0x7f800000, v8
                                        ; implicit-def: $vgpr8
	s_and_saveexec_b32 s34, vcc_lo
	s_wait_alu 0xfffe
	s_xor_b32 s34, exec_lo, s34
; %bb.52:                               ;   in Loop: Header=BB563_4 Depth=1
	v_bfe_u32 v8, v7, 16, 1
	s_delay_alu instid0(VALU_DEP_1)
	v_add3_u32 v8, v7, v8, 0x7fff
                                        ; implicit-def: $vgpr7
; %bb.53:                               ;   in Loop: Header=BB563_4 Depth=1
	s_wait_alu 0xfffe
	s_and_not1_saveexec_b32 s34, s34
; %bb.54:                               ;   in Loop: Header=BB563_4 Depth=1
	v_and_b32_e32 v8, 0xffff, v7
	v_or_b32_e32 v9, 0x10000, v7
	s_delay_alu instid0(VALU_DEP_2) | instskip(SKIP_1) | instid1(VALU_DEP_2)
	v_cmp_eq_u32_e32 vcc_lo, 0, v8
	s_wait_alu 0xfffd
	v_cndmask_b32_e32 v8, v9, v7, vcc_lo
; %bb.55:                               ;   in Loop: Header=BB563_4 Depth=1
	s_wait_alu 0xfffe
	s_or_b32 exec_lo, exec_lo, s34
.LBB563_56:                             ;   in Loop: Header=BB563_4 Depth=1
	s_delay_alu instid0(VALU_DEP_1)
	v_lshrrev_b32_e32 v7, 16, v8
	s_or_b32 s33, s33, exec_lo
.LBB563_57:                             ;   in Loop: Header=BB563_4 Depth=1
	s_wait_alu 0xfffe
	s_or_b32 exec_lo, exec_lo, s6
	s_and_saveexec_b32 s6, s33
	s_cbranch_execz .LBB563_2
.LBB563_58:                             ;   in Loop: Header=BB563_4 Depth=1
	s_add_nc_u64 s[30:31], s[30:31], s[28:29]
	global_store_b16 v11, v7, s[30:31]
	s_branch .LBB563_2
.LBB563_59:
	s_endpgm
	.section	.rodata,"a",@progbits
	.p2align	6, 0x0
	.amdhsa_kernel _ZL32rocblas_gemvt_warp_reduce_kernelILb0ELi256El16rocblas_bfloat16PKfS0_EviiT3_lPKT2_lT1_lS6_lS7_lS3_lPT4_lS7_li
		.amdhsa_group_segment_fixed_size 128
		.amdhsa_private_segment_fixed_size 0
		.amdhsa_kernarg_size 140
		.amdhsa_user_sgpr_count 2
		.amdhsa_user_sgpr_dispatch_ptr 0
		.amdhsa_user_sgpr_queue_ptr 0
		.amdhsa_user_sgpr_kernarg_segment_ptr 1
		.amdhsa_user_sgpr_dispatch_id 0
		.amdhsa_user_sgpr_private_segment_size 0
		.amdhsa_wavefront_size32 1
		.amdhsa_uses_dynamic_stack 0
		.amdhsa_enable_private_segment 0
		.amdhsa_system_sgpr_workgroup_id_x 1
		.amdhsa_system_sgpr_workgroup_id_y 0
		.amdhsa_system_sgpr_workgroup_id_z 1
		.amdhsa_system_sgpr_workgroup_info 0
		.amdhsa_system_vgpr_workitem_id 0
		.amdhsa_next_free_vgpr 24
		.amdhsa_next_free_sgpr 52
		.amdhsa_reserve_vcc 1
		.amdhsa_float_round_mode_32 0
		.amdhsa_float_round_mode_16_64 0
		.amdhsa_float_denorm_mode_32 3
		.amdhsa_float_denorm_mode_16_64 3
		.amdhsa_fp16_overflow 0
		.amdhsa_workgroup_processor_mode 1
		.amdhsa_memory_ordered 1
		.amdhsa_forward_progress 1
		.amdhsa_inst_pref_size 19
		.amdhsa_round_robin_scheduling 0
		.amdhsa_exception_fp_ieee_invalid_op 0
		.amdhsa_exception_fp_denorm_src 0
		.amdhsa_exception_fp_ieee_div_zero 0
		.amdhsa_exception_fp_ieee_overflow 0
		.amdhsa_exception_fp_ieee_underflow 0
		.amdhsa_exception_fp_ieee_inexact 0
		.amdhsa_exception_int_div_zero 0
	.end_amdhsa_kernel
	.section	.text._ZL32rocblas_gemvt_warp_reduce_kernelILb0ELi256El16rocblas_bfloat16PKfS0_EviiT3_lPKT2_lT1_lS6_lS7_lS3_lPT4_lS7_li,"axG",@progbits,_ZL32rocblas_gemvt_warp_reduce_kernelILb0ELi256El16rocblas_bfloat16PKfS0_EviiT3_lPKT2_lT1_lS6_lS7_lS3_lPT4_lS7_li,comdat
.Lfunc_end563:
	.size	_ZL32rocblas_gemvt_warp_reduce_kernelILb0ELi256El16rocblas_bfloat16PKfS0_EviiT3_lPKT2_lT1_lS6_lS7_lS3_lPT4_lS7_li, .Lfunc_end563-_ZL32rocblas_gemvt_warp_reduce_kernelILb0ELi256El16rocblas_bfloat16PKfS0_EviiT3_lPKT2_lT1_lS6_lS7_lS3_lPT4_lS7_li
                                        ; -- End function
	.set _ZL32rocblas_gemvt_warp_reduce_kernelILb0ELi256El16rocblas_bfloat16PKfS0_EviiT3_lPKT2_lT1_lS6_lS7_lS3_lPT4_lS7_li.num_vgpr, 24
	.set _ZL32rocblas_gemvt_warp_reduce_kernelILb0ELi256El16rocblas_bfloat16PKfS0_EviiT3_lPKT2_lT1_lS6_lS7_lS3_lPT4_lS7_li.num_agpr, 0
	.set _ZL32rocblas_gemvt_warp_reduce_kernelILb0ELi256El16rocblas_bfloat16PKfS0_EviiT3_lPKT2_lT1_lS6_lS7_lS3_lPT4_lS7_li.numbered_sgpr, 52
	.set _ZL32rocblas_gemvt_warp_reduce_kernelILb0ELi256El16rocblas_bfloat16PKfS0_EviiT3_lPKT2_lT1_lS6_lS7_lS3_lPT4_lS7_li.num_named_barrier, 0
	.set _ZL32rocblas_gemvt_warp_reduce_kernelILb0ELi256El16rocblas_bfloat16PKfS0_EviiT3_lPKT2_lT1_lS6_lS7_lS3_lPT4_lS7_li.private_seg_size, 0
	.set _ZL32rocblas_gemvt_warp_reduce_kernelILb0ELi256El16rocblas_bfloat16PKfS0_EviiT3_lPKT2_lT1_lS6_lS7_lS3_lPT4_lS7_li.uses_vcc, 1
	.set _ZL32rocblas_gemvt_warp_reduce_kernelILb0ELi256El16rocblas_bfloat16PKfS0_EviiT3_lPKT2_lT1_lS6_lS7_lS3_lPT4_lS7_li.uses_flat_scratch, 0
	.set _ZL32rocblas_gemvt_warp_reduce_kernelILb0ELi256El16rocblas_bfloat16PKfS0_EviiT3_lPKT2_lT1_lS6_lS7_lS3_lPT4_lS7_li.has_dyn_sized_stack, 0
	.set _ZL32rocblas_gemvt_warp_reduce_kernelILb0ELi256El16rocblas_bfloat16PKfS0_EviiT3_lPKT2_lT1_lS6_lS7_lS3_lPT4_lS7_li.has_recursion, 0
	.set _ZL32rocblas_gemvt_warp_reduce_kernelILb0ELi256El16rocblas_bfloat16PKfS0_EviiT3_lPKT2_lT1_lS6_lS7_lS3_lPT4_lS7_li.has_indirect_call, 0
	.section	.AMDGPU.csdata,"",@progbits
; Kernel info:
; codeLenInByte = 2332
; TotalNumSgprs: 54
; NumVgprs: 24
; ScratchSize: 0
; MemoryBound: 0
; FloatMode: 240
; IeeeMode: 1
; LDSByteSize: 128 bytes/workgroup (compile time only)
; SGPRBlocks: 0
; VGPRBlocks: 2
; NumSGPRsForWavesPerEU: 54
; NumVGPRsForWavesPerEU: 24
; Occupancy: 16
; WaveLimiterHint : 0
; COMPUTE_PGM_RSRC2:SCRATCH_EN: 0
; COMPUTE_PGM_RSRC2:USER_SGPR: 2
; COMPUTE_PGM_RSRC2:TRAP_HANDLER: 0
; COMPUTE_PGM_RSRC2:TGID_X_EN: 1
; COMPUTE_PGM_RSRC2:TGID_Y_EN: 0
; COMPUTE_PGM_RSRC2:TGID_Z_EN: 1
; COMPUTE_PGM_RSRC2:TIDIG_COMP_CNT: 0
	.section	.text._ZL32rocblas_gemvt_warp_reduce_kernelILb0ELi256Ei16rocblas_bfloat16fS0_EviiT3_lPKT2_lT1_lS4_lS5_lS1_lPT4_lS5_li,"axG",@progbits,_ZL32rocblas_gemvt_warp_reduce_kernelILb0ELi256Ei16rocblas_bfloat16fS0_EviiT3_lPKT2_lT1_lS4_lS5_lS1_lPT4_lS5_li,comdat
	.globl	_ZL32rocblas_gemvt_warp_reduce_kernelILb0ELi256Ei16rocblas_bfloat16fS0_EviiT3_lPKT2_lT1_lS4_lS5_lS1_lPT4_lS5_li ; -- Begin function _ZL32rocblas_gemvt_warp_reduce_kernelILb0ELi256Ei16rocblas_bfloat16fS0_EviiT3_lPKT2_lT1_lS4_lS5_lS1_lPT4_lS5_li
	.p2align	8
	.type	_ZL32rocblas_gemvt_warp_reduce_kernelILb0ELi256Ei16rocblas_bfloat16fS0_EviiT3_lPKT2_lT1_lS4_lS5_lS1_lPT4_lS5_li,@function
_ZL32rocblas_gemvt_warp_reduce_kernelILb0ELi256Ei16rocblas_bfloat16fS0_EviiT3_lPKT2_lT1_lS4_lS5_lS1_lPT4_lS5_li: ; @_ZL32rocblas_gemvt_warp_reduce_kernelILb0ELi256Ei16rocblas_bfloat16fS0_EviiT3_lPKT2_lT1_lS4_lS5_lS1_lPT4_lS5_li
; %bb.0:
	s_load_b32 s19, s[0:1], 0x88
	s_lshr_b32 s24, ttmp7, 16
	s_wait_kmcnt 0x0
	s_cmp_ge_u32 s24, s19
	s_cbranch_scc1 .LBB564_59
; %bb.1:
	s_clause 0x7
	s_load_b96 s[20:22], s[0:1], 0x40
	s_load_b128 s[12:15], s[0:1], 0x68
	s_load_b128 s[4:7], s[0:1], 0x18
	s_load_b32 s33, s[0:1], 0x8
	s_load_b96 s[16:18], s[0:1], 0x50
	s_load_b32 s23, s[0:1], 0x0
	s_load_b32 s31, s[0:1], 0x28
	;; [unrolled: 1-line block ×3, first 2 shown]
	v_and_b32_e32 v1, 31, v0
	v_lshrrev_b32_e32 v2, 3, v0
	v_mov_b32_e32 v9, 0
	v_mbcnt_lo_u32_b32 v15, -1, 0
	v_cmp_gt_u32_e64 s2, 8, v0
	v_lshlrev_b32_e32 v10, 2, v1
	v_and_b32_e32 v11, 28, v2
	s_mov_b32 s25, 0
	v_lshl_or_b32 v16, v15, 2, 64
	s_wait_kmcnt 0x0
	s_lshl_b64 s[20:21], s[20:21], 1
	s_lshl_b64 s[26:27], s[14:15], 1
	;; [unrolled: 1-line block ×3, first 2 shown]
	s_cmp_eq_f32 s33, 0
	s_clause 0x1
	s_load_b128 s[8:11], s[0:1], 0x30
	s_load_b64 s[14:15], s[0:1], 0x80
	v_cmp_gt_i32_e32 vcc_lo, s23, v0
	s_add_nc_u64 s[12:13], s[12:13], s[26:27]
	s_cselect_b32 s7, -1, 0
	s_cmp_neq_f32 s33, 0
	s_add_nc_u64 s[26:27], s[4:5], s[28:29]
	s_mul_i32 s34, s31, ttmp9
	v_mul_lo_u32 v14, v0, s22
	s_cselect_b32 s3, -1, 0
	s_cmp_neq_f32 s18, 1.0
	s_mul_i32 s30, s30, ttmp9
	v_cmp_eq_u32_e64 s0, 0, v0
	v_cmp_gt_u32_e64 s1, 32, v0
	s_cselect_b32 s6, -1, 0
	s_delay_alu instid0(SALU_CYCLE_1)
	s_or_b32 s36, s3, s6
	s_cmp_neq_f32 s18, 0
	v_cmp_eq_u32_e64 s3, 0, v1
	v_cndmask_b32_e32 v1, 0, v0, vcc_lo
	s_wait_kmcnt 0x0
	s_add_nc_u64 s[10:11], s[10:11], s[20:21]
	s_cselect_b32 s37, -1, 0
	s_cmp_eq_f32 s18, 0
	v_lshlrev_b32_e32 v1, 1, v1
	s_cselect_b32 s38, -1, 0
	s_ashr_i32 s6, s23, 31
	s_ashr_i32 s35, s34, 31
	s_lshr_b32 s6, s6, 24
	s_ashr_i32 s31, s30, 31
	s_add_co_i32 s6, s23, s6
	s_lshl_b32 s39, s22, 8
	s_and_b32 s20, s6, 0xffffff00
	v_add_co_u32 v4, s6, s26, v1
	v_or_b32_e32 v2, s20, v0
	v_add_co_ci_u32_e64 v5, null, s27, 0, s6
	s_lshl_b64 s[26:27], s[34:35], 1
	s_ashr_i32 s21, s20, 31
	v_mul_lo_u32 v3, s22, v2
	s_wait_alu 0xfffe
	s_add_nc_u64 s[28:29], s[28:29], s[26:27]
	v_add_co_u32 v12, vcc_lo, v4, s26
	s_wait_alu 0xfffd
	v_add_co_ci_u32_e64 v13, null, s27, v5, vcc_lo
	s_add_nc_u64 s[26:27], s[4:5], s[28:29]
	v_cmp_gt_i32_e64 s4, s20, v0
	v_ashrrev_i32_e32 v4, 31, v3
	s_wait_alu 0xfffe
	v_add_co_u32 v1, s6, s26, v1
	v_cmp_gt_i32_e64 s5, s23, v2
	s_wait_alu 0xf1ff
	v_add_co_ci_u32_e64 v2, null, s27, 0, s6
	v_lshlrev_b64_e32 v[3:4], 1, v[3:4]
	s_lshl_b64 s[26:27], s[8:9], 1
	s_lshl_b64 s[22:23], s[30:31], 1
	;; [unrolled: 1-line block ×3, first 2 shown]
	s_branch .LBB564_4
.LBB564_2:                              ;   in Loop: Header=BB564_4 Depth=1
	s_wait_alu 0xfffe
	s_or_b32 exec_lo, exec_lo, s6
.LBB564_3:                              ;   in Loop: Header=BB564_4 Depth=1
	s_add_co_i32 s24, s24, 0x10000
	s_wait_alu 0xfffe
	s_cmp_lt_u32 s24, s19
	s_cbranch_scc0 .LBB564_59
.LBB564_4:                              ; =>This Loop Header: Depth=1
                                        ;     Child Loop BB564_26 Depth 2
	s_and_not1_b32 vcc_lo, exec_lo, s36
	s_wait_alu 0xfffe
	s_cbranch_vccnz .LBB564_3
; %bb.5:                                ;   in Loop: Header=BB564_4 Depth=1
	s_mul_u64 s[30:31], s[14:15], s[24:25]
	s_and_not1_b32 vcc_lo, exec_lo, s7
	s_lshl_b64 s[30:31], s[30:31], 1
	s_delay_alu instid0(SALU_CYCLE_1)
	s_add_nc_u64 s[30:31], s[12:13], s[30:31]
	s_wait_alu 0xfffe
	s_cbranch_vccnz .LBB564_13
; %bb.6:                                ;   in Loop: Header=BB564_4 Depth=1
	s_mov_b32 s6, 0
	s_mov_b32 s21, 0
                                        ; implicit-def: $sgpr35
	s_and_saveexec_b32 s34, s0
	s_cbranch_execz .LBB564_14
; %bb.7:                                ;   in Loop: Header=BB564_4 Depth=1
	s_and_not1_b32 vcc_lo, exec_lo, s37
	s_wait_alu 0xfffe
	s_cbranch_vccnz .LBB564_56
; %bb.8:                                ;   in Loop: Header=BB564_4 Depth=1
	s_add_nc_u64 s[40:41], s[30:31], s[22:23]
	global_load_u16 v5, v9, s[40:41]
	s_mov_b32 s40, -1
	s_wait_loadcnt 0x0
	v_readfirstlane_b32 s21, v5
	s_lshl_b32 s21, s21, 16
	s_wait_alu 0xfffe
	s_mul_f32 s21, s18, s21
	s_wait_alu 0xfffe
	s_delay_alu instid0(SALU_CYCLE_2)
	s_and_b32 s35, s21, 0x7f800000
	s_wait_alu 0xfffe
	s_cmp_eq_u32 s35, 0x7f800000
                                        ; implicit-def: $sgpr35
	s_cbranch_scc1 .LBB564_10
; %bb.9:                                ;   in Loop: Header=BB564_4 Depth=1
	s_bfe_u32 s35, s21, 0x10010
	s_mov_b32 s40, 0
	s_wait_alu 0xfffe
	s_add_co_i32 s35, s21, s35
	s_wait_alu 0xfffe
	s_addk_co_i32 s35, 0x7fff
.LBB564_10:                             ;   in Loop: Header=BB564_4 Depth=1
	s_and_not1_b32 vcc_lo, exec_lo, s40
	s_wait_alu 0xfffe
	s_cbranch_vccnz .LBB564_12
; %bb.11:                               ;   in Loop: Header=BB564_4 Depth=1
	s_and_b32 s35, s21, 0xffff
	s_or_b32 s40, s21, 0x10000
	s_wait_alu 0xfffe
	s_cmp_eq_u32 s35, 0
	s_cselect_b32 s35, s21, s40
.LBB564_12:                             ;   in Loop: Header=BB564_4 Depth=1
	s_wait_alu 0xfffe
	s_lshr_b32 s35, s35, 16
	s_mov_b32 s21, exec_lo
	s_or_b32 exec_lo, exec_lo, s34
	s_delay_alu instid0(SALU_CYCLE_1)
	s_and_b32 vcc_lo, exec_lo, s6
	s_wait_alu 0xfffe
	s_cbranch_vccnz .LBB564_15
	s_branch .LBB564_57
.LBB564_13:                             ;   in Loop: Header=BB564_4 Depth=1
	s_mov_b32 s21, 0
                                        ; implicit-def: $sgpr35
	s_cbranch_execnz .LBB564_15
	s_branch .LBB564_57
.LBB564_14:                             ;   in Loop: Header=BB564_4 Depth=1
	s_wait_alu 0xfffe
	s_or_b32 exec_lo, exec_lo, s34
	s_delay_alu instid0(SALU_CYCLE_1)
	s_and_b32 vcc_lo, exec_lo, s6
	s_wait_alu 0xfffe
	s_cbranch_vccz .LBB564_57
.LBB564_15:                             ;   in Loop: Header=BB564_4 Depth=1
	s_mul_u64 s[34:35], s[16:17], s[24:25]
	v_mov_b32_e32 v17, 0
	s_wait_alu 0xfffe
	s_lshl_b64 s[34:35], s[34:35], 1
	s_wait_alu 0xfffe
	s_add_nc_u64 s[34:35], s[10:11], s[34:35]
	s_and_saveexec_b32 s40, s4
	s_cbranch_execnz .LBB564_24
; %bb.16:                               ;   in Loop: Header=BB564_4 Depth=1
	s_wait_alu 0xfffe
	s_or_b32 exec_lo, exec_lo, s40
	s_and_saveexec_b32 s6, s5
	s_cbranch_execnz .LBB564_51
.LBB564_17:                             ;   in Loop: Header=BB564_4 Depth=1
	s_wait_alu 0xfffe
	s_or_b32 exec_lo, exec_lo, s6
	s_and_saveexec_b32 s6, s1
.LBB564_18:                             ;   in Loop: Header=BB564_4 Depth=1
	ds_store_b32 v10, v9
.LBB564_19:                             ;   in Loop: Header=BB564_4 Depth=1
	s_wait_alu 0xfffe
	s_or_b32 exec_lo, exec_lo, s6
	ds_bpermute_b32 v5, v16, v17
	v_cmp_gt_u32_e32 vcc_lo, 24, v15
	s_wait_dscnt 0x0
	s_barrier_signal -1
	s_barrier_wait -1
	global_inv scope:SCOPE_SE
	s_wait_alu 0xfffd
	v_cndmask_b32_e64 v6, 0, 8, vcc_lo
	v_cmp_gt_u32_e32 vcc_lo, 28, v15
	s_delay_alu instid0(VALU_DEP_2)
	v_add_lshl_u32 v6, v6, v15, 2
	v_add_f32_e32 v7, v17, v5
	s_wait_alu 0xfffd
	v_cndmask_b32_e64 v5, 0, 4, vcc_lo
	v_cmp_gt_u32_e32 vcc_lo, 30, v15
	ds_bpermute_b32 v6, v6, v7
	v_add_lshl_u32 v5, v5, v15, 2
	s_wait_dscnt 0x0
	v_add_f32_e32 v7, v7, v6
	s_wait_alu 0xfffd
	v_cndmask_b32_e64 v6, 0, 2, vcc_lo
	v_cmp_ne_u32_e32 vcc_lo, 31, v15
	ds_bpermute_b32 v8, v5, v7
	v_add_lshl_u32 v6, v6, v15, 2
	s_wait_alu 0xfffd
	v_add_co_ci_u32_e64 v17, null, 0, v15, vcc_lo
	s_wait_dscnt 0x0
	v_add_f32_e32 v7, v7, v8
	ds_bpermute_b32 v8, v6, v7
	s_wait_dscnt 0x0
	v_dual_add_f32 v8, v7, v8 :: v_dual_lshlrev_b32 v7, 2, v17
	ds_bpermute_b32 v17, v7, v8
	s_and_saveexec_b32 s6, s3
	s_cbranch_execz .LBB564_21
; %bb.20:                               ;   in Loop: Header=BB564_4 Depth=1
	s_wait_dscnt 0x0
	v_add_f32_e32 v8, v8, v17
	ds_store_b32 v11, v8
.LBB564_21:                             ;   in Loop: Header=BB564_4 Depth=1
	s_wait_alu 0xfffe
	s_or_b32 exec_lo, exec_lo, s6
	v_mov_b32_e32 v8, 0
	s_wait_loadcnt_dscnt 0x0
	s_barrier_signal -1
	s_barrier_wait -1
	global_inv scope:SCOPE_SE
	s_and_saveexec_b32 s6, s2
	s_cbranch_execnz .LBB564_30
; %bb.22:                               ;   in Loop: Header=BB564_4 Depth=1
	s_wait_alu 0xfffe
	s_or_b32 exec_lo, exec_lo, s6
	s_and_saveexec_b32 s6, s1
	s_cbranch_execnz .LBB564_31
.LBB564_23:                             ;   in Loop: Header=BB564_4 Depth=1
	s_wait_alu 0xfffe
	s_or_b32 exec_lo, exec_lo, s6
                                        ; implicit-def: $vgpr5
	s_and_saveexec_b32 s6, s0
	s_cbranch_execnz .LBB564_32
	s_branch .LBB564_49
.LBB564_24:                             ;   in Loop: Header=BB564_4 Depth=1
	v_mad_co_u64_u32 v[5:6], null, s26, s24, v[1:2]
	v_dual_mov_b32 v17, 0 :: v_dual_mov_b32 v18, v0
	s_mov_b32 s41, 0
	s_delay_alu instid0(VALU_DEP_2)
	v_mad_co_u64_u32 v[6:7], null, s27, s24, v[6:7]
	v_mov_b32_e32 v7, v14
	s_branch .LBB564_26
.LBB564_25:                             ;   in Loop: Header=BB564_26 Depth=2
	s_wait_alu 0xfffe
	s_or_b32 exec_lo, exec_lo, s6
	s_delay_alu instid0(VALU_DEP_1)
	v_and_b32_e32 v8, 0xffff0000, v19
	v_add_nc_u32_e32 v18, 0x100, v18
	v_add_co_u32 v5, s6, 0x200, v5
	s_wait_alu 0xf1ff
	v_add_co_ci_u32_e64 v6, null, 0, v6, s6
	v_add_f32_e32 v17, v17, v8
	v_cmp_le_i32_e32 vcc_lo, s20, v18
	v_add_nc_u32_e32 v7, s39, v7
	s_or_b32 s41, vcc_lo, s41
	s_wait_alu 0xfffe
	s_and_not1_b32 exec_lo, exec_lo, s41
	s_cbranch_execz .LBB564_50
.LBB564_26:                             ;   Parent Loop BB564_4 Depth=1
                                        ; =>  This Inner Loop Header: Depth=2
	s_wait_dscnt 0x0
	s_delay_alu instid0(VALU_DEP_1) | instskip(NEXT) | instid1(VALU_DEP_1)
	v_ashrrev_i32_e32 v8, 31, v7
	v_lshlrev_b64_e32 v[19:20], 1, v[7:8]
	s_wait_alu 0xfffe
	s_delay_alu instid0(VALU_DEP_1) | instskip(SKIP_1) | instid1(VALU_DEP_2)
	v_add_co_u32 v19, vcc_lo, s34, v19
	s_wait_alu 0xfffd
	v_add_co_ci_u32_e64 v20, null, s35, v20, vcc_lo
	global_load_u16 v8, v[5:6], off
	global_load_u16 v19, v[19:20], off
	s_wait_loadcnt 0x1
	v_lshlrev_b32_e32 v8, 16, v8
	s_wait_loadcnt 0x0
	v_lshlrev_b32_e32 v19, 16, v19
	s_delay_alu instid0(VALU_DEP_1) | instskip(NEXT) | instid1(VALU_DEP_1)
	v_mul_f32_e32 v8, v8, v19
	v_and_b32_e32 v19, 0x7f800000, v8
	s_delay_alu instid0(VALU_DEP_1)
	v_cmp_ne_u32_e32 vcc_lo, 0x7f800000, v19
                                        ; implicit-def: $vgpr19
	s_and_saveexec_b32 s6, vcc_lo
	s_wait_alu 0xfffe
	s_xor_b32 s6, exec_lo, s6
; %bb.27:                               ;   in Loop: Header=BB564_26 Depth=2
	v_bfe_u32 v19, v8, 16, 1
	s_delay_alu instid0(VALU_DEP_1)
	v_add3_u32 v19, v8, v19, 0x7fff
                                        ; implicit-def: $vgpr8
; %bb.28:                               ;   in Loop: Header=BB564_26 Depth=2
	s_wait_alu 0xfffe
	s_and_not1_saveexec_b32 s6, s6
	s_cbranch_execz .LBB564_25
; %bb.29:                               ;   in Loop: Header=BB564_26 Depth=2
	v_and_b32_e32 v19, 0xffff, v8
	v_or_b32_e32 v20, 0x10000, v8
	s_delay_alu instid0(VALU_DEP_2) | instskip(SKIP_1) | instid1(VALU_DEP_2)
	v_cmp_eq_u32_e32 vcc_lo, 0, v19
	s_wait_alu 0xfffd
	v_cndmask_b32_e32 v19, v20, v8, vcc_lo
	s_branch .LBB564_25
.LBB564_30:                             ;   in Loop: Header=BB564_4 Depth=1
	ds_load_b32 v8, v10
	s_wait_alu 0xfffe
	s_or_b32 exec_lo, exec_lo, s6
	s_and_saveexec_b32 s6, s1
	s_cbranch_execz .LBB564_23
.LBB564_31:                             ;   in Loop: Header=BB564_4 Depth=1
	s_wait_dscnt 0x0
	ds_bpermute_b32 v5, v5, v8
	s_wait_dscnt 0x0
	v_add_f32_e32 v5, v8, v5
	ds_bpermute_b32 v6, v6, v5
	s_wait_dscnt 0x0
	v_add_f32_e32 v5, v5, v6
	;; [unrolled: 3-line block ×3, first 2 shown]
	s_wait_alu 0xfffe
	s_or_b32 exec_lo, exec_lo, s6
                                        ; implicit-def: $vgpr5
	s_and_saveexec_b32 s6, s0
	s_cbranch_execz .LBB564_49
.LBB564_32:                             ;   in Loop: Header=BB564_4 Depth=1
	s_wait_dscnt 0x0
	v_mul_f32_e32 v5, s33, v8
	s_and_b32 vcc_lo, exec_lo, s38
	s_mov_b32 s34, -1
                                        ; implicit-def: $vgpr6
	s_wait_alu 0xfffe
	s_cbranch_vccz .LBB564_38
; %bb.33:                               ;   in Loop: Header=BB564_4 Depth=1
	v_and_b32_e32 v6, 0x7f800000, v5
	s_delay_alu instid0(VALU_DEP_1)
	v_cmp_ne_u32_e32 vcc_lo, 0x7f800000, v6
                                        ; implicit-def: $vgpr6
	s_and_saveexec_b32 s34, vcc_lo
	s_wait_alu 0xfffe
	s_xor_b32 s34, exec_lo, s34
; %bb.34:                               ;   in Loop: Header=BB564_4 Depth=1
	v_bfe_u32 v6, v5, 16, 1
	s_delay_alu instid0(VALU_DEP_1)
	v_add3_u32 v6, v5, v6, 0x7fff
; %bb.35:                               ;   in Loop: Header=BB564_4 Depth=1
	s_wait_alu 0xfffe
	s_and_not1_saveexec_b32 s34, s34
; %bb.36:                               ;   in Loop: Header=BB564_4 Depth=1
	v_and_b32_e32 v6, 0xffff, v5
	v_or_b32_e32 v7, 0x10000, v5
	s_delay_alu instid0(VALU_DEP_2) | instskip(SKIP_1) | instid1(VALU_DEP_2)
	v_cmp_eq_u32_e32 vcc_lo, 0, v6
	s_wait_alu 0xfffd
	v_cndmask_b32_e32 v6, v7, v5, vcc_lo
; %bb.37:                               ;   in Loop: Header=BB564_4 Depth=1
	s_wait_alu 0xfffe
	s_or_b32 exec_lo, exec_lo, s34
	s_mov_b32 s34, 0
.LBB564_38:                             ;   in Loop: Header=BB564_4 Depth=1
	s_wait_alu 0xfffe
	s_and_not1_b32 vcc_lo, exec_lo, s34
	s_wait_alu 0xfffe
	s_cbranch_vccnz .LBB564_48
; %bb.39:                               ;   in Loop: Header=BB564_4 Depth=1
	s_add_nc_u64 s[34:35], s[30:31], s[22:23]
	s_mov_b32 s40, -1
	global_load_u16 v6, v9, s[34:35]
	s_wait_loadcnt 0x0
	v_readfirstlane_b32 s34, v6
	s_wait_alu 0xfffe
	s_lshl_b32 s34, s34, 16
	s_wait_alu 0xfffe
	s_mul_f32 s34, s18, s34
	s_wait_alu 0xfffe
	s_delay_alu instid0(SALU_CYCLE_2)
	s_and_b32 s35, s34, 0x7f800000
	s_wait_alu 0xfffe
	s_cmp_eq_u32 s35, 0x7f800000
                                        ; implicit-def: $sgpr35
	s_cbranch_scc1 .LBB564_41
; %bb.40:                               ;   in Loop: Header=BB564_4 Depth=1
	s_bfe_u32 s35, s34, 0x10010
	s_mov_b32 s40, 0
	s_wait_alu 0xfffe
	s_add_co_i32 s35, s34, s35
	s_wait_alu 0xfffe
	s_addk_co_i32 s35, 0x7fff
.LBB564_41:                             ;   in Loop: Header=BB564_4 Depth=1
	s_and_not1_b32 vcc_lo, exec_lo, s40
	s_wait_alu 0xfffe
	s_cbranch_vccnz .LBB564_43
; %bb.42:                               ;   in Loop: Header=BB564_4 Depth=1
	s_and_b32 s35, s34, 0xffff
	s_or_b32 s40, s34, 0x10000
	s_wait_alu 0xfffe
	s_cmp_eq_u32 s35, 0
	s_cselect_b32 s35, s34, s40
.LBB564_43:                             ;   in Loop: Header=BB564_4 Depth=1
	s_wait_alu 0xfffe
	s_and_b32 s34, s35, 0xffff0000
	s_wait_alu 0xfffe
	v_add_f32_e32 v5, s34, v5
	s_delay_alu instid0(VALU_DEP_1) | instskip(NEXT) | instid1(VALU_DEP_1)
	v_and_b32_e32 v6, 0x7f800000, v5
	v_cmp_ne_u32_e32 vcc_lo, 0x7f800000, v6
                                        ; implicit-def: $vgpr6
	s_and_saveexec_b32 s34, vcc_lo
	s_wait_alu 0xfffe
	s_xor_b32 s34, exec_lo, s34
; %bb.44:                               ;   in Loop: Header=BB564_4 Depth=1
	v_bfe_u32 v6, v5, 16, 1
	s_delay_alu instid0(VALU_DEP_1)
	v_add3_u32 v6, v5, v6, 0x7fff
                                        ; implicit-def: $vgpr5
; %bb.45:                               ;   in Loop: Header=BB564_4 Depth=1
	s_wait_alu 0xfffe
	s_and_not1_saveexec_b32 s34, s34
; %bb.46:                               ;   in Loop: Header=BB564_4 Depth=1
	v_and_b32_e32 v6, 0xffff, v5
	v_or_b32_e32 v7, 0x10000, v5
	s_delay_alu instid0(VALU_DEP_2) | instskip(SKIP_1) | instid1(VALU_DEP_2)
	v_cmp_eq_u32_e32 vcc_lo, 0, v6
	s_wait_alu 0xfffd
	v_cndmask_b32_e32 v6, v7, v5, vcc_lo
; %bb.47:                               ;   in Loop: Header=BB564_4 Depth=1
	s_wait_alu 0xfffe
	s_or_b32 exec_lo, exec_lo, s34
.LBB564_48:                             ;   in Loop: Header=BB564_4 Depth=1
	s_delay_alu instid0(VALU_DEP_1)
	v_lshrrev_b32_e32 v5, 16, v6
	s_or_b32 s21, s21, exec_lo
.LBB564_49:                             ;   in Loop: Header=BB564_4 Depth=1
	s_wait_alu 0xfffe
	s_or_b32 exec_lo, exec_lo, s6
	s_and_saveexec_b32 s6, s21
	s_cbranch_execz .LBB564_2
	s_branch .LBB564_58
.LBB564_50:                             ;   in Loop: Header=BB564_4 Depth=1
	s_or_b32 exec_lo, exec_lo, s41
	s_delay_alu instid0(SALU_CYCLE_1)
	s_or_b32 exec_lo, exec_lo, s40
	s_and_saveexec_b32 s6, s5
	s_cbranch_execz .LBB564_17
.LBB564_51:                             ;   in Loop: Header=BB564_4 Depth=1
	s_mul_u64 s[40:41], s[8:9], s[24:25]
	s_wait_alu 0xfffe
	s_lshl_b64 s[40:41], s[40:41], 1
	s_wait_alu 0xfffe
	v_add_co_u32 v5, vcc_lo, v12, s40
	s_wait_alu 0xfffd
	v_add_co_ci_u32_e64 v6, null, s41, v13, vcc_lo
	s_delay_alu instid0(VALU_DEP_2) | instskip(SKIP_1) | instid1(VALU_DEP_2)
	v_add_co_u32 v5, vcc_lo, v5, s28
	s_wait_alu 0xfffd
	v_add_co_ci_u32_e64 v6, null, s29, v6, vcc_lo
	v_add_co_u32 v7, vcc_lo, s34, v3
	s_wait_dscnt 0x0
	s_wait_alu 0xfffd
	v_add_co_ci_u32_e64 v8, null, s35, v4, vcc_lo
	global_load_u16 v5, v[5:6], off
	global_load_u16 v6, v[7:8], off
	s_wait_loadcnt 0x1
	v_lshlrev_b32_e32 v5, 16, v5
	s_wait_loadcnt 0x0
	v_lshlrev_b32_e32 v6, 16, v6
	s_delay_alu instid0(VALU_DEP_1) | instskip(NEXT) | instid1(VALU_DEP_1)
	v_mul_f32_e32 v5, v5, v6
	v_and_b32_e32 v6, 0x7f800000, v5
	s_delay_alu instid0(VALU_DEP_1)
	v_cmp_ne_u32_e32 vcc_lo, 0x7f800000, v6
                                        ; implicit-def: $vgpr6
	s_and_saveexec_b32 s34, vcc_lo
	s_wait_alu 0xfffe
	s_xor_b32 s34, exec_lo, s34
; %bb.52:                               ;   in Loop: Header=BB564_4 Depth=1
	v_bfe_u32 v6, v5, 16, 1
	s_delay_alu instid0(VALU_DEP_1)
	v_add3_u32 v6, v5, v6, 0x7fff
                                        ; implicit-def: $vgpr5
; %bb.53:                               ;   in Loop: Header=BB564_4 Depth=1
	s_wait_alu 0xfffe
	s_and_not1_saveexec_b32 s34, s34
; %bb.54:                               ;   in Loop: Header=BB564_4 Depth=1
	v_and_b32_e32 v6, 0xffff, v5
	v_or_b32_e32 v7, 0x10000, v5
	s_delay_alu instid0(VALU_DEP_2) | instskip(SKIP_1) | instid1(VALU_DEP_2)
	v_cmp_eq_u32_e32 vcc_lo, 0, v6
	s_wait_alu 0xfffd
	v_cndmask_b32_e32 v6, v7, v5, vcc_lo
; %bb.55:                               ;   in Loop: Header=BB564_4 Depth=1
	s_wait_alu 0xfffe
	s_or_b32 exec_lo, exec_lo, s34
	s_delay_alu instid0(VALU_DEP_1) | instskip(NEXT) | instid1(VALU_DEP_1)
	v_and_b32_e32 v5, 0xffff0000, v6
	v_add_f32_e32 v17, v17, v5
	s_or_b32 exec_lo, exec_lo, s6
	s_and_saveexec_b32 s6, s1
	s_cbranch_execnz .LBB564_18
	s_branch .LBB564_19
.LBB564_56:                             ;   in Loop: Header=BB564_4 Depth=1
	s_mov_b32 s35, 0
	s_mov_b32 s21, exec_lo
	s_or_b32 exec_lo, exec_lo, s34
	s_delay_alu instid0(SALU_CYCLE_1)
	s_and_b32 vcc_lo, exec_lo, s6
	s_wait_alu 0xfffe
	s_cbranch_vccnz .LBB564_15
.LBB564_57:                             ;   in Loop: Header=BB564_4 Depth=1
	v_mov_b32_e32 v5, s35
	s_wait_alu 0xfffe
	s_and_saveexec_b32 s6, s21
	s_cbranch_execz .LBB564_2
.LBB564_58:                             ;   in Loop: Header=BB564_4 Depth=1
	s_add_nc_u64 s[30:31], s[30:31], s[22:23]
	global_store_b16 v9, v5, s[30:31]
	s_branch .LBB564_2
.LBB564_59:
	s_endpgm
	.section	.rodata,"a",@progbits
	.p2align	6, 0x0
	.amdhsa_kernel _ZL32rocblas_gemvt_warp_reduce_kernelILb0ELi256Ei16rocblas_bfloat16fS0_EviiT3_lPKT2_lT1_lS4_lS5_lS1_lPT4_lS5_li
		.amdhsa_group_segment_fixed_size 128
		.amdhsa_private_segment_fixed_size 0
		.amdhsa_kernarg_size 140
		.amdhsa_user_sgpr_count 2
		.amdhsa_user_sgpr_dispatch_ptr 0
		.amdhsa_user_sgpr_queue_ptr 0
		.amdhsa_user_sgpr_kernarg_segment_ptr 1
		.amdhsa_user_sgpr_dispatch_id 0
		.amdhsa_user_sgpr_private_segment_size 0
		.amdhsa_wavefront_size32 1
		.amdhsa_uses_dynamic_stack 0
		.amdhsa_enable_private_segment 0
		.amdhsa_system_sgpr_workgroup_id_x 1
		.amdhsa_system_sgpr_workgroup_id_y 0
		.amdhsa_system_sgpr_workgroup_id_z 1
		.amdhsa_system_sgpr_workgroup_info 0
		.amdhsa_system_vgpr_workitem_id 0
		.amdhsa_next_free_vgpr 21
		.amdhsa_next_free_sgpr 42
		.amdhsa_reserve_vcc 1
		.amdhsa_float_round_mode_32 0
		.amdhsa_float_round_mode_16_64 0
		.amdhsa_float_denorm_mode_32 3
		.amdhsa_float_denorm_mode_16_64 3
		.amdhsa_fp16_overflow 0
		.amdhsa_workgroup_processor_mode 1
		.amdhsa_memory_ordered 1
		.amdhsa_forward_progress 1
		.amdhsa_inst_pref_size 19
		.amdhsa_round_robin_scheduling 0
		.amdhsa_exception_fp_ieee_invalid_op 0
		.amdhsa_exception_fp_denorm_src 0
		.amdhsa_exception_fp_ieee_div_zero 0
		.amdhsa_exception_fp_ieee_overflow 0
		.amdhsa_exception_fp_ieee_underflow 0
		.amdhsa_exception_fp_ieee_inexact 0
		.amdhsa_exception_int_div_zero 0
	.end_amdhsa_kernel
	.section	.text._ZL32rocblas_gemvt_warp_reduce_kernelILb0ELi256Ei16rocblas_bfloat16fS0_EviiT3_lPKT2_lT1_lS4_lS5_lS1_lPT4_lS5_li,"axG",@progbits,_ZL32rocblas_gemvt_warp_reduce_kernelILb0ELi256Ei16rocblas_bfloat16fS0_EviiT3_lPKT2_lT1_lS4_lS5_lS1_lPT4_lS5_li,comdat
.Lfunc_end564:
	.size	_ZL32rocblas_gemvt_warp_reduce_kernelILb0ELi256Ei16rocblas_bfloat16fS0_EviiT3_lPKT2_lT1_lS4_lS5_lS1_lPT4_lS5_li, .Lfunc_end564-_ZL32rocblas_gemvt_warp_reduce_kernelILb0ELi256Ei16rocblas_bfloat16fS0_EviiT3_lPKT2_lT1_lS4_lS5_lS1_lPT4_lS5_li
                                        ; -- End function
	.set _ZL32rocblas_gemvt_warp_reduce_kernelILb0ELi256Ei16rocblas_bfloat16fS0_EviiT3_lPKT2_lT1_lS4_lS5_lS1_lPT4_lS5_li.num_vgpr, 21
	.set _ZL32rocblas_gemvt_warp_reduce_kernelILb0ELi256Ei16rocblas_bfloat16fS0_EviiT3_lPKT2_lT1_lS4_lS5_lS1_lPT4_lS5_li.num_agpr, 0
	.set _ZL32rocblas_gemvt_warp_reduce_kernelILb0ELi256Ei16rocblas_bfloat16fS0_EviiT3_lPKT2_lT1_lS4_lS5_lS1_lPT4_lS5_li.numbered_sgpr, 42
	.set _ZL32rocblas_gemvt_warp_reduce_kernelILb0ELi256Ei16rocblas_bfloat16fS0_EviiT3_lPKT2_lT1_lS4_lS5_lS1_lPT4_lS5_li.num_named_barrier, 0
	.set _ZL32rocblas_gemvt_warp_reduce_kernelILb0ELi256Ei16rocblas_bfloat16fS0_EviiT3_lPKT2_lT1_lS4_lS5_lS1_lPT4_lS5_li.private_seg_size, 0
	.set _ZL32rocblas_gemvt_warp_reduce_kernelILb0ELi256Ei16rocblas_bfloat16fS0_EviiT3_lPKT2_lT1_lS4_lS5_lS1_lPT4_lS5_li.uses_vcc, 1
	.set _ZL32rocblas_gemvt_warp_reduce_kernelILb0ELi256Ei16rocblas_bfloat16fS0_EviiT3_lPKT2_lT1_lS4_lS5_lS1_lPT4_lS5_li.uses_flat_scratch, 0
	.set _ZL32rocblas_gemvt_warp_reduce_kernelILb0ELi256Ei16rocblas_bfloat16fS0_EviiT3_lPKT2_lT1_lS4_lS5_lS1_lPT4_lS5_li.has_dyn_sized_stack, 0
	.set _ZL32rocblas_gemvt_warp_reduce_kernelILb0ELi256Ei16rocblas_bfloat16fS0_EviiT3_lPKT2_lT1_lS4_lS5_lS1_lPT4_lS5_li.has_recursion, 0
	.set _ZL32rocblas_gemvt_warp_reduce_kernelILb0ELi256Ei16rocblas_bfloat16fS0_EviiT3_lPKT2_lT1_lS4_lS5_lS1_lPT4_lS5_li.has_indirect_call, 0
	.section	.AMDGPU.csdata,"",@progbits
; Kernel info:
; codeLenInByte = 2344
; TotalNumSgprs: 44
; NumVgprs: 21
; ScratchSize: 0
; MemoryBound: 0
; FloatMode: 240
; IeeeMode: 1
; LDSByteSize: 128 bytes/workgroup (compile time only)
; SGPRBlocks: 0
; VGPRBlocks: 2
; NumSGPRsForWavesPerEU: 44
; NumVGPRsForWavesPerEU: 21
; Occupancy: 16
; WaveLimiterHint : 0
; COMPUTE_PGM_RSRC2:SCRATCH_EN: 0
; COMPUTE_PGM_RSRC2:USER_SGPR: 2
; COMPUTE_PGM_RSRC2:TRAP_HANDLER: 0
; COMPUTE_PGM_RSRC2:TGID_X_EN: 1
; COMPUTE_PGM_RSRC2:TGID_Y_EN: 0
; COMPUTE_PGM_RSRC2:TGID_Z_EN: 1
; COMPUTE_PGM_RSRC2:TIDIG_COMP_CNT: 0
	.section	.text._ZL32rocblas_gemvt_warp_reduce_kernelILb0ELi256El16rocblas_bfloat16fS0_EviiT3_lPKT2_lT1_lS4_lS5_lS1_lPT4_lS5_li,"axG",@progbits,_ZL32rocblas_gemvt_warp_reduce_kernelILb0ELi256El16rocblas_bfloat16fS0_EviiT3_lPKT2_lT1_lS4_lS5_lS1_lPT4_lS5_li,comdat
	.globl	_ZL32rocblas_gemvt_warp_reduce_kernelILb0ELi256El16rocblas_bfloat16fS0_EviiT3_lPKT2_lT1_lS4_lS5_lS1_lPT4_lS5_li ; -- Begin function _ZL32rocblas_gemvt_warp_reduce_kernelILb0ELi256El16rocblas_bfloat16fS0_EviiT3_lPKT2_lT1_lS4_lS5_lS1_lPT4_lS5_li
	.p2align	8
	.type	_ZL32rocblas_gemvt_warp_reduce_kernelILb0ELi256El16rocblas_bfloat16fS0_EviiT3_lPKT2_lT1_lS4_lS5_lS1_lPT4_lS5_li,@function
_ZL32rocblas_gemvt_warp_reduce_kernelILb0ELi256El16rocblas_bfloat16fS0_EviiT3_lPKT2_lT1_lS4_lS5_lS1_lPT4_lS5_li: ; @_ZL32rocblas_gemvt_warp_reduce_kernelILb0ELi256El16rocblas_bfloat16fS0_EviiT3_lPKT2_lT1_lS4_lS5_lS1_lPT4_lS5_li
; %bb.0:
	s_load_b32 s7, s[0:1], 0x88
	s_lshr_b32 s34, ttmp7, 16
	s_wait_kmcnt 0x0
	s_cmp_ge_u32 s34, s7
	s_cbranch_scc1 .LBB565_59
; %bb.1:
	s_clause 0x4
	s_load_b512 s[8:23], s[0:1], 0x18
	s_load_b256 s[24:31], s[0:1], 0x68
	s_load_b32 s33, s[0:1], 0x8
	s_load_b32 s36, s[0:1], 0x58
	;; [unrolled: 1-line block ×3, first 2 shown]
	v_and_b32_e32 v1, 31, v0
	v_lshrrev_b32_e32 v2, 3, v0
	v_mov_b32_e32 v11, 0
	s_mov_b32 s4, ttmp9
	v_mbcnt_lo_u32_b32 v16, -1, 0
	v_lshlrev_b32_e32 v12, 2, v1
	v_cmp_eq_u32_e64 s2, 0, v1
	v_and_b32_e32 v13, 28, v2
	v_cmp_eq_u32_e64 s0, 0, v0
	v_cmp_gt_u32_e64 s1, 32, v0
	v_lshl_or_b32 v17, v16, 2, 64
	s_mov_b32 s35, 0
	s_wait_kmcnt 0x0
	s_lshl_b64 s[18:19], s[18:19], 1
	s_lshl_b64 s[26:27], s[26:27], 1
	s_lshl_b64 s[42:43], s[10:11], 1
	s_cmp_eq_f32 s33, 0
	v_cmp_gt_i32_e32 vcc_lo, s6, v0
	v_mad_co_u64_u32 v[1:2], null, s20, v0, 0
	s_cselect_b32 s37, -1, 0
	s_cmp_neq_f32 s33, 0
	v_cndmask_b32_e32 v3, 0, v0, vcc_lo
	s_add_nc_u64 s[10:11], s[16:17], s[18:19]
	s_add_nc_u64 s[18:19], s[8:9], s[42:43]
	s_cselect_b32 s3, -1, 0
	s_cmp_neq_f32 s36, 1.0
	v_lshlrev_b32_e32 v7, 1, v3
	v_mad_co_u64_u32 v[2:3], null, s21, v0, v[2:3]
	s_cselect_b32 s5, -1, 0
	s_add_nc_u64 s[16:17], s[24:25], s[26:27]
	s_or_b32 s38, s3, s5
	s_cmp_neq_f32 s36, 0
	v_add_co_u32 v3, s5, s18, v7
	s_delay_alu instid0(VALU_DEP_1)
	v_add_co_ci_u32_e64 v4, null, s19, 0, s5
	s_cselect_b32 s39, -1, 0
	s_cmp_eq_f32 s36, 0
	s_cselect_b32 s40, -1, 0
	s_ashr_i32 s3, s6, 31
	s_ashr_i32 s5, ttmp9, 31
	s_lshr_b32 s3, s3, 24
	s_wait_alu 0xfffe
	s_mul_u64 s[12:13], s[12:13], s[4:5]
	s_add_co_i32 s3, s6, s3
	s_lshl_b64 s[12:13], s[12:13], 1
	s_and_b32 s18, s3, 0xffffff00
	v_add_co_u32 v14, vcc_lo, v3, s12
	s_wait_alu 0xfffe
	v_or_b32_e32 v8, s18, v0
	s_ashr_i32 s19, s18, 31
	s_mul_u64 s[24:25], s[28:29], s[4:5]
	s_wait_alu 0xfffd
	v_add_co_ci_u32_e64 v15, null, s13, v4, vcc_lo
	v_mul_lo_u32 v9, s21, v8
	v_mad_co_u64_u32 v[5:6], null, s20, v8, 0
	s_wait_alu 0xfffe
	s_mul_i32 s5, s20, s19
	v_lshlrev_b64_e32 v[3:4], 1, v[1:2]
	s_add_nc_u64 s[12:13], s[12:13], s[42:43]
	v_cmp_gt_i32_e64 s4, s6, v8
	s_wait_alu 0xfffe
	s_add_nc_u64 s[8:9], s[8:9], s[12:13]
	v_cmp_gt_i32_e64 s3, s18, v0
	v_add3_u32 v6, v6, s5, v9
	v_add_co_u32 v1, s6, s8, v7
	v_add_co_u32 v3, vcc_lo, s10, v3
	s_delay_alu instid0(VALU_DEP_3)
	v_lshlrev_b64_e32 v[5:6], 1, v[5:6]
	v_cmp_gt_u32_e64 s5, 8, v0
	s_wait_alu 0xf1ff
	v_add_co_ci_u32_e64 v2, null, s9, 0, s6
	s_wait_alu 0xfffd
	v_add_co_ci_u32_e64 v4, null, s11, v4, vcc_lo
	s_lshl_b64 s[8:9], s[14:15], 1
	s_lshl_b64 s[12:13], s[22:23], 1
	;; [unrolled: 1-line block ×4, first 2 shown]
	s_branch .LBB565_4
.LBB565_2:                              ;   in Loop: Header=BB565_4 Depth=1
	s_wait_alu 0xfffe
	s_or_b32 exec_lo, exec_lo, s6
.LBB565_3:                              ;   in Loop: Header=BB565_4 Depth=1
	s_add_co_i32 s34, s34, 0x10000
	s_wait_alu 0xfffe
	s_cmp_lt_u32 s34, s7
	s_cbranch_scc0 .LBB565_59
.LBB565_4:                              ; =>This Loop Header: Depth=1
                                        ;     Child Loop BB565_26 Depth 2
	s_and_not1_b32 vcc_lo, exec_lo, s38
	s_wait_alu 0xfffe
	s_cbranch_vccnz .LBB565_3
; %bb.5:                                ;   in Loop: Header=BB565_4 Depth=1
	s_mul_u64 s[26:27], s[30:31], s[34:35]
	s_and_not1_b32 vcc_lo, exec_lo, s37
	s_lshl_b64 s[26:27], s[26:27], 1
	s_delay_alu instid0(SALU_CYCLE_1)
	s_add_nc_u64 s[26:27], s[16:17], s[26:27]
	s_wait_alu 0xfffe
	s_cbranch_vccnz .LBB565_13
; %bb.6:                                ;   in Loop: Header=BB565_4 Depth=1
	s_mov_b32 s6, 0
	s_mov_b32 s28, 0
                                        ; implicit-def: $sgpr41
	s_and_saveexec_b32 s29, s0
	s_cbranch_execz .LBB565_14
; %bb.7:                                ;   in Loop: Header=BB565_4 Depth=1
	s_and_not1_b32 vcc_lo, exec_lo, s39
	s_wait_alu 0xfffe
	s_cbranch_vccnz .LBB565_56
; %bb.8:                                ;   in Loop: Header=BB565_4 Depth=1
	s_add_nc_u64 s[42:43], s[26:27], s[24:25]
	global_load_u16 v7, v11, s[42:43]
	s_mov_b32 s42, -1
	s_wait_loadcnt 0x0
	v_readfirstlane_b32 s28, v7
	s_lshl_b32 s28, s28, 16
	s_wait_alu 0xfffe
	s_mul_f32 s28, s36, s28
	s_wait_alu 0xfffe
	s_delay_alu instid0(SALU_CYCLE_2)
	s_and_b32 s41, s28, 0x7f800000
	s_wait_alu 0xfffe
	s_cmp_eq_u32 s41, 0x7f800000
                                        ; implicit-def: $sgpr41
	s_cbranch_scc1 .LBB565_10
; %bb.9:                                ;   in Loop: Header=BB565_4 Depth=1
	s_bfe_u32 s41, s28, 0x10010
	s_mov_b32 s42, 0
	s_wait_alu 0xfffe
	s_add_co_i32 s41, s28, s41
	s_wait_alu 0xfffe
	s_addk_co_i32 s41, 0x7fff
.LBB565_10:                             ;   in Loop: Header=BB565_4 Depth=1
	s_wait_alu 0xfffe
	s_and_not1_b32 vcc_lo, exec_lo, s42
	s_wait_alu 0xfffe
	s_cbranch_vccnz .LBB565_12
; %bb.11:                               ;   in Loop: Header=BB565_4 Depth=1
	s_and_b32 s41, s28, 0xffff
	s_or_b32 s42, s28, 0x10000
	s_wait_alu 0xfffe
	s_cmp_eq_u32 s41, 0
	s_cselect_b32 s41, s28, s42
.LBB565_12:                             ;   in Loop: Header=BB565_4 Depth=1
	s_wait_alu 0xfffe
	s_lshr_b32 s41, s41, 16
	s_mov_b32 s28, exec_lo
	s_or_b32 exec_lo, exec_lo, s29
	s_delay_alu instid0(SALU_CYCLE_1)
	s_and_b32 vcc_lo, exec_lo, s6
	s_wait_alu 0xfffe
	s_cbranch_vccnz .LBB565_15
	s_branch .LBB565_57
.LBB565_13:                             ;   in Loop: Header=BB565_4 Depth=1
	s_mov_b32 s28, 0
                                        ; implicit-def: $sgpr41
	s_cbranch_execnz .LBB565_15
	s_branch .LBB565_57
.LBB565_14:                             ;   in Loop: Header=BB565_4 Depth=1
	s_wait_alu 0xfffe
	s_or_b32 exec_lo, exec_lo, s29
	s_delay_alu instid0(SALU_CYCLE_1)
	s_and_b32 vcc_lo, exec_lo, s6
	s_wait_alu 0xfffe
	s_cbranch_vccz .LBB565_57
.LBB565_15:                             ;   in Loop: Header=BB565_4 Depth=1
	v_mov_b32_e32 v18, 0
	s_and_saveexec_b32 s29, s3
	s_cbranch_execnz .LBB565_24
; %bb.16:                               ;   in Loop: Header=BB565_4 Depth=1
	s_wait_alu 0xfffe
	s_or_b32 exec_lo, exec_lo, s29
	s_and_saveexec_b32 s6, s4
	s_cbranch_execnz .LBB565_51
.LBB565_17:                             ;   in Loop: Header=BB565_4 Depth=1
	s_wait_alu 0xfffe
	s_or_b32 exec_lo, exec_lo, s6
	s_and_saveexec_b32 s6, s1
.LBB565_18:                             ;   in Loop: Header=BB565_4 Depth=1
	ds_store_b32 v12, v11
.LBB565_19:                             ;   in Loop: Header=BB565_4 Depth=1
	s_wait_alu 0xfffe
	s_or_b32 exec_lo, exec_lo, s6
	ds_bpermute_b32 v7, v17, v18
	v_cmp_gt_u32_e32 vcc_lo, 24, v16
	s_wait_dscnt 0x0
	s_barrier_signal -1
	s_barrier_wait -1
	global_inv scope:SCOPE_SE
	s_wait_alu 0xfffd
	v_cndmask_b32_e64 v8, 0, 8, vcc_lo
	v_cmp_gt_u32_e32 vcc_lo, 28, v16
	s_delay_alu instid0(VALU_DEP_2)
	v_add_lshl_u32 v8, v8, v16, 2
	v_add_f32_e32 v9, v18, v7
	s_wait_alu 0xfffd
	v_cndmask_b32_e64 v7, 0, 4, vcc_lo
	v_cmp_gt_u32_e32 vcc_lo, 30, v16
	ds_bpermute_b32 v8, v8, v9
	v_add_lshl_u32 v7, v7, v16, 2
	s_wait_dscnt 0x0
	v_add_f32_e32 v9, v9, v8
	s_wait_alu 0xfffd
	v_cndmask_b32_e64 v8, 0, 2, vcc_lo
	v_cmp_ne_u32_e32 vcc_lo, 31, v16
	ds_bpermute_b32 v10, v7, v9
	v_add_lshl_u32 v8, v8, v16, 2
	s_wait_alu 0xfffd
	v_add_co_ci_u32_e64 v18, null, 0, v16, vcc_lo
	s_wait_dscnt 0x0
	v_add_f32_e32 v9, v9, v10
	ds_bpermute_b32 v10, v8, v9
	s_wait_dscnt 0x0
	v_add_f32_e32 v10, v9, v10
	v_lshlrev_b32_e32 v9, 2, v18
	ds_bpermute_b32 v18, v9, v10
	s_and_saveexec_b32 s6, s2
	s_cbranch_execz .LBB565_21
; %bb.20:                               ;   in Loop: Header=BB565_4 Depth=1
	s_wait_dscnt 0x0
	v_add_f32_e32 v10, v10, v18
	ds_store_b32 v13, v10
.LBB565_21:                             ;   in Loop: Header=BB565_4 Depth=1
	s_wait_alu 0xfffe
	s_or_b32 exec_lo, exec_lo, s6
	v_mov_b32_e32 v10, 0
	s_wait_loadcnt_dscnt 0x0
	s_barrier_signal -1
	s_barrier_wait -1
	global_inv scope:SCOPE_SE
	s_and_saveexec_b32 s6, s5
	s_cbranch_execnz .LBB565_30
; %bb.22:                               ;   in Loop: Header=BB565_4 Depth=1
	s_wait_alu 0xfffe
	s_or_b32 exec_lo, exec_lo, s6
	s_and_saveexec_b32 s6, s1
	s_cbranch_execnz .LBB565_31
.LBB565_23:                             ;   in Loop: Header=BB565_4 Depth=1
	s_wait_alu 0xfffe
	s_or_b32 exec_lo, exec_lo, s6
                                        ; implicit-def: $vgpr7
	s_and_saveexec_b32 s6, s0
	s_cbranch_execnz .LBB565_32
	s_branch .LBB565_49
.LBB565_24:                             ;   in Loop: Header=BB565_4 Depth=1
	v_mad_co_u64_u32 v[7:8], null, s8, s34, v[1:2]
	s_wait_dscnt 0x0
	v_mad_co_u64_u32 v[9:10], null, s12, s34, v[3:4]
	v_mov_b32_e32 v18, 0
	s_mov_b32 s41, 0
	s_delay_alu instid0(VALU_DEP_2) | instskip(NEXT) | instid1(VALU_DEP_3)
	v_mad_co_u64_u32 v[19:20], null, s9, s34, v[8:9]
	v_mad_co_u64_u32 v[20:21], null, s13, s34, v[10:11]
	s_delay_alu instid0(VALU_DEP_2) | instskip(NEXT) | instid1(VALU_DEP_2)
	v_dual_mov_b32 v8, v19 :: v_dual_mov_b32 v19, v0
	v_mov_b32_e32 v10, v20
	s_branch .LBB565_26
.LBB565_25:                             ;   in Loop: Header=BB565_26 Depth=2
	s_wait_alu 0xfffe
	s_or_b32 exec_lo, exec_lo, s6
	s_delay_alu instid0(VALU_DEP_1)
	v_and_b32_e32 v20, 0xffff0000, v21
	v_add_nc_u32_e32 v19, 0x100, v19
	v_add_co_u32 v7, vcc_lo, 0x200, v7
	s_wait_alu 0xfffd
	v_add_co_ci_u32_e64 v8, null, 0, v8, vcc_lo
	v_add_f32_e32 v18, v18, v20
	v_cmp_le_i32_e32 vcc_lo, s18, v19
	v_add_co_u32 v9, s6, v9, s20
	s_wait_alu 0xf1ff
	v_add_co_ci_u32_e64 v10, null, s21, v10, s6
	s_or_b32 s41, vcc_lo, s41
	s_wait_alu 0xfffe
	s_and_not1_b32 exec_lo, exec_lo, s41
	s_cbranch_execz .LBB565_50
.LBB565_26:                             ;   Parent Loop BB565_4 Depth=1
                                        ; =>  This Inner Loop Header: Depth=2
	global_load_u16 v20, v[9:10], off
	global_load_u16 v21, v[7:8], off
	s_wait_loadcnt 0x1
	v_lshlrev_b32_e32 v20, 16, v20
	s_wait_loadcnt 0x0
	v_lshlrev_b32_e32 v21, 16, v21
	s_delay_alu instid0(VALU_DEP_1) | instskip(NEXT) | instid1(VALU_DEP_1)
	v_mul_f32_e32 v20, v21, v20
	v_and_b32_e32 v21, 0x7f800000, v20
	s_delay_alu instid0(VALU_DEP_1)
	v_cmp_ne_u32_e32 vcc_lo, 0x7f800000, v21
                                        ; implicit-def: $vgpr21
	s_and_saveexec_b32 s6, vcc_lo
	s_wait_alu 0xfffe
	s_xor_b32 s6, exec_lo, s6
; %bb.27:                               ;   in Loop: Header=BB565_26 Depth=2
	v_bfe_u32 v21, v20, 16, 1
	s_delay_alu instid0(VALU_DEP_1)
	v_add3_u32 v21, v20, v21, 0x7fff
                                        ; implicit-def: $vgpr20
; %bb.28:                               ;   in Loop: Header=BB565_26 Depth=2
	s_wait_alu 0xfffe
	s_and_not1_saveexec_b32 s6, s6
	s_cbranch_execz .LBB565_25
; %bb.29:                               ;   in Loop: Header=BB565_26 Depth=2
	v_and_b32_e32 v21, 0xffff, v20
	v_or_b32_e32 v22, 0x10000, v20
	s_delay_alu instid0(VALU_DEP_2) | instskip(SKIP_1) | instid1(VALU_DEP_2)
	v_cmp_eq_u32_e32 vcc_lo, 0, v21
	s_wait_alu 0xfffd
	v_cndmask_b32_e32 v21, v22, v20, vcc_lo
	s_branch .LBB565_25
.LBB565_30:                             ;   in Loop: Header=BB565_4 Depth=1
	ds_load_b32 v10, v12
	s_wait_alu 0xfffe
	s_or_b32 exec_lo, exec_lo, s6
	s_and_saveexec_b32 s6, s1
	s_cbranch_execz .LBB565_23
.LBB565_31:                             ;   in Loop: Header=BB565_4 Depth=1
	s_wait_dscnt 0x0
	ds_bpermute_b32 v7, v7, v10
	s_wait_dscnt 0x0
	v_add_f32_e32 v7, v10, v7
	ds_bpermute_b32 v8, v8, v7
	s_wait_dscnt 0x0
	v_add_f32_e32 v7, v7, v8
	;; [unrolled: 3-line block ×3, first 2 shown]
	s_wait_alu 0xfffe
	s_or_b32 exec_lo, exec_lo, s6
                                        ; implicit-def: $vgpr7
	s_and_saveexec_b32 s6, s0
	s_cbranch_execz .LBB565_49
.LBB565_32:                             ;   in Loop: Header=BB565_4 Depth=1
	s_wait_dscnt 0x0
	v_mul_f32_e32 v7, s33, v10
	s_and_b32 vcc_lo, exec_lo, s40
	s_mov_b32 s29, -1
                                        ; implicit-def: $vgpr8
	s_wait_alu 0xfffe
	s_cbranch_vccz .LBB565_38
; %bb.33:                               ;   in Loop: Header=BB565_4 Depth=1
	v_and_b32_e32 v8, 0x7f800000, v7
	s_delay_alu instid0(VALU_DEP_1)
	v_cmp_ne_u32_e32 vcc_lo, 0x7f800000, v8
                                        ; implicit-def: $vgpr8
	s_and_saveexec_b32 s29, vcc_lo
	s_wait_alu 0xfffe
	s_xor_b32 s29, exec_lo, s29
; %bb.34:                               ;   in Loop: Header=BB565_4 Depth=1
	v_bfe_u32 v8, v7, 16, 1
	s_delay_alu instid0(VALU_DEP_1)
	v_add3_u32 v8, v7, v8, 0x7fff
; %bb.35:                               ;   in Loop: Header=BB565_4 Depth=1
	s_wait_alu 0xfffe
	s_and_not1_saveexec_b32 s29, s29
; %bb.36:                               ;   in Loop: Header=BB565_4 Depth=1
	v_and_b32_e32 v8, 0xffff, v7
	v_or_b32_e32 v9, 0x10000, v7
	s_delay_alu instid0(VALU_DEP_2) | instskip(SKIP_1) | instid1(VALU_DEP_2)
	v_cmp_eq_u32_e32 vcc_lo, 0, v8
	s_wait_alu 0xfffd
	v_cndmask_b32_e32 v8, v9, v7, vcc_lo
; %bb.37:                               ;   in Loop: Header=BB565_4 Depth=1
	s_wait_alu 0xfffe
	s_or_b32 exec_lo, exec_lo, s29
	s_mov_b32 s29, 0
.LBB565_38:                             ;   in Loop: Header=BB565_4 Depth=1
	s_wait_alu 0xfffe
	s_and_not1_b32 vcc_lo, exec_lo, s29
	s_wait_alu 0xfffe
	s_cbranch_vccnz .LBB565_48
; %bb.39:                               ;   in Loop: Header=BB565_4 Depth=1
	s_add_nc_u64 s[42:43], s[26:27], s[24:25]
	global_load_u16 v8, v11, s[42:43]
	s_mov_b32 s42, -1
	s_wait_loadcnt 0x0
	v_readfirstlane_b32 s29, v8
	s_lshl_b32 s29, s29, 16
	s_wait_alu 0xfffe
	s_mul_f32 s29, s36, s29
	s_wait_alu 0xfffe
	s_delay_alu instid0(SALU_CYCLE_2)
	s_and_b32 s41, s29, 0x7f800000
	s_wait_alu 0xfffe
	s_cmp_eq_u32 s41, 0x7f800000
                                        ; implicit-def: $sgpr41
	s_cbranch_scc1 .LBB565_41
; %bb.40:                               ;   in Loop: Header=BB565_4 Depth=1
	s_bfe_u32 s41, s29, 0x10010
	s_mov_b32 s42, 0
	s_wait_alu 0xfffe
	s_add_co_i32 s41, s29, s41
	s_wait_alu 0xfffe
	s_addk_co_i32 s41, 0x7fff
.LBB565_41:                             ;   in Loop: Header=BB565_4 Depth=1
	s_wait_alu 0xfffe
	s_and_not1_b32 vcc_lo, exec_lo, s42
	s_wait_alu 0xfffe
	s_cbranch_vccnz .LBB565_43
; %bb.42:                               ;   in Loop: Header=BB565_4 Depth=1
	s_and_b32 s41, s29, 0xffff
	s_or_b32 s42, s29, 0x10000
	s_wait_alu 0xfffe
	s_cmp_eq_u32 s41, 0
	s_cselect_b32 s41, s29, s42
.LBB565_43:                             ;   in Loop: Header=BB565_4 Depth=1
	s_wait_alu 0xfffe
	s_and_b32 s29, s41, 0xffff0000
	s_wait_alu 0xfffe
	v_add_f32_e32 v7, s29, v7
	s_delay_alu instid0(VALU_DEP_1) | instskip(NEXT) | instid1(VALU_DEP_1)
	v_and_b32_e32 v8, 0x7f800000, v7
	v_cmp_ne_u32_e32 vcc_lo, 0x7f800000, v8
                                        ; implicit-def: $vgpr8
	s_and_saveexec_b32 s29, vcc_lo
	s_wait_alu 0xfffe
	s_xor_b32 s29, exec_lo, s29
; %bb.44:                               ;   in Loop: Header=BB565_4 Depth=1
	v_bfe_u32 v8, v7, 16, 1
	s_delay_alu instid0(VALU_DEP_1)
	v_add3_u32 v8, v7, v8, 0x7fff
                                        ; implicit-def: $vgpr7
; %bb.45:                               ;   in Loop: Header=BB565_4 Depth=1
	s_wait_alu 0xfffe
	s_and_not1_saveexec_b32 s29, s29
; %bb.46:                               ;   in Loop: Header=BB565_4 Depth=1
	v_and_b32_e32 v8, 0xffff, v7
	v_or_b32_e32 v9, 0x10000, v7
	s_delay_alu instid0(VALU_DEP_2) | instskip(SKIP_1) | instid1(VALU_DEP_2)
	v_cmp_eq_u32_e32 vcc_lo, 0, v8
	s_wait_alu 0xfffd
	v_cndmask_b32_e32 v8, v9, v7, vcc_lo
; %bb.47:                               ;   in Loop: Header=BB565_4 Depth=1
	s_wait_alu 0xfffe
	s_or_b32 exec_lo, exec_lo, s29
.LBB565_48:                             ;   in Loop: Header=BB565_4 Depth=1
	s_delay_alu instid0(VALU_DEP_1)
	v_lshrrev_b32_e32 v7, 16, v8
	s_or_b32 s28, s28, exec_lo
.LBB565_49:                             ;   in Loop: Header=BB565_4 Depth=1
	s_wait_alu 0xfffe
	s_or_b32 exec_lo, exec_lo, s6
	s_and_saveexec_b32 s6, s28
	s_cbranch_execz .LBB565_2
	s_branch .LBB565_58
.LBB565_50:                             ;   in Loop: Header=BB565_4 Depth=1
	s_or_b32 exec_lo, exec_lo, s41
	s_delay_alu instid0(SALU_CYCLE_1)
	s_or_b32 exec_lo, exec_lo, s29
	s_and_saveexec_b32 s6, s4
	s_cbranch_execz .LBB565_17
.LBB565_51:                             ;   in Loop: Header=BB565_4 Depth=1
	s_mul_u64 s[42:43], s[14:15], s[34:35]
	s_mul_u64 s[44:45], s[22:23], s[34:35]
	s_wait_alu 0xfffe
	s_lshl_b64 s[42:43], s[42:43], 1
	s_lshl_b64 s[44:45], s[44:45], 1
	s_wait_alu 0xfffe
	v_add_co_u32 v9, vcc_lo, v14, s42
	s_wait_dscnt 0x0
	s_wait_alu 0xfffd
	v_add_co_ci_u32_e64 v10, null, s43, v15, vcc_lo
	s_add_nc_u64 s[42:43], s[10:11], s[44:45]
	s_lshl_b64 s[44:45], s[18:19], 1
	s_wait_alu 0xfffe
	v_add_co_u32 v7, vcc_lo, s42, v5
	s_wait_alu 0xfffd
	v_add_co_ci_u32_e64 v8, null, s43, v6, vcc_lo
	v_add_co_u32 v9, vcc_lo, v9, s44
	s_wait_alu 0xfffd
	v_add_co_ci_u32_e64 v10, null, s45, v10, vcc_lo
	global_load_u16 v7, v[7:8], off
	global_load_u16 v8, v[9:10], off
	s_wait_loadcnt 0x1
	v_lshlrev_b32_e32 v7, 16, v7
	s_wait_loadcnt 0x0
	v_lshlrev_b32_e32 v8, 16, v8
	s_delay_alu instid0(VALU_DEP_1) | instskip(NEXT) | instid1(VALU_DEP_1)
	v_mul_f32_e32 v7, v8, v7
	v_and_b32_e32 v8, 0x7f800000, v7
	s_delay_alu instid0(VALU_DEP_1)
	v_cmp_ne_u32_e32 vcc_lo, 0x7f800000, v8
                                        ; implicit-def: $vgpr8
	s_and_saveexec_b32 s29, vcc_lo
	s_wait_alu 0xfffe
	s_xor_b32 s29, exec_lo, s29
; %bb.52:                               ;   in Loop: Header=BB565_4 Depth=1
	v_bfe_u32 v8, v7, 16, 1
	s_delay_alu instid0(VALU_DEP_1)
	v_add3_u32 v8, v7, v8, 0x7fff
                                        ; implicit-def: $vgpr7
; %bb.53:                               ;   in Loop: Header=BB565_4 Depth=1
	s_wait_alu 0xfffe
	s_and_not1_saveexec_b32 s29, s29
; %bb.54:                               ;   in Loop: Header=BB565_4 Depth=1
	v_and_b32_e32 v8, 0xffff, v7
	v_or_b32_e32 v9, 0x10000, v7
	s_delay_alu instid0(VALU_DEP_2) | instskip(SKIP_1) | instid1(VALU_DEP_2)
	v_cmp_eq_u32_e32 vcc_lo, 0, v8
	s_wait_alu 0xfffd
	v_cndmask_b32_e32 v8, v9, v7, vcc_lo
; %bb.55:                               ;   in Loop: Header=BB565_4 Depth=1
	s_wait_alu 0xfffe
	s_or_b32 exec_lo, exec_lo, s29
	s_delay_alu instid0(VALU_DEP_1) | instskip(NEXT) | instid1(VALU_DEP_1)
	v_and_b32_e32 v7, 0xffff0000, v8
	v_add_f32_e32 v18, v18, v7
	s_or_b32 exec_lo, exec_lo, s6
	s_and_saveexec_b32 s6, s1
	s_cbranch_execnz .LBB565_18
	s_branch .LBB565_19
.LBB565_56:                             ;   in Loop: Header=BB565_4 Depth=1
	s_mov_b32 s41, 0
	s_mov_b32 s28, exec_lo
	s_or_b32 exec_lo, exec_lo, s29
	s_delay_alu instid0(SALU_CYCLE_1)
	s_and_b32 vcc_lo, exec_lo, s6
	s_wait_alu 0xfffe
	s_cbranch_vccnz .LBB565_15
.LBB565_57:                             ;   in Loop: Header=BB565_4 Depth=1
	v_mov_b32_e32 v7, s41
	s_wait_alu 0xfffe
	s_and_saveexec_b32 s6, s28
	s_cbranch_execz .LBB565_2
.LBB565_58:                             ;   in Loop: Header=BB565_4 Depth=1
	s_add_nc_u64 s[26:27], s[26:27], s[24:25]
	global_store_b16 v11, v7, s[26:27]
	s_branch .LBB565_2
.LBB565_59:
	s_endpgm
	.section	.rodata,"a",@progbits
	.p2align	6, 0x0
	.amdhsa_kernel _ZL32rocblas_gemvt_warp_reduce_kernelILb0ELi256El16rocblas_bfloat16fS0_EviiT3_lPKT2_lT1_lS4_lS5_lS1_lPT4_lS5_li
		.amdhsa_group_segment_fixed_size 128
		.amdhsa_private_segment_fixed_size 0
		.amdhsa_kernarg_size 140
		.amdhsa_user_sgpr_count 2
		.amdhsa_user_sgpr_dispatch_ptr 0
		.amdhsa_user_sgpr_queue_ptr 0
		.amdhsa_user_sgpr_kernarg_segment_ptr 1
		.amdhsa_user_sgpr_dispatch_id 0
		.amdhsa_user_sgpr_private_segment_size 0
		.amdhsa_wavefront_size32 1
		.amdhsa_uses_dynamic_stack 0
		.amdhsa_enable_private_segment 0
		.amdhsa_system_sgpr_workgroup_id_x 1
		.amdhsa_system_sgpr_workgroup_id_y 0
		.amdhsa_system_sgpr_workgroup_id_z 1
		.amdhsa_system_sgpr_workgroup_info 0
		.amdhsa_system_vgpr_workitem_id 0
		.amdhsa_next_free_vgpr 23
		.amdhsa_next_free_sgpr 46
		.amdhsa_reserve_vcc 1
		.amdhsa_float_round_mode_32 0
		.amdhsa_float_round_mode_16_64 0
		.amdhsa_float_denorm_mode_32 3
		.amdhsa_float_denorm_mode_16_64 3
		.amdhsa_fp16_overflow 0
		.amdhsa_workgroup_processor_mode 1
		.amdhsa_memory_ordered 1
		.amdhsa_forward_progress 1
		.amdhsa_inst_pref_size 19
		.amdhsa_round_robin_scheduling 0
		.amdhsa_exception_fp_ieee_invalid_op 0
		.amdhsa_exception_fp_denorm_src 0
		.amdhsa_exception_fp_ieee_div_zero 0
		.amdhsa_exception_fp_ieee_overflow 0
		.amdhsa_exception_fp_ieee_underflow 0
		.amdhsa_exception_fp_ieee_inexact 0
		.amdhsa_exception_int_div_zero 0
	.end_amdhsa_kernel
	.section	.text._ZL32rocblas_gemvt_warp_reduce_kernelILb0ELi256El16rocblas_bfloat16fS0_EviiT3_lPKT2_lT1_lS4_lS5_lS1_lPT4_lS5_li,"axG",@progbits,_ZL32rocblas_gemvt_warp_reduce_kernelILb0ELi256El16rocblas_bfloat16fS0_EviiT3_lPKT2_lT1_lS4_lS5_lS1_lPT4_lS5_li,comdat
.Lfunc_end565:
	.size	_ZL32rocblas_gemvt_warp_reduce_kernelILb0ELi256El16rocblas_bfloat16fS0_EviiT3_lPKT2_lT1_lS4_lS5_lS1_lPT4_lS5_li, .Lfunc_end565-_ZL32rocblas_gemvt_warp_reduce_kernelILb0ELi256El16rocblas_bfloat16fS0_EviiT3_lPKT2_lT1_lS4_lS5_lS1_lPT4_lS5_li
                                        ; -- End function
	.set _ZL32rocblas_gemvt_warp_reduce_kernelILb0ELi256El16rocblas_bfloat16fS0_EviiT3_lPKT2_lT1_lS4_lS5_lS1_lPT4_lS5_li.num_vgpr, 23
	.set _ZL32rocblas_gemvt_warp_reduce_kernelILb0ELi256El16rocblas_bfloat16fS0_EviiT3_lPKT2_lT1_lS4_lS5_lS1_lPT4_lS5_li.num_agpr, 0
	.set _ZL32rocblas_gemvt_warp_reduce_kernelILb0ELi256El16rocblas_bfloat16fS0_EviiT3_lPKT2_lT1_lS4_lS5_lS1_lPT4_lS5_li.numbered_sgpr, 46
	.set _ZL32rocblas_gemvt_warp_reduce_kernelILb0ELi256El16rocblas_bfloat16fS0_EviiT3_lPKT2_lT1_lS4_lS5_lS1_lPT4_lS5_li.num_named_barrier, 0
	.set _ZL32rocblas_gemvt_warp_reduce_kernelILb0ELi256El16rocblas_bfloat16fS0_EviiT3_lPKT2_lT1_lS4_lS5_lS1_lPT4_lS5_li.private_seg_size, 0
	.set _ZL32rocblas_gemvt_warp_reduce_kernelILb0ELi256El16rocblas_bfloat16fS0_EviiT3_lPKT2_lT1_lS4_lS5_lS1_lPT4_lS5_li.uses_vcc, 1
	.set _ZL32rocblas_gemvt_warp_reduce_kernelILb0ELi256El16rocblas_bfloat16fS0_EviiT3_lPKT2_lT1_lS4_lS5_lS1_lPT4_lS5_li.uses_flat_scratch, 0
	.set _ZL32rocblas_gemvt_warp_reduce_kernelILb0ELi256El16rocblas_bfloat16fS0_EviiT3_lPKT2_lT1_lS4_lS5_lS1_lPT4_lS5_li.has_dyn_sized_stack, 0
	.set _ZL32rocblas_gemvt_warp_reduce_kernelILb0ELi256El16rocblas_bfloat16fS0_EviiT3_lPKT2_lT1_lS4_lS5_lS1_lPT4_lS5_li.has_recursion, 0
	.set _ZL32rocblas_gemvt_warp_reduce_kernelILb0ELi256El16rocblas_bfloat16fS0_EviiT3_lPKT2_lT1_lS4_lS5_lS1_lPT4_lS5_li.has_indirect_call, 0
	.section	.AMDGPU.csdata,"",@progbits
; Kernel info:
; codeLenInByte = 2356
; TotalNumSgprs: 48
; NumVgprs: 23
; ScratchSize: 0
; MemoryBound: 0
; FloatMode: 240
; IeeeMode: 1
; LDSByteSize: 128 bytes/workgroup (compile time only)
; SGPRBlocks: 0
; VGPRBlocks: 2
; NumSGPRsForWavesPerEU: 48
; NumVGPRsForWavesPerEU: 23
; Occupancy: 16
; WaveLimiterHint : 0
; COMPUTE_PGM_RSRC2:SCRATCH_EN: 0
; COMPUTE_PGM_RSRC2:USER_SGPR: 2
; COMPUTE_PGM_RSRC2:TRAP_HANDLER: 0
; COMPUTE_PGM_RSRC2:TGID_X_EN: 1
; COMPUTE_PGM_RSRC2:TGID_Y_EN: 0
; COMPUTE_PGM_RSRC2:TGID_Z_EN: 1
; COMPUTE_PGM_RSRC2:TIDIG_COMP_CNT: 0
	.section	.text._ZL20rocblas_gemvt_kernelILb0ELi256E16rocblas_bfloat16PKfS0_EviiT2_lPKT1_lilS6_lilS3_lPT3_lili,"axG",@progbits,_ZL20rocblas_gemvt_kernelILb0ELi256E16rocblas_bfloat16PKfS0_EviiT2_lPKT1_lilS6_lilS3_lPT3_lili,comdat
	.globl	_ZL20rocblas_gemvt_kernelILb0ELi256E16rocblas_bfloat16PKfS0_EviiT2_lPKT1_lilS6_lilS3_lPT3_lili ; -- Begin function _ZL20rocblas_gemvt_kernelILb0ELi256E16rocblas_bfloat16PKfS0_EviiT2_lPKT1_lilS6_lilS3_lPT3_lili
	.p2align	8
	.type	_ZL20rocblas_gemvt_kernelILb0ELi256E16rocblas_bfloat16PKfS0_EviiT2_lPKT1_lilS6_lilS3_lPT3_lili,@function
_ZL20rocblas_gemvt_kernelILb0ELi256E16rocblas_bfloat16PKfS0_EviiT2_lPKT1_lilS6_lilS3_lPT3_lili: ; @_ZL20rocblas_gemvt_kernelILb0ELi256E16rocblas_bfloat16PKfS0_EviiT2_lPKT1_lilS6_lilS3_lPT3_lili
; %bb.0:
	s_load_b32 s33, s[0:1], 0x88
	s_lshr_b32 s10, ttmp7, 16
	s_wait_kmcnt 0x0
	s_cmp_ge_u32 s10, s33
	s_cbranch_scc1 .LBB566_65
; %bb.1:
	s_clause 0x7
	s_load_b32 s8, s[0:1], 0x28
	s_load_b96 s[4:6], s[0:1], 0x40
	s_load_b96 s[36:38], s[0:1], 0x70
	s_load_b256 s[12:19], s[0:1], 0x8
	s_load_b32 s7, s[0:1], 0x0
	s_load_b128 s[28:31], s[0:1], 0x30
	s_load_b256 s[20:27], s[0:1], 0x50
	s_load_b64 s[34:35], s[0:1], 0x80
	s_mov_b32 s2, ttmp9
	s_ashr_i32 s3, ttmp9, 31
	v_lshlrev_b32_e32 v13, 2, v0
	s_mov_b32 s11, 0
	v_mov_b32_e32 v10, 0
	s_wait_kmcnt 0x0
	s_ashr_i32 s9, s8, 31
	s_lshl_b64 s[0:1], s[4:5], 1
	s_lshl_b64 s[4:5], s[36:37], 1
	;; [unrolled: 1-line block ×3, first 2 shown]
	v_cmp_gt_i32_e32 vcc_lo, s7, v0
	s_ashr_i32 s39, s38, 31
	s_add_nc_u64 s[26:27], s[26:27], s[4:5]
	s_add_nc_u64 s[4:5], s[16:17], s[36:37]
	s_mul_u64 s[42:43], s[38:39], s[2:3]
	v_cndmask_b32_e32 v1, 0, v0, vcc_lo
	s_mul_u64 s[2:3], s[8:9], s[2:3]
	s_add_nc_u64 s[18:19], s[30:31], s[0:1]
	s_ashr_i32 s1, s7, 31
	s_lshl_b64 s[38:39], s[2:3], 1
	v_lshlrev_b32_e32 v3, 1, v1
	s_lshr_b32 s1, s1, 24
	s_ashr_i32 s41, s6, 31
	s_add_co_i32 s1, s7, s1
	s_mov_b32 s40, s6
	v_add_co_u32 v1, s4, s4, v3
	s_wait_alu 0xf1ff
	v_add_co_ci_u32_e64 v2, null, s5, 0, s4
	s_and_b32 s30, s1, 0xffffff00
	v_add_co_u32 v11, vcc_lo, v1, s38
	s_wait_alu 0xfffd
	v_add_co_ci_u32_e64 v12, null, s39, v2, vcc_lo
	v_mad_co_i64_i32 v[1:2], null, s6, v0, 0
	v_or_b32_e32 v4, s30, v0
	s_add_nc_u64 s[38:39], s[38:39], s[36:37]
	v_cmp_eq_u32_e64 s0, 0, v0
	s_cmp_gt_i32 s7, 0xff
	v_cmp_gt_u32_e64 s2, 0x80, v0
	v_cmp_gt_i32_e64 s1, s7, v4
	v_lshlrev_b64_e32 v[1:2], 1, v[1:2]
	v_mad_co_i64_i32 v[4:5], null, s6, v4, 0
	v_cmp_gt_u32_e64 s3, 64, v0
	v_cmp_gt_u32_e64 s4, 32, v0
	;; [unrolled: 1-line block ×6, first 2 shown]
	v_add_co_u32 v0, vcc_lo, s18, v1
	s_wait_alu 0xfffe
	s_add_nc_u64 s[16:17], s[16:17], s[38:39]
	s_wait_alu 0xfffd
	v_add_co_ci_u32_e64 v1, null, s19, v2, vcc_lo
	v_add_co_u32 v2, s9, s16, v3
	v_lshlrev_b64_e32 v[4:5], 1, v[4:5]
	v_add_co_ci_u32_e64 v3, null, s17, 0, s9
	s_cselect_b32 s44, -1, 0
	s_ashr_i32 s31, s30, 31
	s_lshl_b64 s[36:37], s[20:21], 1
	s_lshl_b64 s[16:17], s[40:41], 9
	s_lshl_b64 s[38:39], s[28:29], 1
	s_lshl_b64 s[40:41], s[42:43], 1
	s_branch .LBB566_4
.LBB566_2:                              ;   in Loop: Header=BB566_4 Depth=1
	s_or_b32 exec_lo, exec_lo, s45
.LBB566_3:                              ;   in Loop: Header=BB566_4 Depth=1
	s_add_co_i32 s10, s10, 0x10000
	s_wait_alu 0xfffe
	s_cmp_lt_u32 s10, s33
	s_cbranch_scc0 .LBB566_65
.LBB566_4:                              ; =>This Loop Header: Depth=1
                                        ;     Child Loop BB566_19 Depth 2
	s_mul_u64 s[42:43], s[14:15], s[10:11]
	s_mul_u64 s[46:47], s[24:25], s[10:11]
	s_lshl_b64 s[42:43], s[42:43], 2
	s_lshl_b64 s[46:47], s[46:47], 2
	s_add_nc_u64 s[42:43], s[12:13], s[42:43]
	s_add_nc_u64 s[46:47], s[22:23], s[46:47]
	s_clause 0x1
	global_load_b32 v6, v10, s[42:43]
	global_load_b32 v7, v10, s[46:47]
	s_wait_loadcnt 0x1
	v_cmp_eq_f32_e32 vcc_lo, 0, v6
	s_wait_loadcnt 0x0
	v_cmp_eq_f32_e64 s9, 1.0, v7
	v_readfirstlane_b32 s46, v6
	v_readfirstlane_b32 s45, v7
	s_and_b32 s9, vcc_lo, s9
	s_wait_alu 0xfffe
	s_and_b32 vcc_lo, exec_lo, s9
	s_wait_alu 0xfffe
	s_cbranch_vccnz .LBB566_3
; %bb.5:                                ;   in Loop: Header=BB566_4 Depth=1
	s_mul_u64 s[42:43], s[34:35], s[10:11]
	s_delay_alu instid0(SALU_CYCLE_1)
	s_lshl_b64 s[42:43], s[42:43], 1
	s_cmp_neq_f32 s46, 0
	s_add_nc_u64 s[42:43], s[26:27], s[42:43]
	s_cbranch_scc1 .LBB566_13
; %bb.6:                                ;   in Loop: Header=BB566_4 Depth=1
	s_mov_b32 s47, 0
	s_mov_b32 s9, 0
                                        ; implicit-def: $sgpr48
	s_and_saveexec_b32 s49, s0
	s_cbranch_execz .LBB566_14
; %bb.7:                                ;   in Loop: Header=BB566_4 Depth=1
	s_cmp_eq_f32 s45, 0
	s_cbranch_scc1 .LBB566_15
; %bb.8:                                ;   in Loop: Header=BB566_4 Depth=1
	s_add_nc_u64 s[50:51], s[42:43], s[40:41]
	global_load_u16 v6, v10, s[50:51]
	s_mov_b32 s50, -1
	s_wait_loadcnt 0x0
	v_readfirstlane_b32 s9, v6
	s_wait_alu 0xfffe
	s_lshl_b32 s9, s9, 16
	s_wait_alu 0xfffe
	s_mul_f32 s9, s45, s9
	s_wait_alu 0xfffe
	s_delay_alu instid0(SALU_CYCLE_2)
	s_and_b32 s48, s9, 0x7f800000
	s_wait_alu 0xfffe
	s_cmp_eq_u32 s48, 0x7f800000
                                        ; implicit-def: $sgpr48
	s_cbranch_scc1 .LBB566_10
; %bb.9:                                ;   in Loop: Header=BB566_4 Depth=1
	s_bfe_u32 s48, s9, 0x10010
	s_mov_b32 s50, 0
	s_wait_alu 0xfffe
	s_add_co_i32 s48, s9, s48
	s_wait_alu 0xfffe
	s_addk_co_i32 s48, 0x7fff
.LBB566_10:                             ;   in Loop: Header=BB566_4 Depth=1
	s_and_not1_b32 vcc_lo, exec_lo, s50
	s_wait_alu 0xfffe
	s_cbranch_vccnz .LBB566_12
; %bb.11:                               ;   in Loop: Header=BB566_4 Depth=1
	s_and_b32 s48, s9, 0xffff
	s_or_b32 s50, s9, 0x10000
	s_wait_alu 0xfffe
	s_cmp_eq_u32 s48, 0
	s_cselect_b32 s48, s9, s50
.LBB566_12:                             ;   in Loop: Header=BB566_4 Depth=1
	s_wait_alu 0xfffe
	s_lshr_b32 s48, s48, 16
	s_mov_b32 s9, exec_lo
	s_or_b32 exec_lo, exec_lo, s49
	s_delay_alu instid0(SALU_CYCLE_1)
	s_and_b32 vcc_lo, exec_lo, s47
	s_wait_alu 0xfffe
	s_cbranch_vccnz .LBB566_16
	s_branch .LBB566_63
.LBB566_13:                             ;   in Loop: Header=BB566_4 Depth=1
	s_mov_b32 s9, 0
                                        ; implicit-def: $sgpr48
	s_cbranch_execnz .LBB566_16
	s_branch .LBB566_63
.LBB566_14:                             ;   in Loop: Header=BB566_4 Depth=1
	s_wait_alu 0xfffe
	s_or_b32 exec_lo, exec_lo, s49
	s_delay_alu instid0(SALU_CYCLE_1)
	s_and_b32 vcc_lo, exec_lo, s47
	s_wait_alu 0xfffe
	s_cbranch_vccnz .LBB566_16
	s_branch .LBB566_63
.LBB566_15:                             ;   in Loop: Header=BB566_4 Depth=1
	s_mov_b32 s48, 0
	s_mov_b32 s9, exec_lo
	s_wait_alu 0xfffe
	s_or_b32 exec_lo, exec_lo, s49
	s_delay_alu instid0(SALU_CYCLE_1)
	s_and_b32 vcc_lo, exec_lo, s47
	s_wait_alu 0xfffe
	s_cbranch_vccz .LBB566_63
.LBB566_16:                             ;   in Loop: Header=BB566_4 Depth=1
	v_mov_b32_e32 v14, 0
	s_and_not1_b32 vcc_lo, exec_lo, s44
	s_wait_alu 0xfffe
	s_cbranch_vccnz .LBB566_23
; %bb.17:                               ;   in Loop: Header=BB566_4 Depth=1
	v_mad_co_u64_u32 v[6:7], null, s36, s10, v[0:1]
	v_mad_co_u64_u32 v[8:9], null, s38, s10, v[2:3]
	s_mov_b32 s47, 0
	v_mad_co_u64_u32 v[14:15], null, s37, s10, v[7:8]
	v_mad_co_u64_u32 v[15:16], null, s39, s10, v[9:10]
	s_delay_alu instid0(VALU_DEP_2) | instskip(NEXT) | instid1(VALU_DEP_2)
	v_dual_mov_b32 v7, v14 :: v_dual_mov_b32 v14, 0
	v_mov_b32_e32 v9, v15
	s_branch .LBB566_19
.LBB566_18:                             ;   in Loop: Header=BB566_19 Depth=2
	s_wait_alu 0xfffe
	s_or_b32 exec_lo, exec_lo, s48
	s_delay_alu instid0(VALU_DEP_1)
	v_and_b32_e32 v15, 0xffff0000, v16
	v_add_co_u32 v6, vcc_lo, v6, s16
	s_wait_alu 0xfffd
	v_add_co_ci_u32_e64 v7, null, s17, v7, vcc_lo
	v_add_co_u32 v8, vcc_lo, 0x200, v8
	v_add_f32_e32 v14, v14, v15
	s_wait_alu 0xfffd
	v_add_co_ci_u32_e64 v9, null, 0, v9, vcc_lo
	s_addk_co_i32 s47, 0x100
	s_delay_alu instid0(SALU_CYCLE_1)
	s_cmp_ge_i32 s47, s30
	s_cbranch_scc1 .LBB566_23
.LBB566_19:                             ;   Parent Loop BB566_4 Depth=1
                                        ; =>  This Inner Loop Header: Depth=2
	global_load_u16 v15, v[6:7], off
	global_load_u16 v16, v[8:9], off
	s_wait_loadcnt 0x1
	v_lshlrev_b32_e32 v15, 16, v15
	s_wait_loadcnt 0x0
	v_lshlrev_b32_e32 v16, 16, v16
	s_delay_alu instid0(VALU_DEP_1) | instskip(NEXT) | instid1(VALU_DEP_1)
	v_mul_f32_e32 v15, v16, v15
	v_and_b32_e32 v16, 0x7f800000, v15
	s_delay_alu instid0(VALU_DEP_1)
	v_cmp_ne_u32_e32 vcc_lo, 0x7f800000, v16
                                        ; implicit-def: $vgpr16
	s_and_saveexec_b32 s48, vcc_lo
	s_wait_alu 0xfffe
	s_xor_b32 s48, exec_lo, s48
; %bb.20:                               ;   in Loop: Header=BB566_19 Depth=2
	v_bfe_u32 v16, v15, 16, 1
	s_delay_alu instid0(VALU_DEP_1)
	v_add3_u32 v16, v15, v16, 0x7fff
                                        ; implicit-def: $vgpr15
; %bb.21:                               ;   in Loop: Header=BB566_19 Depth=2
	s_wait_alu 0xfffe
	s_and_not1_saveexec_b32 s48, s48
	s_cbranch_execz .LBB566_18
; %bb.22:                               ;   in Loop: Header=BB566_19 Depth=2
	v_and_b32_e32 v16, 0xffff, v15
	v_or_b32_e32 v17, 0x10000, v15
	s_delay_alu instid0(VALU_DEP_2) | instskip(SKIP_1) | instid1(VALU_DEP_2)
	v_cmp_eq_u32_e32 vcc_lo, 0, v16
	s_wait_alu 0xfffd
	v_cndmask_b32_e32 v16, v17, v15, vcc_lo
	s_branch .LBB566_18
.LBB566_23:                             ;   in Loop: Header=BB566_4 Depth=1
	s_and_saveexec_b32 s47, s1
	s_cbranch_execz .LBB566_29
; %bb.24:                               ;   in Loop: Header=BB566_4 Depth=1
	s_mul_u64 s[48:49], s[28:29], s[10:11]
	s_mul_u64 s[50:51], s[20:21], s[10:11]
	s_wait_alu 0xfffe
	s_lshl_b64 s[48:49], s[48:49], 1
	s_lshl_b64 s[50:51], s[50:51], 1
	s_wait_alu 0xfffe
	v_add_co_u32 v8, vcc_lo, v11, s48
	s_wait_alu 0xfffd
	v_add_co_ci_u32_e64 v9, null, s49, v12, vcc_lo
	s_add_nc_u64 s[48:49], s[18:19], s[50:51]
	s_lshl_b64 s[50:51], s[30:31], 1
	s_wait_alu 0xfffe
	v_add_co_u32 v6, vcc_lo, s48, v4
	s_wait_alu 0xfffd
	v_add_co_ci_u32_e64 v7, null, s49, v5, vcc_lo
	v_add_co_u32 v8, vcc_lo, v8, s50
	s_wait_alu 0xfffd
	v_add_co_ci_u32_e64 v9, null, s51, v9, vcc_lo
	global_load_u16 v6, v[6:7], off
	global_load_u16 v7, v[8:9], off
	s_wait_loadcnt 0x1
	v_lshlrev_b32_e32 v6, 16, v6
	s_wait_loadcnt 0x0
	v_lshlrev_b32_e32 v7, 16, v7
	s_delay_alu instid0(VALU_DEP_1) | instskip(NEXT) | instid1(VALU_DEP_1)
	v_mul_f32_e32 v6, v7, v6
	v_and_b32_e32 v7, 0x7f800000, v6
	s_delay_alu instid0(VALU_DEP_1)
	v_cmp_ne_u32_e32 vcc_lo, 0x7f800000, v7
                                        ; implicit-def: $vgpr7
	s_and_saveexec_b32 s48, vcc_lo
	s_wait_alu 0xfffe
	s_xor_b32 s48, exec_lo, s48
; %bb.25:                               ;   in Loop: Header=BB566_4 Depth=1
	v_bfe_u32 v7, v6, 16, 1
	s_delay_alu instid0(VALU_DEP_1)
	v_add3_u32 v7, v6, v7, 0x7fff
                                        ; implicit-def: $vgpr6
; %bb.26:                               ;   in Loop: Header=BB566_4 Depth=1
	s_wait_alu 0xfffe
	s_and_not1_saveexec_b32 s48, s48
; %bb.27:                               ;   in Loop: Header=BB566_4 Depth=1
	v_and_b32_e32 v7, 0xffff, v6
	v_or_b32_e32 v8, 0x10000, v6
	s_delay_alu instid0(VALU_DEP_2) | instskip(SKIP_1) | instid1(VALU_DEP_2)
	v_cmp_eq_u32_e32 vcc_lo, 0, v7
	s_wait_alu 0xfffd
	v_cndmask_b32_e32 v7, v8, v6, vcc_lo
; %bb.28:                               ;   in Loop: Header=BB566_4 Depth=1
	s_wait_alu 0xfffe
	s_or_b32 exec_lo, exec_lo, s48
	s_delay_alu instid0(VALU_DEP_1) | instskip(NEXT) | instid1(VALU_DEP_1)
	v_and_b32_e32 v6, 0xffff0000, v7
	v_add_f32_e32 v14, v14, v6
.LBB566_29:                             ;   in Loop: Header=BB566_4 Depth=1
	s_or_b32 exec_lo, exec_lo, s47
	ds_store_b32 v13, v14
	s_wait_dscnt 0x0
	s_barrier_signal -1
	s_barrier_wait -1
	global_inv scope:SCOPE_SE
	s_and_saveexec_b32 s47, s2
	s_cbranch_execz .LBB566_31
; %bb.30:                               ;   in Loop: Header=BB566_4 Depth=1
	ds_load_2addr_stride64_b32 v[6:7], v13 offset1:2
	s_wait_dscnt 0x0
	v_add_f32_e32 v6, v7, v6
	ds_store_b32 v13, v6
.LBB566_31:                             ;   in Loop: Header=BB566_4 Depth=1
	s_or_b32 exec_lo, exec_lo, s47
	s_wait_loadcnt_dscnt 0x0
	s_barrier_signal -1
	s_barrier_wait -1
	global_inv scope:SCOPE_SE
	s_and_saveexec_b32 s47, s3
	s_cbranch_execz .LBB566_33
; %bb.32:                               ;   in Loop: Header=BB566_4 Depth=1
	ds_load_2addr_stride64_b32 v[6:7], v13 offset1:1
	s_wait_dscnt 0x0
	v_add_f32_e32 v6, v7, v6
	ds_store_b32 v13, v6
.LBB566_33:                             ;   in Loop: Header=BB566_4 Depth=1
	s_or_b32 exec_lo, exec_lo, s47
	s_wait_loadcnt_dscnt 0x0
	s_barrier_signal -1
	s_barrier_wait -1
	global_inv scope:SCOPE_SE
	s_and_saveexec_b32 s47, s4
	s_cbranch_execz .LBB566_35
; %bb.34:                               ;   in Loop: Header=BB566_4 Depth=1
	ds_load_2addr_b32 v[6:7], v13 offset1:32
	s_wait_dscnt 0x0
	v_add_f32_e32 v6, v7, v6
	ds_store_b32 v13, v6
.LBB566_35:                             ;   in Loop: Header=BB566_4 Depth=1
	s_or_b32 exec_lo, exec_lo, s47
	s_wait_loadcnt_dscnt 0x0
	s_barrier_signal -1
	s_barrier_wait -1
	global_inv scope:SCOPE_SE
	s_and_saveexec_b32 s47, s5
	s_cbranch_execz .LBB566_37
; %bb.36:                               ;   in Loop: Header=BB566_4 Depth=1
	ds_load_2addr_b32 v[6:7], v13 offset1:16
	s_wait_dscnt 0x0
	v_add_f32_e32 v6, v7, v6
	ds_store_b32 v13, v6
.LBB566_37:                             ;   in Loop: Header=BB566_4 Depth=1
	;; [unrolled: 13-line block ×5, first 2 shown]
	s_or_b32 exec_lo, exec_lo, s47
	s_wait_loadcnt_dscnt 0x0
	s_barrier_signal -1
	s_barrier_wait -1
	global_inv scope:SCOPE_SE
	s_and_saveexec_b32 s47, s0
	s_cbranch_execz .LBB566_45
; %bb.44:                               ;   in Loop: Header=BB566_4 Depth=1
	ds_load_b64 v[6:7], v10
	s_wait_dscnt 0x0
	v_add_f32_e32 v6, v7, v6
	ds_store_b32 v10, v6
.LBB566_45:                             ;   in Loop: Header=BB566_4 Depth=1
	s_or_b32 exec_lo, exec_lo, s47
	s_wait_loadcnt_dscnt 0x0
	s_barrier_signal -1
	s_barrier_wait -1
	global_inv scope:SCOPE_SE
                                        ; implicit-def: $sgpr48
	s_and_saveexec_b32 s47, s0
	s_cbranch_execz .LBB566_62
; %bb.46:                               ;   in Loop: Header=BB566_4 Depth=1
	ds_load_b32 v6, v10
	s_cmp_eq_f32 s45, 0
	s_wait_dscnt 0x0
	v_readfirstlane_b32 s48, v6
	s_mul_f32 s46, s46, s48
	s_cbranch_scc0 .LBB566_52
; %bb.47:                               ;   in Loop: Header=BB566_4 Depth=1
	s_delay_alu instid0(SALU_CYCLE_2)
	s_and_b32 s48, s46, 0x7f800000
	s_mov_b32 s49, -1
	s_wait_alu 0xfffe
	s_cmp_eq_u32 s48, 0x7f800000
                                        ; implicit-def: $sgpr48
	s_cbranch_scc1 .LBB566_49
; %bb.48:                               ;   in Loop: Header=BB566_4 Depth=1
	s_bfe_u32 s48, s46, 0x10010
	s_mov_b32 s49, 0
	s_wait_alu 0xfffe
	s_add_co_i32 s48, s46, s48
	s_wait_alu 0xfffe
	s_addk_co_i32 s48, 0x7fff
.LBB566_49:                             ;   in Loop: Header=BB566_4 Depth=1
	s_and_not1_b32 vcc_lo, exec_lo, s49
	s_wait_alu 0xfffe
	s_cbranch_vccnz .LBB566_51
; %bb.50:                               ;   in Loop: Header=BB566_4 Depth=1
	s_and_b32 s48, s46, 0xffff
	s_or_b32 s49, s46, 0x10000
	s_wait_alu 0xfffe
	s_cmp_eq_u32 s48, 0
	s_cselect_b32 s48, s46, s49
.LBB566_51:                             ;   in Loop: Header=BB566_4 Depth=1
	s_cbranch_execz .LBB566_53
	s_branch .LBB566_61
.LBB566_52:                             ;   in Loop: Header=BB566_4 Depth=1
                                        ; implicit-def: $sgpr48
.LBB566_53:                             ;   in Loop: Header=BB566_4 Depth=1
	s_add_nc_u64 s[48:49], s[42:43], s[40:41]
	global_load_u16 v6, v10, s[48:49]
	s_mov_b32 s49, -1
	s_wait_loadcnt 0x0
	v_readfirstlane_b32 s48, v6
	s_wait_alu 0xfffe
	s_lshl_b32 s48, s48, 16
	s_wait_alu 0xfffe
	s_mul_f32 s45, s45, s48
	s_delay_alu instid0(SALU_CYCLE_3)
	s_and_b32 s48, s45, 0x7f800000
	s_wait_alu 0xfffe
	s_cmp_eq_u32 s48, 0x7f800000
                                        ; implicit-def: $sgpr48
	s_cbranch_scc1 .LBB566_55
; %bb.54:                               ;   in Loop: Header=BB566_4 Depth=1
	s_bfe_u32 s48, s45, 0x10010
	s_mov_b32 s49, 0
	s_wait_alu 0xfffe
	s_add_co_i32 s48, s45, s48
	s_wait_alu 0xfffe
	s_addk_co_i32 s48, 0x7fff
.LBB566_55:                             ;   in Loop: Header=BB566_4 Depth=1
	s_and_not1_b32 vcc_lo, exec_lo, s49
	s_wait_alu 0xfffe
	s_cbranch_vccnz .LBB566_57
; %bb.56:                               ;   in Loop: Header=BB566_4 Depth=1
	s_and_b32 s48, s45, 0xffff
	s_or_b32 s49, s45, 0x10000
	s_wait_alu 0xfffe
	s_cmp_eq_u32 s48, 0
	s_cselect_b32 s48, s45, s49
.LBB566_57:                             ;   in Loop: Header=BB566_4 Depth=1
	s_wait_alu 0xfffe
	s_and_b32 s45, s48, 0xffff0000
                                        ; implicit-def: $sgpr48
	s_delay_alu instid0(SALU_CYCLE_1) | instskip(NEXT) | instid1(SALU_CYCLE_3)
	s_add_f32 s45, s46, s45
	s_and_b32 s46, s45, 0x7f800000
	s_delay_alu instid0(SALU_CYCLE_1)
	s_cmp_eq_u32 s46, 0x7f800000
	s_mov_b32 s46, -1
	s_cbranch_scc1 .LBB566_59
; %bb.58:                               ;   in Loop: Header=BB566_4 Depth=1
	s_bfe_u32 s46, s45, 0x10010
	s_delay_alu instid0(SALU_CYCLE_1) | instskip(NEXT) | instid1(SALU_CYCLE_1)
	s_add_co_i32 s46, s45, s46
	s_add_co_i32 s48, s46, 0x7fff
	s_mov_b32 s46, 0
.LBB566_59:                             ;   in Loop: Header=BB566_4 Depth=1
	s_delay_alu instid0(SALU_CYCLE_1)
	s_and_not1_b32 vcc_lo, exec_lo, s46
	s_wait_alu 0xfffe
	s_cbranch_vccnz .LBB566_61
; %bb.60:                               ;   in Loop: Header=BB566_4 Depth=1
	s_and_b32 s46, s45, 0xffff
	s_or_b32 s48, s45, 0x10000
	s_cmp_eq_u32 s46, 0
	s_wait_alu 0xfffe
	s_cselect_b32 s48, s45, s48
.LBB566_61:                             ;   in Loop: Header=BB566_4 Depth=1
	s_wait_alu 0xfffe
	s_lshr_b32 s48, s48, 16
	s_or_b32 s9, s9, exec_lo
.LBB566_62:                             ;   in Loop: Header=BB566_4 Depth=1
	s_or_b32 exec_lo, exec_lo, s47
.LBB566_63:                             ;   in Loop: Header=BB566_4 Depth=1
	s_wait_alu 0xfffe
	s_and_saveexec_b32 s45, s9
	s_cbranch_execz .LBB566_2
; %bb.64:                               ;   in Loop: Header=BB566_4 Depth=1
	v_mov_b32_e32 v6, s48
	s_add_nc_u64 s[42:43], s[42:43], s[40:41]
	global_store_b16 v10, v6, s[42:43]
	s_branch .LBB566_2
.LBB566_65:
	s_endpgm
	.section	.rodata,"a",@progbits
	.p2align	6, 0x0
	.amdhsa_kernel _ZL20rocblas_gemvt_kernelILb0ELi256E16rocblas_bfloat16PKfS0_EviiT2_lPKT1_lilS6_lilS3_lPT3_lili
		.amdhsa_group_segment_fixed_size 1024
		.amdhsa_private_segment_fixed_size 0
		.amdhsa_kernarg_size 140
		.amdhsa_user_sgpr_count 2
		.amdhsa_user_sgpr_dispatch_ptr 0
		.amdhsa_user_sgpr_queue_ptr 0
		.amdhsa_user_sgpr_kernarg_segment_ptr 1
		.amdhsa_user_sgpr_dispatch_id 0
		.amdhsa_user_sgpr_private_segment_size 0
		.amdhsa_wavefront_size32 1
		.amdhsa_uses_dynamic_stack 0
		.amdhsa_enable_private_segment 0
		.amdhsa_system_sgpr_workgroup_id_x 1
		.amdhsa_system_sgpr_workgroup_id_y 0
		.amdhsa_system_sgpr_workgroup_id_z 1
		.amdhsa_system_sgpr_workgroup_info 0
		.amdhsa_system_vgpr_workitem_id 0
		.amdhsa_next_free_vgpr 18
		.amdhsa_next_free_sgpr 52
		.amdhsa_reserve_vcc 1
		.amdhsa_float_round_mode_32 0
		.amdhsa_float_round_mode_16_64 0
		.amdhsa_float_denorm_mode_32 3
		.amdhsa_float_denorm_mode_16_64 3
		.amdhsa_fp16_overflow 0
		.amdhsa_workgroup_processor_mode 1
		.amdhsa_memory_ordered 1
		.amdhsa_forward_progress 1
		.amdhsa_inst_pref_size 19
		.amdhsa_round_robin_scheduling 0
		.amdhsa_exception_fp_ieee_invalid_op 0
		.amdhsa_exception_fp_denorm_src 0
		.amdhsa_exception_fp_ieee_div_zero 0
		.amdhsa_exception_fp_ieee_overflow 0
		.amdhsa_exception_fp_ieee_underflow 0
		.amdhsa_exception_fp_ieee_inexact 0
		.amdhsa_exception_int_div_zero 0
	.end_amdhsa_kernel
	.section	.text._ZL20rocblas_gemvt_kernelILb0ELi256E16rocblas_bfloat16PKfS0_EviiT2_lPKT1_lilS6_lilS3_lPT3_lili,"axG",@progbits,_ZL20rocblas_gemvt_kernelILb0ELi256E16rocblas_bfloat16PKfS0_EviiT2_lPKT1_lilS6_lilS3_lPT3_lili,comdat
.Lfunc_end566:
	.size	_ZL20rocblas_gemvt_kernelILb0ELi256E16rocblas_bfloat16PKfS0_EviiT2_lPKT1_lilS6_lilS3_lPT3_lili, .Lfunc_end566-_ZL20rocblas_gemvt_kernelILb0ELi256E16rocblas_bfloat16PKfS0_EviiT2_lPKT1_lilS6_lilS3_lPT3_lili
                                        ; -- End function
	.set _ZL20rocblas_gemvt_kernelILb0ELi256E16rocblas_bfloat16PKfS0_EviiT2_lPKT1_lilS6_lilS3_lPT3_lili.num_vgpr, 18
	.set _ZL20rocblas_gemvt_kernelILb0ELi256E16rocblas_bfloat16PKfS0_EviiT2_lPKT1_lilS6_lilS3_lPT3_lili.num_agpr, 0
	.set _ZL20rocblas_gemvt_kernelILb0ELi256E16rocblas_bfloat16PKfS0_EviiT2_lPKT1_lilS6_lilS3_lPT3_lili.numbered_sgpr, 52
	.set _ZL20rocblas_gemvt_kernelILb0ELi256E16rocblas_bfloat16PKfS0_EviiT2_lPKT1_lilS6_lilS3_lPT3_lili.num_named_barrier, 0
	.set _ZL20rocblas_gemvt_kernelILb0ELi256E16rocblas_bfloat16PKfS0_EviiT2_lPKT1_lilS6_lilS3_lPT3_lili.private_seg_size, 0
	.set _ZL20rocblas_gemvt_kernelILb0ELi256E16rocblas_bfloat16PKfS0_EviiT2_lPKT1_lilS6_lilS3_lPT3_lili.uses_vcc, 1
	.set _ZL20rocblas_gemvt_kernelILb0ELi256E16rocblas_bfloat16PKfS0_EviiT2_lPKT1_lilS6_lilS3_lPT3_lili.uses_flat_scratch, 0
	.set _ZL20rocblas_gemvt_kernelILb0ELi256E16rocblas_bfloat16PKfS0_EviiT2_lPKT1_lilS6_lilS3_lPT3_lili.has_dyn_sized_stack, 0
	.set _ZL20rocblas_gemvt_kernelILb0ELi256E16rocblas_bfloat16PKfS0_EviiT2_lPKT1_lilS6_lilS3_lPT3_lili.has_recursion, 0
	.set _ZL20rocblas_gemvt_kernelILb0ELi256E16rocblas_bfloat16PKfS0_EviiT2_lPKT1_lilS6_lilS3_lPT3_lili.has_indirect_call, 0
	.section	.AMDGPU.csdata,"",@progbits
; Kernel info:
; codeLenInByte = 2408
; TotalNumSgprs: 54
; NumVgprs: 18
; ScratchSize: 0
; MemoryBound: 0
; FloatMode: 240
; IeeeMode: 1
; LDSByteSize: 1024 bytes/workgroup (compile time only)
; SGPRBlocks: 0
; VGPRBlocks: 2
; NumSGPRsForWavesPerEU: 54
; NumVGPRsForWavesPerEU: 18
; Occupancy: 16
; WaveLimiterHint : 0
; COMPUTE_PGM_RSRC2:SCRATCH_EN: 0
; COMPUTE_PGM_RSRC2:USER_SGPR: 2
; COMPUTE_PGM_RSRC2:TRAP_HANDLER: 0
; COMPUTE_PGM_RSRC2:TGID_X_EN: 1
; COMPUTE_PGM_RSRC2:TGID_Y_EN: 0
; COMPUTE_PGM_RSRC2:TGID_Z_EN: 1
; COMPUTE_PGM_RSRC2:TIDIG_COMP_CNT: 0
	.section	.text._ZL20rocblas_gemvt_kernelILb0ELi256E16rocblas_bfloat16fS0_EviiT2_lPKT1_lilS4_lilS1_lPT3_lili,"axG",@progbits,_ZL20rocblas_gemvt_kernelILb0ELi256E16rocblas_bfloat16fS0_EviiT2_lPKT1_lilS4_lilS1_lPT3_lili,comdat
	.globl	_ZL20rocblas_gemvt_kernelILb0ELi256E16rocblas_bfloat16fS0_EviiT2_lPKT1_lilS4_lilS1_lPT3_lili ; -- Begin function _ZL20rocblas_gemvt_kernelILb0ELi256E16rocblas_bfloat16fS0_EviiT2_lPKT1_lilS4_lilS1_lPT3_lili
	.p2align	8
	.type	_ZL20rocblas_gemvt_kernelILb0ELi256E16rocblas_bfloat16fS0_EviiT2_lPKT1_lilS4_lilS1_lPT3_lili,@function
_ZL20rocblas_gemvt_kernelILb0ELi256E16rocblas_bfloat16fS0_EviiT2_lPKT1_lilS4_lilS1_lPT3_lili: ; @_ZL20rocblas_gemvt_kernelILb0ELi256E16rocblas_bfloat16fS0_EviiT2_lPKT1_lilS4_lilS1_lPT3_lili
; %bb.0:
	s_load_b32 s9, s[0:1], 0x88
	s_lshr_b32 s10, ttmp7, 16
	s_wait_kmcnt 0x0
	s_cmp_ge_u32 s10, s9
	s_cbranch_scc1 .LBB567_65
; %bb.1:
	s_clause 0x9
	s_load_b32 s26, s[0:1], 0x28
	s_load_b96 s[4:6], s[0:1], 0x40
	s_load_b32 s34, s[0:1], 0x78
	s_load_b128 s[28:31], s[0:1], 0x68
	s_load_b128 s[16:19], s[0:1], 0x18
	s_load_b32 s23, s[0:1], 0x8
	s_load_b96 s[20:22], s[0:1], 0x50
	s_load_b32 s7, s[0:1], 0x0
	s_load_b128 s[12:15], s[0:1], 0x30
	s_load_b64 s[24:25], s[0:1], 0x80
	s_mov_b32 s2, ttmp9
	v_cmp_eq_u32_e64 s0, 0, v0
	v_lshlrev_b32_e32 v13, 2, v0
	v_cmp_gt_u32_e64 s8, 2, v0
	s_mov_b32 s11, 0
	s_wait_kmcnt 0x0
	s_ashr_i32 s27, s26, 31
	s_ashr_i32 s37, s6, 31
	;; [unrolled: 1-line block ×3, first 2 shown]
	s_lshl_b64 s[4:5], s[4:5], 1
	s_lshl_b64 s[30:31], s[30:31], 1
	;; [unrolled: 1-line block ×3, first 2 shown]
	s_cmp_eq_f32 s23, 0
	v_cmp_gt_i32_e32 vcc_lo, s7, v0
	v_mov_b32_e32 v10, 0
	s_add_nc_u64 s[14:15], s[14:15], s[4:5]
	s_cselect_b32 s33, -1, 0
	s_cmp_neq_f32 s23, 0
	v_cndmask_b32_e32 v1, 0, v0, vcc_lo
	s_add_nc_u64 s[4:5], s[16:17], s[38:39]
	s_add_nc_u64 s[18:19], s[28:29], s[30:31]
	s_cselect_b32 s1, -1, 0
	s_cmp_neq_f32 s22, 1.0
	v_lshlrev_b32_e32 v3, 1, v1
	s_mov_b32 s36, s6
	s_cselect_b32 s3, -1, 0
	s_delay_alu instid0(SALU_CYCLE_1)
	s_or_b32 s40, s1, s3
	s_cmp_neq_f32 s22, 0
	v_add_co_u32 v1, s4, s4, v3
	s_wait_alu 0xf1ff
	v_add_co_ci_u32_e64 v2, null, s5, 0, s4
	s_cselect_b32 s41, -1, 0
	s_cmp_eq_f32 s22, 0
	v_cmp_gt_u32_e64 s4, 32, v0
	v_cmp_gt_u32_e64 s5, 16, v0
	s_cselect_b32 s42, -1, 0
	s_ashr_i32 s3, ttmp9, 31
	s_ashr_i32 s1, s7, 31
	s_mul_u64 s[28:29], s[26:27], s[2:3]
	s_lshr_b32 s1, s1, 24
	s_lshl_b64 s[30:31], s[28:29], 1
	s_add_co_i32 s1, s7, s1
	v_add_co_u32 v11, vcc_lo, v1, s30
	s_wait_alu 0xfffd
	v_add_co_ci_u32_e64 v12, null, s31, v2, vcc_lo
	v_mad_co_i64_i32 v[1:2], null, s6, v0, 0
	s_and_b32 s26, s1, 0xffffff00
	s_add_nc_u64 s[38:39], s[30:31], s[38:39]
	v_or_b32_e32 v4, s26, v0
	s_mul_u64 s[34:35], s[34:35], s[2:3]
	s_cmp_gt_i32 s7, 0xff
	v_cmp_gt_u32_e64 s2, 0x80, v0
	v_lshlrev_b64_e32 v[1:2], 1, v[1:2]
	v_cmp_gt_i32_e64 s1, s7, v4
	v_mad_co_i64_i32 v[4:5], null, s6, v4, 0
	v_cmp_gt_u32_e64 s3, 64, v0
	v_cmp_gt_u32_e64 s6, 8, v0
	;; [unrolled: 1-line block ×3, first 2 shown]
	v_add_co_u32 v0, vcc_lo, s14, v1
	s_add_nc_u64 s[16:17], s[16:17], s[38:39]
	s_wait_alu 0xfffd
	v_add_co_ci_u32_e64 v1, null, s15, v2, vcc_lo
	v_add_co_u32 v2, s16, s16, v3
	v_lshlrev_b64_e32 v[4:5], 1, v[4:5]
	s_wait_alu 0xf1ff
	v_add_co_ci_u32_e64 v3, null, s17, 0, s16
	s_cselect_b32 s43, -1, 0
	s_ashr_i32 s27, s26, 31
	s_lshl_b64 s[28:29], s[20:21], 1
	s_lshl_b64 s[30:31], s[36:37], 9
	;; [unrolled: 1-line block ×4, first 2 shown]
	s_wait_alu 0xfffe
	s_lshl_b64 s[36:37], s[26:27], 1
	s_branch .LBB567_4
.LBB567_2:                              ;   in Loop: Header=BB567_4 Depth=1
	s_wait_alu 0xfffe
	s_or_b32 exec_lo, exec_lo, s44
.LBB567_3:                              ;   in Loop: Header=BB567_4 Depth=1
	s_add_co_i32 s10, s10, 0x10000
	s_wait_alu 0xfffe
	s_cmp_lt_u32 s10, s9
	s_cbranch_scc0 .LBB567_65
.LBB567_4:                              ; =>This Loop Header: Depth=1
                                        ;     Child Loop BB567_19 Depth 2
	s_and_not1_b32 vcc_lo, exec_lo, s40
	s_wait_alu 0xfffe
	s_cbranch_vccnz .LBB567_3
; %bb.5:                                ;   in Loop: Header=BB567_4 Depth=1
	s_mul_u64 s[38:39], s[24:25], s[10:11]
	s_and_not1_b32 vcc_lo, exec_lo, s33
	s_lshl_b64 s[38:39], s[38:39], 1
	s_delay_alu instid0(SALU_CYCLE_1)
	s_add_nc_u64 s[38:39], s[18:19], s[38:39]
	s_wait_alu 0xfffe
	s_cbranch_vccnz .LBB567_13
; %bb.6:                                ;   in Loop: Header=BB567_4 Depth=1
	s_mov_b32 s44, 0
	s_mov_b32 s27, 0
                                        ; implicit-def: $sgpr45
	s_and_saveexec_b32 s46, s0
	s_cbranch_execz .LBB567_14
; %bb.7:                                ;   in Loop: Header=BB567_4 Depth=1
	s_and_not1_b32 vcc_lo, exec_lo, s41
	s_wait_alu 0xfffe
	s_cbranch_vccnz .LBB567_15
; %bb.8:                                ;   in Loop: Header=BB567_4 Depth=1
	s_add_nc_u64 s[48:49], s[38:39], s[34:35]
	s_mov_b32 s47, -1
	global_load_u16 v6, v10, s[48:49]
	s_wait_loadcnt 0x0
	v_readfirstlane_b32 s27, v6
	s_lshl_b32 s27, s27, 16
	s_wait_alu 0xfffe
	s_mul_f32 s27, s22, s27
	s_wait_alu 0xfffe
	s_delay_alu instid0(SALU_CYCLE_2)
	s_and_b32 s45, s27, 0x7f800000
	s_wait_alu 0xfffe
	s_cmp_eq_u32 s45, 0x7f800000
                                        ; implicit-def: $sgpr45
	s_cbranch_scc1 .LBB567_10
; %bb.9:                                ;   in Loop: Header=BB567_4 Depth=1
	s_bfe_u32 s45, s27, 0x10010
	s_mov_b32 s47, 0
	s_wait_alu 0xfffe
	s_add_co_i32 s45, s27, s45
	s_wait_alu 0xfffe
	s_addk_co_i32 s45, 0x7fff
.LBB567_10:                             ;   in Loop: Header=BB567_4 Depth=1
	s_wait_alu 0xfffe
	s_and_not1_b32 vcc_lo, exec_lo, s47
	s_wait_alu 0xfffe
	s_cbranch_vccnz .LBB567_12
; %bb.11:                               ;   in Loop: Header=BB567_4 Depth=1
	s_and_b32 s45, s27, 0xffff
	s_or_b32 s47, s27, 0x10000
	s_wait_alu 0xfffe
	s_cmp_eq_u32 s45, 0
	s_cselect_b32 s45, s27, s47
.LBB567_12:                             ;   in Loop: Header=BB567_4 Depth=1
	s_wait_alu 0xfffe
	s_lshr_b32 s45, s45, 16
	s_mov_b32 s27, exec_lo
	s_or_b32 exec_lo, exec_lo, s46
	s_delay_alu instid0(SALU_CYCLE_1)
	s_and_b32 vcc_lo, exec_lo, s44
	s_wait_alu 0xfffe
	s_cbranch_vccnz .LBB567_16
	s_branch .LBB567_63
.LBB567_13:                             ;   in Loop: Header=BB567_4 Depth=1
	s_mov_b32 s27, 0
                                        ; implicit-def: $sgpr45
	s_cbranch_execnz .LBB567_16
	s_branch .LBB567_63
.LBB567_14:                             ;   in Loop: Header=BB567_4 Depth=1
	s_wait_alu 0xfffe
	s_or_b32 exec_lo, exec_lo, s46
	s_delay_alu instid0(SALU_CYCLE_1)
	s_and_b32 vcc_lo, exec_lo, s44
	s_wait_alu 0xfffe
	s_cbranch_vccnz .LBB567_16
	s_branch .LBB567_63
.LBB567_15:                             ;   in Loop: Header=BB567_4 Depth=1
	s_mov_b32 s45, 0
	s_mov_b32 s27, exec_lo
	s_or_b32 exec_lo, exec_lo, s46
	s_delay_alu instid0(SALU_CYCLE_1)
	s_and_b32 vcc_lo, exec_lo, s44
	s_wait_alu 0xfffe
	s_cbranch_vccz .LBB567_63
.LBB567_16:                             ;   in Loop: Header=BB567_4 Depth=1
	v_mov_b32_e32 v14, 0
	s_and_not1_b32 vcc_lo, exec_lo, s43
	s_wait_alu 0xfffe
	s_cbranch_vccnz .LBB567_23
; %bb.17:                               ;   in Loop: Header=BB567_4 Depth=1
	v_mad_co_u64_u32 v[6:7], null, s28, s10, v[0:1]
	v_mad_co_u64_u32 v[8:9], null, s16, s10, v[2:3]
	s_mov_b32 s44, 0
	v_mad_co_u64_u32 v[14:15], null, s29, s10, v[7:8]
	v_mad_co_u64_u32 v[15:16], null, s17, s10, v[9:10]
	s_delay_alu instid0(VALU_DEP_2) | instskip(NEXT) | instid1(VALU_DEP_2)
	v_dual_mov_b32 v7, v14 :: v_dual_mov_b32 v14, 0
	v_mov_b32_e32 v9, v15
	s_branch .LBB567_19
.LBB567_18:                             ;   in Loop: Header=BB567_19 Depth=2
	s_wait_alu 0xfffe
	s_or_b32 exec_lo, exec_lo, s45
	s_delay_alu instid0(VALU_DEP_1)
	v_and_b32_e32 v15, 0xffff0000, v16
	v_add_co_u32 v6, vcc_lo, v6, s30
	s_wait_alu 0xfffd
	v_add_co_ci_u32_e64 v7, null, s31, v7, vcc_lo
	v_add_co_u32 v8, vcc_lo, 0x200, v8
	v_add_f32_e32 v14, v14, v15
	s_wait_alu 0xfffd
	v_add_co_ci_u32_e64 v9, null, 0, v9, vcc_lo
	s_addk_co_i32 s44, 0x100
	s_wait_alu 0xfffe
	s_cmp_ge_i32 s44, s26
	s_cbranch_scc1 .LBB567_23
.LBB567_19:                             ;   Parent Loop BB567_4 Depth=1
                                        ; =>  This Inner Loop Header: Depth=2
	global_load_u16 v15, v[6:7], off
	global_load_u16 v16, v[8:9], off
	s_wait_loadcnt 0x1
	v_lshlrev_b32_e32 v15, 16, v15
	s_wait_loadcnt 0x0
	v_lshlrev_b32_e32 v16, 16, v16
	s_delay_alu instid0(VALU_DEP_1) | instskip(NEXT) | instid1(VALU_DEP_1)
	v_mul_f32_e32 v15, v16, v15
	v_and_b32_e32 v16, 0x7f800000, v15
	s_delay_alu instid0(VALU_DEP_1)
	v_cmp_ne_u32_e32 vcc_lo, 0x7f800000, v16
                                        ; implicit-def: $vgpr16
	s_and_saveexec_b32 s45, vcc_lo
	s_wait_alu 0xfffe
	s_xor_b32 s45, exec_lo, s45
; %bb.20:                               ;   in Loop: Header=BB567_19 Depth=2
	v_bfe_u32 v16, v15, 16, 1
	s_delay_alu instid0(VALU_DEP_1)
	v_add3_u32 v16, v15, v16, 0x7fff
                                        ; implicit-def: $vgpr15
; %bb.21:                               ;   in Loop: Header=BB567_19 Depth=2
	s_wait_alu 0xfffe
	s_and_not1_saveexec_b32 s45, s45
	s_cbranch_execz .LBB567_18
; %bb.22:                               ;   in Loop: Header=BB567_19 Depth=2
	v_and_b32_e32 v16, 0xffff, v15
	v_or_b32_e32 v17, 0x10000, v15
	s_delay_alu instid0(VALU_DEP_2) | instskip(SKIP_1) | instid1(VALU_DEP_2)
	v_cmp_eq_u32_e32 vcc_lo, 0, v16
	s_wait_alu 0xfffd
	v_cndmask_b32_e32 v16, v17, v15, vcc_lo
	s_branch .LBB567_18
.LBB567_23:                             ;   in Loop: Header=BB567_4 Depth=1
	s_and_saveexec_b32 s44, s1
	s_cbranch_execz .LBB567_29
; %bb.24:                               ;   in Loop: Header=BB567_4 Depth=1
	s_mul_u64 s[46:47], s[12:13], s[10:11]
	s_mul_u64 s[48:49], s[20:21], s[10:11]
	s_wait_alu 0xfffe
	s_lshl_b64 s[46:47], s[46:47], 1
	s_lshl_b64 s[48:49], s[48:49], 1
	s_wait_alu 0xfffe
	v_add_co_u32 v8, vcc_lo, v11, s46
	s_wait_alu 0xfffd
	v_add_co_ci_u32_e64 v9, null, s47, v12, vcc_lo
	s_add_nc_u64 s[46:47], s[14:15], s[48:49]
	s_wait_alu 0xfffe
	v_add_co_u32 v6, vcc_lo, s46, v4
	s_wait_alu 0xfffd
	v_add_co_ci_u32_e64 v7, null, s47, v5, vcc_lo
	v_add_co_u32 v8, vcc_lo, v8, s36
	s_wait_alu 0xfffd
	v_add_co_ci_u32_e64 v9, null, s37, v9, vcc_lo
	global_load_u16 v6, v[6:7], off
	global_load_u16 v7, v[8:9], off
	s_wait_loadcnt 0x1
	v_lshlrev_b32_e32 v6, 16, v6
	s_wait_loadcnt 0x0
	v_lshlrev_b32_e32 v7, 16, v7
	s_delay_alu instid0(VALU_DEP_1) | instskip(NEXT) | instid1(VALU_DEP_1)
	v_mul_f32_e32 v6, v7, v6
	v_and_b32_e32 v7, 0x7f800000, v6
	s_delay_alu instid0(VALU_DEP_1)
	v_cmp_ne_u32_e32 vcc_lo, 0x7f800000, v7
                                        ; implicit-def: $vgpr7
	s_and_saveexec_b32 s45, vcc_lo
	s_wait_alu 0xfffe
	s_xor_b32 s45, exec_lo, s45
; %bb.25:                               ;   in Loop: Header=BB567_4 Depth=1
	v_bfe_u32 v7, v6, 16, 1
	s_delay_alu instid0(VALU_DEP_1)
	v_add3_u32 v7, v6, v7, 0x7fff
                                        ; implicit-def: $vgpr6
; %bb.26:                               ;   in Loop: Header=BB567_4 Depth=1
	s_wait_alu 0xfffe
	s_and_not1_saveexec_b32 s45, s45
; %bb.27:                               ;   in Loop: Header=BB567_4 Depth=1
	v_and_b32_e32 v7, 0xffff, v6
	v_or_b32_e32 v8, 0x10000, v6
	s_delay_alu instid0(VALU_DEP_2) | instskip(SKIP_1) | instid1(VALU_DEP_2)
	v_cmp_eq_u32_e32 vcc_lo, 0, v7
	s_wait_alu 0xfffd
	v_cndmask_b32_e32 v7, v8, v6, vcc_lo
; %bb.28:                               ;   in Loop: Header=BB567_4 Depth=1
	s_wait_alu 0xfffe
	s_or_b32 exec_lo, exec_lo, s45
	s_delay_alu instid0(VALU_DEP_1) | instskip(NEXT) | instid1(VALU_DEP_1)
	v_and_b32_e32 v6, 0xffff0000, v7
	v_add_f32_e32 v14, v14, v6
.LBB567_29:                             ;   in Loop: Header=BB567_4 Depth=1
	s_wait_alu 0xfffe
	s_or_b32 exec_lo, exec_lo, s44
	ds_store_b32 v13, v14
	s_wait_dscnt 0x0
	s_barrier_signal -1
	s_barrier_wait -1
	global_inv scope:SCOPE_SE
	s_and_saveexec_b32 s44, s2
	s_cbranch_execz .LBB567_31
; %bb.30:                               ;   in Loop: Header=BB567_4 Depth=1
	ds_load_2addr_stride64_b32 v[6:7], v13 offset1:2
	s_wait_dscnt 0x0
	v_add_f32_e32 v6, v7, v6
	ds_store_b32 v13, v6
.LBB567_31:                             ;   in Loop: Header=BB567_4 Depth=1
	s_wait_alu 0xfffe
	s_or_b32 exec_lo, exec_lo, s44
	s_wait_loadcnt_dscnt 0x0
	s_barrier_signal -1
	s_barrier_wait -1
	global_inv scope:SCOPE_SE
	s_and_saveexec_b32 s44, s3
	s_cbranch_execz .LBB567_33
; %bb.32:                               ;   in Loop: Header=BB567_4 Depth=1
	ds_load_2addr_stride64_b32 v[6:7], v13 offset1:1
	s_wait_dscnt 0x0
	v_add_f32_e32 v6, v7, v6
	ds_store_b32 v13, v6
.LBB567_33:                             ;   in Loop: Header=BB567_4 Depth=1
	s_wait_alu 0xfffe
	s_or_b32 exec_lo, exec_lo, s44
	s_wait_loadcnt_dscnt 0x0
	s_barrier_signal -1
	s_barrier_wait -1
	global_inv scope:SCOPE_SE
	s_and_saveexec_b32 s44, s4
	s_cbranch_execz .LBB567_35
; %bb.34:                               ;   in Loop: Header=BB567_4 Depth=1
	ds_load_2addr_b32 v[6:7], v13 offset1:32
	s_wait_dscnt 0x0
	v_add_f32_e32 v6, v7, v6
	ds_store_b32 v13, v6
.LBB567_35:                             ;   in Loop: Header=BB567_4 Depth=1
	s_wait_alu 0xfffe
	s_or_b32 exec_lo, exec_lo, s44
	s_wait_loadcnt_dscnt 0x0
	s_barrier_signal -1
	s_barrier_wait -1
	global_inv scope:SCOPE_SE
	s_and_saveexec_b32 s44, s5
	s_cbranch_execz .LBB567_37
; %bb.36:                               ;   in Loop: Header=BB567_4 Depth=1
	ds_load_2addr_b32 v[6:7], v13 offset1:16
	s_wait_dscnt 0x0
	v_add_f32_e32 v6, v7, v6
	ds_store_b32 v13, v6
.LBB567_37:                             ;   in Loop: Header=BB567_4 Depth=1
	;; [unrolled: 14-line block ×5, first 2 shown]
	s_wait_alu 0xfffe
	s_or_b32 exec_lo, exec_lo, s44
	s_wait_loadcnt_dscnt 0x0
	s_barrier_signal -1
	s_barrier_wait -1
	global_inv scope:SCOPE_SE
	s_and_saveexec_b32 s44, s0
	s_cbranch_execz .LBB567_45
; %bb.44:                               ;   in Loop: Header=BB567_4 Depth=1
	ds_load_b64 v[6:7], v10
	s_wait_dscnt 0x0
	v_add_f32_e32 v6, v7, v6
	ds_store_b32 v10, v6
.LBB567_45:                             ;   in Loop: Header=BB567_4 Depth=1
	s_wait_alu 0xfffe
	s_or_b32 exec_lo, exec_lo, s44
	s_wait_loadcnt_dscnt 0x0
	s_barrier_signal -1
	s_barrier_wait -1
	global_inv scope:SCOPE_SE
                                        ; implicit-def: $sgpr45
	s_and_saveexec_b32 s44, s0
	s_cbranch_execz .LBB567_62
; %bb.46:                               ;   in Loop: Header=BB567_4 Depth=1
	ds_load_b32 v6, v10
	s_and_b32 vcc_lo, exec_lo, s42
	s_mov_b32 s47, -1
                                        ; implicit-def: $sgpr46
	s_wait_dscnt 0x0
	v_readfirstlane_b32 s45, v6
	s_mul_f32 s45, s23, s45
	s_wait_alu 0xfffe
	s_cbranch_vccz .LBB567_52
; %bb.47:                               ;   in Loop: Header=BB567_4 Depth=1
	s_delay_alu instid0(SALU_CYCLE_1)
	s_and_b32 s46, s45, 0x7f800000
	s_wait_alu 0xfffe
	s_cmp_eq_u32 s46, 0x7f800000
                                        ; implicit-def: $sgpr46
	s_cbranch_scc1 .LBB567_49
; %bb.48:                               ;   in Loop: Header=BB567_4 Depth=1
	s_bfe_u32 s46, s45, 0x10010
	s_mov_b32 s47, 0
	s_wait_alu 0xfffe
	s_add_co_i32 s46, s45, s46
	s_wait_alu 0xfffe
	s_addk_co_i32 s46, 0x7fff
.LBB567_49:                             ;   in Loop: Header=BB567_4 Depth=1
	s_and_not1_b32 vcc_lo, exec_lo, s47
	s_wait_alu 0xfffe
	s_cbranch_vccnz .LBB567_51
; %bb.50:                               ;   in Loop: Header=BB567_4 Depth=1
	s_and_b32 s46, s45, 0xffff
	s_or_b32 s47, s45, 0x10000
	s_wait_alu 0xfffe
	s_cmp_eq_u32 s46, 0
	s_cselect_b32 s46, s45, s47
.LBB567_51:                             ;   in Loop: Header=BB567_4 Depth=1
	s_mov_b32 s47, 0
.LBB567_52:                             ;   in Loop: Header=BB567_4 Depth=1
	s_wait_alu 0xfffe
	s_and_not1_b32 vcc_lo, exec_lo, s47
	s_wait_alu 0xfffe
	s_cbranch_vccnz .LBB567_61
; %bb.53:                               ;   in Loop: Header=BB567_4 Depth=1
	s_add_nc_u64 s[46:47], s[38:39], s[34:35]
	s_mov_b32 s48, -1
	global_load_u16 v6, v10, s[46:47]
	s_wait_loadcnt 0x0
	v_readfirstlane_b32 s46, v6
	s_wait_alu 0xfffe
	s_lshl_b32 s46, s46, 16
	s_wait_alu 0xfffe
	s_mul_f32 s46, s22, s46
	s_wait_alu 0xfffe
	s_delay_alu instid0(SALU_CYCLE_2)
	s_and_b32 s47, s46, 0x7f800000
	s_wait_alu 0xfffe
	s_cmp_eq_u32 s47, 0x7f800000
                                        ; implicit-def: $sgpr47
	s_cbranch_scc1 .LBB567_55
; %bb.54:                               ;   in Loop: Header=BB567_4 Depth=1
	s_bfe_u32 s47, s46, 0x10010
	s_mov_b32 s48, 0
	s_wait_alu 0xfffe
	s_add_co_i32 s47, s46, s47
	s_wait_alu 0xfffe
	s_addk_co_i32 s47, 0x7fff
.LBB567_55:                             ;   in Loop: Header=BB567_4 Depth=1
	s_and_not1_b32 vcc_lo, exec_lo, s48
	s_wait_alu 0xfffe
	s_cbranch_vccnz .LBB567_57
; %bb.56:                               ;   in Loop: Header=BB567_4 Depth=1
	s_and_b32 s47, s46, 0xffff
	s_or_b32 s48, s46, 0x10000
	s_wait_alu 0xfffe
	s_cmp_eq_u32 s47, 0
	s_cselect_b32 s47, s46, s48
.LBB567_57:                             ;   in Loop: Header=BB567_4 Depth=1
	s_wait_alu 0xfffe
	s_and_b32 s46, s47, 0xffff0000
	s_mov_b32 s47, -1
	s_wait_alu 0xfffe
	s_add_f32 s45, s45, s46
	s_wait_alu 0xfffe
	s_delay_alu instid0(SALU_CYCLE_2)
	s_and_b32 s46, s45, 0x7f800000
	s_wait_alu 0xfffe
	s_cmp_eq_u32 s46, 0x7f800000
                                        ; implicit-def: $sgpr46
	s_cbranch_scc1 .LBB567_59
; %bb.58:                               ;   in Loop: Header=BB567_4 Depth=1
	s_bfe_u32 s46, s45, 0x10010
	s_mov_b32 s47, 0
	s_wait_alu 0xfffe
	s_add_co_i32 s46, s45, s46
	s_wait_alu 0xfffe
	s_addk_co_i32 s46, 0x7fff
.LBB567_59:                             ;   in Loop: Header=BB567_4 Depth=1
	s_and_not1_b32 vcc_lo, exec_lo, s47
	s_wait_alu 0xfffe
	s_cbranch_vccnz .LBB567_61
; %bb.60:                               ;   in Loop: Header=BB567_4 Depth=1
	s_and_b32 s46, s45, 0xffff
	s_or_b32 s47, s45, 0x10000
	s_wait_alu 0xfffe
	s_cmp_eq_u32 s46, 0
	s_cselect_b32 s46, s45, s47
.LBB567_61:                             ;   in Loop: Header=BB567_4 Depth=1
	s_wait_alu 0xfffe
	s_lshr_b32 s45, s46, 16
	s_or_b32 s27, s27, exec_lo
.LBB567_62:                             ;   in Loop: Header=BB567_4 Depth=1
	s_wait_alu 0xfffe
	s_or_b32 exec_lo, exec_lo, s44
.LBB567_63:                             ;   in Loop: Header=BB567_4 Depth=1
	s_wait_alu 0xfffe
	s_and_saveexec_b32 s44, s27
	s_cbranch_execz .LBB567_2
; %bb.64:                               ;   in Loop: Header=BB567_4 Depth=1
	v_mov_b32_e32 v6, s45
	s_add_nc_u64 s[38:39], s[38:39], s[34:35]
	global_store_b16 v10, v6, s[38:39]
	s_branch .LBB567_2
.LBB567_65:
	s_endpgm
	.section	.rodata,"a",@progbits
	.p2align	6, 0x0
	.amdhsa_kernel _ZL20rocblas_gemvt_kernelILb0ELi256E16rocblas_bfloat16fS0_EviiT2_lPKT1_lilS4_lilS1_lPT3_lili
		.amdhsa_group_segment_fixed_size 1024
		.amdhsa_private_segment_fixed_size 0
		.amdhsa_kernarg_size 140
		.amdhsa_user_sgpr_count 2
		.amdhsa_user_sgpr_dispatch_ptr 0
		.amdhsa_user_sgpr_queue_ptr 0
		.amdhsa_user_sgpr_kernarg_segment_ptr 1
		.amdhsa_user_sgpr_dispatch_id 0
		.amdhsa_user_sgpr_private_segment_size 0
		.amdhsa_wavefront_size32 1
		.amdhsa_uses_dynamic_stack 0
		.amdhsa_enable_private_segment 0
		.amdhsa_system_sgpr_workgroup_id_x 1
		.amdhsa_system_sgpr_workgroup_id_y 0
		.amdhsa_system_sgpr_workgroup_id_z 1
		.amdhsa_system_sgpr_workgroup_info 0
		.amdhsa_system_vgpr_workitem_id 0
		.amdhsa_next_free_vgpr 18
		.amdhsa_next_free_sgpr 50
		.amdhsa_reserve_vcc 1
		.amdhsa_float_round_mode_32 0
		.amdhsa_float_round_mode_16_64 0
		.amdhsa_float_denorm_mode_32 3
		.amdhsa_float_denorm_mode_16_64 3
		.amdhsa_fp16_overflow 0
		.amdhsa_workgroup_processor_mode 1
		.amdhsa_memory_ordered 1
		.amdhsa_forward_progress 1
		.amdhsa_inst_pref_size 20
		.amdhsa_round_robin_scheduling 0
		.amdhsa_exception_fp_ieee_invalid_op 0
		.amdhsa_exception_fp_denorm_src 0
		.amdhsa_exception_fp_ieee_div_zero 0
		.amdhsa_exception_fp_ieee_overflow 0
		.amdhsa_exception_fp_ieee_underflow 0
		.amdhsa_exception_fp_ieee_inexact 0
		.amdhsa_exception_int_div_zero 0
	.end_amdhsa_kernel
	.section	.text._ZL20rocblas_gemvt_kernelILb0ELi256E16rocblas_bfloat16fS0_EviiT2_lPKT1_lilS4_lilS1_lPT3_lili,"axG",@progbits,_ZL20rocblas_gemvt_kernelILb0ELi256E16rocblas_bfloat16fS0_EviiT2_lPKT1_lilS4_lilS1_lPT3_lili,comdat
.Lfunc_end567:
	.size	_ZL20rocblas_gemvt_kernelILb0ELi256E16rocblas_bfloat16fS0_EviiT2_lPKT1_lilS4_lilS1_lPT3_lili, .Lfunc_end567-_ZL20rocblas_gemvt_kernelILb0ELi256E16rocblas_bfloat16fS0_EviiT2_lPKT1_lilS4_lilS1_lPT3_lili
                                        ; -- End function
	.set _ZL20rocblas_gemvt_kernelILb0ELi256E16rocblas_bfloat16fS0_EviiT2_lPKT1_lilS4_lilS1_lPT3_lili.num_vgpr, 18
	.set _ZL20rocblas_gemvt_kernelILb0ELi256E16rocblas_bfloat16fS0_EviiT2_lPKT1_lilS4_lilS1_lPT3_lili.num_agpr, 0
	.set _ZL20rocblas_gemvt_kernelILb0ELi256E16rocblas_bfloat16fS0_EviiT2_lPKT1_lilS4_lilS1_lPT3_lili.numbered_sgpr, 50
	.set _ZL20rocblas_gemvt_kernelILb0ELi256E16rocblas_bfloat16fS0_EviiT2_lPKT1_lilS4_lilS1_lPT3_lili.num_named_barrier, 0
	.set _ZL20rocblas_gemvt_kernelILb0ELi256E16rocblas_bfloat16fS0_EviiT2_lPKT1_lilS4_lilS1_lPT3_lili.private_seg_size, 0
	.set _ZL20rocblas_gemvt_kernelILb0ELi256E16rocblas_bfloat16fS0_EviiT2_lPKT1_lilS4_lilS1_lPT3_lili.uses_vcc, 1
	.set _ZL20rocblas_gemvt_kernelILb0ELi256E16rocblas_bfloat16fS0_EviiT2_lPKT1_lilS4_lilS1_lPT3_lili.uses_flat_scratch, 0
	.set _ZL20rocblas_gemvt_kernelILb0ELi256E16rocblas_bfloat16fS0_EviiT2_lPKT1_lilS4_lilS1_lPT3_lili.has_dyn_sized_stack, 0
	.set _ZL20rocblas_gemvt_kernelILb0ELi256E16rocblas_bfloat16fS0_EviiT2_lPKT1_lilS4_lilS1_lPT3_lili.has_recursion, 0
	.set _ZL20rocblas_gemvt_kernelILb0ELi256E16rocblas_bfloat16fS0_EviiT2_lPKT1_lilS4_lilS1_lPT3_lili.has_indirect_call, 0
	.section	.AMDGPU.csdata,"",@progbits
; Kernel info:
; codeLenInByte = 2460
; TotalNumSgprs: 52
; NumVgprs: 18
; ScratchSize: 0
; MemoryBound: 0
; FloatMode: 240
; IeeeMode: 1
; LDSByteSize: 1024 bytes/workgroup (compile time only)
; SGPRBlocks: 0
; VGPRBlocks: 2
; NumSGPRsForWavesPerEU: 52
; NumVGPRsForWavesPerEU: 18
; Occupancy: 16
; WaveLimiterHint : 0
; COMPUTE_PGM_RSRC2:SCRATCH_EN: 0
; COMPUTE_PGM_RSRC2:USER_SGPR: 2
; COMPUTE_PGM_RSRC2:TRAP_HANDLER: 0
; COMPUTE_PGM_RSRC2:TGID_X_EN: 1
; COMPUTE_PGM_RSRC2:TGID_Y_EN: 0
; COMPUTE_PGM_RSRC2:TGID_Z_EN: 1
; COMPUTE_PGM_RSRC2:TIDIG_COMP_CNT: 0
	.section	.text._ZL32rocblas_gemvt_warp_reduce_kernelILb0ELi1024Ei16rocblas_bfloat16PKfS0_EviiT3_lPKT2_lT1_lS6_lS7_lS3_lPT4_lS7_li,"axG",@progbits,_ZL32rocblas_gemvt_warp_reduce_kernelILb0ELi1024Ei16rocblas_bfloat16PKfS0_EviiT3_lPKT2_lT1_lS6_lS7_lS3_lPT4_lS7_li,comdat
	.globl	_ZL32rocblas_gemvt_warp_reduce_kernelILb0ELi1024Ei16rocblas_bfloat16PKfS0_EviiT3_lPKT2_lT1_lS6_lS7_lS3_lPT4_lS7_li ; -- Begin function _ZL32rocblas_gemvt_warp_reduce_kernelILb0ELi1024Ei16rocblas_bfloat16PKfS0_EviiT3_lPKT2_lT1_lS6_lS7_lS3_lPT4_lS7_li
	.p2align	8
	.type	_ZL32rocblas_gemvt_warp_reduce_kernelILb0ELi1024Ei16rocblas_bfloat16PKfS0_EviiT3_lPKT2_lT1_lS6_lS7_lS3_lPT4_lS7_li,@function
_ZL32rocblas_gemvt_warp_reduce_kernelILb0ELi1024Ei16rocblas_bfloat16PKfS0_EviiT3_lPKT2_lT1_lS6_lS7_lS3_lPT4_lS7_li: ; @_ZL32rocblas_gemvt_warp_reduce_kernelILb0ELi1024Ei16rocblas_bfloat16PKfS0_EviiT3_lPKT2_lT1_lS6_lS7_lS3_lPT4_lS7_li
; %bb.0:
	s_load_b32 s33, s[0:1], 0x88
	s_lshr_b32 s28, ttmp7, 16
	s_wait_kmcnt 0x0
	s_cmp_ge_u32 s28, s33
	s_cbranch_scc1 .LBB568_59
; %bb.1:
	s_clause 0x7
	s_load_b96 s[4:6], s[0:1], 0x40
	s_load_b96 s[36:38], s[0:1], 0x70
	s_load_b256 s[8:15], s[0:1], 0x8
	s_load_b32 s7, s[0:1], 0x0
	s_load_b32 s39, s[0:1], 0x28
	s_load_b128 s[24:27], s[0:1], 0x30
	s_load_b256 s[16:23], s[0:1], 0x50
	s_load_b64 s[30:31], s[0:1], 0x80
	v_mov_b32_e32 v9, 0
	v_mbcnt_lo_u32_b32 v15, -1, 0
	v_cmp_eq_u32_e64 s0, 0, v0
	s_mov_b32 s29, 0
	v_lshl_or_b32 v16, v15, 2, 64
	s_wait_kmcnt 0x0
	s_lshl_b64 s[2:3], s[4:5], 1
	s_lshl_b64 s[4:5], s[36:37], 1
	s_lshl_b64 s[34:35], s[14:15], 1
	v_cmp_gt_i32_e32 vcc_lo, s7, v0
	s_ashr_i32 s1, s7, 31
	s_add_nc_u64 s[14:15], s[26:27], s[2:3]
	s_lshr_b32 s1, s1, 22
	s_add_nc_u64 s[2:3], s[12:13], s[34:35]
	s_add_co_i32 s1, s7, s1
	v_cndmask_b32_e32 v1, 0, v0, vcc_lo
	s_and_b32 s26, s1, 0xfffffc00
	s_mul_i32 s36, s38, ttmp9
	v_or_b32_e32 v2, s26, v0
	s_mul_i32 s38, s39, ttmp9
	v_lshlrev_b32_e32 v1, 1, v1
	s_ashr_i32 s39, s38, 31
	v_mul_lo_u32 v14, v0, s6
	v_mul_lo_u32 v3, s6, v2
	s_lshl_b64 s[38:39], s[38:39], 1
	v_add_co_u32 v4, s1, s2, v1
	s_delay_alu instid0(VALU_DEP_1)
	v_add_co_ci_u32_e64 v5, null, s3, 0, s1
	s_add_nc_u64 s[34:35], s[34:35], s[38:39]
	v_add_co_u32 v10, vcc_lo, v4, s38
	v_ashrrev_i32_e32 v4, 31, v3
	s_wait_alu 0xfffd
	v_add_co_ci_u32_e64 v11, null, s39, v5, vcc_lo
	v_cmp_gt_i32_e64 s2, s7, v2
	v_and_b32_e32 v2, 31, v0
	v_lshrrev_b32_e32 v5, 3, v0
	s_lshl_b32 s40, s6, 10
	s_add_nc_u64 s[6:7], s[12:13], s[34:35]
	s_add_nc_u64 s[22:23], s[22:23], s[4:5]
	s_wait_alu 0xfffe
	v_add_co_u32 v1, s5, s6, v1
	v_lshlrev_b64_e32 v[3:4], 1, v[3:4]
	v_cmp_gt_i32_e64 s1, s26, v0
	v_cmp_gt_u32_e64 s3, 32, v0
	v_lshlrev_b32_e32 v12, 2, v2
	v_cmp_eq_u32_e64 s4, 0, v2
	v_and_b32_e32 v13, 0x7c, v5
	v_add_co_ci_u32_e64 v2, null, s7, 0, s5
	s_ashr_i32 s37, s36, 31
	s_ashr_i32 s27, s26, 31
	s_lshl_b64 s[6:7], s[24:25], 1
	s_lshl_b64 s[12:13], s[36:37], 1
	s_wait_alu 0xfffe
	s_lshl_b64 s[34:35], s[26:27], 1
	s_branch .LBB568_4
.LBB568_2:                              ;   in Loop: Header=BB568_4 Depth=1
	s_wait_alu 0xfffe
	s_or_b32 exec_lo, exec_lo, s5
.LBB568_3:                              ;   in Loop: Header=BB568_4 Depth=1
	s_add_co_i32 s28, s28, 0x10000
	s_wait_alu 0xfffe
	s_cmp_lt_u32 s28, s33
	s_cbranch_scc0 .LBB568_59
.LBB568_4:                              ; =>This Loop Header: Depth=1
                                        ;     Child Loop BB568_26 Depth 2
	s_mul_u64 s[36:37], s[10:11], s[28:29]
	s_mul_u64 s[38:39], s[20:21], s[28:29]
	s_lshl_b64 s[36:37], s[36:37], 2
	s_wait_alu 0xfffe
	s_lshl_b64 s[38:39], s[38:39], 2
	s_add_nc_u64 s[36:37], s[8:9], s[36:37]
	s_wait_alu 0xfffe
	s_add_nc_u64 s[38:39], s[18:19], s[38:39]
	s_clause 0x1
	global_load_b32 v17, v9, s[36:37]
	global_load_b32 v5, v9, s[38:39]
	s_wait_loadcnt 0x1
	v_cmp_eq_f32_e32 vcc_lo, 0, v17
	s_wait_loadcnt 0x0
	v_cmp_eq_f32_e64 s5, 1.0, v5
	v_readfirstlane_b32 s41, v5
	s_and_b32 s5, vcc_lo, s5
	s_wait_alu 0xfffe
	s_and_b32 vcc_lo, exec_lo, s5
	s_wait_alu 0xfffe
	s_cbranch_vccnz .LBB568_3
; %bb.5:                                ;   in Loop: Header=BB568_4 Depth=1
	v_cmp_neq_f32_e32 vcc_lo, 0, v17
	s_mul_u64 s[36:37], s[30:31], s[28:29]
	s_delay_alu instid0(SALU_CYCLE_1) | instskip(NEXT) | instid1(SALU_CYCLE_1)
	s_lshl_b64 s[36:37], s[36:37], 1
	s_add_nc_u64 s[36:37], s[22:23], s[36:37]
	s_cbranch_vccnz .LBB568_13
; %bb.6:                                ;   in Loop: Header=BB568_4 Depth=1
	s_mov_b32 s5, 0
	s_mov_b32 s27, 0
                                        ; implicit-def: $sgpr39
	s_and_saveexec_b32 s38, s0
	s_cbranch_execz .LBB568_14
; %bb.7:                                ;   in Loop: Header=BB568_4 Depth=1
	s_cmp_eq_f32 s41, 0
	s_cbranch_scc1 .LBB568_44
; %bb.8:                                ;   in Loop: Header=BB568_4 Depth=1
	s_add_nc_u64 s[42:43], s[36:37], s[12:13]
	global_load_u16 v5, v9, s[42:43]
	s_mov_b32 s42, -1
	s_wait_loadcnt 0x0
	v_readfirstlane_b32 s27, v5
	s_wait_alu 0xfffe
	s_lshl_b32 s27, s27, 16
	s_wait_alu 0xfffe
	s_mul_f32 s27, s41, s27
	s_wait_alu 0xfffe
	s_delay_alu instid0(SALU_CYCLE_2)
	s_and_b32 s39, s27, 0x7f800000
	s_wait_alu 0xfffe
	s_cmp_eq_u32 s39, 0x7f800000
                                        ; implicit-def: $sgpr39
	s_cbranch_scc1 .LBB568_10
; %bb.9:                                ;   in Loop: Header=BB568_4 Depth=1
	s_bfe_u32 s39, s27, 0x10010
	s_mov_b32 s42, 0
	s_wait_alu 0xfffe
	s_add_co_i32 s39, s27, s39
	s_wait_alu 0xfffe
	s_addk_co_i32 s39, 0x7fff
.LBB568_10:                             ;   in Loop: Header=BB568_4 Depth=1
	s_and_not1_b32 vcc_lo, exec_lo, s42
	s_wait_alu 0xfffe
	s_cbranch_vccnz .LBB568_12
; %bb.11:                               ;   in Loop: Header=BB568_4 Depth=1
	s_and_b32 s39, s27, 0xffff
	s_or_b32 s42, s27, 0x10000
	s_wait_alu 0xfffe
	s_cmp_eq_u32 s39, 0
	s_cselect_b32 s39, s27, s42
.LBB568_12:                             ;   in Loop: Header=BB568_4 Depth=1
	s_wait_alu 0xfffe
	s_lshr_b32 s39, s39, 16
	s_mov_b32 s27, exec_lo
	s_or_b32 exec_lo, exec_lo, s38
	s_delay_alu instid0(SALU_CYCLE_1)
	s_and_b32 vcc_lo, exec_lo, s5
	s_wait_alu 0xfffe
	s_cbranch_vccnz .LBB568_15
	s_branch .LBB568_45
.LBB568_13:                             ;   in Loop: Header=BB568_4 Depth=1
	s_mov_b32 s27, 0
                                        ; implicit-def: $sgpr39
	s_cbranch_execnz .LBB568_15
	s_branch .LBB568_45
.LBB568_14:                             ;   in Loop: Header=BB568_4 Depth=1
	s_wait_alu 0xfffe
	s_or_b32 exec_lo, exec_lo, s38
	s_delay_alu instid0(SALU_CYCLE_1)
	s_and_b32 vcc_lo, exec_lo, s5
	s_wait_alu 0xfffe
	s_cbranch_vccz .LBB568_45
.LBB568_15:                             ;   in Loop: Header=BB568_4 Depth=1
	s_mul_u64 s[38:39], s[16:17], s[28:29]
	s_wait_dscnt 0x0
	v_mov_b32_e32 v18, 0
	s_wait_alu 0xfffe
	s_lshl_b64 s[38:39], s[38:39], 1
	s_wait_alu 0xfffe
	s_add_nc_u64 s[38:39], s[14:15], s[38:39]
	s_and_saveexec_b32 s42, s1
	s_cbranch_execnz .LBB568_24
; %bb.16:                               ;   in Loop: Header=BB568_4 Depth=1
	s_wait_alu 0xfffe
	s_or_b32 exec_lo, exec_lo, s42
	s_and_saveexec_b32 s5, s2
	s_cbranch_execnz .LBB568_39
.LBB568_17:                             ;   in Loop: Header=BB568_4 Depth=1
	s_wait_alu 0xfffe
	s_or_b32 exec_lo, exec_lo, s5
	s_and_saveexec_b32 s5, s3
.LBB568_18:                             ;   in Loop: Header=BB568_4 Depth=1
	ds_store_b32 v12, v9
.LBB568_19:                             ;   in Loop: Header=BB568_4 Depth=1
	s_wait_alu 0xfffe
	s_or_b32 exec_lo, exec_lo, s5
	ds_bpermute_b32 v6, v16, v18
	v_cmp_gt_u32_e32 vcc_lo, 24, v15
	s_wait_dscnt 0x0
	s_barrier_signal -1
	s_barrier_wait -1
	global_inv scope:SCOPE_SE
	s_wait_alu 0xfffd
	v_cndmask_b32_e64 v5, 0, 8, vcc_lo
	v_cmp_gt_u32_e32 vcc_lo, 28, v15
	s_delay_alu instid0(VALU_DEP_2)
	v_add_lshl_u32 v5, v5, v15, 2
	v_add_f32_e32 v7, v18, v6
	s_wait_alu 0xfffd
	v_cndmask_b32_e64 v6, 0, 4, vcc_lo
	v_cmp_gt_u32_e32 vcc_lo, 30, v15
	ds_bpermute_b32 v8, v5, v7
	v_add_lshl_u32 v6, v6, v15, 2
	s_wait_dscnt 0x0
	v_add_f32_e32 v8, v7, v8
	s_wait_alu 0xfffd
	v_cndmask_b32_e64 v7, 0, 2, vcc_lo
	v_cmp_ne_u32_e32 vcc_lo, 31, v15
	ds_bpermute_b32 v18, v6, v8
	v_add_lshl_u32 v7, v7, v15, 2
	s_wait_alu 0xfffd
	v_add_co_ci_u32_e64 v19, null, 0, v15, vcc_lo
	s_wait_dscnt 0x0
	v_add_f32_e32 v8, v8, v18
	ds_bpermute_b32 v18, v7, v8
	s_wait_dscnt 0x0
	v_add_f32_e32 v18, v8, v18
	v_lshlrev_b32_e32 v8, 2, v19
	ds_bpermute_b32 v19, v8, v18
	s_and_saveexec_b32 s5, s4
	s_cbranch_execz .LBB568_21
; %bb.20:                               ;   in Loop: Header=BB568_4 Depth=1
	s_wait_dscnt 0x0
	v_add_f32_e32 v18, v18, v19
	ds_store_b32 v13, v18
.LBB568_21:                             ;   in Loop: Header=BB568_4 Depth=1
	s_wait_alu 0xfffe
	s_or_b32 exec_lo, exec_lo, s5
	v_mov_b32_e32 v18, 0
	s_wait_loadcnt_dscnt 0x0
	s_barrier_signal -1
	s_barrier_wait -1
	global_inv scope:SCOPE_SE
	s_and_saveexec_b32 s5, s3
	s_cbranch_execnz .LBB568_30
; %bb.22:                               ;   in Loop: Header=BB568_4 Depth=1
	s_wait_alu 0xfffe
	s_or_b32 exec_lo, exec_lo, s5
	s_and_saveexec_b32 s5, s3
	s_cbranch_execnz .LBB568_31
.LBB568_23:                             ;   in Loop: Header=BB568_4 Depth=1
	s_wait_alu 0xfffe
	s_or_b32 exec_lo, exec_lo, s5
                                        ; implicit-def: $vgpr5
	s_and_saveexec_b32 s5, s0
	s_cbranch_execnz .LBB568_32
	s_branch .LBB568_57
.LBB568_24:                             ;   in Loop: Header=BB568_4 Depth=1
	v_mad_co_u64_u32 v[5:6], null, s6, s28, v[1:2]
	v_dual_mov_b32 v18, 0 :: v_dual_mov_b32 v19, v0
	s_mov_b32 s43, 0
	s_delay_alu instid0(VALU_DEP_2)
	v_mad_co_u64_u32 v[6:7], null, s7, s28, v[6:7]
	v_mov_b32_e32 v7, v14
	s_branch .LBB568_26
.LBB568_25:                             ;   in Loop: Header=BB568_26 Depth=2
	s_wait_alu 0xfffe
	s_or_b32 exec_lo, exec_lo, s5
	s_delay_alu instid0(VALU_DEP_1) | instskip(SKIP_2) | instid1(VALU_DEP_3)
	v_and_b32_e32 v8, 0xffff0000, v20
	v_add_nc_u32_e32 v19, 0x400, v19
	v_add_co_u32 v5, s5, 0x800, v5
	v_dual_add_f32 v18, v18, v8 :: v_dual_add_nc_u32 v7, s40, v7
	s_delay_alu instid0(VALU_DEP_3)
	v_cmp_le_i32_e32 vcc_lo, s26, v19
	s_wait_alu 0xf1ff
	v_add_co_ci_u32_e64 v6, null, 0, v6, s5
	s_or_b32 s43, vcc_lo, s43
	s_wait_alu 0xfffe
	s_and_not1_b32 exec_lo, exec_lo, s43
	s_cbranch_execz .LBB568_38
.LBB568_26:                             ;   Parent Loop BB568_4 Depth=1
                                        ; =>  This Inner Loop Header: Depth=2
	s_delay_alu instid0(VALU_DEP_1) | instskip(NEXT) | instid1(VALU_DEP_1)
	v_ashrrev_i32_e32 v8, 31, v7
	v_lshlrev_b64_e32 v[20:21], 1, v[7:8]
	s_wait_alu 0xfffe
	s_delay_alu instid0(VALU_DEP_1) | instskip(SKIP_1) | instid1(VALU_DEP_2)
	v_add_co_u32 v20, vcc_lo, s38, v20
	s_wait_alu 0xfffd
	v_add_co_ci_u32_e64 v21, null, s39, v21, vcc_lo
	global_load_u16 v8, v[5:6], off
	global_load_u16 v20, v[20:21], off
	s_wait_loadcnt 0x1
	v_lshlrev_b32_e32 v8, 16, v8
	s_wait_loadcnt 0x0
	v_lshlrev_b32_e32 v20, 16, v20
	s_delay_alu instid0(VALU_DEP_1) | instskip(NEXT) | instid1(VALU_DEP_1)
	v_mul_f32_e32 v8, v8, v20
	v_and_b32_e32 v20, 0x7f800000, v8
	s_delay_alu instid0(VALU_DEP_1)
	v_cmp_ne_u32_e32 vcc_lo, 0x7f800000, v20
                                        ; implicit-def: $vgpr20
	s_and_saveexec_b32 s5, vcc_lo
	s_wait_alu 0xfffe
	s_xor_b32 s5, exec_lo, s5
; %bb.27:                               ;   in Loop: Header=BB568_26 Depth=2
	v_bfe_u32 v20, v8, 16, 1
	s_delay_alu instid0(VALU_DEP_1)
	v_add3_u32 v20, v8, v20, 0x7fff
                                        ; implicit-def: $vgpr8
; %bb.28:                               ;   in Loop: Header=BB568_26 Depth=2
	s_wait_alu 0xfffe
	s_and_not1_saveexec_b32 s5, s5
	s_cbranch_execz .LBB568_25
; %bb.29:                               ;   in Loop: Header=BB568_26 Depth=2
	v_and_b32_e32 v20, 0xffff, v8
	v_or_b32_e32 v21, 0x10000, v8
	s_delay_alu instid0(VALU_DEP_2) | instskip(SKIP_1) | instid1(VALU_DEP_2)
	v_cmp_eq_u32_e32 vcc_lo, 0, v20
	s_wait_alu 0xfffd
	v_cndmask_b32_e32 v20, v21, v8, vcc_lo
	s_branch .LBB568_25
.LBB568_30:                             ;   in Loop: Header=BB568_4 Depth=1
	ds_load_b32 v18, v12
	s_wait_alu 0xfffe
	s_or_b32 exec_lo, exec_lo, s5
	s_and_saveexec_b32 s5, s3
	s_cbranch_execz .LBB568_23
.LBB568_31:                             ;   in Loop: Header=BB568_4 Depth=1
	s_wait_dscnt 0x0
	ds_bpermute_b32 v19, v16, v18
	s_wait_dscnt 0x0
	v_add_f32_e32 v18, v18, v19
	ds_bpermute_b32 v5, v5, v18
	s_wait_dscnt 0x0
	v_add_f32_e32 v5, v18, v5
	;; [unrolled: 3-line block ×5, first 2 shown]
	s_wait_alu 0xfffe
	s_or_b32 exec_lo, exec_lo, s5
                                        ; implicit-def: $vgpr5
	s_and_saveexec_b32 s5, s0
	s_cbranch_execz .LBB568_57
.LBB568_32:                             ;   in Loop: Header=BB568_4 Depth=1
	s_wait_dscnt 0x0
	v_mul_f32_e32 v5, v17, v18
	s_cmp_eq_f32 s41, 0
	s_cbranch_scc0 .LBB568_46
; %bb.33:                               ;   in Loop: Header=BB568_4 Depth=1
	s_delay_alu instid0(VALU_DEP_1) | instskip(NEXT) | instid1(VALU_DEP_1)
	v_and_b32_e32 v6, 0x7f800000, v5
	v_cmp_ne_u32_e32 vcc_lo, 0x7f800000, v6
                                        ; implicit-def: $vgpr6
	s_and_saveexec_b32 s38, vcc_lo
	s_wait_alu 0xfffe
	s_xor_b32 s38, exec_lo, s38
; %bb.34:                               ;   in Loop: Header=BB568_4 Depth=1
	v_bfe_u32 v6, v5, 16, 1
	s_delay_alu instid0(VALU_DEP_1)
	v_add3_u32 v6, v5, v6, 0x7fff
; %bb.35:                               ;   in Loop: Header=BB568_4 Depth=1
	s_wait_alu 0xfffe
	s_and_not1_saveexec_b32 s38, s38
; %bb.36:                               ;   in Loop: Header=BB568_4 Depth=1
	v_and_b32_e32 v6, 0xffff, v5
	v_or_b32_e32 v7, 0x10000, v5
	s_delay_alu instid0(VALU_DEP_2) | instskip(SKIP_1) | instid1(VALU_DEP_2)
	v_cmp_eq_u32_e32 vcc_lo, 0, v6
	s_wait_alu 0xfffd
	v_cndmask_b32_e32 v6, v7, v5, vcc_lo
; %bb.37:                               ;   in Loop: Header=BB568_4 Depth=1
	s_wait_alu 0xfffe
	s_or_b32 exec_lo, exec_lo, s38
	s_cbranch_execz .LBB568_47
	s_branch .LBB568_56
.LBB568_38:                             ;   in Loop: Header=BB568_4 Depth=1
	s_or_b32 exec_lo, exec_lo, s43
	s_delay_alu instid0(SALU_CYCLE_1)
	s_or_b32 exec_lo, exec_lo, s42
	s_and_saveexec_b32 s5, s2
	s_cbranch_execz .LBB568_17
.LBB568_39:                             ;   in Loop: Header=BB568_4 Depth=1
	s_mul_u64 s[42:43], s[24:25], s[28:29]
	s_wait_alu 0xfffe
	s_lshl_b64 s[42:43], s[42:43], 1
	s_wait_alu 0xfffe
	v_add_co_u32 v5, vcc_lo, v10, s42
	s_wait_alu 0xfffd
	v_add_co_ci_u32_e64 v6, null, s43, v11, vcc_lo
	s_delay_alu instid0(VALU_DEP_2) | instskip(SKIP_1) | instid1(VALU_DEP_2)
	v_add_co_u32 v5, vcc_lo, v5, s34
	s_wait_alu 0xfffd
	v_add_co_ci_u32_e64 v6, null, s35, v6, vcc_lo
	v_add_co_u32 v7, vcc_lo, s38, v3
	s_wait_alu 0xfffd
	v_add_co_ci_u32_e64 v8, null, s39, v4, vcc_lo
	global_load_u16 v5, v[5:6], off
	global_load_u16 v6, v[7:8], off
	s_wait_loadcnt 0x1
	v_lshlrev_b32_e32 v5, 16, v5
	s_wait_loadcnt 0x0
	v_lshlrev_b32_e32 v6, 16, v6
	s_delay_alu instid0(VALU_DEP_1) | instskip(NEXT) | instid1(VALU_DEP_1)
	v_mul_f32_e32 v5, v5, v6
	v_and_b32_e32 v6, 0x7f800000, v5
	s_delay_alu instid0(VALU_DEP_1)
	v_cmp_ne_u32_e32 vcc_lo, 0x7f800000, v6
                                        ; implicit-def: $vgpr6
	s_and_saveexec_b32 s38, vcc_lo
	s_wait_alu 0xfffe
	s_xor_b32 s38, exec_lo, s38
; %bb.40:                               ;   in Loop: Header=BB568_4 Depth=1
	v_bfe_u32 v6, v5, 16, 1
	s_delay_alu instid0(VALU_DEP_1)
	v_add3_u32 v6, v5, v6, 0x7fff
                                        ; implicit-def: $vgpr5
; %bb.41:                               ;   in Loop: Header=BB568_4 Depth=1
	s_wait_alu 0xfffe
	s_and_not1_saveexec_b32 s38, s38
; %bb.42:                               ;   in Loop: Header=BB568_4 Depth=1
	v_and_b32_e32 v6, 0xffff, v5
	v_or_b32_e32 v7, 0x10000, v5
	s_delay_alu instid0(VALU_DEP_2) | instskip(SKIP_1) | instid1(VALU_DEP_2)
	v_cmp_eq_u32_e32 vcc_lo, 0, v6
	s_wait_alu 0xfffd
	v_cndmask_b32_e32 v6, v7, v5, vcc_lo
; %bb.43:                               ;   in Loop: Header=BB568_4 Depth=1
	s_wait_alu 0xfffe
	s_or_b32 exec_lo, exec_lo, s38
	s_delay_alu instid0(VALU_DEP_1) | instskip(NEXT) | instid1(VALU_DEP_1)
	v_and_b32_e32 v5, 0xffff0000, v6
	v_add_f32_e32 v18, v18, v5
	s_or_b32 exec_lo, exec_lo, s5
	s_and_saveexec_b32 s5, s3
	s_cbranch_execnz .LBB568_18
	s_branch .LBB568_19
.LBB568_44:                             ;   in Loop: Header=BB568_4 Depth=1
	s_mov_b32 s39, 0
	s_mov_b32 s27, exec_lo
	s_wait_alu 0xfffe
	s_or_b32 exec_lo, exec_lo, s38
	s_delay_alu instid0(SALU_CYCLE_1)
	s_and_b32 vcc_lo, exec_lo, s5
	s_wait_alu 0xfffe
	s_cbranch_vccnz .LBB568_15
.LBB568_45:                             ;   in Loop: Header=BB568_4 Depth=1
	v_mov_b32_e32 v5, s39
	s_wait_alu 0xfffe
	s_and_saveexec_b32 s5, s27
	s_cbranch_execz .LBB568_2
	s_branch .LBB568_58
.LBB568_46:                             ;   in Loop: Header=BB568_4 Depth=1
                                        ; implicit-def: $vgpr6
.LBB568_47:                             ;   in Loop: Header=BB568_4 Depth=1
	s_add_nc_u64 s[38:39], s[36:37], s[12:13]
	global_load_u16 v6, v9, s[38:39]
	s_wait_loadcnt 0x0
	v_readfirstlane_b32 s38, v6
	s_wait_alu 0xfffe
	s_lshl_b32 s38, s38, 16
	s_wait_alu 0xfffe
	s_mul_f32 s38, s41, s38
	s_mov_b32 s41, -1
	s_wait_alu 0xfffe
	s_delay_alu instid0(SALU_CYCLE_1)
	s_and_b32 s39, s38, 0x7f800000
	s_wait_alu 0xfffe
	s_cmp_eq_u32 s39, 0x7f800000
                                        ; implicit-def: $sgpr39
	s_cbranch_scc1 .LBB568_49
; %bb.48:                               ;   in Loop: Header=BB568_4 Depth=1
	s_bfe_u32 s39, s38, 0x10010
	s_mov_b32 s41, 0
	s_wait_alu 0xfffe
	s_add_co_i32 s39, s38, s39
	s_wait_alu 0xfffe
	s_addk_co_i32 s39, 0x7fff
.LBB568_49:                             ;   in Loop: Header=BB568_4 Depth=1
	s_and_not1_b32 vcc_lo, exec_lo, s41
	s_wait_alu 0xfffe
	s_cbranch_vccnz .LBB568_51
; %bb.50:                               ;   in Loop: Header=BB568_4 Depth=1
	s_and_b32 s39, s38, 0xffff
	s_or_b32 s41, s38, 0x10000
	s_wait_alu 0xfffe
	s_cmp_eq_u32 s39, 0
	s_cselect_b32 s39, s38, s41
.LBB568_51:                             ;   in Loop: Header=BB568_4 Depth=1
	s_wait_alu 0xfffe
	s_and_b32 s38, s39, 0xffff0000
	s_wait_alu 0xfffe
	v_add_f32_e32 v5, s38, v5
	s_delay_alu instid0(VALU_DEP_1) | instskip(NEXT) | instid1(VALU_DEP_1)
	v_and_b32_e32 v6, 0x7f800000, v5
	v_cmp_ne_u32_e32 vcc_lo, 0x7f800000, v6
                                        ; implicit-def: $vgpr6
	s_and_saveexec_b32 s38, vcc_lo
	s_wait_alu 0xfffe
	s_xor_b32 s38, exec_lo, s38
; %bb.52:                               ;   in Loop: Header=BB568_4 Depth=1
	v_bfe_u32 v6, v5, 16, 1
	s_delay_alu instid0(VALU_DEP_1)
	v_add3_u32 v6, v5, v6, 0x7fff
                                        ; implicit-def: $vgpr5
; %bb.53:                               ;   in Loop: Header=BB568_4 Depth=1
	s_wait_alu 0xfffe
	s_and_not1_saveexec_b32 s38, s38
; %bb.54:                               ;   in Loop: Header=BB568_4 Depth=1
	v_and_b32_e32 v6, 0xffff, v5
	v_or_b32_e32 v7, 0x10000, v5
	s_delay_alu instid0(VALU_DEP_2) | instskip(SKIP_1) | instid1(VALU_DEP_2)
	v_cmp_eq_u32_e32 vcc_lo, 0, v6
	s_wait_alu 0xfffd
	v_cndmask_b32_e32 v6, v7, v5, vcc_lo
; %bb.55:                               ;   in Loop: Header=BB568_4 Depth=1
	s_wait_alu 0xfffe
	s_or_b32 exec_lo, exec_lo, s38
.LBB568_56:                             ;   in Loop: Header=BB568_4 Depth=1
	s_delay_alu instid0(VALU_DEP_1)
	v_lshrrev_b32_e32 v5, 16, v6
	s_or_b32 s27, s27, exec_lo
.LBB568_57:                             ;   in Loop: Header=BB568_4 Depth=1
	s_wait_alu 0xfffe
	s_or_b32 exec_lo, exec_lo, s5
	s_and_saveexec_b32 s5, s27
	s_cbranch_execz .LBB568_2
.LBB568_58:                             ;   in Loop: Header=BB568_4 Depth=1
	s_add_nc_u64 s[36:37], s[36:37], s[12:13]
	global_store_b16 v9, v5, s[36:37]
	s_branch .LBB568_2
.LBB568_59:
	s_endpgm
	.section	.rodata,"a",@progbits
	.p2align	6, 0x0
	.amdhsa_kernel _ZL32rocblas_gemvt_warp_reduce_kernelILb0ELi1024Ei16rocblas_bfloat16PKfS0_EviiT3_lPKT2_lT1_lS6_lS7_lS3_lPT4_lS7_li
		.amdhsa_group_segment_fixed_size 128
		.amdhsa_private_segment_fixed_size 0
		.amdhsa_kernarg_size 140
		.amdhsa_user_sgpr_count 2
		.amdhsa_user_sgpr_dispatch_ptr 0
		.amdhsa_user_sgpr_queue_ptr 0
		.amdhsa_user_sgpr_kernarg_segment_ptr 1
		.amdhsa_user_sgpr_dispatch_id 0
		.amdhsa_user_sgpr_private_segment_size 0
		.amdhsa_wavefront_size32 1
		.amdhsa_uses_dynamic_stack 0
		.amdhsa_enable_private_segment 0
		.amdhsa_system_sgpr_workgroup_id_x 1
		.amdhsa_system_sgpr_workgroup_id_y 0
		.amdhsa_system_sgpr_workgroup_id_z 1
		.amdhsa_system_sgpr_workgroup_info 0
		.amdhsa_system_vgpr_workitem_id 0
		.amdhsa_next_free_vgpr 22
		.amdhsa_next_free_sgpr 44
		.amdhsa_reserve_vcc 1
		.amdhsa_float_round_mode_32 0
		.amdhsa_float_round_mode_16_64 0
		.amdhsa_float_denorm_mode_32 3
		.amdhsa_float_denorm_mode_16_64 3
		.amdhsa_fp16_overflow 0
		.amdhsa_workgroup_processor_mode 1
		.amdhsa_memory_ordered 1
		.amdhsa_forward_progress 1
		.amdhsa_inst_pref_size 19
		.amdhsa_round_robin_scheduling 0
		.amdhsa_exception_fp_ieee_invalid_op 0
		.amdhsa_exception_fp_denorm_src 0
		.amdhsa_exception_fp_ieee_div_zero 0
		.amdhsa_exception_fp_ieee_overflow 0
		.amdhsa_exception_fp_ieee_underflow 0
		.amdhsa_exception_fp_ieee_inexact 0
		.amdhsa_exception_int_div_zero 0
	.end_amdhsa_kernel
	.section	.text._ZL32rocblas_gemvt_warp_reduce_kernelILb0ELi1024Ei16rocblas_bfloat16PKfS0_EviiT3_lPKT2_lT1_lS6_lS7_lS3_lPT4_lS7_li,"axG",@progbits,_ZL32rocblas_gemvt_warp_reduce_kernelILb0ELi1024Ei16rocblas_bfloat16PKfS0_EviiT3_lPKT2_lT1_lS6_lS7_lS3_lPT4_lS7_li,comdat
.Lfunc_end568:
	.size	_ZL32rocblas_gemvt_warp_reduce_kernelILb0ELi1024Ei16rocblas_bfloat16PKfS0_EviiT3_lPKT2_lT1_lS6_lS7_lS3_lPT4_lS7_li, .Lfunc_end568-_ZL32rocblas_gemvt_warp_reduce_kernelILb0ELi1024Ei16rocblas_bfloat16PKfS0_EviiT3_lPKT2_lT1_lS6_lS7_lS3_lPT4_lS7_li
                                        ; -- End function
	.set _ZL32rocblas_gemvt_warp_reduce_kernelILb0ELi1024Ei16rocblas_bfloat16PKfS0_EviiT3_lPKT2_lT1_lS6_lS7_lS3_lPT4_lS7_li.num_vgpr, 22
	.set _ZL32rocblas_gemvt_warp_reduce_kernelILb0ELi1024Ei16rocblas_bfloat16PKfS0_EviiT3_lPKT2_lT1_lS6_lS7_lS3_lPT4_lS7_li.num_agpr, 0
	.set _ZL32rocblas_gemvt_warp_reduce_kernelILb0ELi1024Ei16rocblas_bfloat16PKfS0_EviiT3_lPKT2_lT1_lS6_lS7_lS3_lPT4_lS7_li.numbered_sgpr, 44
	.set _ZL32rocblas_gemvt_warp_reduce_kernelILb0ELi1024Ei16rocblas_bfloat16PKfS0_EviiT3_lPKT2_lT1_lS6_lS7_lS3_lPT4_lS7_li.num_named_barrier, 0
	.set _ZL32rocblas_gemvt_warp_reduce_kernelILb0ELi1024Ei16rocblas_bfloat16PKfS0_EviiT3_lPKT2_lT1_lS6_lS7_lS3_lPT4_lS7_li.private_seg_size, 0
	.set _ZL32rocblas_gemvt_warp_reduce_kernelILb0ELi1024Ei16rocblas_bfloat16PKfS0_EviiT3_lPKT2_lT1_lS6_lS7_lS3_lPT4_lS7_li.uses_vcc, 1
	.set _ZL32rocblas_gemvt_warp_reduce_kernelILb0ELi1024Ei16rocblas_bfloat16PKfS0_EviiT3_lPKT2_lT1_lS6_lS7_lS3_lPT4_lS7_li.uses_flat_scratch, 0
	.set _ZL32rocblas_gemvt_warp_reduce_kernelILb0ELi1024Ei16rocblas_bfloat16PKfS0_EviiT3_lPKT2_lT1_lS6_lS7_lS3_lPT4_lS7_li.has_dyn_sized_stack, 0
	.set _ZL32rocblas_gemvt_warp_reduce_kernelILb0ELi1024Ei16rocblas_bfloat16PKfS0_EviiT3_lPKT2_lT1_lS6_lS7_lS3_lPT4_lS7_li.has_recursion, 0
	.set _ZL32rocblas_gemvt_warp_reduce_kernelILb0ELi1024Ei16rocblas_bfloat16PKfS0_EviiT3_lPKT2_lT1_lS6_lS7_lS3_lPT4_lS7_li.has_indirect_call, 0
	.section	.AMDGPU.csdata,"",@progbits
; Kernel info:
; codeLenInByte = 2372
; TotalNumSgprs: 46
; NumVgprs: 22
; ScratchSize: 0
; MemoryBound: 0
; FloatMode: 240
; IeeeMode: 1
; LDSByteSize: 128 bytes/workgroup (compile time only)
; SGPRBlocks: 0
; VGPRBlocks: 2
; NumSGPRsForWavesPerEU: 46
; NumVGPRsForWavesPerEU: 22
; Occupancy: 16
; WaveLimiterHint : 0
; COMPUTE_PGM_RSRC2:SCRATCH_EN: 0
; COMPUTE_PGM_RSRC2:USER_SGPR: 2
; COMPUTE_PGM_RSRC2:TRAP_HANDLER: 0
; COMPUTE_PGM_RSRC2:TGID_X_EN: 1
; COMPUTE_PGM_RSRC2:TGID_Y_EN: 0
; COMPUTE_PGM_RSRC2:TGID_Z_EN: 1
; COMPUTE_PGM_RSRC2:TIDIG_COMP_CNT: 0
	.section	.text._ZL32rocblas_gemvt_warp_reduce_kernelILb0ELi1024El16rocblas_bfloat16PKfS0_EviiT3_lPKT2_lT1_lS6_lS7_lS3_lPT4_lS7_li,"axG",@progbits,_ZL32rocblas_gemvt_warp_reduce_kernelILb0ELi1024El16rocblas_bfloat16PKfS0_EviiT3_lPKT2_lT1_lS6_lS7_lS3_lPT4_lS7_li,comdat
	.globl	_ZL32rocblas_gemvt_warp_reduce_kernelILb0ELi1024El16rocblas_bfloat16PKfS0_EviiT3_lPKT2_lT1_lS6_lS7_lS3_lPT4_lS7_li ; -- Begin function _ZL32rocblas_gemvt_warp_reduce_kernelILb0ELi1024El16rocblas_bfloat16PKfS0_EviiT3_lPKT2_lT1_lS6_lS7_lS3_lPT4_lS7_li
	.p2align	8
	.type	_ZL32rocblas_gemvt_warp_reduce_kernelILb0ELi1024El16rocblas_bfloat16PKfS0_EviiT3_lPKT2_lT1_lS6_lS7_lS3_lPT4_lS7_li,@function
_ZL32rocblas_gemvt_warp_reduce_kernelILb0ELi1024El16rocblas_bfloat16PKfS0_EviiT3_lPKT2_lT1_lS6_lS7_lS3_lPT4_lS7_li: ; @_ZL32rocblas_gemvt_warp_reduce_kernelILb0ELi1024El16rocblas_bfloat16PKfS0_EviiT3_lPKT2_lT1_lS6_lS7_lS3_lPT4_lS7_li
; %bb.0:
	s_load_b32 s30, s[0:1], 0x88
	s_lshr_b32 s6, ttmp7, 16
	s_wait_kmcnt 0x0
	s_cmp_ge_u32 s6, s30
	s_cbranch_scc1 .LBB569_59
; %bb.1:
	s_clause 0x2
	s_load_b512 s[8:23], s[0:1], 0x8
	s_load_b512 s[36:51], s[0:1], 0x48
	s_load_b32 s28, s[0:1], 0x0
	s_mov_b32 s2, ttmp9
	s_ashr_i32 s3, ttmp9, 31
	v_mbcnt_lo_u32_b32 v16, -1, 0
	v_cmp_eq_u32_e64 s0, 0, v0
	s_mov_b32 s7, 0
	v_lshl_or_b32 v17, v16, 2, 64
	s_wait_kmcnt 0x0
	s_lshl_b64 s[4:5], s[22:23], 1
	s_lshl_b64 s[24:25], s[14:15], 1
	v_cmp_gt_i32_e32 vcc_lo, s28, v0
	s_ashr_i32 s1, s28, 31
	v_mad_co_u64_u32 v[1:2], null, s36, v0, 0
	s_lshr_b32 s1, s1, 22
	v_cndmask_b32_e32 v3, 0, v0, vcc_lo
	s_add_nc_u64 s[14:15], s[20:21], s[4:5]
	s_add_nc_u64 s[4:5], s[12:13], s[24:25]
	s_add_co_i32 s1, s28, s1
	s_lshl_b64 s[22:23], s[46:47], 1
	v_lshlrev_b32_e32 v7, 1, v3
	s_and_b32 s20, s1, 0xfffffc00
	s_mul_u64 s[26:27], s[48:49], s[2:3]
	s_mul_u64 s[2:3], s[16:17], s[2:3]
	v_or_b32_e32 v4, s20, v0
	v_add_co_u32 v3, s1, s4, v7
	s_delay_alu instid0(VALU_DEP_1)
	v_add_co_ci_u32_e64 v5, null, s5, 0, s1
	s_add_nc_u64 s[16:17], s[44:45], s[22:23]
	s_lshl_b64 s[22:23], s[2:3], 1
	v_mul_lo_u32 v8, s37, v4
	v_add_co_u32 v12, vcc_lo, v3, s22
	v_mad_co_u64_u32 v[2:3], null, s37, v0, v[2:3]
	s_wait_alu 0xfffd
	v_add_co_ci_u32_e64 v13, null, s23, v5, vcc_lo
	v_mad_co_u64_u32 v[5:6], null, s36, v4, 0
	v_and_b32_e32 v3, 31, v0
	v_cmp_gt_i32_e64 s2, s28, v4
	v_lshrrev_b32_e32 v4, 3, v0
	s_ashr_i32 s21, s20, 31
	v_dual_mov_b32 v11, 0 :: v_dual_lshlrev_b32 v14, 2, v3
	s_wait_alu 0xfffe
	s_mul_i32 s3, s36, s21
	v_cmp_eq_u32_e64 s4, 0, v3
	v_and_b32_e32 v15, 0x7c, v4
	v_lshlrev_b64_e32 v[3:4], 1, v[1:2]
	v_add3_u32 v6, v6, s3, v8
	s_add_nc_u64 s[22:23], s[22:23], s[24:25]
	v_cmp_gt_i32_e64 s1, s20, v0
	s_wait_alu 0xfffe
	s_add_nc_u64 s[12:13], s[12:13], s[22:23]
	v_cmp_gt_u32_e64 s3, 32, v0
	v_add_co_u32 v1, s5, s12, v7
	v_add_co_u32 v3, vcc_lo, s14, v3
	v_lshlrev_b64_e32 v[5:6], 1, v[5:6]
	s_wait_alu 0xf1ff
	v_add_co_ci_u32_e64 v2, null, s13, 0, s5
	s_wait_alu 0xfffd
	v_add_co_ci_u32_e64 v4, null, s15, v4, vcc_lo
	s_lshl_b64 s[12:13], s[18:19], 1
	s_lshl_b64 s[22:23], s[38:39], 1
	;; [unrolled: 1-line block ×4, first 2 shown]
	s_branch .LBB569_4
.LBB569_2:                              ;   in Loop: Header=BB569_4 Depth=1
	s_wait_alu 0xfffe
	s_or_b32 exec_lo, exec_lo, s5
.LBB569_3:                              ;   in Loop: Header=BB569_4 Depth=1
	s_add_co_i32 s6, s6, 0x10000
	s_wait_alu 0xfffe
	s_cmp_lt_u32 s6, s30
	s_cbranch_scc0 .LBB569_59
.LBB569_4:                              ; =>This Loop Header: Depth=1
                                        ;     Child Loop BB569_26 Depth 2
	s_mul_u64 s[28:29], s[10:11], s[6:7]
	s_mul_u64 s[34:35], s[42:43], s[6:7]
	s_wait_alu 0xfffe
	s_lshl_b64 s[28:29], s[28:29], 2
	s_lshl_b64 s[34:35], s[34:35], 2
	s_wait_alu 0xfffe
	s_add_nc_u64 s[28:29], s[8:9], s[28:29]
	s_add_nc_u64 s[34:35], s[40:41], s[34:35]
	s_clause 0x1
	global_load_b32 v18, v11, s[28:29]
	global_load_b32 v7, v11, s[34:35]
	s_wait_loadcnt 0x1
	v_cmp_eq_f32_e32 vcc_lo, 0, v18
	s_wait_loadcnt 0x0
	v_cmp_eq_f32_e64 s5, 1.0, v7
	v_readfirstlane_b32 s33, v7
	s_and_b32 s5, vcc_lo, s5
	s_wait_alu 0xfffe
	s_and_b32 vcc_lo, exec_lo, s5
	s_wait_alu 0xfffe
	s_cbranch_vccnz .LBB569_3
; %bb.5:                                ;   in Loop: Header=BB569_4 Depth=1
	v_cmp_neq_f32_e32 vcc_lo, 0, v18
	s_mul_u64 s[28:29], s[50:51], s[6:7]
	s_wait_alu 0xfffe
	s_lshl_b64 s[28:29], s[28:29], 1
	s_wait_alu 0xfffe
	s_add_nc_u64 s[28:29], s[16:17], s[28:29]
	s_cbranch_vccnz .LBB569_13
; %bb.6:                                ;   in Loop: Header=BB569_4 Depth=1
	s_mov_b32 s5, 0
	s_mov_b32 s31, 0
                                        ; implicit-def: $sgpr35
	s_and_saveexec_b32 s34, s0
	s_cbranch_execz .LBB569_14
; %bb.7:                                ;   in Loop: Header=BB569_4 Depth=1
	s_cmp_eq_f32 s33, 0
	s_cbranch_scc1 .LBB569_44
; %bb.8:                                ;   in Loop: Header=BB569_4 Depth=1
	s_wait_alu 0xfffe
	s_add_nc_u64 s[36:37], s[28:29], s[26:27]
	global_load_u16 v7, v11, s[36:37]
	s_mov_b32 s36, -1
	s_wait_loadcnt 0x0
	v_readfirstlane_b32 s31, v7
	s_lshl_b32 s31, s31, 16
	s_delay_alu instid0(SALU_CYCLE_1) | instskip(NEXT) | instid1(SALU_CYCLE_3)
	s_mul_f32 s31, s33, s31
	s_and_b32 s35, s31, 0x7f800000
	s_wait_alu 0xfffe
	s_cmp_eq_u32 s35, 0x7f800000
                                        ; implicit-def: $sgpr35
	s_cbranch_scc1 .LBB569_10
; %bb.9:                                ;   in Loop: Header=BB569_4 Depth=1
	s_bfe_u32 s35, s31, 0x10010
	s_mov_b32 s36, 0
	s_wait_alu 0xfffe
	s_add_co_i32 s35, s31, s35
	s_wait_alu 0xfffe
	s_addk_co_i32 s35, 0x7fff
.LBB569_10:                             ;   in Loop: Header=BB569_4 Depth=1
	s_wait_alu 0xfffe
	s_and_not1_b32 vcc_lo, exec_lo, s36
	s_wait_alu 0xfffe
	s_cbranch_vccnz .LBB569_12
; %bb.11:                               ;   in Loop: Header=BB569_4 Depth=1
	s_and_b32 s35, s31, 0xffff
	s_or_b32 s36, s31, 0x10000
	s_wait_alu 0xfffe
	s_cmp_eq_u32 s35, 0
	s_cselect_b32 s35, s31, s36
.LBB569_12:                             ;   in Loop: Header=BB569_4 Depth=1
	s_wait_alu 0xfffe
	s_lshr_b32 s35, s35, 16
	s_mov_b32 s31, exec_lo
	s_or_b32 exec_lo, exec_lo, s34
	s_delay_alu instid0(SALU_CYCLE_1)
	s_and_b32 vcc_lo, exec_lo, s5
	s_wait_alu 0xfffe
	s_cbranch_vccnz .LBB569_15
	s_branch .LBB569_45
.LBB569_13:                             ;   in Loop: Header=BB569_4 Depth=1
	s_mov_b32 s31, 0
                                        ; implicit-def: $sgpr35
	s_cbranch_execnz .LBB569_15
	s_branch .LBB569_45
.LBB569_14:                             ;   in Loop: Header=BB569_4 Depth=1
	s_wait_alu 0xfffe
	s_or_b32 exec_lo, exec_lo, s34
	s_delay_alu instid0(SALU_CYCLE_1)
	s_and_b32 vcc_lo, exec_lo, s5
	s_wait_alu 0xfffe
	s_cbranch_vccz .LBB569_45
.LBB569_15:                             ;   in Loop: Header=BB569_4 Depth=1
	s_wait_dscnt 0x0
	v_mov_b32_e32 v19, 0
	s_and_saveexec_b32 s34, s1
	s_cbranch_execnz .LBB569_24
; %bb.16:                               ;   in Loop: Header=BB569_4 Depth=1
	s_wait_alu 0xfffe
	s_or_b32 exec_lo, exec_lo, s34
	s_and_saveexec_b32 s5, s2
	s_cbranch_execnz .LBB569_39
.LBB569_17:                             ;   in Loop: Header=BB569_4 Depth=1
	s_wait_alu 0xfffe
	s_or_b32 exec_lo, exec_lo, s5
	s_and_saveexec_b32 s5, s3
.LBB569_18:                             ;   in Loop: Header=BB569_4 Depth=1
	ds_store_b32 v14, v11
.LBB569_19:                             ;   in Loop: Header=BB569_4 Depth=1
	s_wait_alu 0xfffe
	s_or_b32 exec_lo, exec_lo, s5
	ds_bpermute_b32 v8, v17, v19
	v_cmp_gt_u32_e32 vcc_lo, 24, v16
	s_wait_dscnt 0x0
	s_barrier_signal -1
	s_barrier_wait -1
	global_inv scope:SCOPE_SE
	s_wait_alu 0xfffd
	v_cndmask_b32_e64 v7, 0, 8, vcc_lo
	v_cmp_gt_u32_e32 vcc_lo, 28, v16
	s_delay_alu instid0(VALU_DEP_2)
	v_add_lshl_u32 v7, v7, v16, 2
	v_add_f32_e32 v9, v19, v8
	s_wait_alu 0xfffd
	v_cndmask_b32_e64 v8, 0, 4, vcc_lo
	v_cmp_gt_u32_e32 vcc_lo, 30, v16
	ds_bpermute_b32 v10, v7, v9
	v_add_lshl_u32 v8, v8, v16, 2
	s_wait_dscnt 0x0
	v_add_f32_e32 v10, v9, v10
	s_wait_alu 0xfffd
	v_cndmask_b32_e64 v9, 0, 2, vcc_lo
	v_cmp_ne_u32_e32 vcc_lo, 31, v16
	ds_bpermute_b32 v19, v8, v10
	v_add_lshl_u32 v9, v9, v16, 2
	s_wait_alu 0xfffd
	v_add_co_ci_u32_e64 v20, null, 0, v16, vcc_lo
	s_wait_dscnt 0x0
	v_add_f32_e32 v10, v10, v19
	ds_bpermute_b32 v19, v9, v10
	s_wait_dscnt 0x0
	v_dual_add_f32 v19, v10, v19 :: v_dual_lshlrev_b32 v10, 2, v20
	ds_bpermute_b32 v20, v10, v19
	s_and_saveexec_b32 s5, s4
	s_cbranch_execz .LBB569_21
; %bb.20:                               ;   in Loop: Header=BB569_4 Depth=1
	s_wait_dscnt 0x0
	v_add_f32_e32 v19, v19, v20
	ds_store_b32 v15, v19
.LBB569_21:                             ;   in Loop: Header=BB569_4 Depth=1
	s_wait_alu 0xfffe
	s_or_b32 exec_lo, exec_lo, s5
	v_mov_b32_e32 v19, 0
	s_wait_loadcnt_dscnt 0x0
	s_barrier_signal -1
	s_barrier_wait -1
	global_inv scope:SCOPE_SE
	s_and_saveexec_b32 s5, s3
	s_cbranch_execnz .LBB569_30
; %bb.22:                               ;   in Loop: Header=BB569_4 Depth=1
	s_wait_alu 0xfffe
	s_or_b32 exec_lo, exec_lo, s5
	s_and_saveexec_b32 s5, s3
	s_cbranch_execnz .LBB569_31
.LBB569_23:                             ;   in Loop: Header=BB569_4 Depth=1
	s_wait_alu 0xfffe
	s_or_b32 exec_lo, exec_lo, s5
                                        ; implicit-def: $vgpr7
	s_and_saveexec_b32 s5, s0
	s_cbranch_execnz .LBB569_32
	s_branch .LBB569_57
.LBB569_24:                             ;   in Loop: Header=BB569_4 Depth=1
	v_mad_co_u64_u32 v[7:8], null, s12, s6, v[1:2]
	v_mad_co_u64_u32 v[9:10], null, s22, s6, v[3:4]
	s_mov_b32 s35, 0
	v_mad_co_u64_u32 v[20:21], null, s13, s6, v[8:9]
	v_mad_co_u64_u32 v[21:22], null, s23, s6, v[10:11]
	s_delay_alu instid0(VALU_DEP_2) | instskip(SKIP_1) | instid1(VALU_DEP_3)
	v_dual_mov_b32 v19, 0 :: v_dual_mov_b32 v8, v20
	v_mov_b32_e32 v20, v0
	v_mov_b32_e32 v10, v21
	s_branch .LBB569_26
.LBB569_25:                             ;   in Loop: Header=BB569_26 Depth=2
	s_wait_alu 0xfffe
	s_or_b32 exec_lo, exec_lo, s5
	s_delay_alu instid0(VALU_DEP_1)
	v_and_b32_e32 v21, 0xffff0000, v22
	v_add_nc_u32_e32 v20, 0x400, v20
	v_add_co_u32 v7, vcc_lo, 0x800, v7
	s_wait_alu 0xfffd
	v_add_co_ci_u32_e64 v8, null, 0, v8, vcc_lo
	v_add_f32_e32 v19, v19, v21
	v_cmp_le_i32_e32 vcc_lo, s20, v20
	v_add_co_u32 v9, s5, v9, s24
	s_wait_alu 0xf1ff
	v_add_co_ci_u32_e64 v10, null, s25, v10, s5
	s_or_b32 s35, vcc_lo, s35
	s_wait_alu 0xfffe
	s_and_not1_b32 exec_lo, exec_lo, s35
	s_cbranch_execz .LBB569_38
.LBB569_26:                             ;   Parent Loop BB569_4 Depth=1
                                        ; =>  This Inner Loop Header: Depth=2
	global_load_u16 v21, v[9:10], off
	global_load_u16 v22, v[7:8], off
	s_wait_loadcnt 0x1
	v_lshlrev_b32_e32 v21, 16, v21
	s_wait_loadcnt 0x0
	v_lshlrev_b32_e32 v22, 16, v22
	s_delay_alu instid0(VALU_DEP_1) | instskip(NEXT) | instid1(VALU_DEP_1)
	v_mul_f32_e32 v21, v22, v21
	v_and_b32_e32 v22, 0x7f800000, v21
	s_delay_alu instid0(VALU_DEP_1)
	v_cmp_ne_u32_e32 vcc_lo, 0x7f800000, v22
                                        ; implicit-def: $vgpr22
	s_and_saveexec_b32 s5, vcc_lo
	s_wait_alu 0xfffe
	s_xor_b32 s5, exec_lo, s5
; %bb.27:                               ;   in Loop: Header=BB569_26 Depth=2
	v_bfe_u32 v22, v21, 16, 1
	s_delay_alu instid0(VALU_DEP_1)
	v_add3_u32 v22, v21, v22, 0x7fff
                                        ; implicit-def: $vgpr21
; %bb.28:                               ;   in Loop: Header=BB569_26 Depth=2
	s_wait_alu 0xfffe
	s_and_not1_saveexec_b32 s5, s5
	s_cbranch_execz .LBB569_25
; %bb.29:                               ;   in Loop: Header=BB569_26 Depth=2
	v_and_b32_e32 v22, 0xffff, v21
	v_or_b32_e32 v23, 0x10000, v21
	s_delay_alu instid0(VALU_DEP_2) | instskip(SKIP_1) | instid1(VALU_DEP_2)
	v_cmp_eq_u32_e32 vcc_lo, 0, v22
	s_wait_alu 0xfffd
	v_cndmask_b32_e32 v22, v23, v21, vcc_lo
	s_branch .LBB569_25
.LBB569_30:                             ;   in Loop: Header=BB569_4 Depth=1
	ds_load_b32 v19, v14
	s_wait_alu 0xfffe
	s_or_b32 exec_lo, exec_lo, s5
	s_and_saveexec_b32 s5, s3
	s_cbranch_execz .LBB569_23
.LBB569_31:                             ;   in Loop: Header=BB569_4 Depth=1
	s_wait_dscnt 0x0
	ds_bpermute_b32 v20, v17, v19
	s_wait_dscnt 0x0
	v_add_f32_e32 v19, v19, v20
	ds_bpermute_b32 v7, v7, v19
	s_wait_dscnt 0x0
	v_add_f32_e32 v7, v19, v7
	;; [unrolled: 3-line block ×5, first 2 shown]
	s_wait_alu 0xfffe
	s_or_b32 exec_lo, exec_lo, s5
                                        ; implicit-def: $vgpr7
	s_and_saveexec_b32 s5, s0
	s_cbranch_execz .LBB569_57
.LBB569_32:                             ;   in Loop: Header=BB569_4 Depth=1
	s_wait_dscnt 0x0
	v_mul_f32_e32 v7, v18, v19
	s_cmp_eq_f32 s33, 0
	s_cbranch_scc0 .LBB569_46
; %bb.33:                               ;   in Loop: Header=BB569_4 Depth=1
	s_delay_alu instid0(VALU_DEP_1) | instskip(NEXT) | instid1(VALU_DEP_1)
	v_and_b32_e32 v8, 0x7f800000, v7
	v_cmp_ne_u32_e32 vcc_lo, 0x7f800000, v8
                                        ; implicit-def: $vgpr8
	s_and_saveexec_b32 s34, vcc_lo
	s_wait_alu 0xfffe
	s_xor_b32 s34, exec_lo, s34
; %bb.34:                               ;   in Loop: Header=BB569_4 Depth=1
	v_bfe_u32 v8, v7, 16, 1
	s_delay_alu instid0(VALU_DEP_1)
	v_add3_u32 v8, v7, v8, 0x7fff
; %bb.35:                               ;   in Loop: Header=BB569_4 Depth=1
	s_wait_alu 0xfffe
	s_and_not1_saveexec_b32 s34, s34
; %bb.36:                               ;   in Loop: Header=BB569_4 Depth=1
	v_and_b32_e32 v8, 0xffff, v7
	v_or_b32_e32 v9, 0x10000, v7
	s_delay_alu instid0(VALU_DEP_2) | instskip(SKIP_1) | instid1(VALU_DEP_2)
	v_cmp_eq_u32_e32 vcc_lo, 0, v8
	s_wait_alu 0xfffd
	v_cndmask_b32_e32 v8, v9, v7, vcc_lo
; %bb.37:                               ;   in Loop: Header=BB569_4 Depth=1
	s_wait_alu 0xfffe
	s_or_b32 exec_lo, exec_lo, s34
	s_cbranch_execz .LBB569_47
	s_branch .LBB569_56
.LBB569_38:                             ;   in Loop: Header=BB569_4 Depth=1
	s_or_b32 exec_lo, exec_lo, s35
	s_delay_alu instid0(SALU_CYCLE_1)
	s_or_b32 exec_lo, exec_lo, s34
	s_and_saveexec_b32 s5, s2
	s_cbranch_execz .LBB569_17
.LBB569_39:                             ;   in Loop: Header=BB569_4 Depth=1
	s_mul_u64 s[34:35], s[18:19], s[6:7]
	s_mul_u64 s[36:37], s[38:39], s[6:7]
	s_wait_alu 0xfffe
	s_lshl_b64 s[34:35], s[34:35], 1
	s_lshl_b64 s[36:37], s[36:37], 1
	s_wait_alu 0xfffe
	v_add_co_u32 v9, vcc_lo, v12, s34
	s_wait_alu 0xfffd
	v_add_co_ci_u32_e64 v10, null, s35, v13, vcc_lo
	s_add_nc_u64 s[34:35], s[14:15], s[36:37]
	s_lshl_b64 s[36:37], s[20:21], 1
	s_wait_alu 0xfffe
	v_add_co_u32 v7, vcc_lo, s34, v5
	s_wait_alu 0xfffd
	v_add_co_ci_u32_e64 v8, null, s35, v6, vcc_lo
	v_add_co_u32 v9, vcc_lo, v9, s36
	s_wait_alu 0xfffd
	v_add_co_ci_u32_e64 v10, null, s37, v10, vcc_lo
	global_load_u16 v7, v[7:8], off
	global_load_u16 v8, v[9:10], off
	s_wait_loadcnt 0x1
	v_lshlrev_b32_e32 v7, 16, v7
	s_wait_loadcnt 0x0
	v_lshlrev_b32_e32 v8, 16, v8
	s_delay_alu instid0(VALU_DEP_1) | instskip(NEXT) | instid1(VALU_DEP_1)
	v_mul_f32_e32 v7, v8, v7
	v_and_b32_e32 v8, 0x7f800000, v7
	s_delay_alu instid0(VALU_DEP_1)
	v_cmp_ne_u32_e32 vcc_lo, 0x7f800000, v8
                                        ; implicit-def: $vgpr8
	s_and_saveexec_b32 s34, vcc_lo
	s_wait_alu 0xfffe
	s_xor_b32 s34, exec_lo, s34
; %bb.40:                               ;   in Loop: Header=BB569_4 Depth=1
	v_bfe_u32 v8, v7, 16, 1
	s_delay_alu instid0(VALU_DEP_1)
	v_add3_u32 v8, v7, v8, 0x7fff
                                        ; implicit-def: $vgpr7
; %bb.41:                               ;   in Loop: Header=BB569_4 Depth=1
	s_wait_alu 0xfffe
	s_and_not1_saveexec_b32 s34, s34
; %bb.42:                               ;   in Loop: Header=BB569_4 Depth=1
	v_and_b32_e32 v8, 0xffff, v7
	v_or_b32_e32 v9, 0x10000, v7
	s_delay_alu instid0(VALU_DEP_2) | instskip(SKIP_1) | instid1(VALU_DEP_2)
	v_cmp_eq_u32_e32 vcc_lo, 0, v8
	s_wait_alu 0xfffd
	v_cndmask_b32_e32 v8, v9, v7, vcc_lo
; %bb.43:                               ;   in Loop: Header=BB569_4 Depth=1
	s_wait_alu 0xfffe
	s_or_b32 exec_lo, exec_lo, s34
	s_delay_alu instid0(VALU_DEP_1) | instskip(NEXT) | instid1(VALU_DEP_1)
	v_and_b32_e32 v7, 0xffff0000, v8
	v_add_f32_e32 v19, v19, v7
	s_or_b32 exec_lo, exec_lo, s5
	s_and_saveexec_b32 s5, s3
	s_cbranch_execnz .LBB569_18
	s_branch .LBB569_19
.LBB569_44:                             ;   in Loop: Header=BB569_4 Depth=1
	s_mov_b32 s35, 0
	s_mov_b32 s31, exec_lo
	s_wait_alu 0xfffe
	s_or_b32 exec_lo, exec_lo, s34
	s_delay_alu instid0(SALU_CYCLE_1)
	s_and_b32 vcc_lo, exec_lo, s5
	s_wait_alu 0xfffe
	s_cbranch_vccnz .LBB569_15
.LBB569_45:                             ;   in Loop: Header=BB569_4 Depth=1
	v_mov_b32_e32 v7, s35
	s_and_saveexec_b32 s5, s31
	s_cbranch_execz .LBB569_2
	s_branch .LBB569_58
.LBB569_46:                             ;   in Loop: Header=BB569_4 Depth=1
                                        ; implicit-def: $vgpr8
.LBB569_47:                             ;   in Loop: Header=BB569_4 Depth=1
	s_add_nc_u64 s[34:35], s[28:29], s[26:27]
	global_load_u16 v8, v11, s[34:35]
	s_mov_b32 s35, -1
	s_wait_loadcnt 0x0
	v_readfirstlane_b32 s34, v8
	s_wait_alu 0xfffe
	s_lshl_b32 s34, s34, 16
	s_wait_alu 0xfffe
	s_mul_f32 s33, s33, s34
	s_wait_alu 0xfffe
	s_delay_alu instid0(SALU_CYCLE_2)
	s_and_b32 s34, s33, 0x7f800000
	s_wait_alu 0xfffe
	s_cmp_eq_u32 s34, 0x7f800000
                                        ; implicit-def: $sgpr34
	s_cbranch_scc1 .LBB569_49
; %bb.48:                               ;   in Loop: Header=BB569_4 Depth=1
	s_bfe_u32 s34, s33, 0x10010
	s_mov_b32 s35, 0
	s_wait_alu 0xfffe
	s_add_co_i32 s34, s33, s34
	s_wait_alu 0xfffe
	s_addk_co_i32 s34, 0x7fff
.LBB569_49:                             ;   in Loop: Header=BB569_4 Depth=1
	s_and_not1_b32 vcc_lo, exec_lo, s35
	s_wait_alu 0xfffe
	s_cbranch_vccnz .LBB569_51
; %bb.50:                               ;   in Loop: Header=BB569_4 Depth=1
	s_and_b32 s34, s33, 0xffff
	s_or_b32 s35, s33, 0x10000
	s_wait_alu 0xfffe
	s_cmp_eq_u32 s34, 0
	s_cselect_b32 s34, s33, s35
.LBB569_51:                             ;   in Loop: Header=BB569_4 Depth=1
	s_wait_alu 0xfffe
	s_and_b32 s33, s34, 0xffff0000
	s_wait_alu 0xfffe
	v_add_f32_e32 v7, s33, v7
	s_delay_alu instid0(VALU_DEP_1) | instskip(NEXT) | instid1(VALU_DEP_1)
	v_and_b32_e32 v8, 0x7f800000, v7
	v_cmp_ne_u32_e32 vcc_lo, 0x7f800000, v8
                                        ; implicit-def: $vgpr8
	s_and_saveexec_b32 s33, vcc_lo
	s_wait_alu 0xfffe
	s_xor_b32 s33, exec_lo, s33
; %bb.52:                               ;   in Loop: Header=BB569_4 Depth=1
	v_bfe_u32 v8, v7, 16, 1
	s_delay_alu instid0(VALU_DEP_1)
	v_add3_u32 v8, v7, v8, 0x7fff
                                        ; implicit-def: $vgpr7
; %bb.53:                               ;   in Loop: Header=BB569_4 Depth=1
	s_wait_alu 0xfffe
	s_and_not1_saveexec_b32 s33, s33
; %bb.54:                               ;   in Loop: Header=BB569_4 Depth=1
	v_and_b32_e32 v8, 0xffff, v7
	v_or_b32_e32 v9, 0x10000, v7
	s_delay_alu instid0(VALU_DEP_2) | instskip(SKIP_1) | instid1(VALU_DEP_2)
	v_cmp_eq_u32_e32 vcc_lo, 0, v8
	s_wait_alu 0xfffd
	v_cndmask_b32_e32 v8, v9, v7, vcc_lo
; %bb.55:                               ;   in Loop: Header=BB569_4 Depth=1
	s_wait_alu 0xfffe
	s_or_b32 exec_lo, exec_lo, s33
.LBB569_56:                             ;   in Loop: Header=BB569_4 Depth=1
	s_delay_alu instid0(VALU_DEP_1)
	v_lshrrev_b32_e32 v7, 16, v8
	s_or_b32 s31, s31, exec_lo
.LBB569_57:                             ;   in Loop: Header=BB569_4 Depth=1
	s_wait_alu 0xfffe
	s_or_b32 exec_lo, exec_lo, s5
	s_and_saveexec_b32 s5, s31
	s_cbranch_execz .LBB569_2
.LBB569_58:                             ;   in Loop: Header=BB569_4 Depth=1
	s_wait_alu 0xfffe
	s_add_nc_u64 s[28:29], s[28:29], s[26:27]
	global_store_b16 v11, v7, s[28:29]
	s_branch .LBB569_2
.LBB569_59:
	s_endpgm
	.section	.rodata,"a",@progbits
	.p2align	6, 0x0
	.amdhsa_kernel _ZL32rocblas_gemvt_warp_reduce_kernelILb0ELi1024El16rocblas_bfloat16PKfS0_EviiT3_lPKT2_lT1_lS6_lS7_lS3_lPT4_lS7_li
		.amdhsa_group_segment_fixed_size 128
		.amdhsa_private_segment_fixed_size 0
		.amdhsa_kernarg_size 140
		.amdhsa_user_sgpr_count 2
		.amdhsa_user_sgpr_dispatch_ptr 0
		.amdhsa_user_sgpr_queue_ptr 0
		.amdhsa_user_sgpr_kernarg_segment_ptr 1
		.amdhsa_user_sgpr_dispatch_id 0
		.amdhsa_user_sgpr_private_segment_size 0
		.amdhsa_wavefront_size32 1
		.amdhsa_uses_dynamic_stack 0
		.amdhsa_enable_private_segment 0
		.amdhsa_system_sgpr_workgroup_id_x 1
		.amdhsa_system_sgpr_workgroup_id_y 0
		.amdhsa_system_sgpr_workgroup_id_z 1
		.amdhsa_system_sgpr_workgroup_info 0
		.amdhsa_system_vgpr_workitem_id 0
		.amdhsa_next_free_vgpr 24
		.amdhsa_next_free_sgpr 52
		.amdhsa_reserve_vcc 1
		.amdhsa_float_round_mode_32 0
		.amdhsa_float_round_mode_16_64 0
		.amdhsa_float_denorm_mode_32 3
		.amdhsa_float_denorm_mode_16_64 3
		.amdhsa_fp16_overflow 0
		.amdhsa_workgroup_processor_mode 1
		.amdhsa_memory_ordered 1
		.amdhsa_forward_progress 1
		.amdhsa_inst_pref_size 19
		.amdhsa_round_robin_scheduling 0
		.amdhsa_exception_fp_ieee_invalid_op 0
		.amdhsa_exception_fp_denorm_src 0
		.amdhsa_exception_fp_ieee_div_zero 0
		.amdhsa_exception_fp_ieee_overflow 0
		.amdhsa_exception_fp_ieee_underflow 0
		.amdhsa_exception_fp_ieee_inexact 0
		.amdhsa_exception_int_div_zero 0
	.end_amdhsa_kernel
	.section	.text._ZL32rocblas_gemvt_warp_reduce_kernelILb0ELi1024El16rocblas_bfloat16PKfS0_EviiT3_lPKT2_lT1_lS6_lS7_lS3_lPT4_lS7_li,"axG",@progbits,_ZL32rocblas_gemvt_warp_reduce_kernelILb0ELi1024El16rocblas_bfloat16PKfS0_EviiT3_lPKT2_lT1_lS6_lS7_lS3_lPT4_lS7_li,comdat
.Lfunc_end569:
	.size	_ZL32rocblas_gemvt_warp_reduce_kernelILb0ELi1024El16rocblas_bfloat16PKfS0_EviiT3_lPKT2_lT1_lS6_lS7_lS3_lPT4_lS7_li, .Lfunc_end569-_ZL32rocblas_gemvt_warp_reduce_kernelILb0ELi1024El16rocblas_bfloat16PKfS0_EviiT3_lPKT2_lT1_lS6_lS7_lS3_lPT4_lS7_li
                                        ; -- End function
	.set _ZL32rocblas_gemvt_warp_reduce_kernelILb0ELi1024El16rocblas_bfloat16PKfS0_EviiT3_lPKT2_lT1_lS6_lS7_lS3_lPT4_lS7_li.num_vgpr, 24
	.set _ZL32rocblas_gemvt_warp_reduce_kernelILb0ELi1024El16rocblas_bfloat16PKfS0_EviiT3_lPKT2_lT1_lS6_lS7_lS3_lPT4_lS7_li.num_agpr, 0
	.set _ZL32rocblas_gemvt_warp_reduce_kernelILb0ELi1024El16rocblas_bfloat16PKfS0_EviiT3_lPKT2_lT1_lS6_lS7_lS3_lPT4_lS7_li.numbered_sgpr, 52
	.set _ZL32rocblas_gemvt_warp_reduce_kernelILb0ELi1024El16rocblas_bfloat16PKfS0_EviiT3_lPKT2_lT1_lS6_lS7_lS3_lPT4_lS7_li.num_named_barrier, 0
	.set _ZL32rocblas_gemvt_warp_reduce_kernelILb0ELi1024El16rocblas_bfloat16PKfS0_EviiT3_lPKT2_lT1_lS6_lS7_lS3_lPT4_lS7_li.private_seg_size, 0
	.set _ZL32rocblas_gemvt_warp_reduce_kernelILb0ELi1024El16rocblas_bfloat16PKfS0_EviiT3_lPKT2_lT1_lS6_lS7_lS3_lPT4_lS7_li.uses_vcc, 1
	.set _ZL32rocblas_gemvt_warp_reduce_kernelILb0ELi1024El16rocblas_bfloat16PKfS0_EviiT3_lPKT2_lT1_lS6_lS7_lS3_lPT4_lS7_li.uses_flat_scratch, 0
	.set _ZL32rocblas_gemvt_warp_reduce_kernelILb0ELi1024El16rocblas_bfloat16PKfS0_EviiT3_lPKT2_lT1_lS6_lS7_lS3_lPT4_lS7_li.has_dyn_sized_stack, 0
	.set _ZL32rocblas_gemvt_warp_reduce_kernelILb0ELi1024El16rocblas_bfloat16PKfS0_EviiT3_lPKT2_lT1_lS6_lS7_lS3_lPT4_lS7_li.has_recursion, 0
	.set _ZL32rocblas_gemvt_warp_reduce_kernelILb0ELi1024El16rocblas_bfloat16PKfS0_EviiT3_lPKT2_lT1_lS6_lS7_lS3_lPT4_lS7_li.has_indirect_call, 0
	.section	.AMDGPU.csdata,"",@progbits
; Kernel info:
; codeLenInByte = 2372
; TotalNumSgprs: 54
; NumVgprs: 24
; ScratchSize: 0
; MemoryBound: 0
; FloatMode: 240
; IeeeMode: 1
; LDSByteSize: 128 bytes/workgroup (compile time only)
; SGPRBlocks: 0
; VGPRBlocks: 2
; NumSGPRsForWavesPerEU: 54
; NumVGPRsForWavesPerEU: 24
; Occupancy: 16
; WaveLimiterHint : 0
; COMPUTE_PGM_RSRC2:SCRATCH_EN: 0
; COMPUTE_PGM_RSRC2:USER_SGPR: 2
; COMPUTE_PGM_RSRC2:TRAP_HANDLER: 0
; COMPUTE_PGM_RSRC2:TGID_X_EN: 1
; COMPUTE_PGM_RSRC2:TGID_Y_EN: 0
; COMPUTE_PGM_RSRC2:TGID_Z_EN: 1
; COMPUTE_PGM_RSRC2:TIDIG_COMP_CNT: 0
	.section	.text._ZL32rocblas_gemvt_warp_reduce_kernelILb0ELi1024Ei16rocblas_bfloat16fS0_EviiT3_lPKT2_lT1_lS4_lS5_lS1_lPT4_lS5_li,"axG",@progbits,_ZL32rocblas_gemvt_warp_reduce_kernelILb0ELi1024Ei16rocblas_bfloat16fS0_EviiT3_lPKT2_lT1_lS4_lS5_lS1_lPT4_lS5_li,comdat
	.globl	_ZL32rocblas_gemvt_warp_reduce_kernelILb0ELi1024Ei16rocblas_bfloat16fS0_EviiT3_lPKT2_lT1_lS4_lS5_lS1_lPT4_lS5_li ; -- Begin function _ZL32rocblas_gemvt_warp_reduce_kernelILb0ELi1024Ei16rocblas_bfloat16fS0_EviiT3_lPKT2_lT1_lS4_lS5_lS1_lPT4_lS5_li
	.p2align	8
	.type	_ZL32rocblas_gemvt_warp_reduce_kernelILb0ELi1024Ei16rocblas_bfloat16fS0_EviiT3_lPKT2_lT1_lS4_lS5_lS1_lPT4_lS5_li,@function
_ZL32rocblas_gemvt_warp_reduce_kernelILb0ELi1024Ei16rocblas_bfloat16fS0_EviiT3_lPKT2_lT1_lS4_lS5_lS1_lPT4_lS5_li: ; @_ZL32rocblas_gemvt_warp_reduce_kernelILb0ELi1024Ei16rocblas_bfloat16fS0_EviiT3_lPKT2_lT1_lS4_lS5_lS1_lPT4_lS5_li
; %bb.0:
	s_load_b32 s19, s[0:1], 0x88
	s_lshr_b32 s24, ttmp7, 16
	s_wait_kmcnt 0x0
	s_cmp_ge_u32 s24, s19
	s_cbranch_scc1 .LBB570_59
; %bb.1:
	s_clause 0x9
	s_load_b96 s[20:22], s[0:1], 0x40
	s_load_b128 s[12:15], s[0:1], 0x68
	s_load_b128 s[4:7], s[0:1], 0x18
	s_load_b32 s33, s[0:1], 0x8
	s_load_b96 s[16:18], s[0:1], 0x50
	s_load_b128 s[8:11], s[0:1], 0x30
	s_load_b32 s23, s[0:1], 0x0
	s_load_b32 s3, s[0:1], 0x28
	;; [unrolled: 1-line block ×3, first 2 shown]
	s_load_b64 s[26:27], s[0:1], 0x80
	v_and_b32_e32 v1, 31, v0
	v_mov_b32_e32 v9, 0
	v_lshrrev_b32_e32 v2, 3, v0
	v_mbcnt_lo_u32_b32 v15, -1, 0
	v_cmp_eq_u32_e64 s0, 0, v0
	v_lshlrev_b32_e32 v10, 2, v1
	v_cmp_eq_u32_e64 s2, 0, v1
	v_and_b32_e32 v11, 0x7c, v2
	v_cmp_gt_u32_e64 s1, 32, v0
	v_lshl_or_b32 v16, v15, 2, 64
	s_wait_kmcnt 0x0
	s_lshl_b64 s[20:21], s[20:21], 1
	s_lshl_b64 s[14:15], s[14:15], 1
	;; [unrolled: 1-line block ×3, first 2 shown]
	s_cmp_eq_f32 s33, 0
	v_mul_lo_u32 v12, v0, s22
	s_mov_b32 s25, 0
	v_cmp_gt_i32_e32 vcc_lo, s23, v0
	s_cselect_b32 s34, -1, 0
	s_cmp_neq_f32 s33, 0
	s_mul_i32 s38, s3, ttmp9
	s_mul_i32 s30, s30, ttmp9
	v_cndmask_b32_e32 v1, 0, v0, vcc_lo
	s_cselect_b32 s6, -1, 0
	s_cmp_neq_f32 s18, 1.0
	s_delay_alu instid0(VALU_DEP_1) | instskip(SKIP_1) | instid1(SALU_CYCLE_1)
	v_lshlrev_b32_e32 v1, 1, v1
	s_cselect_b32 s7, -1, 0
	s_or_b32 s35, s6, s7
	s_cmp_neq_f32 s18, 0
	s_add_nc_u64 s[6:7], s[10:11], s[20:21]
	s_add_nc_u64 s[10:11], s[12:13], s[14:15]
	;; [unrolled: 1-line block ×3, first 2 shown]
	s_cselect_b32 s36, -1, 0
	s_cmp_eq_f32 s18, 0
	v_add_co_u32 v2, s12, s12, v1
	s_wait_alu 0xf1ff
	v_add_co_ci_u32_e64 v4, null, s13, 0, s12
	s_cselect_b32 s37, -1, 0
	s_ashr_i32 s3, s23, 31
	s_ashr_i32 s39, s38, 31
	s_lshr_b32 s3, s3, 22
	s_lshl_b64 s[14:15], s[38:39], 1
	s_add_co_i32 s3, s23, s3
	v_add_co_u32 v13, vcc_lo, v2, s14
	s_and_b32 s12, s3, 0xfffffc00
	s_add_nc_u64 s[20:21], s[28:29], s[14:15]
	s_wait_alu 0xfffe
	v_or_b32_e32 v5, s12, v0
	s_wait_alu 0xfffd
	v_add_co_ci_u32_e64 v14, null, s15, v4, vcc_lo
	s_add_nc_u64 s[14:15], s[4:5], s[20:21]
	v_cmp_gt_i32_e64 s3, s12, v0
	v_mul_lo_u32 v3, s22, v5
	s_wait_alu 0xfffe
	v_add_co_u32 v1, s5, s14, v1
	v_cmp_gt_i32_e64 s4, s23, v5
	v_add_co_ci_u32_e64 v2, null, s15, 0, s5
	s_ashr_i32 s31, s30, 31
	s_ashr_i32 s13, s12, 31
	v_ashrrev_i32_e32 v4, 31, v3
	s_lshl_b32 s38, s22, 10
	s_lshl_b64 s[14:15], s[8:9], 1
	s_lshl_b64 s[20:21], s[30:31], 1
	s_wait_alu 0xfffe
	s_lshl_b64 s[22:23], s[12:13], 1
	v_lshlrev_b64_e32 v[3:4], 1, v[3:4]
	s_branch .LBB570_4
.LBB570_2:                              ;   in Loop: Header=BB570_4 Depth=1
	s_wait_alu 0xfffe
	s_or_b32 exec_lo, exec_lo, s5
.LBB570_3:                              ;   in Loop: Header=BB570_4 Depth=1
	s_add_co_i32 s24, s24, 0x10000
	s_wait_alu 0xfffe
	s_cmp_lt_u32 s24, s19
	s_cbranch_scc0 .LBB570_59
.LBB570_4:                              ; =>This Loop Header: Depth=1
                                        ;     Child Loop BB570_26 Depth 2
	s_and_not1_b32 vcc_lo, exec_lo, s35
	s_wait_alu 0xfffe
	s_cbranch_vccnz .LBB570_3
; %bb.5:                                ;   in Loop: Header=BB570_4 Depth=1
	s_mul_u64 s[28:29], s[26:27], s[24:25]
	s_and_not1_b32 vcc_lo, exec_lo, s34
	s_lshl_b64 s[28:29], s[28:29], 1
	s_delay_alu instid0(SALU_CYCLE_1)
	s_add_nc_u64 s[28:29], s[10:11], s[28:29]
	s_wait_alu 0xfffe
	s_cbranch_vccnz .LBB570_13
; %bb.6:                                ;   in Loop: Header=BB570_4 Depth=1
	s_mov_b32 s5, 0
	s_mov_b32 s13, 0
                                        ; implicit-def: $sgpr31
	s_and_saveexec_b32 s30, s0
	s_cbranch_execz .LBB570_14
; %bb.7:                                ;   in Loop: Header=BB570_4 Depth=1
	s_and_not1_b32 vcc_lo, exec_lo, s36
	s_wait_alu 0xfffe
	s_cbranch_vccnz .LBB570_56
; %bb.8:                                ;   in Loop: Header=BB570_4 Depth=1
	s_add_nc_u64 s[40:41], s[28:29], s[20:21]
	s_mov_b32 s39, -1
	global_load_u16 v5, v9, s[40:41]
	s_wait_loadcnt 0x0
	v_readfirstlane_b32 s13, v5
	s_lshl_b32 s13, s13, 16
	s_wait_alu 0xfffe
	s_mul_f32 s13, s18, s13
	s_wait_alu 0xfffe
	s_delay_alu instid0(SALU_CYCLE_2)
	s_and_b32 s31, s13, 0x7f800000
	s_wait_alu 0xfffe
	s_cmp_eq_u32 s31, 0x7f800000
                                        ; implicit-def: $sgpr31
	s_cbranch_scc1 .LBB570_10
; %bb.9:                                ;   in Loop: Header=BB570_4 Depth=1
	s_bfe_u32 s31, s13, 0x10010
	s_mov_b32 s39, 0
	s_wait_alu 0xfffe
	s_add_co_i32 s31, s13, s31
	s_wait_alu 0xfffe
	s_addk_co_i32 s31, 0x7fff
.LBB570_10:                             ;   in Loop: Header=BB570_4 Depth=1
	s_and_not1_b32 vcc_lo, exec_lo, s39
	s_wait_alu 0xfffe
	s_cbranch_vccnz .LBB570_12
; %bb.11:                               ;   in Loop: Header=BB570_4 Depth=1
	s_and_b32 s31, s13, 0xffff
	s_or_b32 s39, s13, 0x10000
	s_wait_alu 0xfffe
	s_cmp_eq_u32 s31, 0
	s_cselect_b32 s31, s13, s39
.LBB570_12:                             ;   in Loop: Header=BB570_4 Depth=1
	s_wait_alu 0xfffe
	s_lshr_b32 s31, s31, 16
	s_mov_b32 s13, exec_lo
	s_or_b32 exec_lo, exec_lo, s30
	s_delay_alu instid0(SALU_CYCLE_1)
	s_and_b32 vcc_lo, exec_lo, s5
	s_wait_alu 0xfffe
	s_cbranch_vccnz .LBB570_15
	s_branch .LBB570_57
.LBB570_13:                             ;   in Loop: Header=BB570_4 Depth=1
	s_mov_b32 s13, 0
                                        ; implicit-def: $sgpr31
	s_cbranch_execnz .LBB570_15
	s_branch .LBB570_57
.LBB570_14:                             ;   in Loop: Header=BB570_4 Depth=1
	s_wait_alu 0xfffe
	s_or_b32 exec_lo, exec_lo, s30
	s_delay_alu instid0(SALU_CYCLE_1)
	s_and_b32 vcc_lo, exec_lo, s5
	s_wait_alu 0xfffe
	s_cbranch_vccz .LBB570_57
.LBB570_15:                             ;   in Loop: Header=BB570_4 Depth=1
	s_mul_u64 s[30:31], s[16:17], s[24:25]
	s_wait_dscnt 0x0
	v_mov_b32_e32 v17, 0
	s_wait_alu 0xfffe
	s_lshl_b64 s[30:31], s[30:31], 1
	s_wait_alu 0xfffe
	s_add_nc_u64 s[30:31], s[6:7], s[30:31]
	s_and_saveexec_b32 s39, s3
	s_cbranch_execnz .LBB570_24
; %bb.16:                               ;   in Loop: Header=BB570_4 Depth=1
	s_wait_alu 0xfffe
	s_or_b32 exec_lo, exec_lo, s39
	s_and_saveexec_b32 s5, s4
	s_cbranch_execnz .LBB570_51
.LBB570_17:                             ;   in Loop: Header=BB570_4 Depth=1
	s_wait_alu 0xfffe
	s_or_b32 exec_lo, exec_lo, s5
	s_and_saveexec_b32 s5, s1
.LBB570_18:                             ;   in Loop: Header=BB570_4 Depth=1
	ds_store_b32 v10, v9
.LBB570_19:                             ;   in Loop: Header=BB570_4 Depth=1
	s_wait_alu 0xfffe
	s_or_b32 exec_lo, exec_lo, s5
	ds_bpermute_b32 v6, v16, v17
	v_cmp_gt_u32_e32 vcc_lo, 24, v15
	s_wait_dscnt 0x0
	s_barrier_signal -1
	s_barrier_wait -1
	global_inv scope:SCOPE_SE
	s_wait_alu 0xfffd
	v_cndmask_b32_e64 v5, 0, 8, vcc_lo
	v_cmp_gt_u32_e32 vcc_lo, 28, v15
	s_delay_alu instid0(VALU_DEP_2)
	v_add_lshl_u32 v5, v5, v15, 2
	v_add_f32_e32 v7, v17, v6
	s_wait_alu 0xfffd
	v_cndmask_b32_e64 v6, 0, 4, vcc_lo
	v_cmp_gt_u32_e32 vcc_lo, 30, v15
	ds_bpermute_b32 v8, v5, v7
	v_add_lshl_u32 v6, v6, v15, 2
	s_wait_dscnt 0x0
	v_add_f32_e32 v8, v7, v8
	s_wait_alu 0xfffd
	v_cndmask_b32_e64 v7, 0, 2, vcc_lo
	v_cmp_ne_u32_e32 vcc_lo, 31, v15
	ds_bpermute_b32 v17, v6, v8
	v_add_lshl_u32 v7, v7, v15, 2
	s_wait_alu 0xfffd
	v_add_co_ci_u32_e64 v18, null, 0, v15, vcc_lo
	s_wait_dscnt 0x0
	v_add_f32_e32 v8, v8, v17
	ds_bpermute_b32 v17, v7, v8
	s_wait_dscnt 0x0
	v_dual_add_f32 v17, v8, v17 :: v_dual_lshlrev_b32 v8, 2, v18
	ds_bpermute_b32 v18, v8, v17
	s_and_saveexec_b32 s5, s2
	s_cbranch_execz .LBB570_21
; %bb.20:                               ;   in Loop: Header=BB570_4 Depth=1
	s_wait_dscnt 0x0
	v_add_f32_e32 v17, v17, v18
	ds_store_b32 v11, v17
.LBB570_21:                             ;   in Loop: Header=BB570_4 Depth=1
	s_wait_alu 0xfffe
	s_or_b32 exec_lo, exec_lo, s5
	v_mov_b32_e32 v17, 0
	s_wait_loadcnt_dscnt 0x0
	s_barrier_signal -1
	s_barrier_wait -1
	global_inv scope:SCOPE_SE
	s_and_saveexec_b32 s5, s1
	s_cbranch_execnz .LBB570_30
; %bb.22:                               ;   in Loop: Header=BB570_4 Depth=1
	s_wait_alu 0xfffe
	s_or_b32 exec_lo, exec_lo, s5
	s_and_saveexec_b32 s5, s1
	s_cbranch_execnz .LBB570_31
.LBB570_23:                             ;   in Loop: Header=BB570_4 Depth=1
	s_wait_alu 0xfffe
	s_or_b32 exec_lo, exec_lo, s5
                                        ; implicit-def: $vgpr5
	s_and_saveexec_b32 s5, s0
	s_cbranch_execnz .LBB570_32
	s_branch .LBB570_49
.LBB570_24:                             ;   in Loop: Header=BB570_4 Depth=1
	v_mad_co_u64_u32 v[5:6], null, s14, s24, v[1:2]
	v_dual_mov_b32 v17, 0 :: v_dual_mov_b32 v18, v0
	s_mov_b32 s40, 0
	s_delay_alu instid0(VALU_DEP_2)
	v_mad_co_u64_u32 v[6:7], null, s15, s24, v[6:7]
	v_mov_b32_e32 v7, v12
	s_branch .LBB570_26
.LBB570_25:                             ;   in Loop: Header=BB570_26 Depth=2
	s_wait_alu 0xfffe
	s_or_b32 exec_lo, exec_lo, s5
	s_delay_alu instid0(VALU_DEP_1) | instskip(SKIP_3) | instid1(VALU_DEP_4)
	v_and_b32_e32 v8, 0xffff0000, v19
	v_add_nc_u32_e32 v18, 0x400, v18
	v_add_co_u32 v5, s5, 0x800, v5
	v_add_nc_u32_e32 v7, s38, v7
	v_add_f32_e32 v17, v17, v8
	s_delay_alu instid0(VALU_DEP_4)
	v_cmp_le_i32_e32 vcc_lo, s12, v18
	s_wait_alu 0xf1ff
	v_add_co_ci_u32_e64 v6, null, 0, v6, s5
	s_or_b32 s40, vcc_lo, s40
	s_wait_alu 0xfffe
	s_and_not1_b32 exec_lo, exec_lo, s40
	s_cbranch_execz .LBB570_50
.LBB570_26:                             ;   Parent Loop BB570_4 Depth=1
                                        ; =>  This Inner Loop Header: Depth=2
	s_delay_alu instid0(VALU_DEP_1) | instskip(NEXT) | instid1(VALU_DEP_1)
	v_ashrrev_i32_e32 v8, 31, v7
	v_lshlrev_b64_e32 v[19:20], 1, v[7:8]
	s_wait_alu 0xfffe
	s_delay_alu instid0(VALU_DEP_1) | instskip(SKIP_1) | instid1(VALU_DEP_2)
	v_add_co_u32 v19, vcc_lo, s30, v19
	s_wait_alu 0xfffd
	v_add_co_ci_u32_e64 v20, null, s31, v20, vcc_lo
	global_load_u16 v8, v[5:6], off
	global_load_u16 v19, v[19:20], off
	s_wait_loadcnt 0x1
	v_lshlrev_b32_e32 v8, 16, v8
	s_wait_loadcnt 0x0
	v_lshlrev_b32_e32 v19, 16, v19
	s_delay_alu instid0(VALU_DEP_1) | instskip(NEXT) | instid1(VALU_DEP_1)
	v_mul_f32_e32 v8, v8, v19
	v_and_b32_e32 v19, 0x7f800000, v8
	s_delay_alu instid0(VALU_DEP_1)
	v_cmp_ne_u32_e32 vcc_lo, 0x7f800000, v19
                                        ; implicit-def: $vgpr19
	s_and_saveexec_b32 s5, vcc_lo
	s_wait_alu 0xfffe
	s_xor_b32 s5, exec_lo, s5
; %bb.27:                               ;   in Loop: Header=BB570_26 Depth=2
	v_bfe_u32 v19, v8, 16, 1
	s_delay_alu instid0(VALU_DEP_1)
	v_add3_u32 v19, v8, v19, 0x7fff
                                        ; implicit-def: $vgpr8
; %bb.28:                               ;   in Loop: Header=BB570_26 Depth=2
	s_wait_alu 0xfffe
	s_and_not1_saveexec_b32 s5, s5
	s_cbranch_execz .LBB570_25
; %bb.29:                               ;   in Loop: Header=BB570_26 Depth=2
	v_and_b32_e32 v19, 0xffff, v8
	v_or_b32_e32 v20, 0x10000, v8
	s_delay_alu instid0(VALU_DEP_2) | instskip(SKIP_1) | instid1(VALU_DEP_2)
	v_cmp_eq_u32_e32 vcc_lo, 0, v19
	s_wait_alu 0xfffd
	v_cndmask_b32_e32 v19, v20, v8, vcc_lo
	s_branch .LBB570_25
.LBB570_30:                             ;   in Loop: Header=BB570_4 Depth=1
	ds_load_b32 v17, v10
	s_wait_alu 0xfffe
	s_or_b32 exec_lo, exec_lo, s5
	s_and_saveexec_b32 s5, s1
	s_cbranch_execz .LBB570_23
.LBB570_31:                             ;   in Loop: Header=BB570_4 Depth=1
	s_wait_dscnt 0x0
	ds_bpermute_b32 v18, v16, v17
	s_wait_dscnt 0x0
	v_add_f32_e32 v17, v17, v18
	ds_bpermute_b32 v5, v5, v17
	s_wait_dscnt 0x0
	v_add_f32_e32 v5, v17, v5
	;; [unrolled: 3-line block ×5, first 2 shown]
	s_wait_alu 0xfffe
	s_or_b32 exec_lo, exec_lo, s5
                                        ; implicit-def: $vgpr5
	s_and_saveexec_b32 s5, s0
	s_cbranch_execz .LBB570_49
.LBB570_32:                             ;   in Loop: Header=BB570_4 Depth=1
	s_wait_dscnt 0x0
	v_mul_f32_e32 v5, s33, v17
	s_and_b32 vcc_lo, exec_lo, s37
	s_mov_b32 s30, -1
                                        ; implicit-def: $vgpr6
	s_wait_alu 0xfffe
	s_cbranch_vccz .LBB570_38
; %bb.33:                               ;   in Loop: Header=BB570_4 Depth=1
	v_and_b32_e32 v6, 0x7f800000, v5
	s_delay_alu instid0(VALU_DEP_1)
	v_cmp_ne_u32_e32 vcc_lo, 0x7f800000, v6
                                        ; implicit-def: $vgpr6
	s_and_saveexec_b32 s30, vcc_lo
	s_wait_alu 0xfffe
	s_xor_b32 s30, exec_lo, s30
; %bb.34:                               ;   in Loop: Header=BB570_4 Depth=1
	v_bfe_u32 v6, v5, 16, 1
	s_delay_alu instid0(VALU_DEP_1)
	v_add3_u32 v6, v5, v6, 0x7fff
; %bb.35:                               ;   in Loop: Header=BB570_4 Depth=1
	s_wait_alu 0xfffe
	s_and_not1_saveexec_b32 s30, s30
; %bb.36:                               ;   in Loop: Header=BB570_4 Depth=1
	v_and_b32_e32 v6, 0xffff, v5
	v_or_b32_e32 v7, 0x10000, v5
	s_delay_alu instid0(VALU_DEP_2) | instskip(SKIP_1) | instid1(VALU_DEP_2)
	v_cmp_eq_u32_e32 vcc_lo, 0, v6
	s_wait_alu 0xfffd
	v_cndmask_b32_e32 v6, v7, v5, vcc_lo
; %bb.37:                               ;   in Loop: Header=BB570_4 Depth=1
	s_wait_alu 0xfffe
	s_or_b32 exec_lo, exec_lo, s30
	s_mov_b32 s30, 0
.LBB570_38:                             ;   in Loop: Header=BB570_4 Depth=1
	s_wait_alu 0xfffe
	s_and_not1_b32 vcc_lo, exec_lo, s30
	s_wait_alu 0xfffe
	s_cbranch_vccnz .LBB570_48
; %bb.39:                               ;   in Loop: Header=BB570_4 Depth=1
	s_add_nc_u64 s[30:31], s[28:29], s[20:21]
	s_mov_b32 s39, -1
	global_load_u16 v6, v9, s[30:31]
	s_wait_loadcnt 0x0
	v_readfirstlane_b32 s30, v6
	s_wait_alu 0xfffe
	s_lshl_b32 s30, s30, 16
	s_wait_alu 0xfffe
	s_mul_f32 s30, s18, s30
	s_wait_alu 0xfffe
	s_delay_alu instid0(SALU_CYCLE_2)
	s_and_b32 s31, s30, 0x7f800000
	s_wait_alu 0xfffe
	s_cmp_eq_u32 s31, 0x7f800000
                                        ; implicit-def: $sgpr31
	s_cbranch_scc1 .LBB570_41
; %bb.40:                               ;   in Loop: Header=BB570_4 Depth=1
	s_bfe_u32 s31, s30, 0x10010
	s_mov_b32 s39, 0
	s_wait_alu 0xfffe
	s_add_co_i32 s31, s30, s31
	s_wait_alu 0xfffe
	s_addk_co_i32 s31, 0x7fff
.LBB570_41:                             ;   in Loop: Header=BB570_4 Depth=1
	s_and_not1_b32 vcc_lo, exec_lo, s39
	s_wait_alu 0xfffe
	s_cbranch_vccnz .LBB570_43
; %bb.42:                               ;   in Loop: Header=BB570_4 Depth=1
	s_and_b32 s31, s30, 0xffff
	s_or_b32 s39, s30, 0x10000
	s_wait_alu 0xfffe
	s_cmp_eq_u32 s31, 0
	s_cselect_b32 s31, s30, s39
.LBB570_43:                             ;   in Loop: Header=BB570_4 Depth=1
	s_wait_alu 0xfffe
	s_and_b32 s30, s31, 0xffff0000
	s_wait_alu 0xfffe
	v_add_f32_e32 v5, s30, v5
	s_delay_alu instid0(VALU_DEP_1) | instskip(NEXT) | instid1(VALU_DEP_1)
	v_and_b32_e32 v6, 0x7f800000, v5
	v_cmp_ne_u32_e32 vcc_lo, 0x7f800000, v6
                                        ; implicit-def: $vgpr6
	s_and_saveexec_b32 s30, vcc_lo
	s_wait_alu 0xfffe
	s_xor_b32 s30, exec_lo, s30
; %bb.44:                               ;   in Loop: Header=BB570_4 Depth=1
	v_bfe_u32 v6, v5, 16, 1
	s_delay_alu instid0(VALU_DEP_1)
	v_add3_u32 v6, v5, v6, 0x7fff
                                        ; implicit-def: $vgpr5
; %bb.45:                               ;   in Loop: Header=BB570_4 Depth=1
	s_wait_alu 0xfffe
	s_and_not1_saveexec_b32 s30, s30
; %bb.46:                               ;   in Loop: Header=BB570_4 Depth=1
	v_and_b32_e32 v6, 0xffff, v5
	v_or_b32_e32 v7, 0x10000, v5
	s_delay_alu instid0(VALU_DEP_2) | instskip(SKIP_1) | instid1(VALU_DEP_2)
	v_cmp_eq_u32_e32 vcc_lo, 0, v6
	s_wait_alu 0xfffd
	v_cndmask_b32_e32 v6, v7, v5, vcc_lo
; %bb.47:                               ;   in Loop: Header=BB570_4 Depth=1
	s_wait_alu 0xfffe
	s_or_b32 exec_lo, exec_lo, s30
.LBB570_48:                             ;   in Loop: Header=BB570_4 Depth=1
	s_delay_alu instid0(VALU_DEP_1)
	v_lshrrev_b32_e32 v5, 16, v6
	s_or_b32 s13, s13, exec_lo
.LBB570_49:                             ;   in Loop: Header=BB570_4 Depth=1
	s_wait_alu 0xfffe
	s_or_b32 exec_lo, exec_lo, s5
	s_and_saveexec_b32 s5, s13
	s_cbranch_execz .LBB570_2
	s_branch .LBB570_58
.LBB570_50:                             ;   in Loop: Header=BB570_4 Depth=1
	s_or_b32 exec_lo, exec_lo, s40
	s_delay_alu instid0(SALU_CYCLE_1)
	s_or_b32 exec_lo, exec_lo, s39
	s_and_saveexec_b32 s5, s4
	s_cbranch_execz .LBB570_17
.LBB570_51:                             ;   in Loop: Header=BB570_4 Depth=1
	s_mul_u64 s[40:41], s[8:9], s[24:25]
	s_wait_alu 0xfffe
	s_lshl_b64 s[40:41], s[40:41], 1
	s_wait_alu 0xfffe
	v_add_co_u32 v5, vcc_lo, v13, s40
	s_wait_alu 0xfffd
	v_add_co_ci_u32_e64 v6, null, s41, v14, vcc_lo
	s_delay_alu instid0(VALU_DEP_2) | instskip(SKIP_1) | instid1(VALU_DEP_2)
	v_add_co_u32 v5, vcc_lo, v5, s22
	s_wait_alu 0xfffd
	v_add_co_ci_u32_e64 v6, null, s23, v6, vcc_lo
	v_add_co_u32 v7, vcc_lo, s30, v3
	s_wait_alu 0xfffd
	v_add_co_ci_u32_e64 v8, null, s31, v4, vcc_lo
	global_load_u16 v5, v[5:6], off
	global_load_u16 v6, v[7:8], off
	s_wait_loadcnt 0x1
	v_lshlrev_b32_e32 v5, 16, v5
	s_wait_loadcnt 0x0
	v_lshlrev_b32_e32 v6, 16, v6
	s_delay_alu instid0(VALU_DEP_1) | instskip(NEXT) | instid1(VALU_DEP_1)
	v_mul_f32_e32 v5, v5, v6
	v_and_b32_e32 v6, 0x7f800000, v5
	s_delay_alu instid0(VALU_DEP_1)
	v_cmp_ne_u32_e32 vcc_lo, 0x7f800000, v6
                                        ; implicit-def: $vgpr6
	s_and_saveexec_b32 s30, vcc_lo
	s_wait_alu 0xfffe
	s_xor_b32 s30, exec_lo, s30
; %bb.52:                               ;   in Loop: Header=BB570_4 Depth=1
	v_bfe_u32 v6, v5, 16, 1
	s_delay_alu instid0(VALU_DEP_1)
	v_add3_u32 v6, v5, v6, 0x7fff
                                        ; implicit-def: $vgpr5
; %bb.53:                               ;   in Loop: Header=BB570_4 Depth=1
	s_wait_alu 0xfffe
	s_and_not1_saveexec_b32 s30, s30
; %bb.54:                               ;   in Loop: Header=BB570_4 Depth=1
	v_and_b32_e32 v6, 0xffff, v5
	v_or_b32_e32 v7, 0x10000, v5
	s_delay_alu instid0(VALU_DEP_2) | instskip(SKIP_1) | instid1(VALU_DEP_2)
	v_cmp_eq_u32_e32 vcc_lo, 0, v6
	s_wait_alu 0xfffd
	v_cndmask_b32_e32 v6, v7, v5, vcc_lo
; %bb.55:                               ;   in Loop: Header=BB570_4 Depth=1
	s_wait_alu 0xfffe
	s_or_b32 exec_lo, exec_lo, s30
	s_delay_alu instid0(VALU_DEP_1) | instskip(NEXT) | instid1(VALU_DEP_1)
	v_and_b32_e32 v5, 0xffff0000, v6
	v_add_f32_e32 v17, v17, v5
	s_or_b32 exec_lo, exec_lo, s5
	s_and_saveexec_b32 s5, s1
	s_cbranch_execnz .LBB570_18
	s_branch .LBB570_19
.LBB570_56:                             ;   in Loop: Header=BB570_4 Depth=1
	s_mov_b32 s31, 0
	s_mov_b32 s13, exec_lo
	s_or_b32 exec_lo, exec_lo, s30
	s_delay_alu instid0(SALU_CYCLE_1)
	s_and_b32 vcc_lo, exec_lo, s5
	s_wait_alu 0xfffe
	s_cbranch_vccnz .LBB570_15
.LBB570_57:                             ;   in Loop: Header=BB570_4 Depth=1
	v_mov_b32_e32 v5, s31
	s_wait_alu 0xfffe
	s_and_saveexec_b32 s5, s13
	s_cbranch_execz .LBB570_2
.LBB570_58:                             ;   in Loop: Header=BB570_4 Depth=1
	s_add_nc_u64 s[28:29], s[28:29], s[20:21]
	global_store_b16 v9, v5, s[28:29]
	s_branch .LBB570_2
.LBB570_59:
	s_endpgm
	.section	.rodata,"a",@progbits
	.p2align	6, 0x0
	.amdhsa_kernel _ZL32rocblas_gemvt_warp_reduce_kernelILb0ELi1024Ei16rocblas_bfloat16fS0_EviiT3_lPKT2_lT1_lS4_lS5_lS1_lPT4_lS5_li
		.amdhsa_group_segment_fixed_size 128
		.amdhsa_private_segment_fixed_size 0
		.amdhsa_kernarg_size 140
		.amdhsa_user_sgpr_count 2
		.amdhsa_user_sgpr_dispatch_ptr 0
		.amdhsa_user_sgpr_queue_ptr 0
		.amdhsa_user_sgpr_kernarg_segment_ptr 1
		.amdhsa_user_sgpr_dispatch_id 0
		.amdhsa_user_sgpr_private_segment_size 0
		.amdhsa_wavefront_size32 1
		.amdhsa_uses_dynamic_stack 0
		.amdhsa_enable_private_segment 0
		.amdhsa_system_sgpr_workgroup_id_x 1
		.amdhsa_system_sgpr_workgroup_id_y 0
		.amdhsa_system_sgpr_workgroup_id_z 1
		.amdhsa_system_sgpr_workgroup_info 0
		.amdhsa_system_vgpr_workitem_id 0
		.amdhsa_next_free_vgpr 21
		.amdhsa_next_free_sgpr 42
		.amdhsa_reserve_vcc 1
		.amdhsa_float_round_mode_32 0
		.amdhsa_float_round_mode_16_64 0
		.amdhsa_float_denorm_mode_32 3
		.amdhsa_float_denorm_mode_16_64 3
		.amdhsa_fp16_overflow 0
		.amdhsa_workgroup_processor_mode 1
		.amdhsa_memory_ordered 1
		.amdhsa_forward_progress 1
		.amdhsa_inst_pref_size 19
		.amdhsa_round_robin_scheduling 0
		.amdhsa_exception_fp_ieee_invalid_op 0
		.amdhsa_exception_fp_denorm_src 0
		.amdhsa_exception_fp_ieee_div_zero 0
		.amdhsa_exception_fp_ieee_overflow 0
		.amdhsa_exception_fp_ieee_underflow 0
		.amdhsa_exception_fp_ieee_inexact 0
		.amdhsa_exception_int_div_zero 0
	.end_amdhsa_kernel
	.section	.text._ZL32rocblas_gemvt_warp_reduce_kernelILb0ELi1024Ei16rocblas_bfloat16fS0_EviiT3_lPKT2_lT1_lS4_lS5_lS1_lPT4_lS5_li,"axG",@progbits,_ZL32rocblas_gemvt_warp_reduce_kernelILb0ELi1024Ei16rocblas_bfloat16fS0_EviiT3_lPKT2_lT1_lS4_lS5_lS1_lPT4_lS5_li,comdat
.Lfunc_end570:
	.size	_ZL32rocblas_gemvt_warp_reduce_kernelILb0ELi1024Ei16rocblas_bfloat16fS0_EviiT3_lPKT2_lT1_lS4_lS5_lS1_lPT4_lS5_li, .Lfunc_end570-_ZL32rocblas_gemvt_warp_reduce_kernelILb0ELi1024Ei16rocblas_bfloat16fS0_EviiT3_lPKT2_lT1_lS4_lS5_lS1_lPT4_lS5_li
                                        ; -- End function
	.set _ZL32rocblas_gemvt_warp_reduce_kernelILb0ELi1024Ei16rocblas_bfloat16fS0_EviiT3_lPKT2_lT1_lS4_lS5_lS1_lPT4_lS5_li.num_vgpr, 21
	.set _ZL32rocblas_gemvt_warp_reduce_kernelILb0ELi1024Ei16rocblas_bfloat16fS0_EviiT3_lPKT2_lT1_lS4_lS5_lS1_lPT4_lS5_li.num_agpr, 0
	.set _ZL32rocblas_gemvt_warp_reduce_kernelILb0ELi1024Ei16rocblas_bfloat16fS0_EviiT3_lPKT2_lT1_lS4_lS5_lS1_lPT4_lS5_li.numbered_sgpr, 42
	.set _ZL32rocblas_gemvt_warp_reduce_kernelILb0ELi1024Ei16rocblas_bfloat16fS0_EviiT3_lPKT2_lT1_lS4_lS5_lS1_lPT4_lS5_li.num_named_barrier, 0
	.set _ZL32rocblas_gemvt_warp_reduce_kernelILb0ELi1024Ei16rocblas_bfloat16fS0_EviiT3_lPKT2_lT1_lS4_lS5_lS1_lPT4_lS5_li.private_seg_size, 0
	.set _ZL32rocblas_gemvt_warp_reduce_kernelILb0ELi1024Ei16rocblas_bfloat16fS0_EviiT3_lPKT2_lT1_lS4_lS5_lS1_lPT4_lS5_li.uses_vcc, 1
	.set _ZL32rocblas_gemvt_warp_reduce_kernelILb0ELi1024Ei16rocblas_bfloat16fS0_EviiT3_lPKT2_lT1_lS4_lS5_lS1_lPT4_lS5_li.uses_flat_scratch, 0
	.set _ZL32rocblas_gemvt_warp_reduce_kernelILb0ELi1024Ei16rocblas_bfloat16fS0_EviiT3_lPKT2_lT1_lS4_lS5_lS1_lPT4_lS5_li.has_dyn_sized_stack, 0
	.set _ZL32rocblas_gemvt_warp_reduce_kernelILb0ELi1024Ei16rocblas_bfloat16fS0_EviiT3_lPKT2_lT1_lS4_lS5_lS1_lPT4_lS5_li.has_recursion, 0
	.set _ZL32rocblas_gemvt_warp_reduce_kernelILb0ELi1024Ei16rocblas_bfloat16fS0_EviiT3_lPKT2_lT1_lS4_lS5_lS1_lPT4_lS5_li.has_indirect_call, 0
	.section	.AMDGPU.csdata,"",@progbits
; Kernel info:
; codeLenInByte = 2368
; TotalNumSgprs: 44
; NumVgprs: 21
; ScratchSize: 0
; MemoryBound: 0
; FloatMode: 240
; IeeeMode: 1
; LDSByteSize: 128 bytes/workgroup (compile time only)
; SGPRBlocks: 0
; VGPRBlocks: 2
; NumSGPRsForWavesPerEU: 44
; NumVGPRsForWavesPerEU: 21
; Occupancy: 16
; WaveLimiterHint : 0
; COMPUTE_PGM_RSRC2:SCRATCH_EN: 0
; COMPUTE_PGM_RSRC2:USER_SGPR: 2
; COMPUTE_PGM_RSRC2:TRAP_HANDLER: 0
; COMPUTE_PGM_RSRC2:TGID_X_EN: 1
; COMPUTE_PGM_RSRC2:TGID_Y_EN: 0
; COMPUTE_PGM_RSRC2:TGID_Z_EN: 1
; COMPUTE_PGM_RSRC2:TIDIG_COMP_CNT: 0
	.section	.text._ZL32rocblas_gemvt_warp_reduce_kernelILb0ELi1024El16rocblas_bfloat16fS0_EviiT3_lPKT2_lT1_lS4_lS5_lS1_lPT4_lS5_li,"axG",@progbits,_ZL32rocblas_gemvt_warp_reduce_kernelILb0ELi1024El16rocblas_bfloat16fS0_EviiT3_lPKT2_lT1_lS4_lS5_lS1_lPT4_lS5_li,comdat
	.globl	_ZL32rocblas_gemvt_warp_reduce_kernelILb0ELi1024El16rocblas_bfloat16fS0_EviiT3_lPKT2_lT1_lS4_lS5_lS1_lPT4_lS5_li ; -- Begin function _ZL32rocblas_gemvt_warp_reduce_kernelILb0ELi1024El16rocblas_bfloat16fS0_EviiT3_lPKT2_lT1_lS4_lS5_lS1_lPT4_lS5_li
	.p2align	8
	.type	_ZL32rocblas_gemvt_warp_reduce_kernelILb0ELi1024El16rocblas_bfloat16fS0_EviiT3_lPKT2_lT1_lS4_lS5_lS1_lPT4_lS5_li,@function
_ZL32rocblas_gemvt_warp_reduce_kernelILb0ELi1024El16rocblas_bfloat16fS0_EviiT3_lPKT2_lT1_lS4_lS5_lS1_lPT4_lS5_li: ; @_ZL32rocblas_gemvt_warp_reduce_kernelILb0ELi1024El16rocblas_bfloat16fS0_EviiT3_lPKT2_lT1_lS4_lS5_lS1_lPT4_lS5_li
; %bb.0:
	s_load_b32 s33, s[0:1], 0x88
	s_lshr_b32 s6, ttmp7, 16
	s_wait_kmcnt 0x0
	s_cmp_ge_u32 s6, s33
	s_cbranch_scc1 .LBB571_59
; %bb.1:
	s_clause 0x4
	s_load_b512 s[8:23], s[0:1], 0x18
	s_load_b256 s[24:31], s[0:1], 0x68
	s_load_b32 s34, s[0:1], 0x8
	s_load_b32 s35, s[0:1], 0x58
	;; [unrolled: 1-line block ×3, first 2 shown]
	v_and_b32_e32 v1, 31, v0
	v_mov_b32_e32 v11, 0
	s_mov_b32 s4, ttmp9
	v_lshrrev_b32_e32 v4, 3, v0
	v_mbcnt_lo_u32_b32 v16, -1, 0
	v_lshlrev_b32_e32 v12, 2, v1
	v_cmp_eq_u32_e64 s2, 0, v1
	v_cmp_eq_u32_e64 s0, 0, v0
	v_and_b32_e32 v15, 0x7c, v4
	v_cmp_gt_u32_e64 s1, 32, v0
	v_lshl_or_b32 v17, v16, 2, 64
	s_mov_b32 s7, 0
	s_wait_kmcnt 0x0
	s_lshl_b64 s[18:19], s[18:19], 1
	s_lshl_b64 s[26:27], s[26:27], 1
	;; [unrolled: 1-line block ×3, first 2 shown]
	s_cmp_eq_f32 s34, 0
	v_cmp_gt_i32_e32 vcc_lo, s42, v0
	v_mad_co_u64_u32 v[1:2], null, s20, v0, 0
	s_cselect_b32 s36, -1, 0
	s_cmp_neq_f32 s34, 0
	v_cndmask_b32_e32 v3, 0, v0, vcc_lo
	s_add_nc_u64 s[10:11], s[16:17], s[18:19]
	s_add_nc_u64 s[18:19], s[8:9], s[40:41]
	s_cselect_b32 s3, -1, 0
	s_cmp_neq_f32 s35, 1.0
	v_lshlrev_b32_e32 v7, 1, v3
	v_mad_co_u64_u32 v[2:3], null, s21, v0, v[2:3]
	s_cselect_b32 s5, -1, 0
	s_add_nc_u64 s[16:17], s[24:25], s[26:27]
	s_or_b32 s37, s3, s5
	s_cmp_neq_f32 s35, 0
	v_add_co_u32 v3, s5, s18, v7
	s_delay_alu instid0(VALU_DEP_1)
	v_add_co_ci_u32_e64 v8, null, s19, 0, s5
	s_cselect_b32 s38, -1, 0
	s_cmp_eq_f32 s35, 0
	s_cselect_b32 s39, -1, 0
	s_ashr_i32 s3, s42, 31
	s_ashr_i32 s5, ttmp9, 31
	s_lshr_b32 s3, s3, 22
	s_wait_alu 0xfffe
	s_mul_u64 s[12:13], s[12:13], s[4:5]
	s_add_co_i32 s3, s42, s3
	s_mul_u64 s[24:25], s[28:29], s[4:5]
	s_and_b32 s18, s3, 0xfffffc00
	s_lshl_b64 s[4:5], s[12:13], 1
	s_wait_alu 0xfffe
	v_or_b32_e32 v9, s18, v0
	v_add_co_u32 v13, vcc_lo, v3, s4
	s_ashr_i32 s19, s18, 31
	s_wait_alu 0xfffd
	v_add_co_ci_u32_e64 v14, null, s5, v8, vcc_lo
	v_mul_lo_u32 v10, s21, v9
	v_mad_co_u64_u32 v[5:6], null, s20, v9, 0
	s_add_nc_u64 s[12:13], s[4:5], s[40:41]
	s_wait_alu 0xfffe
	s_mul_i32 s5, s20, s19
	v_lshlrev_b64_e32 v[3:4], 1, v[1:2]
	s_add_nc_u64 s[8:9], s[8:9], s[12:13]
	v_cmp_gt_i32_e64 s3, s18, v0
	v_cmp_gt_i32_e64 s4, s42, v9
	s_wait_alu 0xfffe
	v_add3_u32 v6, v6, s5, v10
	v_add_co_u32 v1, s5, s8, v7
	v_add_co_u32 v3, vcc_lo, s10, v3
	s_delay_alu instid0(VALU_DEP_3)
	v_lshlrev_b64_e32 v[5:6], 1, v[5:6]
	s_wait_alu 0xf1ff
	v_add_co_ci_u32_e64 v2, null, s9, 0, s5
	s_wait_alu 0xfffd
	v_add_co_ci_u32_e64 v4, null, s11, v4, vcc_lo
	s_lshl_b64 s[8:9], s[14:15], 1
	s_lshl_b64 s[12:13], s[22:23], 1
	;; [unrolled: 1-line block ×5, first 2 shown]
	s_branch .LBB571_4
.LBB571_2:                              ;   in Loop: Header=BB571_4 Depth=1
	s_wait_alu 0xfffe
	s_or_b32 exec_lo, exec_lo, s5
.LBB571_3:                              ;   in Loop: Header=BB571_4 Depth=1
	s_add_co_i32 s6, s6, 0x10000
	s_wait_alu 0xfffe
	s_cmp_lt_u32 s6, s33
	s_cbranch_scc0 .LBB571_59
.LBB571_4:                              ; =>This Loop Header: Depth=1
                                        ;     Child Loop BB571_26 Depth 2
	s_and_not1_b32 vcc_lo, exec_lo, s37
	s_wait_alu 0xfffe
	s_cbranch_vccnz .LBB571_3
; %bb.5:                                ;   in Loop: Header=BB571_4 Depth=1
	s_mul_u64 s[28:29], s[30:31], s[6:7]
	s_and_not1_b32 vcc_lo, exec_lo, s36
	s_lshl_b64 s[28:29], s[28:29], 1
	s_delay_alu instid0(SALU_CYCLE_1)
	s_add_nc_u64 s[28:29], s[16:17], s[28:29]
	s_wait_alu 0xfffe
	s_cbranch_vccnz .LBB571_13
; %bb.6:                                ;   in Loop: Header=BB571_4 Depth=1
	s_mov_b32 s5, 0
	s_mov_b32 s19, 0
                                        ; implicit-def: $sgpr41
	s_and_saveexec_b32 s40, s0
	s_cbranch_execz .LBB571_14
; %bb.7:                                ;   in Loop: Header=BB571_4 Depth=1
	s_and_not1_b32 vcc_lo, exec_lo, s38
	s_wait_alu 0xfffe
	s_cbranch_vccnz .LBB571_56
; %bb.8:                                ;   in Loop: Header=BB571_4 Depth=1
	s_add_nc_u64 s[42:43], s[28:29], s[24:25]
	global_load_u16 v7, v11, s[42:43]
	s_mov_b32 s42, -1
	s_wait_loadcnt 0x0
	v_readfirstlane_b32 s19, v7
	s_lshl_b32 s19, s19, 16
	s_wait_alu 0xfffe
	s_mul_f32 s19, s35, s19
	s_wait_alu 0xfffe
	s_delay_alu instid0(SALU_CYCLE_2)
	s_and_b32 s41, s19, 0x7f800000
	s_wait_alu 0xfffe
	s_cmp_eq_u32 s41, 0x7f800000
                                        ; implicit-def: $sgpr41
	s_cbranch_scc1 .LBB571_10
; %bb.9:                                ;   in Loop: Header=BB571_4 Depth=1
	s_bfe_u32 s41, s19, 0x10010
	s_mov_b32 s42, 0
	s_wait_alu 0xfffe
	s_add_co_i32 s41, s19, s41
	s_wait_alu 0xfffe
	s_addk_co_i32 s41, 0x7fff
.LBB571_10:                             ;   in Loop: Header=BB571_4 Depth=1
	s_wait_alu 0xfffe
	s_and_not1_b32 vcc_lo, exec_lo, s42
	s_wait_alu 0xfffe
	s_cbranch_vccnz .LBB571_12
; %bb.11:                               ;   in Loop: Header=BB571_4 Depth=1
	s_and_b32 s41, s19, 0xffff
	s_or_b32 s42, s19, 0x10000
	s_wait_alu 0xfffe
	s_cmp_eq_u32 s41, 0
	s_cselect_b32 s41, s19, s42
.LBB571_12:                             ;   in Loop: Header=BB571_4 Depth=1
	s_wait_alu 0xfffe
	s_lshr_b32 s41, s41, 16
	s_mov_b32 s19, exec_lo
	s_or_b32 exec_lo, exec_lo, s40
	s_delay_alu instid0(SALU_CYCLE_1)
	s_and_b32 vcc_lo, exec_lo, s5
	s_wait_alu 0xfffe
	s_cbranch_vccnz .LBB571_15
	s_branch .LBB571_57
.LBB571_13:                             ;   in Loop: Header=BB571_4 Depth=1
	s_mov_b32 s19, 0
                                        ; implicit-def: $sgpr41
	s_cbranch_execnz .LBB571_15
	s_branch .LBB571_57
.LBB571_14:                             ;   in Loop: Header=BB571_4 Depth=1
	s_wait_alu 0xfffe
	s_or_b32 exec_lo, exec_lo, s40
	s_delay_alu instid0(SALU_CYCLE_1)
	s_and_b32 vcc_lo, exec_lo, s5
	s_wait_alu 0xfffe
	s_cbranch_vccz .LBB571_57
.LBB571_15:                             ;   in Loop: Header=BB571_4 Depth=1
	s_wait_dscnt 0x0
	v_mov_b32_e32 v18, 0
	s_and_saveexec_b32 s40, s3
	s_cbranch_execnz .LBB571_24
; %bb.16:                               ;   in Loop: Header=BB571_4 Depth=1
	s_wait_alu 0xfffe
	s_or_b32 exec_lo, exec_lo, s40
	s_and_saveexec_b32 s5, s4
	s_cbranch_execnz .LBB571_51
.LBB571_17:                             ;   in Loop: Header=BB571_4 Depth=1
	s_wait_alu 0xfffe
	s_or_b32 exec_lo, exec_lo, s5
	s_and_saveexec_b32 s5, s1
.LBB571_18:                             ;   in Loop: Header=BB571_4 Depth=1
	ds_store_b32 v12, v11
.LBB571_19:                             ;   in Loop: Header=BB571_4 Depth=1
	s_wait_alu 0xfffe
	s_or_b32 exec_lo, exec_lo, s5
	ds_bpermute_b32 v8, v17, v18
	v_cmp_gt_u32_e32 vcc_lo, 24, v16
	s_wait_dscnt 0x0
	s_barrier_signal -1
	s_barrier_wait -1
	global_inv scope:SCOPE_SE
	s_wait_alu 0xfffd
	v_cndmask_b32_e64 v7, 0, 8, vcc_lo
	v_cmp_gt_u32_e32 vcc_lo, 28, v16
	s_delay_alu instid0(VALU_DEP_2)
	v_add_lshl_u32 v7, v7, v16, 2
	v_add_f32_e32 v9, v18, v8
	s_wait_alu 0xfffd
	v_cndmask_b32_e64 v8, 0, 4, vcc_lo
	v_cmp_gt_u32_e32 vcc_lo, 30, v16
	ds_bpermute_b32 v10, v7, v9
	v_add_lshl_u32 v8, v8, v16, 2
	s_wait_dscnt 0x0
	v_add_f32_e32 v10, v9, v10
	s_wait_alu 0xfffd
	v_cndmask_b32_e64 v9, 0, 2, vcc_lo
	v_cmp_ne_u32_e32 vcc_lo, 31, v16
	ds_bpermute_b32 v18, v8, v10
	v_add_lshl_u32 v9, v9, v16, 2
	s_wait_alu 0xfffd
	v_add_co_ci_u32_e64 v19, null, 0, v16, vcc_lo
	s_wait_dscnt 0x0
	v_add_f32_e32 v10, v10, v18
	ds_bpermute_b32 v18, v9, v10
	s_wait_dscnt 0x0
	v_add_f32_e32 v18, v10, v18
	v_lshlrev_b32_e32 v10, 2, v19
	ds_bpermute_b32 v19, v10, v18
	s_and_saveexec_b32 s5, s2
	s_cbranch_execz .LBB571_21
; %bb.20:                               ;   in Loop: Header=BB571_4 Depth=1
	s_wait_dscnt 0x0
	v_add_f32_e32 v18, v18, v19
	ds_store_b32 v15, v18
.LBB571_21:                             ;   in Loop: Header=BB571_4 Depth=1
	s_wait_alu 0xfffe
	s_or_b32 exec_lo, exec_lo, s5
	v_mov_b32_e32 v18, 0
	s_wait_loadcnt_dscnt 0x0
	s_barrier_signal -1
	s_barrier_wait -1
	global_inv scope:SCOPE_SE
	s_and_saveexec_b32 s5, s1
	s_cbranch_execnz .LBB571_30
; %bb.22:                               ;   in Loop: Header=BB571_4 Depth=1
	s_wait_alu 0xfffe
	s_or_b32 exec_lo, exec_lo, s5
	s_and_saveexec_b32 s5, s1
	s_cbranch_execnz .LBB571_31
.LBB571_23:                             ;   in Loop: Header=BB571_4 Depth=1
	s_wait_alu 0xfffe
	s_or_b32 exec_lo, exec_lo, s5
                                        ; implicit-def: $vgpr7
	s_and_saveexec_b32 s5, s0
	s_cbranch_execnz .LBB571_32
	s_branch .LBB571_49
.LBB571_24:                             ;   in Loop: Header=BB571_4 Depth=1
	v_mad_co_u64_u32 v[7:8], null, s8, s6, v[1:2]
	v_mad_co_u64_u32 v[9:10], null, s12, s6, v[3:4]
	v_mov_b32_e32 v18, 0
	s_mov_b32 s41, 0
	s_delay_alu instid0(VALU_DEP_2) | instskip(NEXT) | instid1(VALU_DEP_3)
	v_mad_co_u64_u32 v[19:20], null, s9, s6, v[8:9]
	v_mad_co_u64_u32 v[20:21], null, s13, s6, v[10:11]
	s_delay_alu instid0(VALU_DEP_2) | instskip(NEXT) | instid1(VALU_DEP_2)
	v_dual_mov_b32 v8, v19 :: v_dual_mov_b32 v19, v0
	v_mov_b32_e32 v10, v20
	s_branch .LBB571_26
.LBB571_25:                             ;   in Loop: Header=BB571_26 Depth=2
	s_wait_alu 0xfffe
	s_or_b32 exec_lo, exec_lo, s5
	s_delay_alu instid0(VALU_DEP_1)
	v_and_b32_e32 v20, 0xffff0000, v21
	v_add_nc_u32_e32 v19, 0x400, v19
	v_add_co_u32 v7, vcc_lo, 0x800, v7
	s_wait_alu 0xfffd
	v_add_co_ci_u32_e64 v8, null, 0, v8, vcc_lo
	v_add_f32_e32 v18, v18, v20
	v_cmp_le_i32_e32 vcc_lo, s18, v19
	v_add_co_u32 v9, s5, v9, s20
	s_wait_alu 0xf1ff
	v_add_co_ci_u32_e64 v10, null, s21, v10, s5
	s_or_b32 s41, vcc_lo, s41
	s_wait_alu 0xfffe
	s_and_not1_b32 exec_lo, exec_lo, s41
	s_cbranch_execz .LBB571_50
.LBB571_26:                             ;   Parent Loop BB571_4 Depth=1
                                        ; =>  This Inner Loop Header: Depth=2
	global_load_u16 v20, v[9:10], off
	global_load_u16 v21, v[7:8], off
	s_wait_loadcnt 0x1
	v_lshlrev_b32_e32 v20, 16, v20
	s_wait_loadcnt 0x0
	v_lshlrev_b32_e32 v21, 16, v21
	s_delay_alu instid0(VALU_DEP_1) | instskip(NEXT) | instid1(VALU_DEP_1)
	v_mul_f32_e32 v20, v21, v20
	v_and_b32_e32 v21, 0x7f800000, v20
	s_delay_alu instid0(VALU_DEP_1)
	v_cmp_ne_u32_e32 vcc_lo, 0x7f800000, v21
                                        ; implicit-def: $vgpr21
	s_and_saveexec_b32 s5, vcc_lo
	s_wait_alu 0xfffe
	s_xor_b32 s5, exec_lo, s5
; %bb.27:                               ;   in Loop: Header=BB571_26 Depth=2
	v_bfe_u32 v21, v20, 16, 1
	s_delay_alu instid0(VALU_DEP_1)
	v_add3_u32 v21, v20, v21, 0x7fff
                                        ; implicit-def: $vgpr20
; %bb.28:                               ;   in Loop: Header=BB571_26 Depth=2
	s_wait_alu 0xfffe
	s_and_not1_saveexec_b32 s5, s5
	s_cbranch_execz .LBB571_25
; %bb.29:                               ;   in Loop: Header=BB571_26 Depth=2
	v_and_b32_e32 v21, 0xffff, v20
	v_or_b32_e32 v22, 0x10000, v20
	s_delay_alu instid0(VALU_DEP_2) | instskip(SKIP_1) | instid1(VALU_DEP_2)
	v_cmp_eq_u32_e32 vcc_lo, 0, v21
	s_wait_alu 0xfffd
	v_cndmask_b32_e32 v21, v22, v20, vcc_lo
	s_branch .LBB571_25
.LBB571_30:                             ;   in Loop: Header=BB571_4 Depth=1
	ds_load_b32 v18, v12
	s_wait_alu 0xfffe
	s_or_b32 exec_lo, exec_lo, s5
	s_and_saveexec_b32 s5, s1
	s_cbranch_execz .LBB571_23
.LBB571_31:                             ;   in Loop: Header=BB571_4 Depth=1
	s_wait_dscnt 0x0
	ds_bpermute_b32 v19, v17, v18
	s_wait_dscnt 0x0
	v_add_f32_e32 v18, v18, v19
	ds_bpermute_b32 v7, v7, v18
	s_wait_dscnt 0x0
	v_add_f32_e32 v7, v18, v7
	;; [unrolled: 3-line block ×5, first 2 shown]
	s_wait_alu 0xfffe
	s_or_b32 exec_lo, exec_lo, s5
                                        ; implicit-def: $vgpr7
	s_and_saveexec_b32 s5, s0
	s_cbranch_execz .LBB571_49
.LBB571_32:                             ;   in Loop: Header=BB571_4 Depth=1
	s_wait_dscnt 0x0
	v_mul_f32_e32 v7, s34, v18
	s_and_b32 vcc_lo, exec_lo, s39
	s_mov_b32 s40, -1
                                        ; implicit-def: $vgpr8
	s_wait_alu 0xfffe
	s_cbranch_vccz .LBB571_38
; %bb.33:                               ;   in Loop: Header=BB571_4 Depth=1
	v_and_b32_e32 v8, 0x7f800000, v7
	s_delay_alu instid0(VALU_DEP_1)
	v_cmp_ne_u32_e32 vcc_lo, 0x7f800000, v8
                                        ; implicit-def: $vgpr8
	s_and_saveexec_b32 s40, vcc_lo
	s_wait_alu 0xfffe
	s_xor_b32 s40, exec_lo, s40
; %bb.34:                               ;   in Loop: Header=BB571_4 Depth=1
	v_bfe_u32 v8, v7, 16, 1
	s_delay_alu instid0(VALU_DEP_1)
	v_add3_u32 v8, v7, v8, 0x7fff
; %bb.35:                               ;   in Loop: Header=BB571_4 Depth=1
	s_wait_alu 0xfffe
	s_and_not1_saveexec_b32 s40, s40
; %bb.36:                               ;   in Loop: Header=BB571_4 Depth=1
	v_and_b32_e32 v8, 0xffff, v7
	v_or_b32_e32 v9, 0x10000, v7
	s_delay_alu instid0(VALU_DEP_2) | instskip(SKIP_1) | instid1(VALU_DEP_2)
	v_cmp_eq_u32_e32 vcc_lo, 0, v8
	s_wait_alu 0xfffd
	v_cndmask_b32_e32 v8, v9, v7, vcc_lo
; %bb.37:                               ;   in Loop: Header=BB571_4 Depth=1
	s_wait_alu 0xfffe
	s_or_b32 exec_lo, exec_lo, s40
	s_mov_b32 s40, 0
.LBB571_38:                             ;   in Loop: Header=BB571_4 Depth=1
	s_wait_alu 0xfffe
	s_and_not1_b32 vcc_lo, exec_lo, s40
	s_wait_alu 0xfffe
	s_cbranch_vccnz .LBB571_48
; %bb.39:                               ;   in Loop: Header=BB571_4 Depth=1
	s_add_nc_u64 s[40:41], s[28:29], s[24:25]
	s_mov_b32 s42, -1
	global_load_u16 v8, v11, s[40:41]
	s_wait_loadcnt 0x0
	v_readfirstlane_b32 s40, v8
	s_wait_alu 0xfffe
	s_lshl_b32 s40, s40, 16
	s_wait_alu 0xfffe
	s_mul_f32 s40, s35, s40
	s_wait_alu 0xfffe
	s_delay_alu instid0(SALU_CYCLE_2)
	s_and_b32 s41, s40, 0x7f800000
	s_wait_alu 0xfffe
	s_cmp_eq_u32 s41, 0x7f800000
                                        ; implicit-def: $sgpr41
	s_cbranch_scc1 .LBB571_41
; %bb.40:                               ;   in Loop: Header=BB571_4 Depth=1
	s_bfe_u32 s41, s40, 0x10010
	s_mov_b32 s42, 0
	s_wait_alu 0xfffe
	s_add_co_i32 s41, s40, s41
	s_wait_alu 0xfffe
	s_addk_co_i32 s41, 0x7fff
.LBB571_41:                             ;   in Loop: Header=BB571_4 Depth=1
	s_wait_alu 0xfffe
	s_and_not1_b32 vcc_lo, exec_lo, s42
	s_wait_alu 0xfffe
	s_cbranch_vccnz .LBB571_43
; %bb.42:                               ;   in Loop: Header=BB571_4 Depth=1
	s_and_b32 s41, s40, 0xffff
	s_or_b32 s42, s40, 0x10000
	s_wait_alu 0xfffe
	s_cmp_eq_u32 s41, 0
	s_cselect_b32 s41, s40, s42
.LBB571_43:                             ;   in Loop: Header=BB571_4 Depth=1
	s_wait_alu 0xfffe
	s_and_b32 s40, s41, 0xffff0000
	s_wait_alu 0xfffe
	v_add_f32_e32 v7, s40, v7
	s_delay_alu instid0(VALU_DEP_1) | instskip(NEXT) | instid1(VALU_DEP_1)
	v_and_b32_e32 v8, 0x7f800000, v7
	v_cmp_ne_u32_e32 vcc_lo, 0x7f800000, v8
                                        ; implicit-def: $vgpr8
	s_and_saveexec_b32 s40, vcc_lo
	s_wait_alu 0xfffe
	s_xor_b32 s40, exec_lo, s40
; %bb.44:                               ;   in Loop: Header=BB571_4 Depth=1
	v_bfe_u32 v8, v7, 16, 1
	s_delay_alu instid0(VALU_DEP_1)
	v_add3_u32 v8, v7, v8, 0x7fff
                                        ; implicit-def: $vgpr7
; %bb.45:                               ;   in Loop: Header=BB571_4 Depth=1
	s_wait_alu 0xfffe
	s_and_not1_saveexec_b32 s40, s40
; %bb.46:                               ;   in Loop: Header=BB571_4 Depth=1
	v_and_b32_e32 v8, 0xffff, v7
	v_or_b32_e32 v9, 0x10000, v7
	s_delay_alu instid0(VALU_DEP_2) | instskip(SKIP_1) | instid1(VALU_DEP_2)
	v_cmp_eq_u32_e32 vcc_lo, 0, v8
	s_wait_alu 0xfffd
	v_cndmask_b32_e32 v8, v9, v7, vcc_lo
; %bb.47:                               ;   in Loop: Header=BB571_4 Depth=1
	s_wait_alu 0xfffe
	s_or_b32 exec_lo, exec_lo, s40
.LBB571_48:                             ;   in Loop: Header=BB571_4 Depth=1
	s_delay_alu instid0(VALU_DEP_1)
	v_lshrrev_b32_e32 v7, 16, v8
	s_or_b32 s19, s19, exec_lo
.LBB571_49:                             ;   in Loop: Header=BB571_4 Depth=1
	s_wait_alu 0xfffe
	s_or_b32 exec_lo, exec_lo, s5
	s_and_saveexec_b32 s5, s19
	s_cbranch_execz .LBB571_2
	s_branch .LBB571_58
.LBB571_50:                             ;   in Loop: Header=BB571_4 Depth=1
	s_or_b32 exec_lo, exec_lo, s41
	s_delay_alu instid0(SALU_CYCLE_1)
	s_or_b32 exec_lo, exec_lo, s40
	s_and_saveexec_b32 s5, s4
	s_cbranch_execz .LBB571_17
.LBB571_51:                             ;   in Loop: Header=BB571_4 Depth=1
	s_mul_u64 s[40:41], s[14:15], s[6:7]
	s_mul_u64 s[42:43], s[22:23], s[6:7]
	s_wait_alu 0xfffe
	s_lshl_b64 s[40:41], s[40:41], 1
	s_lshl_b64 s[42:43], s[42:43], 1
	s_wait_alu 0xfffe
	v_add_co_u32 v9, vcc_lo, v13, s40
	s_wait_alu 0xfffd
	v_add_co_ci_u32_e64 v10, null, s41, v14, vcc_lo
	s_add_nc_u64 s[40:41], s[10:11], s[42:43]
	s_wait_alu 0xfffe
	v_add_co_u32 v7, vcc_lo, s40, v5
	s_wait_alu 0xfffd
	v_add_co_ci_u32_e64 v8, null, s41, v6, vcc_lo
	v_add_co_u32 v9, vcc_lo, v9, s26
	s_wait_alu 0xfffd
	v_add_co_ci_u32_e64 v10, null, s27, v10, vcc_lo
	global_load_u16 v7, v[7:8], off
	global_load_u16 v8, v[9:10], off
	s_wait_loadcnt 0x1
	v_lshlrev_b32_e32 v7, 16, v7
	s_wait_loadcnt 0x0
	v_lshlrev_b32_e32 v8, 16, v8
	s_delay_alu instid0(VALU_DEP_1) | instskip(NEXT) | instid1(VALU_DEP_1)
	v_mul_f32_e32 v7, v8, v7
	v_and_b32_e32 v8, 0x7f800000, v7
	s_delay_alu instid0(VALU_DEP_1)
	v_cmp_ne_u32_e32 vcc_lo, 0x7f800000, v8
                                        ; implicit-def: $vgpr8
	s_and_saveexec_b32 s40, vcc_lo
	s_wait_alu 0xfffe
	s_xor_b32 s40, exec_lo, s40
; %bb.52:                               ;   in Loop: Header=BB571_4 Depth=1
	v_bfe_u32 v8, v7, 16, 1
	s_delay_alu instid0(VALU_DEP_1)
	v_add3_u32 v8, v7, v8, 0x7fff
                                        ; implicit-def: $vgpr7
; %bb.53:                               ;   in Loop: Header=BB571_4 Depth=1
	s_wait_alu 0xfffe
	s_and_not1_saveexec_b32 s40, s40
; %bb.54:                               ;   in Loop: Header=BB571_4 Depth=1
	v_and_b32_e32 v8, 0xffff, v7
	v_or_b32_e32 v9, 0x10000, v7
	s_delay_alu instid0(VALU_DEP_2) | instskip(SKIP_1) | instid1(VALU_DEP_2)
	v_cmp_eq_u32_e32 vcc_lo, 0, v8
	s_wait_alu 0xfffd
	v_cndmask_b32_e32 v8, v9, v7, vcc_lo
; %bb.55:                               ;   in Loop: Header=BB571_4 Depth=1
	s_wait_alu 0xfffe
	s_or_b32 exec_lo, exec_lo, s40
	s_delay_alu instid0(VALU_DEP_1) | instskip(NEXT) | instid1(VALU_DEP_1)
	v_and_b32_e32 v7, 0xffff0000, v8
	v_add_f32_e32 v18, v18, v7
	s_or_b32 exec_lo, exec_lo, s5
	s_and_saveexec_b32 s5, s1
	s_cbranch_execnz .LBB571_18
	s_branch .LBB571_19
.LBB571_56:                             ;   in Loop: Header=BB571_4 Depth=1
	s_mov_b32 s41, 0
	s_mov_b32 s19, exec_lo
	s_or_b32 exec_lo, exec_lo, s40
	s_delay_alu instid0(SALU_CYCLE_1)
	s_and_b32 vcc_lo, exec_lo, s5
	s_wait_alu 0xfffe
	s_cbranch_vccnz .LBB571_15
.LBB571_57:                             ;   in Loop: Header=BB571_4 Depth=1
	v_mov_b32_e32 v7, s41
	s_wait_alu 0xfffe
	s_and_saveexec_b32 s5, s19
	s_cbranch_execz .LBB571_2
.LBB571_58:                             ;   in Loop: Header=BB571_4 Depth=1
	s_add_nc_u64 s[28:29], s[28:29], s[24:25]
	global_store_b16 v11, v7, s[28:29]
	s_branch .LBB571_2
.LBB571_59:
	s_endpgm
	.section	.rodata,"a",@progbits
	.p2align	6, 0x0
	.amdhsa_kernel _ZL32rocblas_gemvt_warp_reduce_kernelILb0ELi1024El16rocblas_bfloat16fS0_EviiT3_lPKT2_lT1_lS4_lS5_lS1_lPT4_lS5_li
		.amdhsa_group_segment_fixed_size 128
		.amdhsa_private_segment_fixed_size 0
		.amdhsa_kernarg_size 140
		.amdhsa_user_sgpr_count 2
		.amdhsa_user_sgpr_dispatch_ptr 0
		.amdhsa_user_sgpr_queue_ptr 0
		.amdhsa_user_sgpr_kernarg_segment_ptr 1
		.amdhsa_user_sgpr_dispatch_id 0
		.amdhsa_user_sgpr_private_segment_size 0
		.amdhsa_wavefront_size32 1
		.amdhsa_uses_dynamic_stack 0
		.amdhsa_enable_private_segment 0
		.amdhsa_system_sgpr_workgroup_id_x 1
		.amdhsa_system_sgpr_workgroup_id_y 0
		.amdhsa_system_sgpr_workgroup_id_z 1
		.amdhsa_system_sgpr_workgroup_info 0
		.amdhsa_system_vgpr_workitem_id 0
		.amdhsa_next_free_vgpr 23
		.amdhsa_next_free_sgpr 44
		.amdhsa_reserve_vcc 1
		.amdhsa_float_round_mode_32 0
		.amdhsa_float_round_mode_16_64 0
		.amdhsa_float_denorm_mode_32 3
		.amdhsa_float_denorm_mode_16_64 3
		.amdhsa_fp16_overflow 0
		.amdhsa_workgroup_processor_mode 1
		.amdhsa_memory_ordered 1
		.amdhsa_forward_progress 1
		.amdhsa_inst_pref_size 19
		.amdhsa_round_robin_scheduling 0
		.amdhsa_exception_fp_ieee_invalid_op 0
		.amdhsa_exception_fp_denorm_src 0
		.amdhsa_exception_fp_ieee_div_zero 0
		.amdhsa_exception_fp_ieee_overflow 0
		.amdhsa_exception_fp_ieee_underflow 0
		.amdhsa_exception_fp_ieee_inexact 0
		.amdhsa_exception_int_div_zero 0
	.end_amdhsa_kernel
	.section	.text._ZL32rocblas_gemvt_warp_reduce_kernelILb0ELi1024El16rocblas_bfloat16fS0_EviiT3_lPKT2_lT1_lS4_lS5_lS1_lPT4_lS5_li,"axG",@progbits,_ZL32rocblas_gemvt_warp_reduce_kernelILb0ELi1024El16rocblas_bfloat16fS0_EviiT3_lPKT2_lT1_lS4_lS5_lS1_lPT4_lS5_li,comdat
.Lfunc_end571:
	.size	_ZL32rocblas_gemvt_warp_reduce_kernelILb0ELi1024El16rocblas_bfloat16fS0_EviiT3_lPKT2_lT1_lS4_lS5_lS1_lPT4_lS5_li, .Lfunc_end571-_ZL32rocblas_gemvt_warp_reduce_kernelILb0ELi1024El16rocblas_bfloat16fS0_EviiT3_lPKT2_lT1_lS4_lS5_lS1_lPT4_lS5_li
                                        ; -- End function
	.set _ZL32rocblas_gemvt_warp_reduce_kernelILb0ELi1024El16rocblas_bfloat16fS0_EviiT3_lPKT2_lT1_lS4_lS5_lS1_lPT4_lS5_li.num_vgpr, 23
	.set _ZL32rocblas_gemvt_warp_reduce_kernelILb0ELi1024El16rocblas_bfloat16fS0_EviiT3_lPKT2_lT1_lS4_lS5_lS1_lPT4_lS5_li.num_agpr, 0
	.set _ZL32rocblas_gemvt_warp_reduce_kernelILb0ELi1024El16rocblas_bfloat16fS0_EviiT3_lPKT2_lT1_lS4_lS5_lS1_lPT4_lS5_li.numbered_sgpr, 44
	.set _ZL32rocblas_gemvt_warp_reduce_kernelILb0ELi1024El16rocblas_bfloat16fS0_EviiT3_lPKT2_lT1_lS4_lS5_lS1_lPT4_lS5_li.num_named_barrier, 0
	.set _ZL32rocblas_gemvt_warp_reduce_kernelILb0ELi1024El16rocblas_bfloat16fS0_EviiT3_lPKT2_lT1_lS4_lS5_lS1_lPT4_lS5_li.private_seg_size, 0
	.set _ZL32rocblas_gemvt_warp_reduce_kernelILb0ELi1024El16rocblas_bfloat16fS0_EviiT3_lPKT2_lT1_lS4_lS5_lS1_lPT4_lS5_li.uses_vcc, 1
	.set _ZL32rocblas_gemvt_warp_reduce_kernelILb0ELi1024El16rocblas_bfloat16fS0_EviiT3_lPKT2_lT1_lS4_lS5_lS1_lPT4_lS5_li.uses_flat_scratch, 0
	.set _ZL32rocblas_gemvt_warp_reduce_kernelILb0ELi1024El16rocblas_bfloat16fS0_EviiT3_lPKT2_lT1_lS4_lS5_lS1_lPT4_lS5_li.has_dyn_sized_stack, 0
	.set _ZL32rocblas_gemvt_warp_reduce_kernelILb0ELi1024El16rocblas_bfloat16fS0_EviiT3_lPKT2_lT1_lS4_lS5_lS1_lPT4_lS5_li.has_recursion, 0
	.set _ZL32rocblas_gemvt_warp_reduce_kernelILb0ELi1024El16rocblas_bfloat16fS0_EviiT3_lPKT2_lT1_lS4_lS5_lS1_lPT4_lS5_li.has_indirect_call, 0
	.section	.AMDGPU.csdata,"",@progbits
; Kernel info:
; codeLenInByte = 2384
; TotalNumSgprs: 46
; NumVgprs: 23
; ScratchSize: 0
; MemoryBound: 0
; FloatMode: 240
; IeeeMode: 1
; LDSByteSize: 128 bytes/workgroup (compile time only)
; SGPRBlocks: 0
; VGPRBlocks: 2
; NumSGPRsForWavesPerEU: 46
; NumVGPRsForWavesPerEU: 23
; Occupancy: 16
; WaveLimiterHint : 0
; COMPUTE_PGM_RSRC2:SCRATCH_EN: 0
; COMPUTE_PGM_RSRC2:USER_SGPR: 2
; COMPUTE_PGM_RSRC2:TRAP_HANDLER: 0
; COMPUTE_PGM_RSRC2:TGID_X_EN: 1
; COMPUTE_PGM_RSRC2:TGID_Y_EN: 0
; COMPUTE_PGM_RSRC2:TGID_Z_EN: 1
; COMPUTE_PGM_RSRC2:TIDIG_COMP_CNT: 0
	.section	.text._ZL22rocblas_gemvtsm_kernelILb1ELi256E16rocblas_bfloat16PKfS0_EviiT2_lPKT1_lilS6_lilS3_lPT3_lil,"axG",@progbits,_ZL22rocblas_gemvtsm_kernelILb1ELi256E16rocblas_bfloat16PKfS0_EviiT2_lPKT1_lilS6_lilS3_lPT3_lil,comdat
	.globl	_ZL22rocblas_gemvtsm_kernelILb1ELi256E16rocblas_bfloat16PKfS0_EviiT2_lPKT1_lilS6_lilS3_lPT3_lil ; -- Begin function _ZL22rocblas_gemvtsm_kernelILb1ELi256E16rocblas_bfloat16PKfS0_EviiT2_lPKT1_lilS6_lilS3_lPT3_lil
	.p2align	8
	.type	_ZL22rocblas_gemvtsm_kernelILb1ELi256E16rocblas_bfloat16PKfS0_EviiT2_lPKT1_lilS6_lilS3_lPT3_lil,@function
_ZL22rocblas_gemvtsm_kernelILb1ELi256E16rocblas_bfloat16PKfS0_EviiT2_lPKT1_lilS6_lilS3_lPT3_lil: ; @_ZL22rocblas_gemvtsm_kernelILb1ELi256E16rocblas_bfloat16PKfS0_EviiT2_lPKT1_lilS6_lilS3_lPT3_lil
; %bb.0:
	s_clause 0x1
	s_load_b256 s[4:11], s[0:1], 0x8
	s_load_b256 s[12:19], s[0:1], 0x50
	s_mov_b32 s24, ttmp9
	s_mov_b32 s25, 0
	s_wait_kmcnt 0x0
	s_mul_u64 s[2:3], s[6:7], s[24:25]
	s_delay_alu instid0(SALU_CYCLE_1) | instskip(NEXT) | instid1(SALU_CYCLE_1)
	s_lshl_b64 s[2:3], s[2:3], 2
	s_add_nc_u64 s[2:3], s[4:5], s[2:3]
	s_mul_u64 s[4:5], s[16:17], s[24:25]
	s_load_b32 s26, s[2:3], 0x0
	s_lshl_b64 s[2:3], s[4:5], 2
	s_delay_alu instid0(SALU_CYCLE_1)
	s_add_nc_u64 s[2:3], s[14:15], s[2:3]
	s_load_b32 s23, s[2:3], 0x0
	s_wait_kmcnt 0x0
	s_cmp_eq_f32 s26, 0
	s_cselect_b32 s2, -1, 0
	s_cmp_eq_f32 s23, 1.0
	s_cselect_b32 s3, -1, 0
	s_delay_alu instid0(SALU_CYCLE_1) | instskip(NEXT) | instid1(SALU_CYCLE_1)
	s_and_b32 s2, s2, s3
	s_and_b32 vcc_lo, exec_lo, s2
	s_cbranch_vccnz .LBB572_70
; %bb.1:
	s_clause 0x2
	s_load_b64 s[4:5], s[0:1], 0x80
	s_load_b96 s[20:22], s[0:1], 0x70
	s_load_b64 s[2:3], s[0:1], 0x0
	s_cmp_neq_f32 s26, 0
	s_wait_kmcnt 0x0
	s_mul_u64 s[14:15], s[4:5], s[24:25]
	s_cbranch_scc1 .LBB572_9
; %bb.2:
	s_cmp_gt_i32 s3, 0
	s_cselect_b32 s6, -1, 0
	s_cmp_neq_f32 s23, 0
	v_cndmask_b32_e64 v1, 0, 1, s6
	s_delay_alu instid0(VALU_DEP_1)
	v_cmp_ne_u32_e32 vcc_lo, 1, v1
	s_cbranch_scc1 .LBB572_10
; %bb.3:
	s_and_b32 vcc_lo, exec_lo, vcc_lo
	s_cbranch_vccnz .LBB572_8
; %bb.4:
	v_mad_co_i64_i32 v[1:2], null, s22, v0, 0
	s_lshl_b64 s[16:17], s[20:21], 1
	s_lshl_b64 s[28:29], s[14:15], 1
	s_add_nc_u64 s[16:17], s[18:19], s[16:17]
	v_mov_b32_e32 v3, 0
	s_add_nc_u64 s[16:17], s[16:17], s[28:29]
	s_ashr_i32 s5, s22, 31
	v_lshlrev_b64_e32 v[1:2], 1, v[1:2]
	s_mov_b32 s4, s22
	s_mov_b32 s7, 0
	s_lshl_b64 s[4:5], s[4:5], 9
	s_delay_alu instid0(VALU_DEP_1) | instskip(NEXT) | instid1(VALU_DEP_1)
	v_add_co_u32 v1, vcc_lo, s16, v1
	v_add_co_ci_u32_e64 v2, null, s17, v2, vcc_lo
	s_branch .LBB572_6
.LBB572_5:                              ;   in Loop: Header=BB572_6 Depth=1
	s_wait_alu 0xfffe
	s_or_b32 exec_lo, exec_lo, s16
	v_add_co_u32 v1, vcc_lo, v1, s4
	s_wait_alu 0xfffd
	v_add_co_ci_u32_e64 v2, null, s5, v2, vcc_lo
	s_addk_co_i32 s7, 0x100
	s_wait_alu 0xfffe
	s_cmp_ge_i32 s7, s3
	s_cbranch_scc1 .LBB572_8
.LBB572_6:                              ; =>This Inner Loop Header: Depth=1
	s_wait_alu 0xfffe
	v_add_nc_u32_e32 v4, s7, v0
	s_mov_b32 s16, exec_lo
	s_delay_alu instid0(VALU_DEP_1)
	v_cmpx_gt_i32_e64 s3, v4
	s_cbranch_execz .LBB572_5
; %bb.7:                                ;   in Loop: Header=BB572_6 Depth=1
	global_store_b16 v[1:2], v3, off
	s_branch .LBB572_5
.LBB572_8:
	s_cbranch_execz .LBB572_11
	s_branch .LBB572_20
.LBB572_9:
	s_branch .LBB572_21
.LBB572_10:
.LBB572_11:
	s_and_not1_b32 vcc_lo, exec_lo, s6
	s_wait_alu 0xfffe
	s_cbranch_vccnz .LBB572_20
; %bb.12:
	v_mad_co_i64_i32 v[1:2], null, s22, v0, 0
	s_lshl_b64 s[6:7], s[20:21], 1
	s_lshl_b64 s[16:17], s[14:15], 1
	s_wait_alu 0xfffe
	s_add_nc_u64 s[6:7], s[18:19], s[6:7]
	s_ashr_i32 s5, s22, 31
	s_wait_alu 0xfffe
	s_add_nc_u64 s[6:7], s[6:7], s[16:17]
	s_mov_b32 s4, s22
	v_lshlrev_b64_e32 v[1:2], 1, v[1:2]
	s_wait_alu 0xfffe
	s_lshl_b64 s[4:5], s[4:5], 9
	s_delay_alu instid0(VALU_DEP_1) | instskip(SKIP_1) | instid1(VALU_DEP_2)
	v_add_co_u32 v1, vcc_lo, s6, v1
	s_wait_alu 0xfffd
	v_add_co_ci_u32_e64 v2, null, s7, v2, vcc_lo
	s_mov_b32 s6, 0
	s_branch .LBB572_15
.LBB572_13:                             ;   in Loop: Header=BB572_15 Depth=1
	s_wait_alu 0xfffe
	s_or_b32 exec_lo, exec_lo, s16
	global_store_d16_hi_b16 v[1:2], v4, off
.LBB572_14:                             ;   in Loop: Header=BB572_15 Depth=1
	s_wait_alu 0xfffe
	s_or_b32 exec_lo, exec_lo, s7
	v_add_co_u32 v1, vcc_lo, v1, s4
	s_wait_alu 0xfffd
	v_add_co_ci_u32_e64 v2, null, s5, v2, vcc_lo
	s_addk_co_i32 s6, 0x100
	s_wait_alu 0xfffe
	s_cmp_ge_i32 s6, s3
	s_cbranch_scc1 .LBB572_20
.LBB572_15:                             ; =>This Inner Loop Header: Depth=1
	s_wait_alu 0xfffe
	v_add_nc_u32_e32 v3, s6, v0
	s_mov_b32 s7, exec_lo
	s_delay_alu instid0(VALU_DEP_1)
	v_cmpx_gt_i32_e64 s3, v3
	s_cbranch_execz .LBB572_14
; %bb.16:                               ;   in Loop: Header=BB572_15 Depth=1
	global_load_u16 v3, v[1:2], off
	s_wait_loadcnt 0x0
	v_lshlrev_b32_e32 v3, 16, v3
	s_delay_alu instid0(VALU_DEP_1) | instskip(NEXT) | instid1(VALU_DEP_1)
	v_mul_f32_e32 v3, s23, v3
	v_and_b32_e32 v4, 0x7f800000, v3
	s_delay_alu instid0(VALU_DEP_1)
	v_cmp_ne_u32_e32 vcc_lo, 0x7f800000, v4
                                        ; implicit-def: $vgpr4
	s_and_saveexec_b32 s16, vcc_lo
	s_wait_alu 0xfffe
	s_xor_b32 s16, exec_lo, s16
; %bb.17:                               ;   in Loop: Header=BB572_15 Depth=1
	v_bfe_u32 v4, v3, 16, 1
	s_delay_alu instid0(VALU_DEP_1)
	v_add3_u32 v4, v3, v4, 0x7fff
                                        ; implicit-def: $vgpr3
; %bb.18:                               ;   in Loop: Header=BB572_15 Depth=1
	s_wait_alu 0xfffe
	s_and_not1_saveexec_b32 s16, s16
	s_cbranch_execz .LBB572_13
; %bb.19:                               ;   in Loop: Header=BB572_15 Depth=1
	v_and_b32_e32 v4, 0xffff, v3
	v_or_b32_e32 v5, 0x10000, v3
	s_delay_alu instid0(VALU_DEP_2) | instskip(SKIP_1) | instid1(VALU_DEP_2)
	v_cmp_eq_u32_e32 vcc_lo, 0, v4
	s_wait_alu 0xfffd
	v_cndmask_b32_e32 v4, v5, v3, vcc_lo
	s_branch .LBB572_13
.LBB572_20:
	s_cbranch_execnz .LBB572_70
.LBB572_21:
	s_clause 0x1
	s_load_b128 s[4:7], s[0:1], 0x30
	s_load_b64 s[16:17], s[0:1], 0x40
	s_mov_b32 s27, exec_lo
	v_cmpx_gt_i32_e64 s2, v0
	s_cbranch_execz .LBB572_27
; %bb.22:
	s_load_b32 s28, s[0:1], 0x48
	s_mul_u64 s[12:13], s[12:13], s[24:25]
	s_wait_kmcnt 0x0
	s_lshl_b64 s[16:17], s[16:17], 1
	s_lshl_b64 s[12:13], s[12:13], 1
	s_delay_alu instid0(SALU_CYCLE_1) | instskip(SKIP_3) | instid1(VALU_DEP_1)
	s_add_nc_u64 s[6:7], s[6:7], s[12:13]
	s_wait_alu 0xfffe
	s_add_nc_u64 s[6:7], s[6:7], s[16:17]
	v_mad_co_i64_i32 v[1:2], null, s28, v0, 0
	v_lshlrev_b64_e32 v[1:2], 1, v[1:2]
	s_wait_alu 0xfffe
	s_delay_alu instid0(VALU_DEP_1) | instskip(SKIP_1) | instid1(VALU_DEP_2)
	v_add_co_u32 v1, vcc_lo, s6, v1
	s_wait_alu 0xfffd
	v_add_co_ci_u32_e64 v2, null, s7, v2, vcc_lo
	global_load_u16 v1, v[1:2], off
	s_wait_loadcnt 0x0
	v_lshlrev_b32_e32 v1, 16, v1
	s_delay_alu instid0(VALU_DEP_1) | instskip(NEXT) | instid1(VALU_DEP_1)
	v_mul_f32_e32 v1, s26, v1
	v_and_b32_e32 v2, 0x7f800000, v1
	s_delay_alu instid0(VALU_DEP_1)
	v_cmp_ne_u32_e32 vcc_lo, 0x7f800000, v2
                                        ; implicit-def: $vgpr2
	s_and_saveexec_b32 s6, vcc_lo
	s_wait_alu 0xfffe
	s_xor_b32 s6, exec_lo, s6
; %bb.23:
	v_bfe_u32 v2, v1, 16, 1
	s_delay_alu instid0(VALU_DEP_1)
	v_add3_u32 v2, v1, v2, 0x7fff
                                        ; implicit-def: $vgpr1
; %bb.24:
	s_wait_alu 0xfffe
	s_and_not1_saveexec_b32 s6, s6
; %bb.25:
	v_and_b32_e32 v2, 0xffff, v1
	v_or_b32_e32 v3, 0x10000, v1
	s_delay_alu instid0(VALU_DEP_2) | instskip(SKIP_1) | instid1(VALU_DEP_2)
	v_cmp_eq_u32_e32 vcc_lo, 0, v2
	s_wait_alu 0xfffd
	v_cndmask_b32_e32 v2, v3, v1, vcc_lo
; %bb.26:
	s_wait_alu 0xfffe
	s_or_b32 exec_lo, exec_lo, s6
	s_delay_alu instid0(VALU_DEP_1)
	v_and_b32_e32 v1, 0xffff0000, v2
	v_lshlrev_b32_e32 v2, 2, v0
	ds_store_b32 v2, v1
.LBB572_27:
	s_or_b32 exec_lo, exec_lo, s27
	s_cmp_lt_i32 s3, 1
	s_wait_storecnt_dscnt 0x0
	s_barrier_signal -1
	s_barrier_wait -1
	global_inv scope:SCOPE_SE
	s_cbranch_scc1 .LBB572_70
; %bb.28:
	s_wait_kmcnt 0x0
	s_load_b32 s16, s[0:1], 0x28
	s_lshl_b64 s[0:1], s[14:15], 1
	s_lshl_b64 s[12:13], s[20:21], 1
	s_ashr_i32 s6, s22, 31
	s_add_nc_u64 s[0:1], s[18:19], s[0:1]
	s_mul_u64 s[4:5], s[4:5], s[24:25]
	s_add_nc_u64 s[0:1], s[0:1], s[12:13]
	s_wait_kmcnt 0x0
	s_ashr_i32 s17, s16, 31
	s_cmp_neq_f32 s23, 0
	v_mad_co_i64_i32 v[1:2], null, s16, v0, 0
	s_cselect_b32 s7, -1, 0
	s_cmp_gt_i32 s2, 0
	s_cselect_b32 s12, -1, 0
	s_and_b32 s13, s2, 3
	s_cmp_gt_u32 s2, 3
	v_lshlrev_b64_e32 v[1:2], 1, v[1:2]
	s_cselect_b32 s14, -1, 0
	s_and_b32 s2, s2, 0x7ffffffc
	s_cmp_lg_u32 s13, 0
	s_cselect_b32 s15, -1, 0
	s_lshl_b64 s[10:11], s[10:11], 1
	s_wait_alu 0xfffe
	s_lshl_b64 s[4:5], s[4:5], 1
	s_add_nc_u64 s[8:9], s[8:9], s[10:11]
	s_wait_alu 0xfffe
	s_add_nc_u64 s[4:5], s[8:9], s[4:5]
	s_mov_b32 s8, s22
	s_wait_alu 0xfffe
	v_add_co_u32 v7, vcc_lo, s4, v1
	s_wait_alu 0xfffd
	v_add_co_ci_u32_e64 v8, null, s5, v2, vcc_lo
	s_mov_b32 s9, 0
	v_add_co_u32 v1, vcc_lo, v7, 4
	s_wait_alu 0xfffd
	v_add_co_ci_u32_e64 v2, null, 0, v8, vcc_lo
	s_lshl_b64 s[4:5], s[16:17], 9
	s_branch .LBB572_31
.LBB572_29:                             ;   in Loop: Header=BB572_31 Depth=1
	s_wait_alu 0xfffe
	s_or_b32 exec_lo, exec_lo, s11
	v_add_co_u32 v3, vcc_lo, s0, v3
	s_wait_alu 0xfffd
	v_add_co_ci_u32_e64 v4, null, s1, v4, vcc_lo
	global_store_d16_hi_b16 v[3:4], v5, off
.LBB572_30:                             ;   in Loop: Header=BB572_31 Depth=1
	s_wait_alu 0xfffe
	s_or_b32 exec_lo, exec_lo, s10
	v_add_co_u32 v1, vcc_lo, v1, s4
	s_wait_alu 0xfffd
	v_add_co_ci_u32_e64 v2, null, s5, v2, vcc_lo
	v_add_co_u32 v7, vcc_lo, v7, s4
	s_wait_alu 0xfffd
	v_add_co_ci_u32_e64 v8, null, s5, v8, vcc_lo
	s_addk_co_i32 s9, 0x100
	s_wait_alu 0xfffe
	s_cmp_ge_i32 s9, s3
	s_cbranch_scc1 .LBB572_70
.LBB572_31:                             ; =>This Loop Header: Depth=1
                                        ;     Child Loop BB572_42 Depth 2
                                        ;     Child Loop BB572_62 Depth 2
	v_add_nc_u32_e32 v3, s9, v0
	s_mov_b32 s10, exec_lo
	s_delay_alu instid0(VALU_DEP_1)
	v_cmpx_gt_i32_e64 s3, v3
	s_cbranch_execz .LBB572_30
; %bb.32:                               ;   in Loop: Header=BB572_31 Depth=1
	v_mad_co_u64_u32 v[4:5], null, v3, s8, 0
	s_and_not1_b32 vcc_lo, exec_lo, s7
	v_mad_co_u64_u32 v[5:6], null, v3, s6, v[5:6]
	s_delay_alu instid0(VALU_DEP_1)
	v_lshlrev_b64_e32 v[3:4], 1, v[4:5]
	s_wait_alu 0xfffe
	s_cbranch_vccnz .LBB572_38
; %bb.33:                               ;   in Loop: Header=BB572_31 Depth=1
	s_delay_alu instid0(VALU_DEP_1) | instskip(SKIP_1) | instid1(VALU_DEP_2)
	v_add_co_u32 v5, vcc_lo, s0, v3
	s_wait_alu 0xfffd
	v_add_co_ci_u32_e64 v6, null, s1, v4, vcc_lo
	global_load_u16 v5, v[5:6], off
	s_wait_loadcnt 0x0
	v_lshlrev_b32_e32 v5, 16, v5
	s_delay_alu instid0(VALU_DEP_1) | instskip(NEXT) | instid1(VALU_DEP_1)
	v_mul_f32_e32 v5, s23, v5
	v_and_b32_e32 v6, 0x7f800000, v5
	s_delay_alu instid0(VALU_DEP_1)
	v_cmp_ne_u32_e32 vcc_lo, 0x7f800000, v6
                                        ; implicit-def: $vgpr6
	s_and_saveexec_b32 s11, vcc_lo
	s_wait_alu 0xfffe
	s_xor_b32 s11, exec_lo, s11
; %bb.34:                               ;   in Loop: Header=BB572_31 Depth=1
	v_bfe_u32 v6, v5, 16, 1
	s_delay_alu instid0(VALU_DEP_1)
	v_add3_u32 v6, v5, v6, 0x7fff
                                        ; implicit-def: $vgpr5
; %bb.35:                               ;   in Loop: Header=BB572_31 Depth=1
	s_wait_alu 0xfffe
	s_and_not1_saveexec_b32 s11, s11
; %bb.36:                               ;   in Loop: Header=BB572_31 Depth=1
	v_and_b32_e32 v6, 0xffff, v5
	v_or_b32_e32 v9, 0x10000, v5
	s_delay_alu instid0(VALU_DEP_2) | instskip(SKIP_1) | instid1(VALU_DEP_2)
	v_cmp_eq_u32_e32 vcc_lo, 0, v6
	s_wait_alu 0xfffd
	v_cndmask_b32_e32 v6, v9, v5, vcc_lo
; %bb.37:                               ;   in Loop: Header=BB572_31 Depth=1
	s_wait_alu 0xfffe
	s_or_b32 exec_lo, exec_lo, s11
	s_delay_alu instid0(VALU_DEP_1) | instskip(NEXT) | instid1(VALU_DEP_1)
	v_and_b32_e32 v5, 0xffff0000, v6
	v_cvt_i32_f32_e32 v5, v5
	s_delay_alu instid0(VALU_DEP_1)
	v_cvt_f32_i32_e32 v9, v5
	s_and_not1_b32 vcc_lo, exec_lo, s12
	s_wait_alu 0xfffe
	s_cbranch_vccz .LBB572_39
	s_branch .LBB572_66
.LBB572_38:                             ;   in Loop: Header=BB572_31 Depth=1
	v_mov_b32_e32 v9, 0
	s_and_not1_b32 vcc_lo, exec_lo, s12
	s_wait_alu 0xfffe
	s_cbranch_vccnz .LBB572_66
.LBB572_39:                             ;   in Loop: Header=BB572_31 Depth=1
	s_and_not1_b32 vcc_lo, exec_lo, s14
	s_mov_b32 s11, 0
	s_wait_alu 0xfffe
	s_cbranch_vccnz .LBB572_59
; %bb.40:                               ;   in Loop: Header=BB572_31 Depth=1
	v_dual_mov_b32 v6, v2 :: v_dual_mov_b32 v5, v1
	s_mov_b32 s16, 0
	s_branch .LBB572_42
.LBB572_41:                             ;   in Loop: Header=BB572_42 Depth=2
	s_wait_alu 0xfffe
	s_or_b32 exec_lo, exec_lo, s17
	v_and_b32_e32 v11, 0xffff0000, v11
	v_and_b32_e32 v10, 0xffff0000, v10
	v_add_co_u32 v5, vcc_lo, v5, 8
	s_wait_alu 0xfffd
	v_add_co_ci_u32_e64 v6, null, 0, v6, vcc_lo
	s_delay_alu instid0(VALU_DEP_3)
	v_dual_add_f32 v9, v9, v10 :: v_dual_and_b32 v10, 0xffff0000, v12
	s_add_co_i32 s16, s16, 4
	s_add_co_i32 s11, s11, 16
	s_wait_alu 0xfffe
	s_cmp_eq_u32 s2, s16
	v_add_f32_e32 v9, v9, v11
	v_and_b32_e32 v11, 0xffff0000, v13
	s_delay_alu instid0(VALU_DEP_2) | instskip(NEXT) | instid1(VALU_DEP_1)
	v_add_f32_e32 v9, v9, v10
	v_add_f32_e32 v9, v9, v11
	s_cbranch_scc1 .LBB572_58
.LBB572_42:                             ;   Parent Loop BB572_31 Depth=1
                                        ; =>  This Inner Loop Header: Depth=2
	global_load_u16 v10, v[5:6], off offset:-4
	s_wait_loadcnt 0x0
	v_dual_mov_b32 v11, s11 :: v_dual_lshlrev_b32 v10, 16, v10
	ds_load_b32 v11, v11
	s_wait_dscnt 0x0
	v_mul_f32_e32 v11, v11, v10
	s_delay_alu instid0(VALU_DEP_1) | instskip(NEXT) | instid1(VALU_DEP_1)
	v_and_b32_e32 v10, 0x7f800000, v11
	v_cmp_ne_u32_e32 vcc_lo, 0x7f800000, v10
                                        ; implicit-def: $vgpr10
	s_and_saveexec_b32 s17, vcc_lo
	s_wait_alu 0xfffe
	s_xor_b32 s17, exec_lo, s17
; %bb.43:                               ;   in Loop: Header=BB572_42 Depth=2
	v_bfe_u32 v10, v11, 16, 1
	s_delay_alu instid0(VALU_DEP_1)
	v_add3_u32 v10, v11, v10, 0x7fff
                                        ; implicit-def: $vgpr11
; %bb.44:                               ;   in Loop: Header=BB572_42 Depth=2
	s_wait_alu 0xfffe
	s_and_not1_saveexec_b32 s17, s17
; %bb.45:                               ;   in Loop: Header=BB572_42 Depth=2
	v_and_b32_e32 v10, 0xffff, v11
	v_or_b32_e32 v12, 0x10000, v11
	s_delay_alu instid0(VALU_DEP_2) | instskip(SKIP_1) | instid1(VALU_DEP_2)
	v_cmp_eq_u32_e32 vcc_lo, 0, v10
	s_wait_alu 0xfffd
	v_cndmask_b32_e32 v10, v12, v11, vcc_lo
; %bb.46:                               ;   in Loop: Header=BB572_42 Depth=2
	s_wait_alu 0xfffe
	s_or_b32 exec_lo, exec_lo, s17
	global_load_u16 v11, v[5:6], off offset:-2
	s_wait_loadcnt 0x0
	v_dual_mov_b32 v12, s11 :: v_dual_lshlrev_b32 v11, 16, v11
	ds_load_b32 v12, v12 offset:4
	s_wait_dscnt 0x0
	v_mul_f32_e32 v12, v12, v11
	s_delay_alu instid0(VALU_DEP_1) | instskip(NEXT) | instid1(VALU_DEP_1)
	v_and_b32_e32 v11, 0x7f800000, v12
	v_cmp_ne_u32_e32 vcc_lo, 0x7f800000, v11
                                        ; implicit-def: $vgpr11
	s_and_saveexec_b32 s17, vcc_lo
	s_wait_alu 0xfffe
	s_xor_b32 s17, exec_lo, s17
; %bb.47:                               ;   in Loop: Header=BB572_42 Depth=2
	v_bfe_u32 v11, v12, 16, 1
	s_delay_alu instid0(VALU_DEP_1)
	v_add3_u32 v11, v12, v11, 0x7fff
                                        ; implicit-def: $vgpr12
; %bb.48:                               ;   in Loop: Header=BB572_42 Depth=2
	s_wait_alu 0xfffe
	s_and_not1_saveexec_b32 s17, s17
; %bb.49:                               ;   in Loop: Header=BB572_42 Depth=2
	v_and_b32_e32 v11, 0xffff, v12
	v_or_b32_e32 v13, 0x10000, v12
	s_delay_alu instid0(VALU_DEP_2) | instskip(SKIP_1) | instid1(VALU_DEP_2)
	v_cmp_eq_u32_e32 vcc_lo, 0, v11
	s_wait_alu 0xfffd
	v_cndmask_b32_e32 v11, v13, v12, vcc_lo
; %bb.50:                               ;   in Loop: Header=BB572_42 Depth=2
	s_wait_alu 0xfffe
	s_or_b32 exec_lo, exec_lo, s17
	global_load_u16 v12, v[5:6], off
	s_wait_loadcnt 0x0
	v_dual_mov_b32 v13, s11 :: v_dual_lshlrev_b32 v12, 16, v12
	ds_load_b32 v13, v13 offset:8
	s_wait_dscnt 0x0
	v_mul_f32_e32 v13, v13, v12
	s_delay_alu instid0(VALU_DEP_1) | instskip(NEXT) | instid1(VALU_DEP_1)
	v_and_b32_e32 v12, 0x7f800000, v13
	v_cmp_ne_u32_e32 vcc_lo, 0x7f800000, v12
                                        ; implicit-def: $vgpr12
	s_and_saveexec_b32 s17, vcc_lo
	s_wait_alu 0xfffe
	s_xor_b32 s17, exec_lo, s17
; %bb.51:                               ;   in Loop: Header=BB572_42 Depth=2
	v_bfe_u32 v12, v13, 16, 1
	s_delay_alu instid0(VALU_DEP_1)
	v_add3_u32 v12, v13, v12, 0x7fff
                                        ; implicit-def: $vgpr13
; %bb.52:                               ;   in Loop: Header=BB572_42 Depth=2
	s_wait_alu 0xfffe
	s_and_not1_saveexec_b32 s17, s17
; %bb.53:                               ;   in Loop: Header=BB572_42 Depth=2
	v_and_b32_e32 v12, 0xffff, v13
	v_or_b32_e32 v14, 0x10000, v13
	s_delay_alu instid0(VALU_DEP_2) | instskip(SKIP_1) | instid1(VALU_DEP_2)
	v_cmp_eq_u32_e32 vcc_lo, 0, v12
	s_wait_alu 0xfffd
	v_cndmask_b32_e32 v12, v14, v13, vcc_lo
; %bb.54:                               ;   in Loop: Header=BB572_42 Depth=2
	s_wait_alu 0xfffe
	s_or_b32 exec_lo, exec_lo, s17
	global_load_u16 v13, v[5:6], off offset:2
	s_wait_loadcnt 0x0
	v_dual_mov_b32 v14, s11 :: v_dual_lshlrev_b32 v13, 16, v13
	ds_load_b32 v14, v14 offset:12
	s_wait_dscnt 0x0
	v_mul_f32_e32 v14, v14, v13
	s_delay_alu instid0(VALU_DEP_1) | instskip(NEXT) | instid1(VALU_DEP_1)
	v_and_b32_e32 v13, 0x7f800000, v14
	v_cmp_ne_u32_e32 vcc_lo, 0x7f800000, v13
                                        ; implicit-def: $vgpr13
	s_and_saveexec_b32 s17, vcc_lo
	s_wait_alu 0xfffe
	s_xor_b32 s17, exec_lo, s17
; %bb.55:                               ;   in Loop: Header=BB572_42 Depth=2
	v_bfe_u32 v13, v14, 16, 1
	s_delay_alu instid0(VALU_DEP_1)
	v_add3_u32 v13, v14, v13, 0x7fff
                                        ; implicit-def: $vgpr14
; %bb.56:                               ;   in Loop: Header=BB572_42 Depth=2
	s_wait_alu 0xfffe
	s_and_not1_saveexec_b32 s17, s17
	s_cbranch_execz .LBB572_41
; %bb.57:                               ;   in Loop: Header=BB572_42 Depth=2
	v_and_b32_e32 v13, 0xffff, v14
	v_or_b32_e32 v15, 0x10000, v14
	s_delay_alu instid0(VALU_DEP_2) | instskip(SKIP_1) | instid1(VALU_DEP_2)
	v_cmp_eq_u32_e32 vcc_lo, 0, v13
	s_wait_alu 0xfffd
	v_cndmask_b32_e32 v13, v15, v14, vcc_lo
	s_branch .LBB572_41
.LBB572_58:                             ;   in Loop: Header=BB572_31 Depth=1
	s_mov_b32 s11, s2
.LBB572_59:                             ;   in Loop: Header=BB572_31 Depth=1
	s_and_not1_b32 vcc_lo, exec_lo, s15
	s_wait_alu 0xfffe
	s_cbranch_vccnz .LBB572_66
; %bb.60:                               ;   in Loop: Header=BB572_31 Depth=1
	s_lshl_b32 s16, s11, 1
	s_lshl_b32 s11, s11, 2
	s_wait_alu 0xfffe
	v_add_co_u32 v5, vcc_lo, v7, s16
	s_wait_alu 0xfffd
	v_add_co_ci_u32_e64 v6, null, 0, v8, vcc_lo
	s_mov_b32 s16, s13
	s_branch .LBB572_62
.LBB572_61:                             ;   in Loop: Header=BB572_62 Depth=2
	s_wait_alu 0xfffe
	s_or_b32 exec_lo, exec_lo, s17
	s_delay_alu instid0(VALU_DEP_1) | instskip(SKIP_3) | instid1(VALU_DEP_3)
	v_and_b32_e32 v10, 0xffff0000, v11
	v_add_co_u32 v5, vcc_lo, v5, 2
	s_wait_alu 0xfffd
	v_add_co_ci_u32_e64 v6, null, 0, v6, vcc_lo
	v_add_f32_e32 v9, v9, v10
	s_add_co_i32 s16, s16, -1
	s_add_co_i32 s11, s11, 4
	s_wait_alu 0xfffe
	s_cmp_lg_u32 s16, 0
	s_cbranch_scc0 .LBB572_66
.LBB572_62:                             ;   Parent Loop BB572_31 Depth=1
                                        ; =>  This Inner Loop Header: Depth=2
	global_load_u16 v10, v[5:6], off
	s_wait_loadcnt 0x0
	v_dual_mov_b32 v11, s11 :: v_dual_lshlrev_b32 v10, 16, v10
	ds_load_b32 v11, v11
	s_wait_dscnt 0x0
	v_mul_f32_e32 v10, v11, v10
	s_delay_alu instid0(VALU_DEP_1) | instskip(NEXT) | instid1(VALU_DEP_1)
	v_and_b32_e32 v11, 0x7f800000, v10
	v_cmp_ne_u32_e32 vcc_lo, 0x7f800000, v11
                                        ; implicit-def: $vgpr11
	s_and_saveexec_b32 s17, vcc_lo
	s_wait_alu 0xfffe
	s_xor_b32 s17, exec_lo, s17
; %bb.63:                               ;   in Loop: Header=BB572_62 Depth=2
	v_bfe_u32 v11, v10, 16, 1
	s_delay_alu instid0(VALU_DEP_1)
	v_add3_u32 v11, v10, v11, 0x7fff
                                        ; implicit-def: $vgpr10
; %bb.64:                               ;   in Loop: Header=BB572_62 Depth=2
	s_wait_alu 0xfffe
	s_and_not1_saveexec_b32 s17, s17
	s_cbranch_execz .LBB572_61
; %bb.65:                               ;   in Loop: Header=BB572_62 Depth=2
	v_and_b32_e32 v11, 0xffff, v10
	v_or_b32_e32 v12, 0x10000, v10
	s_delay_alu instid0(VALU_DEP_2) | instskip(SKIP_1) | instid1(VALU_DEP_2)
	v_cmp_eq_u32_e32 vcc_lo, 0, v11
	s_wait_alu 0xfffd
	v_cndmask_b32_e32 v11, v12, v10, vcc_lo
	s_branch .LBB572_61
.LBB572_66:                             ;   in Loop: Header=BB572_31 Depth=1
	s_delay_alu instid0(VALU_DEP_1) | instskip(NEXT) | instid1(VALU_DEP_1)
	v_and_b32_e32 v5, 0x7f800000, v9
	v_cmp_ne_u32_e32 vcc_lo, 0x7f800000, v5
                                        ; implicit-def: $vgpr5
	s_and_saveexec_b32 s11, vcc_lo
	s_wait_alu 0xfffe
	s_xor_b32 s11, exec_lo, s11
; %bb.67:                               ;   in Loop: Header=BB572_31 Depth=1
	v_bfe_u32 v5, v9, 16, 1
	s_delay_alu instid0(VALU_DEP_1)
	v_add3_u32 v5, v9, v5, 0x7fff
                                        ; implicit-def: $vgpr9
; %bb.68:                               ;   in Loop: Header=BB572_31 Depth=1
	s_wait_alu 0xfffe
	s_and_not1_saveexec_b32 s11, s11
	s_cbranch_execz .LBB572_29
; %bb.69:                               ;   in Loop: Header=BB572_31 Depth=1
	v_and_b32_e32 v5, 0xffff, v9
	v_or_b32_e32 v6, 0x10000, v9
	s_delay_alu instid0(VALU_DEP_2) | instskip(SKIP_1) | instid1(VALU_DEP_2)
	v_cmp_eq_u32_e32 vcc_lo, 0, v5
	s_wait_alu 0xfffd
	v_cndmask_b32_e32 v5, v6, v9, vcc_lo
	s_branch .LBB572_29
.LBB572_70:
	s_endpgm
	.section	.rodata,"a",@progbits
	.p2align	6, 0x0
	.amdhsa_kernel _ZL22rocblas_gemvtsm_kernelILb1ELi256E16rocblas_bfloat16PKfS0_EviiT2_lPKT1_lilS6_lilS3_lPT3_lil
		.amdhsa_group_segment_fixed_size 256
		.amdhsa_private_segment_fixed_size 0
		.amdhsa_kernarg_size 136
		.amdhsa_user_sgpr_count 2
		.amdhsa_user_sgpr_dispatch_ptr 0
		.amdhsa_user_sgpr_queue_ptr 0
		.amdhsa_user_sgpr_kernarg_segment_ptr 1
		.amdhsa_user_sgpr_dispatch_id 0
		.amdhsa_user_sgpr_private_segment_size 0
		.amdhsa_wavefront_size32 1
		.amdhsa_uses_dynamic_stack 0
		.amdhsa_enable_private_segment 0
		.amdhsa_system_sgpr_workgroup_id_x 1
		.amdhsa_system_sgpr_workgroup_id_y 0
		.amdhsa_system_sgpr_workgroup_id_z 0
		.amdhsa_system_sgpr_workgroup_info 0
		.amdhsa_system_vgpr_workitem_id 0
		.amdhsa_next_free_vgpr 16
		.amdhsa_next_free_sgpr 30
		.amdhsa_reserve_vcc 1
		.amdhsa_float_round_mode_32 0
		.amdhsa_float_round_mode_16_64 0
		.amdhsa_float_denorm_mode_32 3
		.amdhsa_float_denorm_mode_16_64 3
		.amdhsa_fp16_overflow 0
		.amdhsa_workgroup_processor_mode 1
		.amdhsa_memory_ordered 1
		.amdhsa_forward_progress 1
		.amdhsa_inst_pref_size 21
		.amdhsa_round_robin_scheduling 0
		.amdhsa_exception_fp_ieee_invalid_op 0
		.amdhsa_exception_fp_denorm_src 0
		.amdhsa_exception_fp_ieee_div_zero 0
		.amdhsa_exception_fp_ieee_overflow 0
		.amdhsa_exception_fp_ieee_underflow 0
		.amdhsa_exception_fp_ieee_inexact 0
		.amdhsa_exception_int_div_zero 0
	.end_amdhsa_kernel
	.section	.text._ZL22rocblas_gemvtsm_kernelILb1ELi256E16rocblas_bfloat16PKfS0_EviiT2_lPKT1_lilS6_lilS3_lPT3_lil,"axG",@progbits,_ZL22rocblas_gemvtsm_kernelILb1ELi256E16rocblas_bfloat16PKfS0_EviiT2_lPKT1_lilS6_lilS3_lPT3_lil,comdat
.Lfunc_end572:
	.size	_ZL22rocblas_gemvtsm_kernelILb1ELi256E16rocblas_bfloat16PKfS0_EviiT2_lPKT1_lilS6_lilS3_lPT3_lil, .Lfunc_end572-_ZL22rocblas_gemvtsm_kernelILb1ELi256E16rocblas_bfloat16PKfS0_EviiT2_lPKT1_lilS6_lilS3_lPT3_lil
                                        ; -- End function
	.set _ZL22rocblas_gemvtsm_kernelILb1ELi256E16rocblas_bfloat16PKfS0_EviiT2_lPKT1_lilS6_lilS3_lPT3_lil.num_vgpr, 16
	.set _ZL22rocblas_gemvtsm_kernelILb1ELi256E16rocblas_bfloat16PKfS0_EviiT2_lPKT1_lilS6_lilS3_lPT3_lil.num_agpr, 0
	.set _ZL22rocblas_gemvtsm_kernelILb1ELi256E16rocblas_bfloat16PKfS0_EviiT2_lPKT1_lilS6_lilS3_lPT3_lil.numbered_sgpr, 30
	.set _ZL22rocblas_gemvtsm_kernelILb1ELi256E16rocblas_bfloat16PKfS0_EviiT2_lPKT1_lilS6_lilS3_lPT3_lil.num_named_barrier, 0
	.set _ZL22rocblas_gemvtsm_kernelILb1ELi256E16rocblas_bfloat16PKfS0_EviiT2_lPKT1_lilS6_lilS3_lPT3_lil.private_seg_size, 0
	.set _ZL22rocblas_gemvtsm_kernelILb1ELi256E16rocblas_bfloat16PKfS0_EviiT2_lPKT1_lilS6_lilS3_lPT3_lil.uses_vcc, 1
	.set _ZL22rocblas_gemvtsm_kernelILb1ELi256E16rocblas_bfloat16PKfS0_EviiT2_lPKT1_lilS6_lilS3_lPT3_lil.uses_flat_scratch, 0
	.set _ZL22rocblas_gemvtsm_kernelILb1ELi256E16rocblas_bfloat16PKfS0_EviiT2_lPKT1_lilS6_lilS3_lPT3_lil.has_dyn_sized_stack, 0
	.set _ZL22rocblas_gemvtsm_kernelILb1ELi256E16rocblas_bfloat16PKfS0_EviiT2_lPKT1_lilS6_lilS3_lPT3_lil.has_recursion, 0
	.set _ZL22rocblas_gemvtsm_kernelILb1ELi256E16rocblas_bfloat16PKfS0_EviiT2_lPKT1_lilS6_lilS3_lPT3_lil.has_indirect_call, 0
	.section	.AMDGPU.csdata,"",@progbits
; Kernel info:
; codeLenInByte = 2648
; TotalNumSgprs: 32
; NumVgprs: 16
; ScratchSize: 0
; MemoryBound: 0
; FloatMode: 240
; IeeeMode: 1
; LDSByteSize: 256 bytes/workgroup (compile time only)
; SGPRBlocks: 0
; VGPRBlocks: 1
; NumSGPRsForWavesPerEU: 32
; NumVGPRsForWavesPerEU: 16
; Occupancy: 16
; WaveLimiterHint : 1
; COMPUTE_PGM_RSRC2:SCRATCH_EN: 0
; COMPUTE_PGM_RSRC2:USER_SGPR: 2
; COMPUTE_PGM_RSRC2:TRAP_HANDLER: 0
; COMPUTE_PGM_RSRC2:TGID_X_EN: 1
; COMPUTE_PGM_RSRC2:TGID_Y_EN: 0
; COMPUTE_PGM_RSRC2:TGID_Z_EN: 0
; COMPUTE_PGM_RSRC2:TIDIG_COMP_CNT: 0
	.section	.text._ZL22rocblas_gemvtsm_kernelILb1ELi256E16rocblas_bfloat16fS0_EviiT2_lPKT1_lilS4_lilS1_lPT3_lil,"axG",@progbits,_ZL22rocblas_gemvtsm_kernelILb1ELi256E16rocblas_bfloat16fS0_EviiT2_lPKT1_lilS4_lilS1_lPT3_lil,comdat
	.globl	_ZL22rocblas_gemvtsm_kernelILb1ELi256E16rocblas_bfloat16fS0_EviiT2_lPKT1_lilS4_lilS1_lPT3_lil ; -- Begin function _ZL22rocblas_gemvtsm_kernelILb1ELi256E16rocblas_bfloat16fS0_EviiT2_lPKT1_lilS4_lilS1_lPT3_lil
	.p2align	8
	.type	_ZL22rocblas_gemvtsm_kernelILb1ELi256E16rocblas_bfloat16fS0_EviiT2_lPKT1_lilS4_lilS1_lPT3_lil,@function
_ZL22rocblas_gemvtsm_kernelILb1ELi256E16rocblas_bfloat16fS0_EviiT2_lPKT1_lilS4_lilS1_lPT3_lil: ; @_ZL22rocblas_gemvtsm_kernelILb1ELi256E16rocblas_bfloat16fS0_EviiT2_lPKT1_lilS4_lilS1_lPT3_lil
; %bb.0:
	s_clause 0x1
	s_load_b96 s[12:14], s[0:1], 0x0
	s_load_b32 s15, s[0:1], 0x58
	s_mov_b32 s19, 0
	s_wait_kmcnt 0x0
	s_cmp_eq_f32 s14, 0
	s_cselect_b32 s2, -1, 0
	s_cmp_eq_f32 s15, 1.0
	s_cselect_b32 s3, -1, 0
	s_delay_alu instid0(SALU_CYCLE_1) | instskip(NEXT) | instid1(SALU_CYCLE_1)
	s_and_b32 s2, s2, s3
	s_and_b32 vcc_lo, exec_lo, s2
	s_cbranch_vccnz .LBB573_70
; %bb.1:
	s_clause 0x2
	s_load_b64 s[2:3], s[0:1], 0x80
	s_load_b128 s[4:7], s[0:1], 0x68
	s_load_b32 s16, s[0:1], 0x78
	s_mov_b32 s18, ttmp9
	s_cmp_neq_f32 s14, 0
	s_wait_kmcnt 0x0
	s_mul_u64 s[20:21], s[2:3], s[18:19]
	s_cbranch_scc1 .LBB573_9
; %bb.2:
	s_cmp_gt_i32 s13, 0
	s_cselect_b32 s8, -1, 0
	s_cmp_neq_f32 s15, 0
	v_cndmask_b32_e64 v1, 0, 1, s8
	s_delay_alu instid0(VALU_DEP_1)
	v_cmp_ne_u32_e32 vcc_lo, 1, v1
	s_cbranch_scc1 .LBB573_10
; %bb.3:
	s_and_b32 vcc_lo, exec_lo, vcc_lo
	s_cbranch_vccnz .LBB573_8
; %bb.4:
	v_mad_co_i64_i32 v[1:2], null, s16, v0, 0
	s_lshl_b64 s[2:3], s[6:7], 1
	s_lshl_b64 s[10:11], s[20:21], 1
	s_add_nc_u64 s[2:3], s[4:5], s[2:3]
	v_mov_b32_e32 v3, 0
	s_add_nc_u64 s[2:3], s[2:3], s[10:11]
	s_ashr_i32 s17, s16, 31
	v_lshlrev_b64_e32 v[1:2], 1, v[1:2]
	s_mov_b32 s9, 0
	s_delay_alu instid0(VALU_DEP_1) | instskip(NEXT) | instid1(VALU_DEP_1)
	v_add_co_u32 v1, vcc_lo, s2, v1
	v_add_co_ci_u32_e64 v2, null, s3, v2, vcc_lo
	s_wait_alu 0xfffe
	s_lshl_b64 s[2:3], s[16:17], 9
	s_branch .LBB573_6
.LBB573_5:                              ;   in Loop: Header=BB573_6 Depth=1
	s_or_b32 exec_lo, exec_lo, s10
	s_wait_alu 0xfffe
	v_add_co_u32 v1, vcc_lo, v1, s2
	s_wait_alu 0xfffd
	v_add_co_ci_u32_e64 v2, null, s3, v2, vcc_lo
	s_addk_co_i32 s9, 0x100
	s_wait_alu 0xfffe
	s_cmp_ge_i32 s9, s13
	s_cbranch_scc1 .LBB573_8
.LBB573_6:                              ; =>This Inner Loop Header: Depth=1
	v_add_nc_u32_e32 v4, s9, v0
	s_mov_b32 s10, exec_lo
	s_delay_alu instid0(VALU_DEP_1)
	v_cmpx_gt_i32_e64 s13, v4
	s_cbranch_execz .LBB573_5
; %bb.7:                                ;   in Loop: Header=BB573_6 Depth=1
	global_store_b16 v[1:2], v3, off
	s_branch .LBB573_5
.LBB573_8:
	s_cbranch_execz .LBB573_11
	s_branch .LBB573_20
.LBB573_9:
	s_branch .LBB573_21
.LBB573_10:
.LBB573_11:
	s_and_not1_b32 vcc_lo, exec_lo, s8
	s_wait_alu 0xfffe
	s_cbranch_vccnz .LBB573_20
; %bb.12:
	v_mad_co_i64_i32 v[1:2], null, s16, v0, 0
	s_lshl_b64 s[2:3], s[6:7], 1
	s_lshl_b64 s[8:9], s[20:21], 1
	s_wait_alu 0xfffe
	s_add_nc_u64 s[2:3], s[4:5], s[2:3]
	s_ashr_i32 s17, s16, 31
	s_wait_alu 0xfffe
	s_add_nc_u64 s[2:3], s[2:3], s[8:9]
	s_mov_b32 s8, 0
	v_lshlrev_b64_e32 v[1:2], 1, v[1:2]
	s_wait_alu 0xfffe
	s_delay_alu instid0(VALU_DEP_1) | instskip(SKIP_1) | instid1(VALU_DEP_2)
	v_add_co_u32 v1, vcc_lo, s2, v1
	s_wait_alu 0xfffd
	v_add_co_ci_u32_e64 v2, null, s3, v2, vcc_lo
	s_lshl_b64 s[2:3], s[16:17], 9
	s_branch .LBB573_15
.LBB573_13:                             ;   in Loop: Header=BB573_15 Depth=1
	s_or_b32 exec_lo, exec_lo, s10
	global_store_d16_hi_b16 v[1:2], v4, off
.LBB573_14:                             ;   in Loop: Header=BB573_15 Depth=1
	s_wait_alu 0xfffe
	s_or_b32 exec_lo, exec_lo, s9
	v_add_co_u32 v1, vcc_lo, v1, s2
	s_wait_alu 0xfffd
	v_add_co_ci_u32_e64 v2, null, s3, v2, vcc_lo
	s_addk_co_i32 s8, 0x100
	s_wait_alu 0xfffe
	s_cmp_ge_i32 s8, s13
	s_cbranch_scc1 .LBB573_20
.LBB573_15:                             ; =>This Inner Loop Header: Depth=1
	v_add_nc_u32_e32 v3, s8, v0
	s_mov_b32 s9, exec_lo
	s_delay_alu instid0(VALU_DEP_1)
	v_cmpx_gt_i32_e64 s13, v3
	s_cbranch_execz .LBB573_14
; %bb.16:                               ;   in Loop: Header=BB573_15 Depth=1
	global_load_u16 v3, v[1:2], off
	s_wait_loadcnt 0x0
	v_lshlrev_b32_e32 v3, 16, v3
	s_delay_alu instid0(VALU_DEP_1) | instskip(NEXT) | instid1(VALU_DEP_1)
	v_mul_f32_e32 v3, s15, v3
	v_and_b32_e32 v4, 0x7f800000, v3
	s_delay_alu instid0(VALU_DEP_1) | instskip(SKIP_1) | instid1(SALU_CYCLE_1)
	v_cmp_ne_u32_e32 vcc_lo, 0x7f800000, v4
                                        ; implicit-def: $vgpr4
	s_and_saveexec_b32 s10, vcc_lo
	s_xor_b32 s10, exec_lo, s10
; %bb.17:                               ;   in Loop: Header=BB573_15 Depth=1
	v_bfe_u32 v4, v3, 16, 1
	s_delay_alu instid0(VALU_DEP_1)
	v_add3_u32 v4, v3, v4, 0x7fff
                                        ; implicit-def: $vgpr3
; %bb.18:                               ;   in Loop: Header=BB573_15 Depth=1
	s_and_not1_saveexec_b32 s10, s10
	s_cbranch_execz .LBB573_13
; %bb.19:                               ;   in Loop: Header=BB573_15 Depth=1
	v_and_b32_e32 v4, 0xffff, v3
	v_or_b32_e32 v5, 0x10000, v3
	s_delay_alu instid0(VALU_DEP_2) | instskip(SKIP_1) | instid1(VALU_DEP_2)
	v_cmp_eq_u32_e32 vcc_lo, 0, v4
	s_wait_alu 0xfffd
	v_cndmask_b32_e32 v4, v5, v3, vcc_lo
	s_branch .LBB573_13
.LBB573_20:
	s_cbranch_execnz .LBB573_70
.LBB573_21:
	s_clause 0x1
	s_load_b128 s[8:11], s[0:1], 0x30
	s_load_b64 s[2:3], s[0:1], 0x40
	s_mov_b32 s17, exec_lo
	v_cmpx_gt_i32_e64 s12, v0
	s_cbranch_execz .LBB573_27
; %bb.22:
	s_clause 0x1
	s_load_b32 s24, s[0:1], 0x48
	s_load_b64 s[22:23], s[0:1], 0x50
	s_wait_kmcnt 0x0
	s_lshl_b64 s[2:3], s[2:3], 1
	v_mad_co_i64_i32 v[1:2], null, s24, v0, 0
	s_mul_u64 s[22:23], s[22:23], s[18:19]
	s_delay_alu instid0(SALU_CYCLE_1) | instskip(NEXT) | instid1(SALU_CYCLE_1)
	s_lshl_b64 s[22:23], s[22:23], 1
	s_add_nc_u64 s[10:11], s[10:11], s[22:23]
	s_wait_alu 0xfffe
	s_add_nc_u64 s[2:3], s[10:11], s[2:3]
	v_lshlrev_b64_e32 v[1:2], 1, v[1:2]
	s_wait_alu 0xfffe
	s_delay_alu instid0(VALU_DEP_1) | instskip(SKIP_1) | instid1(VALU_DEP_2)
	v_add_co_u32 v1, vcc_lo, s2, v1
	s_wait_alu 0xfffd
	v_add_co_ci_u32_e64 v2, null, s3, v2, vcc_lo
	global_load_u16 v1, v[1:2], off
	s_wait_loadcnt 0x0
	v_lshlrev_b32_e32 v1, 16, v1
	s_delay_alu instid0(VALU_DEP_1) | instskip(NEXT) | instid1(VALU_DEP_1)
	v_mul_f32_e32 v1, s14, v1
	v_and_b32_e32 v2, 0x7f800000, v1
	s_delay_alu instid0(VALU_DEP_1)
	v_cmp_ne_u32_e32 vcc_lo, 0x7f800000, v2
                                        ; implicit-def: $vgpr2
	s_and_saveexec_b32 s2, vcc_lo
	s_wait_alu 0xfffe
	s_xor_b32 s2, exec_lo, s2
; %bb.23:
	v_bfe_u32 v2, v1, 16, 1
	s_delay_alu instid0(VALU_DEP_1)
	v_add3_u32 v2, v1, v2, 0x7fff
                                        ; implicit-def: $vgpr1
; %bb.24:
	s_wait_alu 0xfffe
	s_and_not1_saveexec_b32 s2, s2
; %bb.25:
	v_and_b32_e32 v2, 0xffff, v1
	v_or_b32_e32 v3, 0x10000, v1
	s_delay_alu instid0(VALU_DEP_2) | instskip(SKIP_1) | instid1(VALU_DEP_2)
	v_cmp_eq_u32_e32 vcc_lo, 0, v2
	s_wait_alu 0xfffd
	v_cndmask_b32_e32 v2, v3, v1, vcc_lo
; %bb.26:
	s_wait_alu 0xfffe
	s_or_b32 exec_lo, exec_lo, s2
	s_delay_alu instid0(VALU_DEP_1)
	v_and_b32_e32 v1, 0xffff0000, v2
	v_lshlrev_b32_e32 v2, 2, v0
	ds_store_b32 v2, v1
.LBB573_27:
	s_wait_alu 0xfffe
	s_or_b32 exec_lo, exec_lo, s17
	s_cmp_lt_i32 s13, 1
	s_wait_storecnt_dscnt 0x0
	s_barrier_signal -1
	s_barrier_wait -1
	global_inv scope:SCOPE_SE
	s_cbranch_scc1 .LBB573_70
; %bb.28:
	s_load_b32 s22, s[0:1], 0x28
	s_wait_kmcnt 0x0
	s_load_b128 s[0:3], s[0:1], 0x18
	s_lshl_b64 s[10:11], s[20:21], 1
	s_lshl_b64 s[20:21], s[6:7], 1
	s_ashr_i32 s6, s16, 31
	s_add_nc_u64 s[24:25], s[4:5], s[10:11]
	s_mul_u64 s[18:19], s[8:9], s[18:19]
	s_mov_b32 s11, 0
	s_ashr_i32 s23, s22, 31
	s_cmp_neq_f32 s15, 0
	v_mad_co_i64_i32 v[1:2], null, s22, v0, 0
	s_cselect_b32 s4, -1, 0
	s_cmp_gt_i32 s12, 0
	s_cselect_b32 s5, -1, 0
	s_and_b32 s7, s12, 3
	s_cmp_gt_u32 s12, 3
	v_lshlrev_b64_e32 v[1:2], 1, v[1:2]
	s_cselect_b32 s8, -1, 0
	s_and_b32 s9, s12, 0x7ffffffc
	s_cmp_lg_u32 s7, 0
	s_cselect_b32 s10, -1, 0
	s_wait_kmcnt 0x0
	s_lshl_b64 s[2:3], s[2:3], 1
	s_lshl_b64 s[18:19], s[18:19], 1
	s_wait_alu 0xfffe
	s_add_nc_u64 s[0:1], s[0:1], s[2:3]
	s_lshl_b64 s[2:3], s[22:23], 9
	s_add_nc_u64 s[0:1], s[0:1], s[18:19]
	s_delay_alu instid0(SALU_CYCLE_1)
	v_add_co_u32 v7, vcc_lo, s0, v1
	s_wait_alu 0xfffd
	v_add_co_ci_u32_e64 v8, null, s1, v2, vcc_lo
	s_add_nc_u64 s[0:1], s[24:25], s[20:21]
	v_add_co_u32 v1, vcc_lo, v7, 4
	s_wait_alu 0xfffd
	v_add_co_ci_u32_e64 v2, null, 0, v8, vcc_lo
	s_branch .LBB573_31
.LBB573_29:                             ;   in Loop: Header=BB573_31 Depth=1
	s_wait_alu 0xfffe
	s_or_b32 exec_lo, exec_lo, s14
	v_add_co_u32 v3, vcc_lo, s0, v3
	s_wait_alu 0xfffd
	v_add_co_ci_u32_e64 v4, null, s1, v4, vcc_lo
	global_store_d16_hi_b16 v[3:4], v5, off
.LBB573_30:                             ;   in Loop: Header=BB573_31 Depth=1
	s_wait_alu 0xfffe
	s_or_b32 exec_lo, exec_lo, s12
	v_add_co_u32 v1, vcc_lo, v1, s2
	s_wait_alu 0xfffd
	v_add_co_ci_u32_e64 v2, null, s3, v2, vcc_lo
	v_add_co_u32 v7, vcc_lo, v7, s2
	s_wait_alu 0xfffd
	v_add_co_ci_u32_e64 v8, null, s3, v8, vcc_lo
	s_addk_co_i32 s11, 0x100
	s_wait_alu 0xfffe
	s_cmp_ge_i32 s11, s13
	s_cbranch_scc1 .LBB573_70
.LBB573_31:                             ; =>This Loop Header: Depth=1
                                        ;     Child Loop BB573_42 Depth 2
                                        ;     Child Loop BB573_62 Depth 2
	v_add_nc_u32_e32 v3, s11, v0
	s_mov_b32 s12, exec_lo
	s_delay_alu instid0(VALU_DEP_1)
	v_cmpx_gt_i32_e64 s13, v3
	s_cbranch_execz .LBB573_30
; %bb.32:                               ;   in Loop: Header=BB573_31 Depth=1
	v_mad_co_u64_u32 v[4:5], null, v3, s16, 0
	s_and_not1_b32 vcc_lo, exec_lo, s4
	v_mad_co_u64_u32 v[5:6], null, v3, s6, v[5:6]
	s_delay_alu instid0(VALU_DEP_1)
	v_lshlrev_b64_e32 v[3:4], 1, v[4:5]
	s_wait_alu 0xfffe
	s_cbranch_vccnz .LBB573_38
; %bb.33:                               ;   in Loop: Header=BB573_31 Depth=1
	s_delay_alu instid0(VALU_DEP_1) | instskip(SKIP_1) | instid1(VALU_DEP_2)
	v_add_co_u32 v5, vcc_lo, s0, v3
	s_wait_alu 0xfffd
	v_add_co_ci_u32_e64 v6, null, s1, v4, vcc_lo
	global_load_u16 v5, v[5:6], off
	s_wait_loadcnt 0x0
	v_lshlrev_b32_e32 v5, 16, v5
	s_delay_alu instid0(VALU_DEP_1) | instskip(NEXT) | instid1(VALU_DEP_1)
	v_mul_f32_e32 v5, s15, v5
	v_and_b32_e32 v6, 0x7f800000, v5
	s_delay_alu instid0(VALU_DEP_1)
	v_cmp_ne_u32_e32 vcc_lo, 0x7f800000, v6
                                        ; implicit-def: $vgpr6
	s_and_saveexec_b32 s14, vcc_lo
	s_wait_alu 0xfffe
	s_xor_b32 s14, exec_lo, s14
; %bb.34:                               ;   in Loop: Header=BB573_31 Depth=1
	v_bfe_u32 v6, v5, 16, 1
	s_delay_alu instid0(VALU_DEP_1)
	v_add3_u32 v6, v5, v6, 0x7fff
                                        ; implicit-def: $vgpr5
; %bb.35:                               ;   in Loop: Header=BB573_31 Depth=1
	s_wait_alu 0xfffe
	s_and_not1_saveexec_b32 s14, s14
; %bb.36:                               ;   in Loop: Header=BB573_31 Depth=1
	v_and_b32_e32 v6, 0xffff, v5
	v_or_b32_e32 v9, 0x10000, v5
	s_delay_alu instid0(VALU_DEP_2) | instskip(SKIP_1) | instid1(VALU_DEP_2)
	v_cmp_eq_u32_e32 vcc_lo, 0, v6
	s_wait_alu 0xfffd
	v_cndmask_b32_e32 v6, v9, v5, vcc_lo
; %bb.37:                               ;   in Loop: Header=BB573_31 Depth=1
	s_wait_alu 0xfffe
	s_or_b32 exec_lo, exec_lo, s14
	s_delay_alu instid0(VALU_DEP_1) | instskip(NEXT) | instid1(VALU_DEP_1)
	v_and_b32_e32 v5, 0xffff0000, v6
	v_cvt_i32_f32_e32 v5, v5
	s_delay_alu instid0(VALU_DEP_1)
	v_cvt_f32_i32_e32 v9, v5
	s_and_not1_b32 vcc_lo, exec_lo, s5
	s_wait_alu 0xfffe
	s_cbranch_vccz .LBB573_39
	s_branch .LBB573_66
.LBB573_38:                             ;   in Loop: Header=BB573_31 Depth=1
	v_mov_b32_e32 v9, 0
	s_and_not1_b32 vcc_lo, exec_lo, s5
	s_wait_alu 0xfffe
	s_cbranch_vccnz .LBB573_66
.LBB573_39:                             ;   in Loop: Header=BB573_31 Depth=1
	s_and_not1_b32 vcc_lo, exec_lo, s8
	s_mov_b32 s14, 0
	s_wait_alu 0xfffe
	s_cbranch_vccnz .LBB573_59
; %bb.40:                               ;   in Loop: Header=BB573_31 Depth=1
	v_dual_mov_b32 v6, v2 :: v_dual_mov_b32 v5, v1
	s_mov_b32 s17, 0
	s_branch .LBB573_42
.LBB573_41:                             ;   in Loop: Header=BB573_42 Depth=2
	s_or_b32 exec_lo, exec_lo, s18
	v_and_b32_e32 v11, 0xffff0000, v11
	v_and_b32_e32 v10, 0xffff0000, v10
	v_add_co_u32 v5, vcc_lo, v5, 8
	s_wait_alu 0xfffd
	v_add_co_ci_u32_e64 v6, null, 0, v6, vcc_lo
	s_delay_alu instid0(VALU_DEP_3)
	v_dual_add_f32 v9, v9, v10 :: v_dual_and_b32 v10, 0xffff0000, v12
	s_wait_alu 0xfffe
	s_add_co_i32 s17, s17, 4
	s_add_co_i32 s14, s14, 16
	s_wait_alu 0xfffe
	s_cmp_eq_u32 s9, s17
	v_add_f32_e32 v9, v9, v11
	v_and_b32_e32 v11, 0xffff0000, v13
	s_delay_alu instid0(VALU_DEP_2) | instskip(NEXT) | instid1(VALU_DEP_1)
	v_add_f32_e32 v9, v9, v10
	v_add_f32_e32 v9, v9, v11
	s_cbranch_scc1 .LBB573_58
.LBB573_42:                             ;   Parent Loop BB573_31 Depth=1
                                        ; =>  This Inner Loop Header: Depth=2
	global_load_u16 v10, v[5:6], off offset:-4
	s_wait_loadcnt 0x0
	v_dual_mov_b32 v11, s14 :: v_dual_lshlrev_b32 v10, 16, v10
	ds_load_b32 v11, v11
	s_wait_dscnt 0x0
	v_mul_f32_e32 v11, v11, v10
	s_delay_alu instid0(VALU_DEP_1) | instskip(NEXT) | instid1(VALU_DEP_1)
	v_and_b32_e32 v10, 0x7f800000, v11
	v_cmp_ne_u32_e32 vcc_lo, 0x7f800000, v10
                                        ; implicit-def: $vgpr10
	s_and_saveexec_b32 s18, vcc_lo
	s_delay_alu instid0(SALU_CYCLE_1)
	s_xor_b32 s18, exec_lo, s18
; %bb.43:                               ;   in Loop: Header=BB573_42 Depth=2
	v_bfe_u32 v10, v11, 16, 1
	s_delay_alu instid0(VALU_DEP_1)
	v_add3_u32 v10, v11, v10, 0x7fff
                                        ; implicit-def: $vgpr11
; %bb.44:                               ;   in Loop: Header=BB573_42 Depth=2
	s_and_not1_saveexec_b32 s18, s18
; %bb.45:                               ;   in Loop: Header=BB573_42 Depth=2
	v_and_b32_e32 v10, 0xffff, v11
	v_or_b32_e32 v12, 0x10000, v11
	s_delay_alu instid0(VALU_DEP_2) | instskip(SKIP_1) | instid1(VALU_DEP_2)
	v_cmp_eq_u32_e32 vcc_lo, 0, v10
	s_wait_alu 0xfffd
	v_cndmask_b32_e32 v10, v12, v11, vcc_lo
; %bb.46:                               ;   in Loop: Header=BB573_42 Depth=2
	s_or_b32 exec_lo, exec_lo, s18
	global_load_u16 v11, v[5:6], off offset:-2
	s_wait_loadcnt 0x0
	v_dual_mov_b32 v12, s14 :: v_dual_lshlrev_b32 v11, 16, v11
	ds_load_b32 v12, v12 offset:4
	s_wait_dscnt 0x0
	v_mul_f32_e32 v12, v12, v11
	s_delay_alu instid0(VALU_DEP_1) | instskip(NEXT) | instid1(VALU_DEP_1)
	v_and_b32_e32 v11, 0x7f800000, v12
	v_cmp_ne_u32_e32 vcc_lo, 0x7f800000, v11
                                        ; implicit-def: $vgpr11
	s_and_saveexec_b32 s18, vcc_lo
	s_delay_alu instid0(SALU_CYCLE_1)
	s_xor_b32 s18, exec_lo, s18
; %bb.47:                               ;   in Loop: Header=BB573_42 Depth=2
	v_bfe_u32 v11, v12, 16, 1
	s_delay_alu instid0(VALU_DEP_1)
	v_add3_u32 v11, v12, v11, 0x7fff
                                        ; implicit-def: $vgpr12
; %bb.48:                               ;   in Loop: Header=BB573_42 Depth=2
	s_and_not1_saveexec_b32 s18, s18
; %bb.49:                               ;   in Loop: Header=BB573_42 Depth=2
	v_and_b32_e32 v11, 0xffff, v12
	v_or_b32_e32 v13, 0x10000, v12
	s_delay_alu instid0(VALU_DEP_2) | instskip(SKIP_1) | instid1(VALU_DEP_2)
	v_cmp_eq_u32_e32 vcc_lo, 0, v11
	s_wait_alu 0xfffd
	v_cndmask_b32_e32 v11, v13, v12, vcc_lo
; %bb.50:                               ;   in Loop: Header=BB573_42 Depth=2
	s_or_b32 exec_lo, exec_lo, s18
	global_load_u16 v12, v[5:6], off
	s_wait_loadcnt 0x0
	v_dual_mov_b32 v13, s14 :: v_dual_lshlrev_b32 v12, 16, v12
	ds_load_b32 v13, v13 offset:8
	s_wait_dscnt 0x0
	v_mul_f32_e32 v13, v13, v12
	s_delay_alu instid0(VALU_DEP_1) | instskip(NEXT) | instid1(VALU_DEP_1)
	v_and_b32_e32 v12, 0x7f800000, v13
	v_cmp_ne_u32_e32 vcc_lo, 0x7f800000, v12
                                        ; implicit-def: $vgpr12
	s_and_saveexec_b32 s18, vcc_lo
	s_delay_alu instid0(SALU_CYCLE_1)
	s_xor_b32 s18, exec_lo, s18
; %bb.51:                               ;   in Loop: Header=BB573_42 Depth=2
	v_bfe_u32 v12, v13, 16, 1
	s_delay_alu instid0(VALU_DEP_1)
	v_add3_u32 v12, v13, v12, 0x7fff
                                        ; implicit-def: $vgpr13
; %bb.52:                               ;   in Loop: Header=BB573_42 Depth=2
	s_and_not1_saveexec_b32 s18, s18
; %bb.53:                               ;   in Loop: Header=BB573_42 Depth=2
	v_and_b32_e32 v12, 0xffff, v13
	v_or_b32_e32 v14, 0x10000, v13
	s_delay_alu instid0(VALU_DEP_2) | instskip(SKIP_1) | instid1(VALU_DEP_2)
	v_cmp_eq_u32_e32 vcc_lo, 0, v12
	s_wait_alu 0xfffd
	v_cndmask_b32_e32 v12, v14, v13, vcc_lo
; %bb.54:                               ;   in Loop: Header=BB573_42 Depth=2
	s_or_b32 exec_lo, exec_lo, s18
	global_load_u16 v13, v[5:6], off offset:2
	s_wait_loadcnt 0x0
	v_dual_mov_b32 v14, s14 :: v_dual_lshlrev_b32 v13, 16, v13
	ds_load_b32 v14, v14 offset:12
	s_wait_dscnt 0x0
	v_mul_f32_e32 v14, v14, v13
	s_delay_alu instid0(VALU_DEP_1) | instskip(NEXT) | instid1(VALU_DEP_1)
	v_and_b32_e32 v13, 0x7f800000, v14
	v_cmp_ne_u32_e32 vcc_lo, 0x7f800000, v13
                                        ; implicit-def: $vgpr13
	s_and_saveexec_b32 s18, vcc_lo
	s_delay_alu instid0(SALU_CYCLE_1)
	s_xor_b32 s18, exec_lo, s18
; %bb.55:                               ;   in Loop: Header=BB573_42 Depth=2
	v_bfe_u32 v13, v14, 16, 1
	s_delay_alu instid0(VALU_DEP_1)
	v_add3_u32 v13, v14, v13, 0x7fff
                                        ; implicit-def: $vgpr14
; %bb.56:                               ;   in Loop: Header=BB573_42 Depth=2
	s_and_not1_saveexec_b32 s18, s18
	s_cbranch_execz .LBB573_41
; %bb.57:                               ;   in Loop: Header=BB573_42 Depth=2
	v_and_b32_e32 v13, 0xffff, v14
	v_or_b32_e32 v15, 0x10000, v14
	s_delay_alu instid0(VALU_DEP_2) | instskip(SKIP_1) | instid1(VALU_DEP_2)
	v_cmp_eq_u32_e32 vcc_lo, 0, v13
	s_wait_alu 0xfffd
	v_cndmask_b32_e32 v13, v15, v14, vcc_lo
	s_branch .LBB573_41
.LBB573_58:                             ;   in Loop: Header=BB573_31 Depth=1
	s_mov_b32 s14, s9
.LBB573_59:                             ;   in Loop: Header=BB573_31 Depth=1
	s_and_not1_b32 vcc_lo, exec_lo, s10
	s_wait_alu 0xfffe
	s_cbranch_vccnz .LBB573_66
; %bb.60:                               ;   in Loop: Header=BB573_31 Depth=1
	s_lshl_b32 s17, s14, 1
	s_lshl_b32 s14, s14, 2
	s_wait_alu 0xfffe
	v_add_co_u32 v5, vcc_lo, v7, s17
	s_wait_alu 0xfffd
	v_add_co_ci_u32_e64 v6, null, 0, v8, vcc_lo
	s_mov_b32 s17, s7
	s_branch .LBB573_62
.LBB573_61:                             ;   in Loop: Header=BB573_62 Depth=2
	s_or_b32 exec_lo, exec_lo, s18
	s_delay_alu instid0(VALU_DEP_1) | instskip(SKIP_3) | instid1(VALU_DEP_3)
	v_and_b32_e32 v10, 0xffff0000, v11
	v_add_co_u32 v5, vcc_lo, v5, 2
	s_wait_alu 0xfffd
	v_add_co_ci_u32_e64 v6, null, 0, v6, vcc_lo
	v_add_f32_e32 v9, v9, v10
	s_wait_alu 0xfffe
	s_add_co_i32 s17, s17, -1
	s_add_co_i32 s14, s14, 4
	s_wait_alu 0xfffe
	s_cmp_lg_u32 s17, 0
	s_cbranch_scc0 .LBB573_66
.LBB573_62:                             ;   Parent Loop BB573_31 Depth=1
                                        ; =>  This Inner Loop Header: Depth=2
	global_load_u16 v10, v[5:6], off
	s_wait_loadcnt 0x0
	v_dual_mov_b32 v11, s14 :: v_dual_lshlrev_b32 v10, 16, v10
	ds_load_b32 v11, v11
	s_wait_dscnt 0x0
	v_mul_f32_e32 v10, v11, v10
	s_delay_alu instid0(VALU_DEP_1) | instskip(NEXT) | instid1(VALU_DEP_1)
	v_and_b32_e32 v11, 0x7f800000, v10
	v_cmp_ne_u32_e32 vcc_lo, 0x7f800000, v11
                                        ; implicit-def: $vgpr11
	s_and_saveexec_b32 s18, vcc_lo
	s_delay_alu instid0(SALU_CYCLE_1)
	s_xor_b32 s18, exec_lo, s18
; %bb.63:                               ;   in Loop: Header=BB573_62 Depth=2
	v_bfe_u32 v11, v10, 16, 1
	s_delay_alu instid0(VALU_DEP_1)
	v_add3_u32 v11, v10, v11, 0x7fff
                                        ; implicit-def: $vgpr10
; %bb.64:                               ;   in Loop: Header=BB573_62 Depth=2
	s_and_not1_saveexec_b32 s18, s18
	s_cbranch_execz .LBB573_61
; %bb.65:                               ;   in Loop: Header=BB573_62 Depth=2
	v_and_b32_e32 v11, 0xffff, v10
	v_or_b32_e32 v12, 0x10000, v10
	s_delay_alu instid0(VALU_DEP_2) | instskip(SKIP_1) | instid1(VALU_DEP_2)
	v_cmp_eq_u32_e32 vcc_lo, 0, v11
	s_wait_alu 0xfffd
	v_cndmask_b32_e32 v11, v12, v10, vcc_lo
	s_branch .LBB573_61
.LBB573_66:                             ;   in Loop: Header=BB573_31 Depth=1
	s_delay_alu instid0(VALU_DEP_1) | instskip(NEXT) | instid1(VALU_DEP_1)
	v_and_b32_e32 v5, 0x7f800000, v9
	v_cmp_ne_u32_e32 vcc_lo, 0x7f800000, v5
                                        ; implicit-def: $vgpr5
	s_and_saveexec_b32 s14, vcc_lo
	s_wait_alu 0xfffe
	s_xor_b32 s14, exec_lo, s14
; %bb.67:                               ;   in Loop: Header=BB573_31 Depth=1
	v_bfe_u32 v5, v9, 16, 1
	s_delay_alu instid0(VALU_DEP_1)
	v_add3_u32 v5, v9, v5, 0x7fff
                                        ; implicit-def: $vgpr9
; %bb.68:                               ;   in Loop: Header=BB573_31 Depth=1
	s_wait_alu 0xfffe
	s_and_not1_saveexec_b32 s14, s14
	s_cbranch_execz .LBB573_29
; %bb.69:                               ;   in Loop: Header=BB573_31 Depth=1
	v_and_b32_e32 v5, 0xffff, v9
	v_or_b32_e32 v6, 0x10000, v9
	s_delay_alu instid0(VALU_DEP_2) | instskip(SKIP_1) | instid1(VALU_DEP_2)
	v_cmp_eq_u32_e32 vcc_lo, 0, v5
	s_wait_alu 0xfffd
	v_cndmask_b32_e32 v5, v6, v9, vcc_lo
	s_branch .LBB573_29
.LBB573_70:
	s_endpgm
	.section	.rodata,"a",@progbits
	.p2align	6, 0x0
	.amdhsa_kernel _ZL22rocblas_gemvtsm_kernelILb1ELi256E16rocblas_bfloat16fS0_EviiT2_lPKT1_lilS4_lilS1_lPT3_lil
		.amdhsa_group_segment_fixed_size 256
		.amdhsa_private_segment_fixed_size 0
		.amdhsa_kernarg_size 136
		.amdhsa_user_sgpr_count 2
		.amdhsa_user_sgpr_dispatch_ptr 0
		.amdhsa_user_sgpr_queue_ptr 0
		.amdhsa_user_sgpr_kernarg_segment_ptr 1
		.amdhsa_user_sgpr_dispatch_id 0
		.amdhsa_user_sgpr_private_segment_size 0
		.amdhsa_wavefront_size32 1
		.amdhsa_uses_dynamic_stack 0
		.amdhsa_enable_private_segment 0
		.amdhsa_system_sgpr_workgroup_id_x 1
		.amdhsa_system_sgpr_workgroup_id_y 0
		.amdhsa_system_sgpr_workgroup_id_z 0
		.amdhsa_system_sgpr_workgroup_info 0
		.amdhsa_system_vgpr_workitem_id 0
		.amdhsa_next_free_vgpr 16
		.amdhsa_next_free_sgpr 26
		.amdhsa_reserve_vcc 1
		.amdhsa_float_round_mode_32 0
		.amdhsa_float_round_mode_16_64 0
		.amdhsa_float_denorm_mode_32 3
		.amdhsa_float_denorm_mode_16_64 3
		.amdhsa_fp16_overflow 0
		.amdhsa_workgroup_processor_mode 1
		.amdhsa_memory_ordered 1
		.amdhsa_forward_progress 1
		.amdhsa_inst_pref_size 20
		.amdhsa_round_robin_scheduling 0
		.amdhsa_exception_fp_ieee_invalid_op 0
		.amdhsa_exception_fp_denorm_src 0
		.amdhsa_exception_fp_ieee_div_zero 0
		.amdhsa_exception_fp_ieee_overflow 0
		.amdhsa_exception_fp_ieee_underflow 0
		.amdhsa_exception_fp_ieee_inexact 0
		.amdhsa_exception_int_div_zero 0
	.end_amdhsa_kernel
	.section	.text._ZL22rocblas_gemvtsm_kernelILb1ELi256E16rocblas_bfloat16fS0_EviiT2_lPKT1_lilS4_lilS1_lPT3_lil,"axG",@progbits,_ZL22rocblas_gemvtsm_kernelILb1ELi256E16rocblas_bfloat16fS0_EviiT2_lPKT1_lilS4_lilS1_lPT3_lil,comdat
.Lfunc_end573:
	.size	_ZL22rocblas_gemvtsm_kernelILb1ELi256E16rocblas_bfloat16fS0_EviiT2_lPKT1_lilS4_lilS1_lPT3_lil, .Lfunc_end573-_ZL22rocblas_gemvtsm_kernelILb1ELi256E16rocblas_bfloat16fS0_EviiT2_lPKT1_lilS4_lilS1_lPT3_lil
                                        ; -- End function
	.set _ZL22rocblas_gemvtsm_kernelILb1ELi256E16rocblas_bfloat16fS0_EviiT2_lPKT1_lilS4_lilS1_lPT3_lil.num_vgpr, 16
	.set _ZL22rocblas_gemvtsm_kernelILb1ELi256E16rocblas_bfloat16fS0_EviiT2_lPKT1_lilS4_lilS1_lPT3_lil.num_agpr, 0
	.set _ZL22rocblas_gemvtsm_kernelILb1ELi256E16rocblas_bfloat16fS0_EviiT2_lPKT1_lilS4_lilS1_lPT3_lil.numbered_sgpr, 26
	.set _ZL22rocblas_gemvtsm_kernelILb1ELi256E16rocblas_bfloat16fS0_EviiT2_lPKT1_lilS4_lilS1_lPT3_lil.num_named_barrier, 0
	.set _ZL22rocblas_gemvtsm_kernelILb1ELi256E16rocblas_bfloat16fS0_EviiT2_lPKT1_lilS4_lilS1_lPT3_lil.private_seg_size, 0
	.set _ZL22rocblas_gemvtsm_kernelILb1ELi256E16rocblas_bfloat16fS0_EviiT2_lPKT1_lilS4_lilS1_lPT3_lil.uses_vcc, 1
	.set _ZL22rocblas_gemvtsm_kernelILb1ELi256E16rocblas_bfloat16fS0_EviiT2_lPKT1_lilS4_lilS1_lPT3_lil.uses_flat_scratch, 0
	.set _ZL22rocblas_gemvtsm_kernelILb1ELi256E16rocblas_bfloat16fS0_EviiT2_lPKT1_lilS4_lilS1_lPT3_lil.has_dyn_sized_stack, 0
	.set _ZL22rocblas_gemvtsm_kernelILb1ELi256E16rocblas_bfloat16fS0_EviiT2_lPKT1_lilS4_lilS1_lPT3_lil.has_recursion, 0
	.set _ZL22rocblas_gemvtsm_kernelILb1ELi256E16rocblas_bfloat16fS0_EviiT2_lPKT1_lilS4_lilS1_lPT3_lil.has_indirect_call, 0
	.section	.AMDGPU.csdata,"",@progbits
; Kernel info:
; codeLenInByte = 2556
; TotalNumSgprs: 28
; NumVgprs: 16
; ScratchSize: 0
; MemoryBound: 0
; FloatMode: 240
; IeeeMode: 1
; LDSByteSize: 256 bytes/workgroup (compile time only)
; SGPRBlocks: 0
; VGPRBlocks: 1
; NumSGPRsForWavesPerEU: 28
; NumVGPRsForWavesPerEU: 16
; Occupancy: 16
; WaveLimiterHint : 1
; COMPUTE_PGM_RSRC2:SCRATCH_EN: 0
; COMPUTE_PGM_RSRC2:USER_SGPR: 2
; COMPUTE_PGM_RSRC2:TRAP_HANDLER: 0
; COMPUTE_PGM_RSRC2:TGID_X_EN: 1
; COMPUTE_PGM_RSRC2:TGID_Y_EN: 0
; COMPUTE_PGM_RSRC2:TGID_Z_EN: 0
; COMPUTE_PGM_RSRC2:TIDIG_COMP_CNT: 0
	.section	.text._ZL23rocblas_gemvt_sn_kernelILb1ELi256ELi4Ei16rocblas_bfloat16PKffEviiT4_lPKT3_lilS6_lilPT5_i,"axG",@progbits,_ZL23rocblas_gemvt_sn_kernelILb1ELi256ELi4Ei16rocblas_bfloat16PKffEviiT4_lPKT3_lilS6_lilPT5_i,comdat
	.globl	_ZL23rocblas_gemvt_sn_kernelILb1ELi256ELi4Ei16rocblas_bfloat16PKffEviiT4_lPKT3_lilS6_lilPT5_i ; -- Begin function _ZL23rocblas_gemvt_sn_kernelILb1ELi256ELi4Ei16rocblas_bfloat16PKffEviiT4_lPKT3_lilS6_lilPT5_i
	.p2align	8
	.type	_ZL23rocblas_gemvt_sn_kernelILb1ELi256ELi4Ei16rocblas_bfloat16PKffEviiT4_lPKT3_lilS6_lilPT5_i,@function
_ZL23rocblas_gemvt_sn_kernelILb1ELi256ELi4Ei16rocblas_bfloat16PKffEviiT4_lPKT3_lilS6_lilPT5_i: ; @_ZL23rocblas_gemvt_sn_kernelILb1ELi256ELi4Ei16rocblas_bfloat16PKffEviiT4_lPKT3_lilS6_lilPT5_i
; %bb.0:
	s_load_b32 s11, s[0:1], 0x60
	s_lshr_b32 s28, ttmp7, 16
	s_wait_kmcnt 0x0
	s_cmp_ge_u32 s28, s11
	s_cbranch_scc1 .LBB574_83
; %bb.1:
	s_clause 0x6
	s_load_b96 s[8:10], s[0:1], 0x40
	s_load_b256 s[12:19], s[0:1], 0x8
	s_load_b64 s[34:35], s[0:1], 0x0
	s_load_b128 s[20:23], s[0:1], 0x30
	s_load_b32 s36, s[0:1], 0x68
	s_load_b32 s38, s[0:1], 0x28
	s_load_b128 s[24:27], s[0:1], 0x50
	v_cmp_eq_u32_e64 s0, 0, v0
	v_mbcnt_lo_u32_b32 v28, -1, 0
	s_mov_b32 s41, 0
	s_mov_b32 s30, ttmp9
	s_mov_b32 s37, s41
	s_mov_b32 s31, s41
	v_lshl_or_b32 v29, v28, 2, 64
	s_mov_b32 s39, s41
	s_mov_b32 s49, s41
	s_wait_kmcnt 0x0
	s_lshl_b64 s[2:3], s[8:9], 1
	s_lshl_b64 s[4:5], s[18:19], 1
	s_ashr_i32 s7, s35, 31
	s_cmp_gt_i32 s35, 0
	s_add_nc_u64 s[18:19], s[22:23], s[2:3]
	s_add_nc_u64 s[2:3], s[16:17], s[4:5]
	s_cselect_b32 s1, -1, 0
	s_lshl_b32 s4, ttmp9, 10
	s_lshr_b32 s5, s7, 30
	v_lshl_or_b32 v1, v0, 2, s4
	s_ashr_i32 s4, s34, 31
	s_and_b32 s33, s0, s1
	s_wait_alu 0xfffe
	s_lshr_b32 s4, s4, 30
	s_add_co_i32 s1, s35, s5
	v_ashrrev_i32_e32 v2, 31, v1
	s_wait_alu 0xfffe
	s_add_co_i32 s4, s34, s4
	s_and_b32 s70, s1, -4
	s_wait_alu 0xfffe
	s_and_b32 s1, s4, -4
	v_mul_lo_u32 v5, s10, v1
	v_lshlrev_b64_e32 v[2:3], 1, v[1:2]
	s_sub_co_i32 s71, s34, s1
	v_add_nc_u32_e32 v4, 4, v1
	v_add_nc_u32_e32 v1, s71, v1
	v_cmp_gt_u32_e64 s5, 8, v0
	s_cmp_gt_i32 s70, 0
	v_add_co_u32 v24, vcc_lo, s2, v2
	s_delay_alu instid0(VALU_DEP_1)
	v_add_co_ci_u32_e64 v25, null, s3, v3, vcc_lo
	v_cmp_ge_i32_e64 s1, s34, v4
	v_and_b32_e32 v2, 31, v0
	v_cmp_gt_u32_e64 s3, 32, v0
	v_lshrrev_b32_e32 v4, 3, v0
	v_mov_b32_e32 v0, 0
	v_cmp_ge_i32_e64 s2, s34, v1
	v_add_nc_u32_e32 v1, s10, v5
	v_cmp_eq_u32_e64 s4, 0, v2
	v_lshlrev_b32_e32 v26, 2, v2
	v_and_b32_e32 v27, 28, v4
	v_ashrrev_i32_e32 v6, 31, v5
	v_add_nc_u32_e32 v3, s10, v1
	v_ashrrev_i32_e32 v2, 31, v1
	s_cselect_b32 s72, -1, 0
	s_cmp_gt_i32 s71, 0
	s_mov_b32 s6, s35
	v_add_nc_u32_e32 v12, s10, v3
	v_ashrrev_i32_e32 v4, 31, v3
	s_cselect_b32 s34, -1, 0
	s_lshl_b32 s40, s38, 1
	v_lshlrev_b64_e32 v[6:7], 1, v[5:6]
	v_ashrrev_i32_e32 v13, 31, v12
	v_lshlrev_b64_e32 v[8:9], 1, v[1:2]
	v_lshlrev_b64_e32 v[10:11], 1, v[3:4]
	s_mul_u64 s[16:17], s[6:7], s[36:37]
	s_lshl_b64 s[22:23], s[30:31], 2
	v_lshlrev_b64_e32 v[12:13], 1, v[12:13]
	s_mov_b64 s[50:51], s[40:41]
	s_mul_i32 s40, s38, 3
	s_add_nc_u64 s[42:43], s[26:27], s[22:23]
	s_lshl_b64 s[44:45], s[16:17], 2
	s_lshl_b64 s[46:47], s[36:37], 2
	s_lshl_b32 s48, s38, 2
	s_mov_b64 s[52:53], s[40:41]
	s_lshl_b64 s[54:55], s[20:21], 1
	s_branch .LBB574_3
.LBB574_2:                              ;   in Loop: Header=BB574_3 Depth=1
	s_add_co_i32 s28, s28, 0x10000
	s_delay_alu instid0(SALU_CYCLE_1)
	s_cmp_lt_u32 s28, s11
	s_cbranch_scc0 .LBB574_83
.LBB574_3:                              ; =>This Loop Header: Depth=1
                                        ;     Child Loop BB574_6 Depth 2
                                        ;     Child Loop BB574_12 Depth 2
                                        ;       Child Loop BB574_43 Depth 3
                                        ;       Child Loop BB574_46 Depth 3
                                        ;     Child Loop BB574_62 Depth 2
                                        ;       Child Loop BB574_75 Depth 3
                                        ;       Child Loop BB574_78 Depth 3
	s_mov_b32 s29, s41
	s_delay_alu instid0(SALU_CYCLE_1)
	s_mul_u64 s[6:7], s[14:15], s[28:29]
	s_wait_alu 0xfffe
	s_lshl_b64 s[6:7], s[6:7], 2
	s_wait_alu 0xfffe
	s_add_nc_u64 s[6:7], s[12:13], s[6:7]
	global_load_b32 v30, v0, s[6:7]
	s_mov_b32 s6, -1
	s_wait_loadcnt 0x0
	v_cmp_neq_f32_e32 vcc_lo, 0, v30
	s_cbranch_vccnz .LBB574_8
; %bb.4:                                ;   in Loop: Header=BB574_3 Depth=1
	s_and_saveexec_b32 s8, s33
	s_cbranch_execz .LBB574_7
; %bb.5:                                ;   in Loop: Header=BB574_3 Depth=1
	s_mul_u64 s[6:7], s[44:45], s[28:29]
	s_mov_b32 s9, s35
	s_wait_alu 0xfffe
	s_add_nc_u64 s[6:7], s[42:43], s[6:7]
.LBB574_6:                              ;   Parent Loop BB574_3 Depth=1
                                        ; =>  This Inner Loop Header: Depth=2
	s_add_co_i32 s9, s9, -1
	global_store_b32 v0, v0, s[6:7]
	s_wait_alu 0xfffe
	s_cmp_eq_u32 s9, 0
	s_add_nc_u64 s[6:7], s[6:7], s[46:47]
	s_cbranch_scc0 .LBB574_6
.LBB574_7:                              ;   in Loop: Header=BB574_3 Depth=1
	s_wait_alu 0xfffe
	s_or_b32 exec_lo, exec_lo, s8
	s_mov_b32 s6, 0
.LBB574_8:                              ;   in Loop: Header=BB574_3 Depth=1
	s_wait_alu 0xfffe
	s_and_not1_b32 vcc_lo, exec_lo, s6
	s_wait_alu 0xfffe
	s_cbranch_vccnz .LBB574_2
; %bb.9:                                ;   in Loop: Header=BB574_3 Depth=1
	s_mul_u64 s[6:7], s[24:25], s[28:29]
	s_mul_u64 s[8:9], s[20:21], s[28:29]
	s_wait_alu 0xfffe
	s_lshl_b64 s[6:7], s[6:7], 1
	s_mul_u64 s[60:61], s[16:17], s[28:29]
	s_wait_alu 0xfffe
	s_add_nc_u64 s[56:57], s[18:19], s[6:7]
	s_lshl_b64 s[6:7], s[8:9], 1
	v_cmp_gt_u32_e64 s9, 24, v28
	s_wait_alu 0xfffe
	v_add_co_u32 v31, vcc_lo, v24, s6
	s_wait_alu 0xfffd
	v_add_co_ci_u32_e64 v32, null, s7, v25, vcc_lo
	v_cmp_gt_u32_e64 s8, 28, v28
	v_cmp_gt_u32_e64 s7, 30, v28
	v_cmp_ne_u32_e64 s6, 31, v28
	s_lshl_b64 s[60:61], s[60:61], 2
	s_mul_u64 s[58:59], s[54:55], s[28:29]
	s_and_not1_b32 vcc_lo, exec_lo, s72
	s_wait_alu 0xfffe
	s_add_nc_u64 s[60:61], s[26:27], s[60:61]
	s_cbranch_vccnz .LBB574_58
; %bb.10:                               ;   in Loop: Header=BB574_3 Depth=1
	v_cndmask_b32_e64 v2, 0, 4, s8
	v_cndmask_b32_e64 v3, 0, 2, s7
	v_add_co_u32 v14, vcc_lo, s56, v6
	s_wait_alu 0xfffd
	v_add_co_ci_u32_e64 v15, null, s57, v7, vcc_lo
	v_add_co_u32 v16, vcc_lo, s56, v8
	v_cndmask_b32_e64 v1, 0, 8, s9
	v_add_co_ci_u32_e64 v4, null, 0, v28, s6
	v_add_lshl_u32 v34, v2, v28, 2
	v_add_lshl_u32 v35, v3, v28, 2
	s_wait_alu 0xfffd
	v_add_co_ci_u32_e64 v17, null, s57, v9, vcc_lo
	v_add_co_u32 v18, vcc_lo, s56, v10
	v_dual_mov_b32 v2, v0 :: v_dual_mov_b32 v3, v0
	s_wait_alu 0xfffd
	v_add_co_ci_u32_e64 v19, null, s57, v11, vcc_lo
	v_add_co_u32 v20, vcc_lo, s56, v12
	v_add_lshl_u32 v33, v1, v28, 2
	v_dual_mov_b32 v1, v0 :: v_dual_lshlrev_b32 v36, 2, v4
	s_wait_alu 0xfffd
	v_add_co_ci_u32_e64 v21, null, s57, v13, vcc_lo
	v_add_co_u32 v37, vcc_lo, v24, s58
	v_mov_b32_e32 v4, v3
	s_wait_alu 0xfffd
	v_add_co_ci_u32_e64 v38, null, s59, v25, vcc_lo
	v_mov_b32_e32 v3, v2
	v_mov_b32_e32 v2, v1
	;; [unrolled: 1-line block ×3, first 2 shown]
	s_mov_b32 s8, 0
	s_mov_b64 s[62:63], s[52:53]
	s_mov_b64 s[64:65], s[50:51]
	;; [unrolled: 1-line block ×3, first 2 shown]
	s_mov_b32 s29, 0
	s_branch .LBB574_12
.LBB574_11:                             ;   in Loop: Header=BB574_12 Depth=2
	s_wait_alu 0xfffe
	s_or_b32 exec_lo, exec_lo, s6
	s_add_co_i32 s29, s29, 4
	s_add_co_i32 s8, s8, s48
	s_add_nc_u64 s[66:67], s[66:67], s[48:49]
	s_add_nc_u64 s[64:65], s[64:65], s[48:49]
	s_cmp_ge_i32 s29, s70
	s_add_nc_u64 s[62:63], s[62:63], s[48:49]
	s_cbranch_scc1 .LBB574_59
.LBB574_12:                             ;   Parent Loop BB574_3 Depth=1
                                        ; =>  This Loop Header: Depth=2
                                        ;       Child Loop BB574_43 Depth 3
                                        ;       Child Loop BB574_46 Depth 3
                                        ; implicit-def: $vgpr39
                                        ; implicit-def: $vgpr40
                                        ; implicit-def: $vgpr41
                                        ; implicit-def: $vgpr42
	s_and_saveexec_b32 s6, s1
	s_wait_alu 0xfffe
	s_xor_b32 s6, exec_lo, s6
	s_cbranch_execnz .LBB574_39
; %bb.13:                               ;   in Loop: Header=BB574_12 Depth=2
	s_wait_alu 0xfffe
	s_and_not1_saveexec_b32 s31, s6
	s_cbranch_execnz .LBB574_40
.LBB574_14:                             ;   in Loop: Header=BB574_12 Depth=2
	s_or_b32 exec_lo, exec_lo, s31
	s_and_saveexec_b32 s6, s3
.LBB574_15:                             ;   in Loop: Header=BB574_12 Depth=2
	ds_store_b32 v26, v0
.LBB574_16:                             ;   in Loop: Header=BB574_12 Depth=2
	s_wait_alu 0xfffe
	s_or_b32 exec_lo, exec_lo, s6
	s_wait_dscnt 0x0
	ds_bpermute_b32 v22, v29, v42
	s_wait_storecnt_dscnt 0x0
	s_barrier_signal -1
	s_barrier_wait -1
	global_inv scope:SCOPE_SE
	v_add_f32_e32 v22, v42, v22
	ds_bpermute_b32 v23, v33, v22
	s_wait_dscnt 0x0
	v_add_f32_e32 v22, v22, v23
	ds_bpermute_b32 v23, v34, v22
	s_wait_dscnt 0x0
	;; [unrolled: 3-line block ×3, first 2 shown]
	v_add_f32_e32 v22, v22, v23
	ds_bpermute_b32 v23, v36, v22
	s_and_saveexec_b32 s6, s4
	s_cbranch_execz .LBB574_18
; %bb.17:                               ;   in Loop: Header=BB574_12 Depth=2
	s_wait_dscnt 0x0
	v_add_f32_e32 v22, v22, v23
	ds_store_b32 v27, v22
.LBB574_18:                             ;   in Loop: Header=BB574_12 Depth=2
	s_wait_alu 0xfffe
	s_or_b32 exec_lo, exec_lo, s6
	v_mov_b32_e32 v22, 0
	s_wait_loadcnt_dscnt 0x0
	s_barrier_signal -1
	s_barrier_wait -1
	global_inv scope:SCOPE_SE
	s_and_saveexec_b32 s6, s5
	s_cbranch_execnz .LBB574_47
; %bb.19:                               ;   in Loop: Header=BB574_12 Depth=2
	s_wait_alu 0xfffe
	s_or_b32 exec_lo, exec_lo, s6
	s_and_saveexec_b32 s6, s3
	s_cbranch_execnz .LBB574_48
.LBB574_20:                             ;   in Loop: Header=BB574_12 Depth=2
	s_wait_alu 0xfffe
	s_or_b32 exec_lo, exec_lo, s6
	s_and_saveexec_b32 s6, s3
.LBB574_21:                             ;   in Loop: Header=BB574_12 Depth=2
	ds_store_b32 v26, v0
.LBB574_22:                             ;   in Loop: Header=BB574_12 Depth=2
	s_wait_alu 0xfffe
	s_or_b32 exec_lo, exec_lo, s6
	ds_bpermute_b32 v23, v29, v41
	s_wait_loadcnt_dscnt 0x0
	s_barrier_signal -1
	s_barrier_wait -1
	global_inv scope:SCOPE_SE
	v_add_f32_e32 v23, v41, v23
	ds_bpermute_b32 v41, v33, v23
	s_wait_dscnt 0x0
	v_add_f32_e32 v23, v23, v41
	ds_bpermute_b32 v41, v34, v23
	s_wait_dscnt 0x0
	;; [unrolled: 3-line block ×3, first 2 shown]
	v_add_f32_e32 v23, v23, v41
	ds_bpermute_b32 v41, v36, v23
	s_and_saveexec_b32 s6, s4
	s_cbranch_execz .LBB574_24
; %bb.23:                               ;   in Loop: Header=BB574_12 Depth=2
	s_wait_dscnt 0x0
	v_add_f32_e32 v23, v23, v41
	ds_store_b32 v27, v23
.LBB574_24:                             ;   in Loop: Header=BB574_12 Depth=2
	s_wait_alu 0xfffe
	s_or_b32 exec_lo, exec_lo, s6
	v_mov_b32_e32 v23, 0
	s_wait_loadcnt_dscnt 0x0
	s_barrier_signal -1
	s_barrier_wait -1
	global_inv scope:SCOPE_SE
	s_and_saveexec_b32 s6, s5
	s_cbranch_execnz .LBB574_49
; %bb.25:                               ;   in Loop: Header=BB574_12 Depth=2
	s_wait_alu 0xfffe
	s_or_b32 exec_lo, exec_lo, s6
	s_and_saveexec_b32 s6, s3
	s_cbranch_execnz .LBB574_50
.LBB574_26:                             ;   in Loop: Header=BB574_12 Depth=2
	s_wait_alu 0xfffe
	s_or_b32 exec_lo, exec_lo, s6
	s_and_saveexec_b32 s6, s3
.LBB574_27:                             ;   in Loop: Header=BB574_12 Depth=2
	ds_store_b32 v26, v0
.LBB574_28:                             ;   in Loop: Header=BB574_12 Depth=2
	s_wait_alu 0xfffe
	s_or_b32 exec_lo, exec_lo, s6
	ds_bpermute_b32 v41, v29, v40
	s_wait_loadcnt_dscnt 0x0
	s_barrier_signal -1
	s_barrier_wait -1
	global_inv scope:SCOPE_SE
	v_add_f32_e32 v40, v40, v41
	ds_bpermute_b32 v41, v33, v40
	s_wait_dscnt 0x0
	v_add_f32_e32 v40, v40, v41
	ds_bpermute_b32 v41, v34, v40
	s_wait_dscnt 0x0
	;; [unrolled: 3-line block ×3, first 2 shown]
	v_add_f32_e32 v40, v40, v41
	ds_bpermute_b32 v41, v36, v40
	s_and_saveexec_b32 s6, s4
	s_cbranch_execz .LBB574_30
; %bb.29:                               ;   in Loop: Header=BB574_12 Depth=2
	s_wait_dscnt 0x0
	v_add_f32_e32 v40, v40, v41
	ds_store_b32 v27, v40
.LBB574_30:                             ;   in Loop: Header=BB574_12 Depth=2
	s_wait_alu 0xfffe
	s_or_b32 exec_lo, exec_lo, s6
	v_mov_b32_e32 v40, 0
	s_wait_loadcnt_dscnt 0x0
	s_barrier_signal -1
	s_barrier_wait -1
	global_inv scope:SCOPE_SE
	s_and_saveexec_b32 s6, s5
	s_cbranch_execnz .LBB574_51
; %bb.31:                               ;   in Loop: Header=BB574_12 Depth=2
	s_wait_alu 0xfffe
	s_or_b32 exec_lo, exec_lo, s6
	s_and_saveexec_b32 s6, s3
	s_cbranch_execnz .LBB574_52
.LBB574_32:                             ;   in Loop: Header=BB574_12 Depth=2
	s_wait_alu 0xfffe
	s_or_b32 exec_lo, exec_lo, s6
	s_and_saveexec_b32 s6, s3
.LBB574_33:                             ;   in Loop: Header=BB574_12 Depth=2
	ds_store_b32 v26, v0
.LBB574_34:                             ;   in Loop: Header=BB574_12 Depth=2
	s_wait_alu 0xfffe
	s_or_b32 exec_lo, exec_lo, s6
	ds_bpermute_b32 v41, v29, v39
	s_wait_loadcnt_dscnt 0x0
	s_barrier_signal -1
	s_barrier_wait -1
	global_inv scope:SCOPE_SE
	v_add_f32_e32 v39, v39, v41
	ds_bpermute_b32 v41, v33, v39
	s_wait_dscnt 0x0
	v_add_f32_e32 v39, v39, v41
	ds_bpermute_b32 v41, v34, v39
	s_wait_dscnt 0x0
	;; [unrolled: 3-line block ×3, first 2 shown]
	v_add_f32_e32 v39, v39, v41
	ds_bpermute_b32 v41, v36, v39
	s_and_saveexec_b32 s6, s4
	s_cbranch_execz .LBB574_36
; %bb.35:                               ;   in Loop: Header=BB574_12 Depth=2
	s_wait_dscnt 0x0
	v_add_f32_e32 v39, v39, v41
	ds_store_b32 v27, v39
.LBB574_36:                             ;   in Loop: Header=BB574_12 Depth=2
	s_wait_alu 0xfffe
	s_or_b32 exec_lo, exec_lo, s6
	v_mov_b32_e32 v39, 0
	s_wait_loadcnt_dscnt 0x0
	s_barrier_signal -1
	s_barrier_wait -1
	global_inv scope:SCOPE_SE
	s_and_saveexec_b32 s6, s5
	s_cbranch_execnz .LBB574_53
; %bb.37:                               ;   in Loop: Header=BB574_12 Depth=2
	s_wait_alu 0xfffe
	s_or_b32 exec_lo, exec_lo, s6
	s_and_saveexec_b32 s6, s3
	s_cbranch_execnz .LBB574_54
.LBB574_38:                             ;   in Loop: Header=BB574_12 Depth=2
	s_wait_alu 0xfffe
	s_or_b32 exec_lo, exec_lo, s6
	s_and_saveexec_b32 s6, s0
	s_cbranch_execz .LBB574_11
	s_branch .LBB574_55
.LBB574_39:                             ;   in Loop: Header=BB574_12 Depth=2
	s_mul_i32 s68, s29, s38
	s_wait_alu 0xfffe
	s_ashr_i32 s69, s68, 31
	s_add_co_i32 s74, s68, s38
	s_wait_alu 0xfffe
	s_lshl_b64 s[68:69], s[68:69], 1
	s_ashr_i32 s75, s74, 31
	s_wait_alu 0xfffe
	v_add_co_u32 v1, vcc_lo, v31, s68
	s_wait_alu 0xfffd
	v_add_co_ci_u32_e64 v2, null, s69, v32, vcc_lo
	s_lshl_b64 s[68:69], s[74:75], 1
	s_wait_alu 0xfffe
	v_add_co_u32 v3, vcc_lo, v31, s68
	s_add_co_i32 s68, s74, s38
	s_wait_alu 0xfffd
	v_add_co_ci_u32_e64 v4, null, s69, v32, vcc_lo
	s_wait_alu 0xfffe
	s_ashr_i32 s69, s68, 31
	s_add_co_i32 s74, s68, s38
	s_wait_alu 0xfffe
	s_lshl_b64 s[68:69], s[68:69], 1
	s_wait_dscnt 0x0
	s_clause 0x1
	global_load_b64 v[22:23], v[1:2], off
	global_load_b64 v[39:40], v[3:4], off
	s_ashr_i32 s75, s74, 31
	s_wait_alu 0xfffe
	v_add_co_u32 v1, vcc_lo, v31, s68
	s_wait_alu 0xfffd
	v_add_co_ci_u32_e64 v2, null, s69, v32, vcc_lo
	s_lshl_b64 s[68:69], s[74:75], 1
	s_clause 0x2
	global_load_u16 v45, v[14:15], off
	global_load_u16 v46, v[16:17], off
	;; [unrolled: 1-line block ×3, first 2 shown]
	s_wait_alu 0xfffe
	v_add_co_u32 v3, vcc_lo, v31, s68
	s_wait_alu 0xfffd
	v_add_co_ci_u32_e64 v4, null, s69, v32, vcc_lo
	s_clause 0x1
	global_load_b64 v[41:42], v[1:2], off
	global_load_b64 v[43:44], v[3:4], off
	global_load_u16 v4, v[20:21], off
	s_wait_loadcnt 0x2
	v_and_b32_e32 v51, 0xffff0000, v41
	v_and_b32_e32 v53, 0xffff0000, v42
	s_wait_loadcnt 0x0
	v_lshlrev_b32_e32 v4, 16, v4
	v_lshlrev_b32_e32 v3, 16, v47
	;; [unrolled: 1-line block ×9, first 2 shown]
	v_and_b32_e32 v43, 0xffff0000, v43
	v_fma_f32 v42, v1, v45, 0
	v_and_b32_e32 v45, 0xffff0000, v44
	v_and_b32_e32 v48, 0xffff0000, v39
	;; [unrolled: 1-line block ×3, first 2 shown]
	s_delay_alu instid0(VALU_DEP_1) | instskip(SKIP_2) | instid1(VALU_DEP_2)
	v_dual_fmac_f32 v42, v2, v22 :: v_dual_lshlrev_b32 v39, 16, v41
	v_fma_f32 v41, v1, v47, 0
	v_lshlrev_b32_e32 v22, 16, v44
	v_fmac_f32_e32 v41, v2, v48
	s_delay_alu instid0(VALU_DEP_1) | instskip(SKIP_2) | instid1(VALU_DEP_2)
	v_dual_fmac_f32 v41, v3, v49 :: v_dual_and_b32 v50, 0xffff0000, v40
	v_fma_f32 v40, v1, v39, 0
	v_fma_f32 v39, v54, v1, 0
	v_fmac_f32_e32 v40, v2, v51
	s_delay_alu instid0(VALU_DEP_2) | instskip(SKIP_1) | instid1(VALU_DEP_3)
	v_fmac_f32_e32 v39, v2, v43
	v_dual_fmac_f32 v41, v4, v50 :: v_dual_lshlrev_b32 v46, 16, v23
	v_fmac_f32_e32 v40, v3, v52
	s_delay_alu instid0(VALU_DEP_1) | instskip(NEXT) | instid1(VALU_DEP_3)
	v_dual_fmac_f32 v40, v4, v53 :: v_dual_and_b32 v23, 0xffff0000, v23
	v_dual_fmac_f32 v42, v3, v46 :: v_dual_fmac_f32 v39, v22, v3
	s_delay_alu instid0(VALU_DEP_1) | instskip(NEXT) | instid1(VALU_DEP_2)
	v_fmac_f32_e32 v42, v4, v23
	v_fmac_f32_e32 v39, v4, v45
	s_and_not1_saveexec_b32 s31, s6
	s_cbranch_execz .LBB574_14
.LBB574_40:                             ;   in Loop: Header=BB574_12 Depth=2
	s_wait_dscnt 0x0
	v_dual_mov_b32 v39, 0 :: v_dual_mov_b32 v40, 0
	v_dual_mov_b32 v41, 0 :: v_dual_mov_b32 v42, 0
	s_and_saveexec_b32 s40, s2
	s_cbranch_execz .LBB574_57
; %bb.41:                               ;   in Loop: Header=BB574_12 Depth=2
	s_and_not1_b32 vcc_lo, exec_lo, s34
	s_wait_alu 0xfffe
	s_cbranch_vccnz .LBB574_44
; %bb.42:                               ;   in Loop: Header=BB574_12 Depth=2
	v_mov_b32_e32 v22, v5
	s_mov_b64 s[68:69], 0
.LBB574_43:                             ;   Parent Loop BB574_3 Depth=1
                                        ;     Parent Loop BB574_12 Depth=2
                                        ; =>    This Inner Loop Header: Depth=3
	s_delay_alu instid0(VALU_DEP_1) | instskip(SKIP_2) | instid1(VALU_DEP_1)
	v_ashrrev_i32_e32 v23, 31, v22
	s_wait_alu 0xfffe
	s_cmp_eq_u32 s68, 3
	v_lshlrev_b64_e32 v[39:40], 1, v[22:23]
	s_delay_alu instid0(VALU_DEP_1) | instskip(SKIP_1) | instid1(VALU_DEP_2)
	v_add_co_u32 v39, vcc_lo, s56, v39
	s_wait_alu 0xfffd
	v_add_co_ci_u32_e64 v40, null, s57, v40, vcc_lo
	s_cselect_b32 vcc_lo, -1, 0
	s_cmp_eq_u32 s68, 2
	s_cselect_b32 s6, -1, 0
	global_load_u16 v23, v[39:40], off
	s_cmp_eq_u32 s68, 1
	s_cselect_b32 s7, -1, 0
	s_cmp_eq_u32 s68, 0
	s_add_nc_u64 s[68:69], s[68:69], 1
	s_wait_loadcnt 0x0
	v_lshlrev_b32_e32 v23, 16, v23
	s_wait_alu 0xfffe
	s_delay_alu instid0(VALU_DEP_1)
	v_cndmask_b32_e32 v4, v4, v23, vcc_lo
	s_cselect_b32 vcc_lo, -1, 0
	s_wait_alu 0xfffe
	v_dual_cndmask_b32 v1, v1, v23 :: v_dual_add_nc_u32 v22, s10, v22
	v_cndmask_b32_e64 v3, v3, v23, s6
	v_cndmask_b32_e64 v2, v2, v23, s7
	s_cmp_eq_u32 s71, s68
	s_cbranch_scc0 .LBB574_43
.LBB574_44:                             ;   in Loop: Header=BB574_12 Depth=2
	s_and_not1_b32 vcc_lo, exec_lo, s34
	s_wait_alu 0xfffe
	s_cbranch_vccnz .LBB574_56
; %bb.45:                               ;   in Loop: Header=BB574_12 Depth=2
	s_ashr_i32 s9, s8, 31
	v_dual_mov_b32 v42, 0 :: v_dual_mov_b32 v41, 0
	s_wait_alu 0xfffe
	s_lshl_b64 s[6:7], s[8:9], 1
	v_dual_mov_b32 v40, 0 :: v_dual_mov_b32 v39, 0
	s_wait_alu 0xfffe
	v_add_co_u32 v22, vcc_lo, v37, s6
	s_wait_alu 0xfffd
	v_add_co_ci_u32_e64 v23, null, s7, v38, vcc_lo
	s_mov_b64 s[68:69], 0
.LBB574_46:                             ;   Parent Loop BB574_3 Depth=1
                                        ;     Parent Loop BB574_12 Depth=2
                                        ; =>    This Inner Loop Header: Depth=3
	s_wait_alu 0xfffe
	s_cmp_eq_u32 s68, 1
	s_cselect_b32 vcc_lo, -1, 0
	s_cmp_eq_u32 s68, 2
	s_wait_alu 0xfffe
	v_cndmask_b32_e32 v43, v1, v2, vcc_lo
	s_cselect_b32 vcc_lo, -1, 0
	s_cmp_eq_u32 s68, 3
	s_wait_alu 0xfffe
	s_delay_alu instid0(VALU_DEP_1)
	v_cndmask_b32_e32 v49, v43, v3, vcc_lo
	s_cselect_b32 vcc_lo, -1, 0
	s_add_co_i32 s6, s66, s68
	s_add_co_i32 s74, s64, s68
	s_wait_alu 0xfffe
	s_ashr_i32 s7, s6, 31
	s_add_co_i32 s76, s62, s68
	s_ashr_i32 s75, s74, 31
	s_wait_alu 0xfffe
	s_lshl_b64 s[6:7], s[6:7], 1
	s_ashr_i32 s77, s76, 31
	s_lshl_b64 s[74:75], s[74:75], 1
	s_wait_alu 0xfffe
	v_add_co_u32 v43, s6, v31, s6
	s_lshl_b64 s[76:77], s[76:77], 1
	v_add_co_ci_u32_e64 v44, null, s7, v32, s6
	v_add_co_u32 v45, s6, v31, s74
	s_wait_alu 0xf1ff
	v_add_co_ci_u32_e64 v46, null, s75, v32, s6
	s_wait_alu 0xfffe
	v_add_co_u32 v47, s6, v31, s76
	s_wait_alu 0xf1ff
	v_add_co_ci_u32_e64 v48, null, s77, v32, s6
	global_load_u16 v50, v[22:23], off
	s_clause 0x2
	global_load_u16 v43, v[43:44], off
	global_load_u16 v44, v[45:46], off
	;; [unrolled: 1-line block ×3, first 2 shown]
	v_cndmask_b32_e32 v46, v49, v4, vcc_lo
	v_add_co_u32 v22, s6, v22, 2
	s_wait_alu 0xf1ff
	v_add_co_ci_u32_e64 v23, null, 0, v23, s6
	s_add_nc_u64 s[68:69], s[68:69], 1
	s_wait_alu 0xfffe
	s_cmp_lg_u32 s71, s68
	s_wait_loadcnt 0x3
	v_lshlrev_b32_e32 v47, 16, v50
	s_wait_loadcnt 0x2
	v_lshlrev_b32_e32 v43, 16, v43
	;; [unrolled: 2-line block ×3, first 2 shown]
	s_wait_loadcnt 0x0
	v_dual_fmac_f32 v42, v46, v47 :: v_dual_lshlrev_b32 v45, 16, v45
	v_fmac_f32_e32 v41, v46, v43
	s_delay_alu instid0(VALU_DEP_3) | instskip(NEXT) | instid1(VALU_DEP_3)
	v_fmac_f32_e32 v40, v46, v44
	v_fmac_f32_e32 v39, v46, v45
	s_cbranch_scc1 .LBB574_46
	s_branch .LBB574_57
.LBB574_47:                             ;   in Loop: Header=BB574_12 Depth=2
	ds_load_b32 v22, v26
	s_wait_alu 0xfffe
	s_or_b32 exec_lo, exec_lo, s6
	s_and_saveexec_b32 s6, s3
	s_cbranch_execz .LBB574_20
.LBB574_48:                             ;   in Loop: Header=BB574_12 Depth=2
	s_wait_dscnt 0x0
	ds_bpermute_b32 v23, v34, v22
	s_wait_dscnt 0x0
	v_add_f32_e32 v22, v22, v23
	ds_bpermute_b32 v23, v35, v22
	s_wait_dscnt 0x0
	v_add_f32_e32 v22, v22, v23
	;; [unrolled: 3-line block ×3, first 2 shown]
	s_wait_alu 0xfffe
	s_or_b32 exec_lo, exec_lo, s6
	s_and_saveexec_b32 s6, s3
	s_cbranch_execnz .LBB574_21
	s_branch .LBB574_22
.LBB574_49:                             ;   in Loop: Header=BB574_12 Depth=2
	ds_load_b32 v23, v26
	s_wait_alu 0xfffe
	s_or_b32 exec_lo, exec_lo, s6
	s_and_saveexec_b32 s6, s3
	s_cbranch_execz .LBB574_26
.LBB574_50:                             ;   in Loop: Header=BB574_12 Depth=2
	s_wait_dscnt 0x0
	ds_bpermute_b32 v41, v34, v23
	s_wait_dscnt 0x0
	v_add_f32_e32 v23, v23, v41
	ds_bpermute_b32 v41, v35, v23
	s_wait_dscnt 0x0
	v_add_f32_e32 v23, v23, v41
	;; [unrolled: 3-line block ×3, first 2 shown]
	s_wait_alu 0xfffe
	s_or_b32 exec_lo, exec_lo, s6
	s_and_saveexec_b32 s6, s3
	s_cbranch_execnz .LBB574_27
	s_branch .LBB574_28
.LBB574_51:                             ;   in Loop: Header=BB574_12 Depth=2
	ds_load_b32 v40, v26
	s_wait_alu 0xfffe
	s_or_b32 exec_lo, exec_lo, s6
	s_and_saveexec_b32 s6, s3
	s_cbranch_execz .LBB574_32
.LBB574_52:                             ;   in Loop: Header=BB574_12 Depth=2
	s_wait_dscnt 0x0
	ds_bpermute_b32 v41, v34, v40
	s_wait_dscnt 0x0
	v_add_f32_e32 v40, v40, v41
	ds_bpermute_b32 v41, v35, v40
	s_wait_dscnt 0x0
	v_add_f32_e32 v40, v40, v41
	;; [unrolled: 3-line block ×3, first 2 shown]
	s_wait_alu 0xfffe
	s_or_b32 exec_lo, exec_lo, s6
	s_and_saveexec_b32 s6, s3
	s_cbranch_execnz .LBB574_33
	s_branch .LBB574_34
.LBB574_53:                             ;   in Loop: Header=BB574_12 Depth=2
	ds_load_b32 v39, v26
	s_wait_alu 0xfffe
	s_or_b32 exec_lo, exec_lo, s6
	s_and_saveexec_b32 s6, s3
	s_cbranch_execz .LBB574_38
.LBB574_54:                             ;   in Loop: Header=BB574_12 Depth=2
	s_wait_dscnt 0x0
	ds_bpermute_b32 v41, v34, v39
	s_wait_dscnt 0x0
	v_add_f32_e32 v39, v39, v41
	ds_bpermute_b32 v41, v35, v39
	s_wait_dscnt 0x0
	v_add_f32_e32 v39, v39, v41
	;; [unrolled: 3-line block ×3, first 2 shown]
	s_wait_alu 0xfffe
	s_or_b32 exec_lo, exec_lo, s6
	s_and_saveexec_b32 s6, s0
	s_cbranch_execz .LBB574_11
.LBB574_55:                             ;   in Loop: Header=BB574_12 Depth=2
	s_mul_i32 s7, s29, s36
	v_mul_f32_e32 v22, v30, v22
	s_wait_alu 0xfffe
	s_add_co_i32 s40, s7, s30
	v_mul_f32_e32 v23, v30, v23
	s_wait_alu 0xfffe
	s_lshl_b64 s[68:69], s[40:41], 2
	s_add_co_i32 s40, s40, s36
	s_wait_alu 0xfffe
	s_add_nc_u64 s[68:69], s[60:61], s[68:69]
	s_lshl_b64 s[74:75], s[40:41], 2
	s_add_co_i32 s40, s40, s36
	s_wait_alu 0xfffe
	s_add_nc_u64 s[74:75], s[60:61], s[74:75]
	s_clause 0x1
	global_store_b32 v0, v22, s[68:69]
	global_store_b32 v0, v23, s[74:75]
	v_mul_f32_e32 v22, v30, v40
	s_lshl_b64 s[68:69], s[40:41], 2
	s_add_co_i32 s40, s40, s36
	s_wait_dscnt 0x0
	v_mul_f32_e32 v23, v30, v39
	s_wait_alu 0xfffe
	s_lshl_b64 s[74:75], s[40:41], 2
	s_add_nc_u64 s[68:69], s[60:61], s[68:69]
	s_wait_alu 0xfffe
	s_add_nc_u64 s[74:75], s[60:61], s[74:75]
	s_clause 0x1
	global_store_b32 v0, v22, s[68:69]
	global_store_b32 v0, v23, s[74:75]
	s_branch .LBB574_11
.LBB574_56:                             ;   in Loop: Header=BB574_12 Depth=2
	v_dual_mov_b32 v39, 0 :: v_dual_mov_b32 v40, 0
	v_dual_mov_b32 v41, 0 :: v_dual_mov_b32 v42, 0
.LBB574_57:                             ;   in Loop: Header=BB574_12 Depth=2
	s_wait_alu 0xfffe
	s_or_b32 exec_lo, exec_lo, s40
	s_delay_alu instid0(SALU_CYCLE_1)
	s_or_b32 exec_lo, exec_lo, s31
	s_and_saveexec_b32 s6, s3
	s_cbranch_execnz .LBB574_15
	s_branch .LBB574_16
.LBB574_58:                             ;   in Loop: Header=BB574_3 Depth=1
	v_mov_b32_e32 v3, v0
	v_dual_mov_b32 v1, v0 :: v_dual_mov_b32 v2, v0
	s_mov_b32 s29, 0
	s_delay_alu instid0(VALU_DEP_2) | instskip(NEXT) | instid1(VALU_DEP_2)
	v_mov_b32_e32 v4, v3
	v_mov_b32_e32 v3, v2
	s_delay_alu instid0(VALU_DEP_3)
	v_mov_b32_e32 v2, v1
	v_mov_b32_e32 v1, v0
.LBB574_59:                             ;   in Loop: Header=BB574_3 Depth=1
	s_cmp_ge_i32 s29, s35
	s_cbranch_scc1 .LBB574_2
; %bb.60:                               ;   in Loop: Header=BB574_3 Depth=1
	v_cmp_gt_u32_e32 vcc_lo, 24, v28
	s_wait_alu 0xfffe
	s_add_nc_u64 s[8:9], s[60:61], s[22:23]
	s_mov_b32 s40, s29
	s_wait_alu 0xfffd
	v_cndmask_b32_e64 v14, 0, 8, vcc_lo
	v_cmp_gt_u32_e32 vcc_lo, 28, v28
	s_delay_alu instid0(VALU_DEP_2) | instskip(SKIP_3) | instid1(VALU_DEP_2)
	v_add_lshl_u32 v33, v14, v28, 2
	s_wait_alu 0xfffd
	v_cndmask_b32_e64 v15, 0, 4, vcc_lo
	v_cmp_gt_u32_e32 vcc_lo, 30, v28
	v_add_lshl_u32 v34, v15, v28, 2
	s_wait_alu 0xfffd
	v_cndmask_b32_e64 v16, 0, 2, vcc_lo
	v_cmp_ne_u32_e32 vcc_lo, 31, v28
	s_delay_alu instid0(VALU_DEP_2)
	v_add_lshl_u32 v35, v16, v28, 2
	s_wait_alu 0xfffd
	v_add_co_ci_u32_e64 v17, null, 0, v28, vcc_lo
	v_add_co_u32 v14, vcc_lo, s56, v6
	s_wait_alu 0xfffd
	v_add_co_ci_u32_e64 v15, null, s57, v7, vcc_lo
	v_add_co_u32 v16, vcc_lo, s56, v8
	v_lshlrev_b32_e32 v36, 2, v17
	s_wait_alu 0xfffd
	v_add_co_ci_u32_e64 v17, null, s57, v9, vcc_lo
	v_add_co_u32 v18, vcc_lo, s56, v10
	s_wait_alu 0xfffd
	v_add_co_ci_u32_e64 v19, null, s57, v11, vcc_lo
	v_add_co_u32 v20, vcc_lo, s56, v12
	;; [unrolled: 3-line block ×3, first 2 shown]
	s_wait_alu 0xfffd
	v_add_co_ci_u32_e64 v38, null, s59, v25, vcc_lo
	s_mul_i32 s58, s38, s29
	s_branch .LBB574_62
.LBB574_61:                             ;   in Loop: Header=BB574_62 Depth=2
	s_wait_alu 0xfffe
	s_or_b32 exec_lo, exec_lo, s6
	s_add_co_i32 s40, s40, 1
	s_add_co_i32 s58, s58, s38
	s_wait_alu 0xfffe
	s_cmp_ge_i32 s40, s35
	s_cbranch_scc1 .LBB574_2
.LBB574_62:                             ;   Parent Loop BB574_3 Depth=1
                                        ; =>  This Loop Header: Depth=2
                                        ;       Child Loop BB574_75 Depth 3
                                        ;       Child Loop BB574_78 Depth 3
	s_wait_dscnt 0x0
	v_mov_b32_e32 v39, s41
	s_and_saveexec_b32 s6, s1
	s_wait_alu 0xfffe
	s_xor_b32 s6, exec_lo, s6
	s_cbranch_execnz .LBB574_71
; %bb.63:                               ;   in Loop: Header=BB574_62 Depth=2
	s_wait_alu 0xfffe
	s_and_not1_saveexec_b32 s29, s6
	s_cbranch_execnz .LBB574_72
.LBB574_64:                             ;   in Loop: Header=BB574_62 Depth=2
	s_or_b32 exec_lo, exec_lo, s29
	s_and_saveexec_b32 s6, s3
.LBB574_65:                             ;   in Loop: Header=BB574_62 Depth=2
	ds_store_b32 v26, v0
.LBB574_66:                             ;   in Loop: Header=BB574_62 Depth=2
	s_wait_alu 0xfffe
	s_or_b32 exec_lo, exec_lo, s6
	ds_bpermute_b32 v22, v29, v39
	s_wait_storecnt 0x0
	s_wait_loadcnt_dscnt 0x0
	s_barrier_signal -1
	s_barrier_wait -1
	global_inv scope:SCOPE_SE
	v_add_f32_e32 v22, v39, v22
	ds_bpermute_b32 v23, v33, v22
	s_wait_dscnt 0x0
	v_add_f32_e32 v22, v22, v23
	ds_bpermute_b32 v23, v34, v22
	s_wait_dscnt 0x0
	;; [unrolled: 3-line block ×3, first 2 shown]
	v_add_f32_e32 v22, v22, v23
	ds_bpermute_b32 v23, v36, v22
	s_and_saveexec_b32 s6, s4
	s_cbranch_execz .LBB574_68
; %bb.67:                               ;   in Loop: Header=BB574_62 Depth=2
	s_wait_dscnt 0x0
	v_add_f32_e32 v22, v22, v23
	ds_store_b32 v27, v22
.LBB574_68:                             ;   in Loop: Header=BB574_62 Depth=2
	s_wait_alu 0xfffe
	s_or_b32 exec_lo, exec_lo, s6
	v_mov_b32_e32 v22, 0
	s_wait_loadcnt_dscnt 0x0
	s_barrier_signal -1
	s_barrier_wait -1
	global_inv scope:SCOPE_SE
	s_and_saveexec_b32 s6, s5
	s_cbranch_execnz .LBB574_80
; %bb.69:                               ;   in Loop: Header=BB574_62 Depth=2
	s_wait_alu 0xfffe
	s_or_b32 exec_lo, exec_lo, s6
	s_and_saveexec_b32 s6, s3
	s_cbranch_execnz .LBB574_81
.LBB574_70:                             ;   in Loop: Header=BB574_62 Depth=2
	s_wait_alu 0xfffe
	s_or_b32 exec_lo, exec_lo, s6
	s_and_saveexec_b32 s6, s0
	s_cbranch_execz .LBB574_61
	s_branch .LBB574_82
.LBB574_71:                             ;   in Loop: Header=BB574_62 Depth=2
	s_mul_i32 s60, s40, s38
	s_wait_alu 0xfffe
	s_ashr_i32 s61, s60, 31
	s_wait_alu 0xfffe
	s_lshl_b64 s[60:61], s[60:61], 1
	s_wait_alu 0xfffe
	v_add_co_u32 v1, vcc_lo, v31, s60
	s_wait_alu 0xfffd
	v_add_co_ci_u32_e64 v2, null, s61, v32, vcc_lo
	global_load_u16 v3, v[14:15], off
	global_load_b64 v[22:23], v[1:2], off
	s_clause 0x2
	global_load_u16 v2, v[16:17], off
	global_load_u16 v4, v[18:19], off
	;; [unrolled: 1-line block ×3, first 2 shown]
	s_wait_loadcnt 0x4
	v_lshlrev_b32_e32 v1, 16, v3
	s_wait_loadcnt 0x3
	v_lshlrev_b32_e32 v3, 16, v22
	v_and_b32_e32 v22, 0xffff0000, v22
	s_delay_alu instid0(VALU_DEP_2)
	v_fma_f32 v39, v1, v3, 0
	s_wait_loadcnt 0x1
	v_lshlrev_b32_e32 v3, 16, v4
	s_wait_loadcnt 0x0
	v_lshlrev_b32_e32 v4, 16, v40
	v_lshlrev_b32_e32 v2, 16, v2
	s_delay_alu instid0(VALU_DEP_1) | instskip(SKIP_1) | instid1(VALU_DEP_2)
	v_dual_fmac_f32 v39, v2, v22 :: v_dual_lshlrev_b32 v22, 16, v23
	v_and_b32_e32 v23, 0xffff0000, v23
	v_fmac_f32_e32 v39, v3, v22
	s_delay_alu instid0(VALU_DEP_1)
	v_fmac_f32_e32 v39, v4, v23
	s_and_not1_saveexec_b32 s29, s6
	s_cbranch_execz .LBB574_64
.LBB574_72:                             ;   in Loop: Header=BB574_62 Depth=2
	s_and_saveexec_b32 s31, s2
	s_cbranch_execz .LBB574_79
; %bb.73:                               ;   in Loop: Header=BB574_62 Depth=2
	s_and_not1_b32 vcc_lo, exec_lo, s34
	s_wait_alu 0xfffe
	s_cbranch_vccnz .LBB574_76
; %bb.74:                               ;   in Loop: Header=BB574_62 Depth=2
	v_mov_b32_e32 v22, v5
	s_mov_b64 s[60:61], 0
.LBB574_75:                             ;   Parent Loop BB574_3 Depth=1
                                        ;     Parent Loop BB574_62 Depth=2
                                        ; =>    This Inner Loop Header: Depth=3
	s_delay_alu instid0(VALU_DEP_1) | instskip(SKIP_2) | instid1(VALU_DEP_1)
	v_ashrrev_i32_e32 v23, 31, v22
	s_wait_alu 0xfffe
	s_cmp_eq_u32 s60, 3
	v_lshlrev_b64_e32 v[40:41], 1, v[22:23]
	s_delay_alu instid0(VALU_DEP_1) | instskip(SKIP_1) | instid1(VALU_DEP_2)
	v_add_co_u32 v40, vcc_lo, s56, v40
	s_wait_alu 0xfffd
	v_add_co_ci_u32_e64 v41, null, s57, v41, vcc_lo
	s_cselect_b32 vcc_lo, -1, 0
	s_cmp_eq_u32 s60, 2
	s_cselect_b32 s6, -1, 0
	global_load_u16 v23, v[40:41], off
	s_cmp_eq_u32 s60, 1
	s_cselect_b32 s7, -1, 0
	s_cmp_eq_u32 s60, 0
	s_add_nc_u64 s[60:61], s[60:61], 1
	s_wait_loadcnt 0x0
	v_lshlrev_b32_e32 v23, 16, v23
	s_wait_alu 0xfffe
	s_delay_alu instid0(VALU_DEP_1)
	v_cndmask_b32_e32 v4, v4, v23, vcc_lo
	s_cselect_b32 vcc_lo, -1, 0
	s_wait_alu 0xfffe
	v_dual_cndmask_b32 v1, v1, v23 :: v_dual_add_nc_u32 v22, s10, v22
	v_cndmask_b32_e64 v3, v3, v23, s6
	v_cndmask_b32_e64 v2, v2, v23, s7
	s_cmp_eq_u32 s71, s60
	s_cbranch_scc0 .LBB574_75
.LBB574_76:                             ;   in Loop: Header=BB574_62 Depth=2
	s_and_not1_b32 vcc_lo, exec_lo, s34
	s_wait_alu 0xfffe
	s_cbranch_vccnz .LBB574_79
; %bb.77:                               ;   in Loop: Header=BB574_62 Depth=2
	s_ashr_i32 s59, s58, 31
	s_wait_alu 0xfffe
	s_lshl_b64 s[6:7], s[58:59], 1
	s_wait_alu 0xfffe
	v_add_co_u32 v22, vcc_lo, v37, s6
	s_wait_alu 0xfffd
	v_add_co_ci_u32_e64 v23, null, s7, v38, vcc_lo
	s_mov_b64 s[6:7], 0
.LBB574_78:                             ;   Parent Loop BB574_3 Depth=1
                                        ;     Parent Loop BB574_62 Depth=2
                                        ; =>    This Inner Loop Header: Depth=3
	global_load_u16 v40, v[22:23], off
	s_wait_alu 0xfffe
	s_cmp_eq_u32 s6, 1
	s_cselect_b32 vcc_lo, -1, 0
	s_cmp_eq_u32 s6, 2
	s_wait_alu 0xfffe
	v_cndmask_b32_e32 v41, v1, v2, vcc_lo
	s_cselect_b32 vcc_lo, -1, 0
	s_cmp_eq_u32 s6, 3
	s_add_nc_u64 s[6:7], s[6:7], 1
	s_wait_loadcnt 0x0
	s_wait_alu 0xfffe
	v_dual_cndmask_b32 v41, v41, v3 :: v_dual_lshlrev_b32 v40, 16, v40
	s_cselect_b32 vcc_lo, -1, 0
	s_cmp_lg_u32 s71, s6
	s_wait_alu 0xfffe
	s_delay_alu instid0(VALU_DEP_1) | instskip(SKIP_3) | instid1(VALU_DEP_3)
	v_cndmask_b32_e32 v41, v41, v4, vcc_lo
	v_add_co_u32 v22, vcc_lo, v22, 2
	s_wait_alu 0xfffd
	v_add_co_ci_u32_e64 v23, null, 0, v23, vcc_lo
	v_fmac_f32_e32 v39, v41, v40
	s_cbranch_scc1 .LBB574_78
.LBB574_79:                             ;   in Loop: Header=BB574_62 Depth=2
	s_or_b32 exec_lo, exec_lo, s31
	s_delay_alu instid0(SALU_CYCLE_1)
	s_or_b32 exec_lo, exec_lo, s29
	s_and_saveexec_b32 s6, s3
	s_cbranch_execnz .LBB574_65
	s_branch .LBB574_66
.LBB574_80:                             ;   in Loop: Header=BB574_62 Depth=2
	ds_load_b32 v22, v26
	s_wait_alu 0xfffe
	s_or_b32 exec_lo, exec_lo, s6
	s_and_saveexec_b32 s6, s3
	s_cbranch_execz .LBB574_70
.LBB574_81:                             ;   in Loop: Header=BB574_62 Depth=2
	s_wait_dscnt 0x0
	ds_bpermute_b32 v23, v34, v22
	s_wait_dscnt 0x0
	v_add_f32_e32 v22, v22, v23
	ds_bpermute_b32 v23, v35, v22
	s_wait_dscnt 0x0
	v_add_f32_e32 v22, v22, v23
	;; [unrolled: 3-line block ×3, first 2 shown]
	s_wait_alu 0xfffe
	s_or_b32 exec_lo, exec_lo, s6
	s_and_saveexec_b32 s6, s0
	s_cbranch_execz .LBB574_61
.LBB574_82:                             ;   in Loop: Header=BB574_62 Depth=2
	s_mul_u64 s[60:61], s[40:41], s[36:37]
	s_wait_dscnt 0x0
	v_mul_f32_e32 v22, v30, v22
	s_wait_alu 0xfffe
	s_lshl_b64 s[60:61], s[60:61], 2
	s_wait_alu 0xfffe
	s_add_nc_u64 s[60:61], s[8:9], s[60:61]
	global_store_b32 v0, v22, s[60:61]
	s_branch .LBB574_61
.LBB574_83:
	s_endpgm
	.section	.rodata,"a",@progbits
	.p2align	6, 0x0
	.amdhsa_kernel _ZL23rocblas_gemvt_sn_kernelILb1ELi256ELi4Ei16rocblas_bfloat16PKffEviiT4_lPKT3_lilS6_lilPT5_i
		.amdhsa_group_segment_fixed_size 128
		.amdhsa_private_segment_fixed_size 0
		.amdhsa_kernarg_size 360
		.amdhsa_user_sgpr_count 2
		.amdhsa_user_sgpr_dispatch_ptr 0
		.amdhsa_user_sgpr_queue_ptr 0
		.amdhsa_user_sgpr_kernarg_segment_ptr 1
		.amdhsa_user_sgpr_dispatch_id 0
		.amdhsa_user_sgpr_private_segment_size 0
		.amdhsa_wavefront_size32 1
		.amdhsa_uses_dynamic_stack 0
		.amdhsa_enable_private_segment 0
		.amdhsa_system_sgpr_workgroup_id_x 1
		.amdhsa_system_sgpr_workgroup_id_y 0
		.amdhsa_system_sgpr_workgroup_id_z 1
		.amdhsa_system_sgpr_workgroup_info 0
		.amdhsa_system_vgpr_workitem_id 0
		.amdhsa_next_free_vgpr 55
		.amdhsa_next_free_sgpr 78
		.amdhsa_reserve_vcc 1
		.amdhsa_float_round_mode_32 0
		.amdhsa_float_round_mode_16_64 0
		.amdhsa_float_denorm_mode_32 3
		.amdhsa_float_denorm_mode_16_64 3
		.amdhsa_fp16_overflow 0
		.amdhsa_workgroup_processor_mode 1
		.amdhsa_memory_ordered 1
		.amdhsa_forward_progress 1
		.amdhsa_inst_pref_size 37
		.amdhsa_round_robin_scheduling 0
		.amdhsa_exception_fp_ieee_invalid_op 0
		.amdhsa_exception_fp_denorm_src 0
		.amdhsa_exception_fp_ieee_div_zero 0
		.amdhsa_exception_fp_ieee_overflow 0
		.amdhsa_exception_fp_ieee_underflow 0
		.amdhsa_exception_fp_ieee_inexact 0
		.amdhsa_exception_int_div_zero 0
	.end_amdhsa_kernel
	.section	.text._ZL23rocblas_gemvt_sn_kernelILb1ELi256ELi4Ei16rocblas_bfloat16PKffEviiT4_lPKT3_lilS6_lilPT5_i,"axG",@progbits,_ZL23rocblas_gemvt_sn_kernelILb1ELi256ELi4Ei16rocblas_bfloat16PKffEviiT4_lPKT3_lilS6_lilPT5_i,comdat
.Lfunc_end574:
	.size	_ZL23rocblas_gemvt_sn_kernelILb1ELi256ELi4Ei16rocblas_bfloat16PKffEviiT4_lPKT3_lilS6_lilPT5_i, .Lfunc_end574-_ZL23rocblas_gemvt_sn_kernelILb1ELi256ELi4Ei16rocblas_bfloat16PKffEviiT4_lPKT3_lilS6_lilPT5_i
                                        ; -- End function
	.set _ZL23rocblas_gemvt_sn_kernelILb1ELi256ELi4Ei16rocblas_bfloat16PKffEviiT4_lPKT3_lilS6_lilPT5_i.num_vgpr, 55
	.set _ZL23rocblas_gemvt_sn_kernelILb1ELi256ELi4Ei16rocblas_bfloat16PKffEviiT4_lPKT3_lilS6_lilPT5_i.num_agpr, 0
	.set _ZL23rocblas_gemvt_sn_kernelILb1ELi256ELi4Ei16rocblas_bfloat16PKffEviiT4_lPKT3_lilS6_lilPT5_i.numbered_sgpr, 78
	.set _ZL23rocblas_gemvt_sn_kernelILb1ELi256ELi4Ei16rocblas_bfloat16PKffEviiT4_lPKT3_lilS6_lilPT5_i.num_named_barrier, 0
	.set _ZL23rocblas_gemvt_sn_kernelILb1ELi256ELi4Ei16rocblas_bfloat16PKffEviiT4_lPKT3_lilS6_lilPT5_i.private_seg_size, 0
	.set _ZL23rocblas_gemvt_sn_kernelILb1ELi256ELi4Ei16rocblas_bfloat16PKffEviiT4_lPKT3_lilS6_lilPT5_i.uses_vcc, 1
	.set _ZL23rocblas_gemvt_sn_kernelILb1ELi256ELi4Ei16rocblas_bfloat16PKffEviiT4_lPKT3_lilS6_lilPT5_i.uses_flat_scratch, 0
	.set _ZL23rocblas_gemvt_sn_kernelILb1ELi256ELi4Ei16rocblas_bfloat16PKffEviiT4_lPKT3_lilS6_lilPT5_i.has_dyn_sized_stack, 0
	.set _ZL23rocblas_gemvt_sn_kernelILb1ELi256ELi4Ei16rocblas_bfloat16PKffEviiT4_lPKT3_lilS6_lilPT5_i.has_recursion, 0
	.set _ZL23rocblas_gemvt_sn_kernelILb1ELi256ELi4Ei16rocblas_bfloat16PKffEviiT4_lPKT3_lilS6_lilPT5_i.has_indirect_call, 0
	.section	.AMDGPU.csdata,"",@progbits
; Kernel info:
; codeLenInByte = 4728
; TotalNumSgprs: 80
; NumVgprs: 55
; ScratchSize: 0
; MemoryBound: 0
; FloatMode: 240
; IeeeMode: 1
; LDSByteSize: 128 bytes/workgroup (compile time only)
; SGPRBlocks: 0
; VGPRBlocks: 6
; NumSGPRsForWavesPerEU: 80
; NumVGPRsForWavesPerEU: 55
; Occupancy: 16
; WaveLimiterHint : 0
; COMPUTE_PGM_RSRC2:SCRATCH_EN: 0
; COMPUTE_PGM_RSRC2:USER_SGPR: 2
; COMPUTE_PGM_RSRC2:TRAP_HANDLER: 0
; COMPUTE_PGM_RSRC2:TGID_X_EN: 1
; COMPUTE_PGM_RSRC2:TGID_Y_EN: 0
; COMPUTE_PGM_RSRC2:TGID_Z_EN: 1
; COMPUTE_PGM_RSRC2:TIDIG_COMP_CNT: 0
	.section	.text._ZL23rocblas_gemvt_sn_kernelILb1ELi256ELi4El16rocblas_bfloat16PKffEviiT4_lPKT3_lilS6_lilPT5_i,"axG",@progbits,_ZL23rocblas_gemvt_sn_kernelILb1ELi256ELi4El16rocblas_bfloat16PKffEviiT4_lPKT3_lilS6_lilPT5_i,comdat
	.globl	_ZL23rocblas_gemvt_sn_kernelILb1ELi256ELi4El16rocblas_bfloat16PKffEviiT4_lPKT3_lilS6_lilPT5_i ; -- Begin function _ZL23rocblas_gemvt_sn_kernelILb1ELi256ELi4El16rocblas_bfloat16PKffEviiT4_lPKT3_lilS6_lilPT5_i
	.p2align	8
	.type	_ZL23rocblas_gemvt_sn_kernelILb1ELi256ELi4El16rocblas_bfloat16PKffEviiT4_lPKT3_lilS6_lilPT5_i,@function
_ZL23rocblas_gemvt_sn_kernelILb1ELi256ELi4El16rocblas_bfloat16PKffEviiT4_lPKT3_lilS6_lilPT5_i: ; @_ZL23rocblas_gemvt_sn_kernelILb1ELi256ELi4El16rocblas_bfloat16PKffEviiT4_lPKT3_lilS6_lilPT5_i
; %bb.0:
	s_load_b32 s33, s[0:1], 0x60
	s_lshr_b32 s10, ttmp7, 16
	s_wait_kmcnt 0x0
	s_cmp_ge_u32 s10, s33
	s_cbranch_scc1 .LBB575_83
; %bb.1:
	s_clause 0x6
	s_load_b32 s30, s[0:1], 0x28
	s_load_b96 s[4:6], s[0:1], 0x40
	s_load_b256 s[12:19], s[0:1], 0x8
	s_load_b64 s[34:35], s[0:1], 0x0
	s_load_b128 s[20:23], s[0:1], 0x30
	s_load_b32 s36, s[0:1], 0x68
	s_load_b128 s[24:27], s[0:1], 0x50
	v_cmp_eq_u32_e64 s0, 0, v0
	v_mbcnt_lo_u32_b32 v33, -1, 0
	s_mov_b32 s29, 0
	s_mov_b32 s28, ttmp9
	s_mov_b32 s37, s29
	s_delay_alu instid0(VALU_DEP_1)
	v_lshl_or_b32 v34, v33, 2, 64
	s_wait_kmcnt 0x0
	s_ashr_i32 s31, s30, 31
	s_ashr_i32 s9, s6, 31
	s_lshl_b64 s[2:3], s[4:5], 1
	s_lshl_b64 s[4:5], s[18:19], 1
	s_ashr_i32 s39, s35, 31
	s_cmp_gt_i32 s35, 0
	s_add_nc_u64 s[18:19], s[22:23], s[2:3]
	s_cselect_b32 s1, -1, 0
	s_lshl_b32 s7, ttmp9, 10
	s_add_nc_u64 s[2:3], s[16:17], s[4:5]
	v_lshl_or_b32 v1, v0, 2, s7
	s_lshr_b32 s4, s39, 30
	s_ashr_i32 s5, s34, 31
	s_and_b32 s64, s0, s1
	s_add_co_i32 s1, s35, s4
	v_ashrrev_i32_e32 v2, 31, v1
	s_lshr_b32 s4, s5, 30
	s_and_b32 s65, s1, -4
	s_add_co_i32 s1, s34, s4
	v_add_nc_u32_e32 v4, 4, v1
	v_lshlrev_b64_e32 v[2:3], 1, v[1:2]
	s_and_b32 s1, s1, -4
	v_cmp_gt_u32_e64 s5, 8, v0
	s_sub_co_i32 s66, s34, s1
	v_cmp_ge_i32_e64 s1, s34, v4
	v_or_b32_e32 v4, 2, v1
	v_add_co_u32 v29, vcc_lo, s2, v2
	v_add_nc_u32_e32 v2, s66, v1
	v_add_co_ci_u32_e64 v30, null, s3, v3, vcc_lo
	v_and_b32_e32 v3, 31, v0
	v_cmp_gt_u32_e64 s3, 32, v0
	s_delay_alu instid0(VALU_DEP_4)
	v_cmp_ge_i32_e64 s2, s34, v2
	v_lshrrev_b32_e32 v2, 3, v0
	v_or_b32_e32 v0, 1, v1
	v_cmp_eq_u32_e64 s4, 0, v3
	v_lshlrev_b32_e32 v31, 2, v3
	v_mad_co_i64_i32 v[11:12], null, s6, v4, 0
	v_and_b32_e32 v32, 28, v2
	v_mad_co_i64_i32 v[2:3], null, s6, v1, 0
	v_mad_co_i64_i32 v[9:10], null, s6, v0, 0
	v_or_b32_e32 v0, 3, v1
	s_cmp_gt_i32 s65, 0
	s_mov_b32 s38, s35
	s_cselect_b32 s67, -1, 0
	s_delay_alu instid0(VALU_DEP_3)
	v_lshlrev_b64_e32 v[5:6], 1, v[2:3]
	v_mad_co_i64_i32 v[1:2], null, s6, v0, 0
	s_cmp_gt_i32 s66, 0
	v_lshlrev_b64_e32 v[9:10], 1, v[9:10]
	v_lshlrev_b64_e32 v[11:12], 1, v[11:12]
	v_add_co_u32 v7, vcc_lo, s18, v5
	s_wait_alu 0xfffd
	v_add_co_ci_u32_e64 v8, null, s19, v6, vcc_lo
	v_lshlrev_b64_e32 v[13:14], 1, v[1:2]
	v_mov_b32_e32 v0, 0
	s_mov_b32 s8, s6
	s_mul_u64 s[16:17], s[38:39], s[36:37]
	s_cselect_b32 s34, -1, 0
	s_lshl_b64 s[22:23], s[28:29], 2
	s_lshl_b64 s[40:41], s[16:17], 2
	s_add_nc_u64 s[38:39], s[26:27], s[22:23]
	s_lshl_b64 s[42:43], s[36:37], 2
	s_lshl_b64 s[44:45], s[24:25], 1
	;; [unrolled: 1-line block ×4, first 2 shown]
	s_mul_u64 s[50:51], s[30:31], 6
	s_lshl_b64 s[52:53], s[30:31], 3
	s_lshl_b64 s[54:55], s[30:31], 1
	;; [unrolled: 1-line block ×3, first 2 shown]
	s_branch .LBB575_3
.LBB575_2:                              ;   in Loop: Header=BB575_3 Depth=1
	s_add_co_i32 s10, s10, 0x10000
	s_wait_alu 0xfffe
	s_cmp_lt_u32 s10, s33
	s_cbranch_scc0 .LBB575_83
.LBB575_3:                              ; =>This Loop Header: Depth=1
                                        ;     Child Loop BB575_6 Depth 2
                                        ;     Child Loop BB575_12 Depth 2
                                        ;       Child Loop BB575_43 Depth 3
                                        ;       Child Loop BB575_46 Depth 3
                                        ;     Child Loop BB575_62 Depth 2
                                        ;       Child Loop BB575_75 Depth 3
                                        ;       Child Loop BB575_78 Depth 3
	s_mov_b32 s11, s29
	s_wait_alu 0xfffe
	s_mul_u64 s[6:7], s[14:15], s[10:11]
	s_wait_alu 0xfffe
	s_lshl_b64 s[6:7], s[6:7], 2
	s_wait_alu 0xfffe
	s_add_nc_u64 s[6:7], s[12:13], s[6:7]
	global_load_b32 v35, v0, s[6:7]
	s_mov_b32 s6, -1
	s_wait_loadcnt 0x0
	v_cmp_neq_f32_e32 vcc_lo, 0, v35
	s_cbranch_vccnz .LBB575_8
; %bb.4:                                ;   in Loop: Header=BB575_3 Depth=1
	s_and_saveexec_b32 s8, s64
	s_cbranch_execz .LBB575_7
; %bb.5:                                ;   in Loop: Header=BB575_3 Depth=1
	s_mul_u64 s[6:7], s[40:41], s[10:11]
	s_mov_b32 s9, s35
	s_wait_alu 0xfffe
	s_add_nc_u64 s[6:7], s[38:39], s[6:7]
.LBB575_6:                              ;   Parent Loop BB575_3 Depth=1
                                        ; =>  This Inner Loop Header: Depth=2
	s_add_co_i32 s9, s9, -1
	global_store_b32 v0, v0, s[6:7]
	s_wait_alu 0xfffe
	s_cmp_eq_u32 s9, 0
	s_add_nc_u64 s[6:7], s[6:7], s[42:43]
	s_cbranch_scc0 .LBB575_6
.LBB575_7:                              ;   in Loop: Header=BB575_3 Depth=1
	s_wait_alu 0xfffe
	s_or_b32 exec_lo, exec_lo, s8
	s_mov_b32 s6, 0
.LBB575_8:                              ;   in Loop: Header=BB575_3 Depth=1
	s_wait_alu 0xfffe
	s_and_not1_b32 vcc_lo, exec_lo, s6
	s_wait_alu 0xfffe
	s_cbranch_vccnz .LBB575_2
; %bb.9:                                ;   in Loop: Header=BB575_3 Depth=1
	v_mad_co_u64_u32 v[15:16], null, s44, s10, v[7:8]
	s_mul_u64 s[68:69], s[20:21], s[10:11]
	s_mul_u64 s[58:59], s[24:25], s[10:11]
	s_wait_alu 0xfffe
	s_lshl_b64 s[68:69], s[68:69], 1
	s_mul_u64 s[62:63], s[16:17], s[10:11]
	s_wait_alu 0xfffe
	v_add_co_u32 v36, vcc_lo, v29, s68
	v_mov_b32_e32 v1, v16
	s_lshl_b64 s[58:59], s[58:59], 1
	s_lshl_b64 s[70:71], s[62:63], 2
	v_cmp_gt_u32_e64 s7, 24, v33
	v_cmp_gt_u32_e64 s8, 28, v33
	v_mad_co_u64_u32 v[1:2], null, s45, s10, v[1:2]
	v_cmp_gt_u32_e64 s6, 30, v33
	s_wait_alu 0xfffd
	v_add_co_ci_u32_e64 v37, null, s69, v30, vcc_lo
	v_cmp_ne_u32_e64 s9, 31, v33
	s_add_nc_u64 s[62:63], s[18:19], s[58:59]
	s_add_nc_u64 s[58:59], s[26:27], s[70:71]
	v_mov_b32_e32 v16, v1
	s_mul_u64 s[60:61], s[48:49], s[10:11]
	s_and_not1_b32 vcc_lo, exec_lo, s67
	s_add_nc_u64 s[58:59], s[58:59], s[22:23]
	s_wait_alu 0xfffe
	s_cbranch_vccnz .LBB575_58
; %bb.10:                               ;   in Loop: Header=BB575_3 Depth=1
	v_cndmask_b32_e64 v3, 0, 2, s6
	v_add_co_u32 v17, vcc_lo, v29, s60
	s_wait_alu 0xfffd
	v_add_co_ci_u32_e64 v18, null, s61, v30, vcc_lo
	v_add_co_u32 v19, vcc_lo, s62, v5
	v_cndmask_b32_e64 v1, 0, 8, s7
	v_cndmask_b32_e64 v2, 0, 4, s8
	v_add_co_ci_u32_e64 v4, null, 0, v33, s9
	v_add_lshl_u32 v40, v3, v33, 2
	s_wait_alu 0xfffd
	v_add_co_ci_u32_e64 v20, null, s63, v6, vcc_lo
	v_add_co_u32 v21, vcc_lo, s62, v9
	v_mov_b32_e32 v3, v0
	s_wait_alu 0xfffd
	v_add_co_ci_u32_e64 v22, null, s63, v10, vcc_lo
	v_add_co_u32 v23, vcc_lo, s62, v11
	v_add_lshl_u32 v38, v1, v33, 2
	v_add_lshl_u32 v39, v2, v33, 2
	v_dual_mov_b32 v2, v0 :: v_dual_lshlrev_b32 v41, 2, v4
	s_wait_alu 0xfffd
	v_add_co_ci_u32_e64 v24, null, s63, v12, vcc_lo
	v_mov_b32_e32 v1, v0
	v_add_co_u32 v25, vcc_lo, s62, v13
	v_mov_b32_e32 v4, v3
	s_wait_alu 0xfffd
	v_add_co_ci_u32_e64 v26, null, s63, v14, vcc_lo
	v_mov_b32_e32 v3, v2
	v_mov_b32_e32 v2, v1
	;; [unrolled: 1-line block ×3, first 2 shown]
	s_mov_b32 s28, 0
	s_branch .LBB575_12
.LBB575_11:                             ;   in Loop: Header=BB575_12 Depth=2
	s_wait_alu 0xfffe
	s_or_b32 exec_lo, exec_lo, s6
	v_add_co_u32 v17, vcc_lo, v17, s52
	s_wait_alu 0xfffd
	v_add_co_ci_u32_e64 v18, null, s53, v18, vcc_lo
	s_add_co_i32 s28, s28, 4
	s_wait_alu 0xfffe
	s_cmp_ge_i32 s28, s65
	s_cbranch_scc1 .LBB575_59
.LBB575_12:                             ;   Parent Loop BB575_3 Depth=1
                                        ; =>  This Loop Header: Depth=2
                                        ;       Child Loop BB575_43 Depth 3
                                        ;       Child Loop BB575_46 Depth 3
                                        ; implicit-def: $vgpr42
                                        ; implicit-def: $vgpr43
                                        ; implicit-def: $vgpr44
                                        ; implicit-def: $vgpr45
	s_and_saveexec_b32 s6, s1
	s_wait_alu 0xfffe
	s_xor_b32 s6, exec_lo, s6
	s_cbranch_execnz .LBB575_39
; %bb.13:                               ;   in Loop: Header=BB575_12 Depth=2
	s_wait_alu 0xfffe
	s_and_not1_saveexec_b32 s11, s6
	s_cbranch_execnz .LBB575_40
.LBB575_14:                             ;   in Loop: Header=BB575_12 Depth=2
	s_wait_alu 0xfffe
	s_or_b32 exec_lo, exec_lo, s11
	s_and_saveexec_b32 s6, s3
.LBB575_15:                             ;   in Loop: Header=BB575_12 Depth=2
	ds_store_b32 v31, v0
.LBB575_16:                             ;   in Loop: Header=BB575_12 Depth=2
	s_wait_alu 0xfffe
	s_or_b32 exec_lo, exec_lo, s6
	s_wait_dscnt 0x0
	ds_bpermute_b32 v27, v34, v45
	s_wait_storecnt_dscnt 0x0
	s_barrier_signal -1
	s_barrier_wait -1
	global_inv scope:SCOPE_SE
	v_add_f32_e32 v27, v45, v27
	ds_bpermute_b32 v28, v38, v27
	s_wait_dscnt 0x0
	v_add_f32_e32 v27, v27, v28
	ds_bpermute_b32 v28, v39, v27
	s_wait_dscnt 0x0
	;; [unrolled: 3-line block ×3, first 2 shown]
	v_add_f32_e32 v27, v27, v28
	ds_bpermute_b32 v28, v41, v27
	s_and_saveexec_b32 s6, s4
	s_cbranch_execz .LBB575_18
; %bb.17:                               ;   in Loop: Header=BB575_12 Depth=2
	s_wait_dscnt 0x0
	v_add_f32_e32 v27, v27, v28
	ds_store_b32 v32, v27
.LBB575_18:                             ;   in Loop: Header=BB575_12 Depth=2
	s_wait_alu 0xfffe
	s_or_b32 exec_lo, exec_lo, s6
	v_mov_b32_e32 v27, 0
	s_wait_loadcnt_dscnt 0x0
	s_barrier_signal -1
	s_barrier_wait -1
	global_inv scope:SCOPE_SE
	s_and_saveexec_b32 s6, s5
	s_cbranch_execnz .LBB575_47
; %bb.19:                               ;   in Loop: Header=BB575_12 Depth=2
	s_wait_alu 0xfffe
	s_or_b32 exec_lo, exec_lo, s6
	s_and_saveexec_b32 s6, s3
	s_cbranch_execnz .LBB575_48
.LBB575_20:                             ;   in Loop: Header=BB575_12 Depth=2
	s_wait_alu 0xfffe
	s_or_b32 exec_lo, exec_lo, s6
	s_and_saveexec_b32 s6, s3
.LBB575_21:                             ;   in Loop: Header=BB575_12 Depth=2
	ds_store_b32 v31, v0
.LBB575_22:                             ;   in Loop: Header=BB575_12 Depth=2
	s_wait_alu 0xfffe
	s_or_b32 exec_lo, exec_lo, s6
	ds_bpermute_b32 v28, v34, v44
	s_wait_loadcnt_dscnt 0x0
	s_barrier_signal -1
	s_barrier_wait -1
	global_inv scope:SCOPE_SE
	v_add_f32_e32 v28, v44, v28
	ds_bpermute_b32 v44, v38, v28
	s_wait_dscnt 0x0
	v_add_f32_e32 v28, v28, v44
	ds_bpermute_b32 v44, v39, v28
	s_wait_dscnt 0x0
	;; [unrolled: 3-line block ×3, first 2 shown]
	v_add_f32_e32 v28, v28, v44
	ds_bpermute_b32 v44, v41, v28
	s_and_saveexec_b32 s6, s4
	s_cbranch_execz .LBB575_24
; %bb.23:                               ;   in Loop: Header=BB575_12 Depth=2
	s_wait_dscnt 0x0
	v_add_f32_e32 v28, v28, v44
	ds_store_b32 v32, v28
.LBB575_24:                             ;   in Loop: Header=BB575_12 Depth=2
	s_wait_alu 0xfffe
	s_or_b32 exec_lo, exec_lo, s6
	v_mov_b32_e32 v28, 0
	s_wait_loadcnt_dscnt 0x0
	s_barrier_signal -1
	s_barrier_wait -1
	global_inv scope:SCOPE_SE
	s_and_saveexec_b32 s6, s5
	s_cbranch_execnz .LBB575_49
; %bb.25:                               ;   in Loop: Header=BB575_12 Depth=2
	s_wait_alu 0xfffe
	s_or_b32 exec_lo, exec_lo, s6
	s_and_saveexec_b32 s6, s3
	s_cbranch_execnz .LBB575_50
.LBB575_26:                             ;   in Loop: Header=BB575_12 Depth=2
	s_wait_alu 0xfffe
	s_or_b32 exec_lo, exec_lo, s6
	s_and_saveexec_b32 s6, s3
.LBB575_27:                             ;   in Loop: Header=BB575_12 Depth=2
	ds_store_b32 v31, v0
.LBB575_28:                             ;   in Loop: Header=BB575_12 Depth=2
	s_wait_alu 0xfffe
	s_or_b32 exec_lo, exec_lo, s6
	ds_bpermute_b32 v44, v34, v43
	s_wait_loadcnt_dscnt 0x0
	s_barrier_signal -1
	s_barrier_wait -1
	global_inv scope:SCOPE_SE
	v_add_f32_e32 v43, v43, v44
	ds_bpermute_b32 v44, v38, v43
	s_wait_dscnt 0x0
	v_add_f32_e32 v43, v43, v44
	ds_bpermute_b32 v44, v39, v43
	s_wait_dscnt 0x0
	;; [unrolled: 3-line block ×3, first 2 shown]
	v_add_f32_e32 v43, v43, v44
	ds_bpermute_b32 v44, v41, v43
	s_and_saveexec_b32 s6, s4
	s_cbranch_execz .LBB575_30
; %bb.29:                               ;   in Loop: Header=BB575_12 Depth=2
	s_wait_dscnt 0x0
	v_add_f32_e32 v43, v43, v44
	ds_store_b32 v32, v43
.LBB575_30:                             ;   in Loop: Header=BB575_12 Depth=2
	s_wait_alu 0xfffe
	s_or_b32 exec_lo, exec_lo, s6
	v_mov_b32_e32 v43, 0
	s_wait_loadcnt_dscnt 0x0
	s_barrier_signal -1
	s_barrier_wait -1
	global_inv scope:SCOPE_SE
	s_and_saveexec_b32 s6, s5
	s_cbranch_execnz .LBB575_51
; %bb.31:                               ;   in Loop: Header=BB575_12 Depth=2
	s_wait_alu 0xfffe
	s_or_b32 exec_lo, exec_lo, s6
	s_and_saveexec_b32 s6, s3
	s_cbranch_execnz .LBB575_52
.LBB575_32:                             ;   in Loop: Header=BB575_12 Depth=2
	s_wait_alu 0xfffe
	s_or_b32 exec_lo, exec_lo, s6
	s_and_saveexec_b32 s6, s3
.LBB575_33:                             ;   in Loop: Header=BB575_12 Depth=2
	ds_store_b32 v31, v0
.LBB575_34:                             ;   in Loop: Header=BB575_12 Depth=2
	s_wait_alu 0xfffe
	s_or_b32 exec_lo, exec_lo, s6
	ds_bpermute_b32 v44, v34, v42
	s_wait_loadcnt_dscnt 0x0
	s_barrier_signal -1
	s_barrier_wait -1
	global_inv scope:SCOPE_SE
	v_add_f32_e32 v42, v42, v44
	ds_bpermute_b32 v44, v38, v42
	s_wait_dscnt 0x0
	v_add_f32_e32 v42, v42, v44
	ds_bpermute_b32 v44, v39, v42
	s_wait_dscnt 0x0
	v_add_f32_e32 v42, v42, v44
	ds_bpermute_b32 v44, v40, v42
	s_wait_dscnt 0x0
	v_add_f32_e32 v42, v42, v44
	ds_bpermute_b32 v44, v41, v42
	s_and_saveexec_b32 s6, s4
	s_cbranch_execz .LBB575_36
; %bb.35:                               ;   in Loop: Header=BB575_12 Depth=2
	s_wait_dscnt 0x0
	v_add_f32_e32 v42, v42, v44
	ds_store_b32 v32, v42
.LBB575_36:                             ;   in Loop: Header=BB575_12 Depth=2
	s_wait_alu 0xfffe
	s_or_b32 exec_lo, exec_lo, s6
	v_mov_b32_e32 v42, 0
	s_wait_loadcnt_dscnt 0x0
	s_barrier_signal -1
	s_barrier_wait -1
	global_inv scope:SCOPE_SE
	s_and_saveexec_b32 s6, s5
	s_cbranch_execnz .LBB575_53
; %bb.37:                               ;   in Loop: Header=BB575_12 Depth=2
	s_wait_alu 0xfffe
	s_or_b32 exec_lo, exec_lo, s6
	s_and_saveexec_b32 s6, s3
	s_cbranch_execnz .LBB575_54
.LBB575_38:                             ;   in Loop: Header=BB575_12 Depth=2
	s_wait_alu 0xfffe
	s_or_b32 exec_lo, exec_lo, s6
	s_and_saveexec_b32 s6, s0
	s_cbranch_execz .LBB575_11
	s_branch .LBB575_55
.LBB575_39:                             ;   in Loop: Header=BB575_12 Depth=2
	s_mul_u64 s[8:9], s[28:29], s[30:31]
	s_or_b32 s68, s28, 2
	s_wait_alu 0xfffe
	s_lshl_b64 s[8:9], s[8:9], 1
	s_mov_b32 s69, s29
	s_wait_alu 0xfffe
	v_add_co_u32 v1, vcc_lo, v36, s8
	s_wait_alu 0xfffd
	v_add_co_ci_u32_e64 v2, null, s9, v37, vcc_lo
	s_or_b32 s8, s28, 1
	s_mov_b32 s9, s29
	s_wait_alu 0xfffe
	s_mul_u64 s[8:9], s[8:9], s[30:31]
	s_wait_dscnt 0x0
	global_load_b64 v[27:28], v[1:2], off
	s_wait_alu 0xfffe
	s_lshl_b64 s[8:9], s[8:9], 1
	s_clause 0x3
	global_load_u16 v50, v[19:20], off
	global_load_u16 v51, v[21:22], off
	;; [unrolled: 1-line block ×4, first 2 shown]
	s_wait_alu 0xfffe
	v_add_co_u32 v1, vcc_lo, v36, s8
	s_wait_alu 0xfffd
	v_add_co_ci_u32_e64 v2, null, s9, v37, vcc_lo
	s_mul_u64 s[8:9], s[68:69], s[30:31]
	s_or_b32 s68, s28, 3
	s_wait_alu 0xfffe
	s_lshl_b64 s[8:9], s[8:9], 1
	s_mul_u64 s[68:69], s[68:69], s[30:31]
	s_wait_alu 0xfffe
	v_add_co_u32 v3, vcc_lo, v36, s8
	s_wait_alu 0xfffd
	v_add_co_ci_u32_e64 v4, null, s9, v37, vcc_lo
	s_lshl_b64 s[8:9], s[68:69], 1
	s_wait_alu 0xfffe
	v_add_co_u32 v42, vcc_lo, v36, s8
	s_wait_alu 0xfffd
	v_add_co_ci_u32_e64 v43, null, s9, v37, vcc_lo
	s_clause 0x2
	global_load_b64 v[44:45], v[1:2], off
	global_load_b64 v[46:47], v[3:4], off
	;; [unrolled: 1-line block ×3, first 2 shown]
	s_wait_loadcnt 0x7
	v_lshlrev_b32_e32 v42, 16, v27
	s_wait_loadcnt 0x2
	v_lshlrev_b32_e32 v54, 16, v45
	v_and_b32_e32 v27, 0xffff0000, v27
	v_lshlrev_b32_e32 v4, 16, v53
	s_wait_loadcnt 0x0
	v_and_b32_e32 v53, 0xffff0000, v48
	v_lshlrev_b32_e32 v3, 16, v52
	v_lshlrev_b32_e32 v2, 16, v51
	;; [unrolled: 1-line block ×3, first 2 shown]
	v_and_b32_e32 v52, 0xffff0000, v44
	v_lshlrev_b32_e32 v1, 16, v50
	v_lshlrev_b32_e32 v48, 16, v48
	v_and_b32_e32 v56, 0xffff0000, v45
	v_lshlrev_b32_e32 v55, 16, v47
	v_lshlrev_b32_e32 v50, 16, v28
	v_fma_f32 v44, v1, v43, 0
	s_delay_alu instid0(VALU_DEP_1) | instskip(SKIP_2) | instid1(VALU_DEP_2)
	v_dual_fmac_f32 v44, v2, v52 :: v_dual_and_b32 v47, 0xffff0000, v47
	v_fma_f32 v45, v1, v42, 0
	v_fma_f32 v42, v48, v1, 0
	v_dual_fmac_f32 v45, v2, v27 :: v_dual_lshlrev_b32 v48, 16, v49
	v_and_b32_e32 v27, 0xffff0000, v49
	s_delay_alu instid0(VALU_DEP_2) | instskip(SKIP_3) | instid1(VALU_DEP_4)
	v_dual_fmac_f32 v45, v3, v50 :: v_dual_fmac_f32 v42, v2, v53
	v_fmac_f32_e32 v44, v3, v54
	v_lshlrev_b32_e32 v51, 16, v46
	v_and_b32_e32 v46, 0xffff0000, v46
	v_fmac_f32_e32 v42, v48, v3
	s_delay_alu instid0(VALU_DEP_4) | instskip(NEXT) | instid1(VALU_DEP_4)
	v_fmac_f32_e32 v44, v4, v56
	v_fma_f32 v43, v1, v51, 0
	s_delay_alu instid0(VALU_DEP_1) | instskip(NEXT) | instid1(VALU_DEP_1)
	v_dual_fmac_f32 v42, v4, v27 :: v_dual_fmac_f32 v43, v2, v46
	v_dual_fmac_f32 v43, v3, v55 :: v_dual_and_b32 v28, 0xffff0000, v28
	s_delay_alu instid0(VALU_DEP_1) | instskip(NEXT) | instid1(VALU_DEP_2)
	v_fmac_f32_e32 v43, v4, v47
	v_fmac_f32_e32 v45, v4, v28
	s_and_not1_saveexec_b32 s11, s6
	s_cbranch_execz .LBB575_14
.LBB575_40:                             ;   in Loop: Header=BB575_12 Depth=2
	s_wait_dscnt 0x0
	v_dual_mov_b32 v42, 0 :: v_dual_mov_b32 v43, 0
	v_dual_mov_b32 v44, 0 :: v_dual_mov_b32 v45, 0
	s_and_saveexec_b32 s68, s2
	s_cbranch_execz .LBB575_57
; %bb.41:                               ;   in Loop: Header=BB575_12 Depth=2
	s_and_not1_b32 vcc_lo, exec_lo, s34
	s_wait_alu 0xfffe
	s_cbranch_vccnz .LBB575_44
; %bb.42:                               ;   in Loop: Header=BB575_12 Depth=2
	v_dual_mov_b32 v28, v16 :: v_dual_mov_b32 v27, v15
	s_mov_b64 s[8:9], 0
.LBB575_43:                             ;   Parent Loop BB575_3 Depth=1
                                        ;     Parent Loop BB575_12 Depth=2
                                        ; =>    This Inner Loop Header: Depth=3
	global_load_u16 v42, v[27:28], off
	s_wait_alu 0xfffe
	s_cmp_eq_u32 s8, 3
	v_add_co_u32 v27, vcc_lo, v27, s46
	s_wait_alu 0xfffd
	v_add_co_ci_u32_e64 v28, null, s47, v28, vcc_lo
	s_cselect_b32 vcc_lo, -1, 0
	s_cmp_eq_u32 s8, 2
	s_cselect_b32 s6, -1, 0
	s_cmp_eq_u32 s8, 1
	s_cselect_b32 s7, -1, 0
	s_cmp_eq_u32 s8, 0
	s_add_nc_u64 s[8:9], s[8:9], 1
	s_wait_loadcnt 0x0
	v_lshlrev_b32_e32 v42, 16, v42
	s_wait_alu 0xfffe
	s_delay_alu instid0(VALU_DEP_1)
	v_cndmask_b32_e32 v4, v4, v42, vcc_lo
	s_cselect_b32 vcc_lo, -1, 0
	v_cndmask_b32_e64 v3, v3, v42, s6
	v_cndmask_b32_e64 v2, v2, v42, s7
	s_wait_alu 0xfffe
	v_cndmask_b32_e32 v1, v1, v42, vcc_lo
	s_cmp_eq_u32 s66, s8
	s_cbranch_scc0 .LBB575_43
.LBB575_44:                             ;   in Loop: Header=BB575_12 Depth=2
	s_and_not1_b32 vcc_lo, exec_lo, s34
	s_wait_alu 0xfffe
	s_cbranch_vccnz .LBB575_56
; %bb.45:                               ;   in Loop: Header=BB575_12 Depth=2
	v_dual_mov_b32 v45, 0 :: v_dual_mov_b32 v28, v18
	v_dual_mov_b32 v27, v17 :: v_dual_mov_b32 v44, 0
	;; [unrolled: 1-line block ×3, first 2 shown]
	s_mov_b64 s[8:9], 0
.LBB575_46:                             ;   Parent Loop BB575_3 Depth=1
                                        ;     Parent Loop BB575_12 Depth=2
                                        ; =>    This Inner Loop Header: Depth=3
	s_delay_alu instid0(VALU_DEP_2)
	v_add_co_u32 v46, vcc_lo, v27, s54
	s_wait_alu 0xfffd
	v_add_co_ci_u32_e64 v47, null, s55, v28, vcc_lo
	v_add_co_u32 v48, vcc_lo, v27, s56
	s_wait_alu 0xfffd
	v_add_co_ci_u32_e64 v49, null, s57, v28, vcc_lo
	;; [unrolled: 3-line block ×3, first 2 shown]
	s_clause 0x3
	global_load_u16 v52, v[27:28], off
	global_load_u16 v46, v[46:47], off
	;; [unrolled: 1-line block ×4, first 2 shown]
	s_wait_alu 0xfffe
	s_cmp_eq_u32 s8, 1
	v_add_co_u32 v27, s6, v27, 2
	s_cselect_b32 vcc_lo, -1, 0
	s_cmp_eq_u32 s8, 2
	s_wait_alu 0xfffe
	v_cndmask_b32_e32 v49, v1, v2, vcc_lo
	s_cselect_b32 vcc_lo, -1, 0
	s_cmp_eq_u32 s8, 3
	v_add_co_ci_u32_e64 v28, null, 0, v28, s6
	s_add_nc_u64 s[8:9], s[8:9], 1
	s_wait_loadcnt 0x3
	s_wait_alu 0xfffe
	v_dual_cndmask_b32 v49, v49, v3 :: v_dual_lshlrev_b32 v50, 16, v52
	s_wait_loadcnt 0x2
	v_lshlrev_b32_e32 v46, 16, v46
	s_cselect_b32 vcc_lo, -1, 0
	s_cmp_lg_u32 s66, s8
	s_wait_alu 0xfffe
	v_cndmask_b32_e32 v49, v49, v4, vcc_lo
	s_wait_loadcnt 0x1
	v_lshlrev_b32_e32 v47, 16, v47
	s_wait_loadcnt 0x0
	s_delay_alu instid0(VALU_DEP_2) | instskip(SKIP_1) | instid1(VALU_DEP_3)
	v_dual_fmac_f32 v45, v49, v50 :: v_dual_lshlrev_b32 v48, 16, v48
	v_fmac_f32_e32 v44, v49, v46
	v_fmac_f32_e32 v43, v49, v47
	s_delay_alu instid0(VALU_DEP_3)
	v_fmac_f32_e32 v42, v49, v48
	s_cbranch_scc1 .LBB575_46
	s_branch .LBB575_57
.LBB575_47:                             ;   in Loop: Header=BB575_12 Depth=2
	ds_load_b32 v27, v31
	s_wait_alu 0xfffe
	s_or_b32 exec_lo, exec_lo, s6
	s_and_saveexec_b32 s6, s3
	s_cbranch_execz .LBB575_20
.LBB575_48:                             ;   in Loop: Header=BB575_12 Depth=2
	s_wait_dscnt 0x0
	ds_bpermute_b32 v28, v39, v27
	s_wait_dscnt 0x0
	v_add_f32_e32 v27, v27, v28
	ds_bpermute_b32 v28, v40, v27
	s_wait_dscnt 0x0
	v_add_f32_e32 v27, v27, v28
	;; [unrolled: 3-line block ×3, first 2 shown]
	s_wait_alu 0xfffe
	s_or_b32 exec_lo, exec_lo, s6
	s_and_saveexec_b32 s6, s3
	s_cbranch_execnz .LBB575_21
	s_branch .LBB575_22
.LBB575_49:                             ;   in Loop: Header=BB575_12 Depth=2
	ds_load_b32 v28, v31
	s_wait_alu 0xfffe
	s_or_b32 exec_lo, exec_lo, s6
	s_and_saveexec_b32 s6, s3
	s_cbranch_execz .LBB575_26
.LBB575_50:                             ;   in Loop: Header=BB575_12 Depth=2
	s_wait_dscnt 0x0
	ds_bpermute_b32 v44, v39, v28
	s_wait_dscnt 0x0
	v_add_f32_e32 v28, v28, v44
	ds_bpermute_b32 v44, v40, v28
	s_wait_dscnt 0x0
	v_add_f32_e32 v28, v28, v44
	;; [unrolled: 3-line block ×3, first 2 shown]
	s_wait_alu 0xfffe
	s_or_b32 exec_lo, exec_lo, s6
	s_and_saveexec_b32 s6, s3
	s_cbranch_execnz .LBB575_27
	s_branch .LBB575_28
.LBB575_51:                             ;   in Loop: Header=BB575_12 Depth=2
	ds_load_b32 v43, v31
	s_wait_alu 0xfffe
	s_or_b32 exec_lo, exec_lo, s6
	s_and_saveexec_b32 s6, s3
	s_cbranch_execz .LBB575_32
.LBB575_52:                             ;   in Loop: Header=BB575_12 Depth=2
	s_wait_dscnt 0x0
	ds_bpermute_b32 v44, v39, v43
	s_wait_dscnt 0x0
	v_add_f32_e32 v43, v43, v44
	ds_bpermute_b32 v44, v40, v43
	s_wait_dscnt 0x0
	v_add_f32_e32 v43, v43, v44
	;; [unrolled: 3-line block ×3, first 2 shown]
	s_wait_alu 0xfffe
	s_or_b32 exec_lo, exec_lo, s6
	s_and_saveexec_b32 s6, s3
	s_cbranch_execnz .LBB575_33
	s_branch .LBB575_34
.LBB575_53:                             ;   in Loop: Header=BB575_12 Depth=2
	ds_load_b32 v42, v31
	s_wait_alu 0xfffe
	s_or_b32 exec_lo, exec_lo, s6
	s_and_saveexec_b32 s6, s3
	s_cbranch_execz .LBB575_38
.LBB575_54:                             ;   in Loop: Header=BB575_12 Depth=2
	s_wait_dscnt 0x0
	ds_bpermute_b32 v44, v39, v42
	s_wait_dscnt 0x0
	v_add_f32_e32 v42, v42, v44
	ds_bpermute_b32 v44, v40, v42
	s_wait_dscnt 0x0
	v_add_f32_e32 v42, v42, v44
	;; [unrolled: 3-line block ×3, first 2 shown]
	s_wait_alu 0xfffe
	s_or_b32 exec_lo, exec_lo, s6
	s_and_saveexec_b32 s6, s0
	s_cbranch_execz .LBB575_11
.LBB575_55:                             ;   in Loop: Header=BB575_12 Depth=2
	s_mul_u64 s[8:9], s[28:29], s[36:37]
	v_mul_f32_e32 v27, v35, v27
	s_or_b32 s68, s28, 1
	s_mov_b32 s69, s29
	s_wait_alu 0xfffe
	s_lshl_b64 s[8:9], s[8:9], 2
	s_mul_u64 s[68:69], s[68:69], s[36:37]
	s_wait_alu 0xfffe
	s_add_nc_u64 s[8:9], s[58:59], s[8:9]
	v_mul_f32_e32 v28, v35, v28
	s_or_b32 s70, s28, 2
	s_mov_b32 s71, s29
	global_store_b32 v0, v27, s[8:9]
	s_lshl_b64 s[8:9], s[68:69], 2
	s_mul_u64 s[68:69], s[70:71], s[36:37]
	s_or_b32 s70, s28, 3
	s_wait_alu 0xfffe
	s_add_nc_u64 s[8:9], s[58:59], s[8:9]
	s_mul_u64 s[70:71], s[70:71], s[36:37]
	v_mul_f32_e32 v27, v35, v43
	global_store_b32 v0, v28, s[8:9]
	s_lshl_b64 s[8:9], s[68:69], 2
	s_wait_dscnt 0x0
	v_mul_f32_e32 v28, v35, v42
	s_lshl_b64 s[68:69], s[70:71], 2
	s_wait_alu 0xfffe
	s_add_nc_u64 s[8:9], s[58:59], s[8:9]
	s_add_nc_u64 s[68:69], s[58:59], s[68:69]
	s_clause 0x1
	global_store_b32 v0, v27, s[8:9]
	global_store_b32 v0, v28, s[68:69]
	s_branch .LBB575_11
.LBB575_56:                             ;   in Loop: Header=BB575_12 Depth=2
	v_dual_mov_b32 v42, 0 :: v_dual_mov_b32 v43, 0
	v_dual_mov_b32 v44, 0 :: v_dual_mov_b32 v45, 0
.LBB575_57:                             ;   in Loop: Header=BB575_12 Depth=2
	s_wait_alu 0xfffe
	s_or_b32 exec_lo, exec_lo, s68
	s_delay_alu instid0(SALU_CYCLE_1)
	s_or_b32 exec_lo, exec_lo, s11
	s_and_saveexec_b32 s6, s3
	s_cbranch_execnz .LBB575_15
	s_branch .LBB575_16
.LBB575_58:                             ;   in Loop: Header=BB575_3 Depth=1
	v_mov_b32_e32 v3, v0
	v_dual_mov_b32 v1, v0 :: v_dual_mov_b32 v2, v0
	s_mov_b32 s28, 0
	s_delay_alu instid0(VALU_DEP_2) | instskip(NEXT) | instid1(VALU_DEP_2)
	v_mov_b32_e32 v4, v3
	v_mov_b32_e32 v3, v2
	s_delay_alu instid0(VALU_DEP_3)
	v_mov_b32_e32 v2, v1
	v_mov_b32_e32 v1, v0
.LBB575_59:                             ;   in Loop: Header=BB575_3 Depth=1
	s_wait_alu 0xfffe
	s_cmp_ge_i32 s28, s35
	s_cbranch_scc1 .LBB575_2
; %bb.60:                               ;   in Loop: Header=BB575_3 Depth=1
	v_cmp_gt_u32_e32 vcc_lo, 24, v33
	s_mul_u64 s[6:7], s[54:55], s[28:29]
	s_wait_alu 0xfffe
	s_add_nc_u64 s[6:7], s[6:7], s[60:61]
	s_wait_alu 0xfffd
	v_cndmask_b32_e64 v17, 0, 8, vcc_lo
	v_cmp_gt_u32_e32 vcc_lo, 28, v33
	s_delay_alu instid0(VALU_DEP_2) | instskip(SKIP_3) | instid1(VALU_DEP_2)
	v_add_lshl_u32 v38, v17, v33, 2
	s_wait_alu 0xfffd
	v_cndmask_b32_e64 v18, 0, 4, vcc_lo
	v_cmp_gt_u32_e32 vcc_lo, 30, v33
	v_add_lshl_u32 v39, v18, v33, 2
	s_wait_alu 0xfffd
	v_cndmask_b32_e64 v19, 0, 2, vcc_lo
	v_cmp_ne_u32_e32 vcc_lo, 31, v33
	s_delay_alu instid0(VALU_DEP_2)
	v_add_lshl_u32 v40, v19, v33, 2
	s_wait_alu 0xfffd
	v_add_co_ci_u32_e64 v20, null, 0, v33, vcc_lo
	v_add_co_u32 v17, vcc_lo, s62, v5
	s_wait_alu 0xfffd
	v_add_co_ci_u32_e64 v18, null, s63, v6, vcc_lo
	v_add_co_u32 v19, vcc_lo, s62, v9
	v_lshlrev_b32_e32 v41, 2, v20
	s_wait_alu 0xfffd
	v_add_co_ci_u32_e64 v20, null, s63, v10, vcc_lo
	v_add_co_u32 v21, vcc_lo, s62, v11
	s_wait_alu 0xfffd
	v_add_co_ci_u32_e64 v22, null, s63, v12, vcc_lo
	v_add_co_u32 v23, vcc_lo, s62, v13
	s_wait_alu 0xfffd
	v_add_co_ci_u32_e64 v24, null, s63, v14, vcc_lo
	s_wait_alu 0xfffe
	v_add_co_u32 v25, vcc_lo, v29, s6
	s_wait_alu 0xfffd
	v_add_co_ci_u32_e64 v26, null, s7, v30, vcc_lo
	s_branch .LBB575_62
.LBB575_61:                             ;   in Loop: Header=BB575_62 Depth=2
	s_wait_alu 0xfffe
	s_or_b32 exec_lo, exec_lo, s6
	v_add_co_u32 v25, vcc_lo, v25, s54
	s_wait_alu 0xfffd
	v_add_co_ci_u32_e64 v26, null, s55, v26, vcc_lo
	s_add_co_i32 s28, s28, 1
	s_wait_alu 0xfffe
	s_cmp_ge_i32 s28, s35
	s_cbranch_scc1 .LBB575_2
.LBB575_62:                             ;   Parent Loop BB575_3 Depth=1
                                        ; =>  This Loop Header: Depth=2
                                        ;       Child Loop BB575_75 Depth 3
                                        ;       Child Loop BB575_78 Depth 3
	s_wait_dscnt 0x0
	v_mov_b32_e32 v42, s29
	s_and_saveexec_b32 s6, s1
	s_wait_alu 0xfffe
	s_xor_b32 s6, exec_lo, s6
	s_cbranch_execnz .LBB575_71
; %bb.63:                               ;   in Loop: Header=BB575_62 Depth=2
	s_wait_alu 0xfffe
	s_and_not1_saveexec_b32 s11, s6
	s_cbranch_execnz .LBB575_72
.LBB575_64:                             ;   in Loop: Header=BB575_62 Depth=2
	s_wait_alu 0xfffe
	s_or_b32 exec_lo, exec_lo, s11
	s_and_saveexec_b32 s6, s3
.LBB575_65:                             ;   in Loop: Header=BB575_62 Depth=2
	ds_store_b32 v31, v0
.LBB575_66:                             ;   in Loop: Header=BB575_62 Depth=2
	s_wait_alu 0xfffe
	s_or_b32 exec_lo, exec_lo, s6
	ds_bpermute_b32 v27, v34, v42
	s_wait_storecnt 0x0
	s_wait_loadcnt_dscnt 0x0
	s_barrier_signal -1
	s_barrier_wait -1
	global_inv scope:SCOPE_SE
	v_add_f32_e32 v27, v42, v27
	ds_bpermute_b32 v28, v38, v27
	s_wait_dscnt 0x0
	v_add_f32_e32 v27, v27, v28
	ds_bpermute_b32 v28, v39, v27
	s_wait_dscnt 0x0
	;; [unrolled: 3-line block ×3, first 2 shown]
	v_add_f32_e32 v27, v27, v28
	ds_bpermute_b32 v28, v41, v27
	s_and_saveexec_b32 s6, s4
	s_cbranch_execz .LBB575_68
; %bb.67:                               ;   in Loop: Header=BB575_62 Depth=2
	s_wait_dscnt 0x0
	v_add_f32_e32 v27, v27, v28
	ds_store_b32 v32, v27
.LBB575_68:                             ;   in Loop: Header=BB575_62 Depth=2
	s_wait_alu 0xfffe
	s_or_b32 exec_lo, exec_lo, s6
	v_mov_b32_e32 v27, 0
	s_wait_loadcnt_dscnt 0x0
	s_barrier_signal -1
	s_barrier_wait -1
	global_inv scope:SCOPE_SE
	s_and_saveexec_b32 s6, s5
	s_cbranch_execnz .LBB575_80
; %bb.69:                               ;   in Loop: Header=BB575_62 Depth=2
	s_wait_alu 0xfffe
	s_or_b32 exec_lo, exec_lo, s6
	s_and_saveexec_b32 s6, s3
	s_cbranch_execnz .LBB575_81
.LBB575_70:                             ;   in Loop: Header=BB575_62 Depth=2
	s_wait_alu 0xfffe
	s_or_b32 exec_lo, exec_lo, s6
	s_and_saveexec_b32 s6, s0
	s_cbranch_execz .LBB575_61
	s_branch .LBB575_82
.LBB575_71:                             ;   in Loop: Header=BB575_62 Depth=2
	s_mul_u64 s[8:9], s[28:29], s[30:31]
	s_wait_alu 0xfffe
	s_lshl_b64 s[8:9], s[8:9], 1
	s_wait_alu 0xfffe
	v_add_co_u32 v1, vcc_lo, v36, s8
	s_wait_alu 0xfffd
	v_add_co_ci_u32_e64 v2, null, s9, v37, vcc_lo
	global_load_u16 v3, v[17:18], off
	global_load_b64 v[27:28], v[1:2], off
	s_clause 0x2
	global_load_u16 v2, v[19:20], off
	global_load_u16 v4, v[21:22], off
	;; [unrolled: 1-line block ×3, first 2 shown]
	s_wait_loadcnt 0x4
	v_lshlrev_b32_e32 v1, 16, v3
	s_wait_loadcnt 0x3
	v_lshlrev_b32_e32 v3, 16, v27
	;; [unrolled: 2-line block ×3, first 2 shown]
	v_and_b32_e32 v27, 0xffff0000, v27
	s_delay_alu instid0(VALU_DEP_3)
	v_fma_f32 v42, v1, v3, 0
	s_wait_loadcnt 0x1
	v_lshlrev_b32_e32 v3, 16, v4
	s_wait_loadcnt 0x0
	v_lshlrev_b32_e32 v4, 16, v43
	v_dual_fmac_f32 v42, v2, v27 :: v_dual_lshlrev_b32 v27, 16, v28
	v_and_b32_e32 v28, 0xffff0000, v28
	s_delay_alu instid0(VALU_DEP_2) | instskip(NEXT) | instid1(VALU_DEP_1)
	v_fmac_f32_e32 v42, v3, v27
	v_fmac_f32_e32 v42, v4, v28
	s_and_not1_saveexec_b32 s11, s6
	s_cbranch_execz .LBB575_64
.LBB575_72:                             ;   in Loop: Header=BB575_62 Depth=2
	s_and_saveexec_b32 s60, s2
	s_cbranch_execz .LBB575_79
; %bb.73:                               ;   in Loop: Header=BB575_62 Depth=2
	s_and_not1_b32 vcc_lo, exec_lo, s34
	s_wait_alu 0xfffe
	s_cbranch_vccnz .LBB575_76
; %bb.74:                               ;   in Loop: Header=BB575_62 Depth=2
	v_dual_mov_b32 v28, v16 :: v_dual_mov_b32 v27, v15
	s_mov_b64 s[8:9], 0
.LBB575_75:                             ;   Parent Loop BB575_3 Depth=1
                                        ;     Parent Loop BB575_62 Depth=2
                                        ; =>    This Inner Loop Header: Depth=3
	global_load_u16 v43, v[27:28], off
	s_wait_alu 0xfffe
	s_cmp_eq_u32 s8, 3
	v_add_co_u32 v27, vcc_lo, v27, s46
	s_wait_alu 0xfffd
	v_add_co_ci_u32_e64 v28, null, s47, v28, vcc_lo
	s_cselect_b32 vcc_lo, -1, 0
	s_cmp_eq_u32 s8, 2
	s_cselect_b32 s6, -1, 0
	s_cmp_eq_u32 s8, 1
	s_cselect_b32 s7, -1, 0
	s_cmp_eq_u32 s8, 0
	s_add_nc_u64 s[8:9], s[8:9], 1
	s_wait_loadcnt 0x0
	v_lshlrev_b32_e32 v43, 16, v43
	s_wait_alu 0xfffe
	s_delay_alu instid0(VALU_DEP_1)
	v_cndmask_b32_e32 v4, v4, v43, vcc_lo
	s_cselect_b32 vcc_lo, -1, 0
	v_cndmask_b32_e64 v3, v3, v43, s6
	v_cndmask_b32_e64 v2, v2, v43, s7
	s_wait_alu 0xfffe
	v_cndmask_b32_e32 v1, v1, v43, vcc_lo
	s_cmp_eq_u32 s66, s8
	s_cbranch_scc0 .LBB575_75
.LBB575_76:                             ;   in Loop: Header=BB575_62 Depth=2
	s_and_not1_b32 vcc_lo, exec_lo, s34
	s_wait_alu 0xfffe
	s_cbranch_vccnz .LBB575_79
; %bb.77:                               ;   in Loop: Header=BB575_62 Depth=2
	v_dual_mov_b32 v28, v26 :: v_dual_mov_b32 v27, v25
	s_mov_b64 s[6:7], 0
.LBB575_78:                             ;   Parent Loop BB575_3 Depth=1
                                        ;     Parent Loop BB575_62 Depth=2
                                        ; =>    This Inner Loop Header: Depth=3
	global_load_u16 v43, v[27:28], off
	s_wait_alu 0xfffe
	s_cmp_eq_u32 s6, 1
	s_cselect_b32 vcc_lo, -1, 0
	s_cmp_eq_u32 s6, 2
	s_wait_alu 0xfffe
	v_cndmask_b32_e32 v44, v1, v2, vcc_lo
	s_cselect_b32 vcc_lo, -1, 0
	s_cmp_eq_u32 s6, 3
	s_add_nc_u64 s[6:7], s[6:7], 1
	s_wait_loadcnt 0x0
	v_lshlrev_b32_e32 v43, 16, v43
	s_wait_alu 0xfffe
	v_cndmask_b32_e32 v44, v44, v3, vcc_lo
	s_cselect_b32 vcc_lo, -1, 0
	s_cmp_lg_u32 s66, s6
	s_wait_alu 0xfffe
	s_delay_alu instid0(VALU_DEP_1) | instskip(SKIP_3) | instid1(VALU_DEP_3)
	v_cndmask_b32_e32 v44, v44, v4, vcc_lo
	v_add_co_u32 v27, vcc_lo, v27, 2
	s_wait_alu 0xfffd
	v_add_co_ci_u32_e64 v28, null, 0, v28, vcc_lo
	v_fmac_f32_e32 v42, v44, v43
	s_cbranch_scc1 .LBB575_78
.LBB575_79:                             ;   in Loop: Header=BB575_62 Depth=2
	s_wait_alu 0xfffe
	s_or_b32 exec_lo, exec_lo, s60
	s_delay_alu instid0(SALU_CYCLE_1)
	s_or_b32 exec_lo, exec_lo, s11
	s_and_saveexec_b32 s6, s3
	s_cbranch_execnz .LBB575_65
	s_branch .LBB575_66
.LBB575_80:                             ;   in Loop: Header=BB575_62 Depth=2
	ds_load_b32 v27, v31
	s_wait_alu 0xfffe
	s_or_b32 exec_lo, exec_lo, s6
	s_and_saveexec_b32 s6, s3
	s_cbranch_execz .LBB575_70
.LBB575_81:                             ;   in Loop: Header=BB575_62 Depth=2
	s_wait_dscnt 0x0
	ds_bpermute_b32 v28, v39, v27
	s_wait_dscnt 0x0
	v_add_f32_e32 v27, v27, v28
	ds_bpermute_b32 v28, v40, v27
	s_wait_dscnt 0x0
	v_add_f32_e32 v27, v27, v28
	;; [unrolled: 3-line block ×3, first 2 shown]
	s_wait_alu 0xfffe
	s_or_b32 exec_lo, exec_lo, s6
	s_and_saveexec_b32 s6, s0
	s_cbranch_execz .LBB575_61
.LBB575_82:                             ;   in Loop: Header=BB575_62 Depth=2
	s_mul_u64 s[8:9], s[28:29], s[36:37]
	s_wait_dscnt 0x0
	v_mul_f32_e32 v27, v35, v27
	s_wait_alu 0xfffe
	s_lshl_b64 s[8:9], s[8:9], 2
	s_wait_alu 0xfffe
	s_add_nc_u64 s[8:9], s[58:59], s[8:9]
	global_store_b32 v0, v27, s[8:9]
	s_branch .LBB575_61
.LBB575_83:
	s_endpgm
	.section	.rodata,"a",@progbits
	.p2align	6, 0x0
	.amdhsa_kernel _ZL23rocblas_gemvt_sn_kernelILb1ELi256ELi4El16rocblas_bfloat16PKffEviiT4_lPKT3_lilS6_lilPT5_i
		.amdhsa_group_segment_fixed_size 128
		.amdhsa_private_segment_fixed_size 0
		.amdhsa_kernarg_size 360
		.amdhsa_user_sgpr_count 2
		.amdhsa_user_sgpr_dispatch_ptr 0
		.amdhsa_user_sgpr_queue_ptr 0
		.amdhsa_user_sgpr_kernarg_segment_ptr 1
		.amdhsa_user_sgpr_dispatch_id 0
		.amdhsa_user_sgpr_private_segment_size 0
		.amdhsa_wavefront_size32 1
		.amdhsa_uses_dynamic_stack 0
		.amdhsa_enable_private_segment 0
		.amdhsa_system_sgpr_workgroup_id_x 1
		.amdhsa_system_sgpr_workgroup_id_y 0
		.amdhsa_system_sgpr_workgroup_id_z 1
		.amdhsa_system_sgpr_workgroup_info 0
		.amdhsa_system_vgpr_workitem_id 0
		.amdhsa_next_free_vgpr 57
		.amdhsa_next_free_sgpr 72
		.amdhsa_reserve_vcc 1
		.amdhsa_float_round_mode_32 0
		.amdhsa_float_round_mode_16_64 0
		.amdhsa_float_denorm_mode_32 3
		.amdhsa_float_denorm_mode_16_64 3
		.amdhsa_fp16_overflow 0
		.amdhsa_workgroup_processor_mode 1
		.amdhsa_memory_ordered 1
		.amdhsa_forward_progress 1
		.amdhsa_inst_pref_size 37
		.amdhsa_round_robin_scheduling 0
		.amdhsa_exception_fp_ieee_invalid_op 0
		.amdhsa_exception_fp_denorm_src 0
		.amdhsa_exception_fp_ieee_div_zero 0
		.amdhsa_exception_fp_ieee_overflow 0
		.amdhsa_exception_fp_ieee_underflow 0
		.amdhsa_exception_fp_ieee_inexact 0
		.amdhsa_exception_int_div_zero 0
	.end_amdhsa_kernel
	.section	.text._ZL23rocblas_gemvt_sn_kernelILb1ELi256ELi4El16rocblas_bfloat16PKffEviiT4_lPKT3_lilS6_lilPT5_i,"axG",@progbits,_ZL23rocblas_gemvt_sn_kernelILb1ELi256ELi4El16rocblas_bfloat16PKffEviiT4_lPKT3_lilS6_lilPT5_i,comdat
.Lfunc_end575:
	.size	_ZL23rocblas_gemvt_sn_kernelILb1ELi256ELi4El16rocblas_bfloat16PKffEviiT4_lPKT3_lilS6_lilPT5_i, .Lfunc_end575-_ZL23rocblas_gemvt_sn_kernelILb1ELi256ELi4El16rocblas_bfloat16PKffEviiT4_lPKT3_lilS6_lilPT5_i
                                        ; -- End function
	.set _ZL23rocblas_gemvt_sn_kernelILb1ELi256ELi4El16rocblas_bfloat16PKffEviiT4_lPKT3_lilS6_lilPT5_i.num_vgpr, 57
	.set _ZL23rocblas_gemvt_sn_kernelILb1ELi256ELi4El16rocblas_bfloat16PKffEviiT4_lPKT3_lilS6_lilPT5_i.num_agpr, 0
	.set _ZL23rocblas_gemvt_sn_kernelILb1ELi256ELi4El16rocblas_bfloat16PKffEviiT4_lPKT3_lilS6_lilPT5_i.numbered_sgpr, 72
	.set _ZL23rocblas_gemvt_sn_kernelILb1ELi256ELi4El16rocblas_bfloat16PKffEviiT4_lPKT3_lilS6_lilPT5_i.num_named_barrier, 0
	.set _ZL23rocblas_gemvt_sn_kernelILb1ELi256ELi4El16rocblas_bfloat16PKffEviiT4_lPKT3_lilS6_lilPT5_i.private_seg_size, 0
	.set _ZL23rocblas_gemvt_sn_kernelILb1ELi256ELi4El16rocblas_bfloat16PKffEviiT4_lPKT3_lilS6_lilPT5_i.uses_vcc, 1
	.set _ZL23rocblas_gemvt_sn_kernelILb1ELi256ELi4El16rocblas_bfloat16PKffEviiT4_lPKT3_lilS6_lilPT5_i.uses_flat_scratch, 0
	.set _ZL23rocblas_gemvt_sn_kernelILb1ELi256ELi4El16rocblas_bfloat16PKffEviiT4_lPKT3_lilS6_lilPT5_i.has_dyn_sized_stack, 0
	.set _ZL23rocblas_gemvt_sn_kernelILb1ELi256ELi4El16rocblas_bfloat16PKffEviiT4_lPKT3_lilS6_lilPT5_i.has_recursion, 0
	.set _ZL23rocblas_gemvt_sn_kernelILb1ELi256ELi4El16rocblas_bfloat16PKffEviiT4_lPKT3_lilS6_lilPT5_i.has_indirect_call, 0
	.section	.AMDGPU.csdata,"",@progbits
; Kernel info:
; codeLenInByte = 4668
; TotalNumSgprs: 74
; NumVgprs: 57
; ScratchSize: 0
; MemoryBound: 0
; FloatMode: 240
; IeeeMode: 1
; LDSByteSize: 128 bytes/workgroup (compile time only)
; SGPRBlocks: 0
; VGPRBlocks: 7
; NumSGPRsForWavesPerEU: 74
; NumVGPRsForWavesPerEU: 57
; Occupancy: 16
; WaveLimiterHint : 0
; COMPUTE_PGM_RSRC2:SCRATCH_EN: 0
; COMPUTE_PGM_RSRC2:USER_SGPR: 2
; COMPUTE_PGM_RSRC2:TRAP_HANDLER: 0
; COMPUTE_PGM_RSRC2:TGID_X_EN: 1
; COMPUTE_PGM_RSRC2:TGID_Y_EN: 0
; COMPUTE_PGM_RSRC2:TGID_Z_EN: 1
; COMPUTE_PGM_RSRC2:TIDIG_COMP_CNT: 0
	.section	.text._ZL23rocblas_gemvt_sn_kernelILb1ELi256ELi4Ei16rocblas_bfloat16ffEviiT4_lPKT3_lilS4_lilPT5_i,"axG",@progbits,_ZL23rocblas_gemvt_sn_kernelILb1ELi256ELi4Ei16rocblas_bfloat16ffEviiT4_lPKT3_lilS4_lilPT5_i,comdat
	.globl	_ZL23rocblas_gemvt_sn_kernelILb1ELi256ELi4Ei16rocblas_bfloat16ffEviiT4_lPKT3_lilS4_lilPT5_i ; -- Begin function _ZL23rocblas_gemvt_sn_kernelILb1ELi256ELi4Ei16rocblas_bfloat16ffEviiT4_lPKT3_lilS4_lilPT5_i
	.p2align	8
	.type	_ZL23rocblas_gemvt_sn_kernelILb1ELi256ELi4Ei16rocblas_bfloat16ffEviiT4_lPKT3_lilS4_lilPT5_i,@function
_ZL23rocblas_gemvt_sn_kernelILb1ELi256ELi4Ei16rocblas_bfloat16ffEviiT4_lPKT3_lilS4_lilPT5_i: ; @_ZL23rocblas_gemvt_sn_kernelILb1ELi256ELi4Ei16rocblas_bfloat16ffEviiT4_lPKT3_lilS4_lilPT5_i
; %bb.0:
	s_load_b32 s11, s[0:1], 0x60
	s_lshr_b32 s24, ttmp7, 16
	s_wait_kmcnt 0x0
	s_cmp_ge_u32 s24, s11
	s_cbranch_scc1 .LBB576_83
; %bb.1:
	s_clause 0x6
	s_load_b96 s[8:10], s[0:1], 0x40
	s_load_b128 s[4:7], s[0:1], 0x18
	s_load_b96 s[20:22], s[0:1], 0x0
	s_load_b128 s[12:15], s[0:1], 0x30
	s_load_b32 s28, s[0:1], 0x68
	s_load_b32 s30, s[0:1], 0x28
	s_load_b128 s[16:19], s[0:1], 0x50
	v_cmp_eq_u32_e64 s0, 0, v0
	v_mbcnt_lo_u32_b32 v28, -1, 0
	s_mov_b32 s35, 0
	s_mov_b32 s26, ttmp9
	s_mov_b32 s29, s35
	s_mov_b32 s27, s35
	v_lshl_or_b32 v29, v28, 2, 64
	s_mov_b32 s31, s35
	s_mov_b32 s47, s35
	s_wait_kmcnt 0x0
	s_lshl_b64 s[2:3], s[8:9], 1
	s_lshl_b64 s[6:7], s[6:7], 1
	s_ashr_i32 s9, s21, 31
	s_cmp_eq_f32 s22, 0
	s_add_nc_u64 s[14:15], s[14:15], s[2:3]
	s_add_nc_u64 s[2:3], s[4:5], s[6:7]
	s_mov_b32 s8, s21
	s_cselect_b32 s23, -1, 0
	s_cmp_gt_i32 s21, 0
	s_mul_u64 s[36:37], s[8:9], s[28:29]
	s_cselect_b32 s1, -1, 0
	s_lshl_b32 s4, ttmp9, 10
	s_lshr_b32 s5, s9, 30
	v_lshl_or_b32 v1, v0, 2, s4
	s_ashr_i32 s6, s20, 31
	s_and_b32 s33, s0, s1
	s_add_co_i32 s1, s21, s5
	s_lshr_b32 s4, s6, 30
	v_ashrrev_i32_e32 v2, 31, v1
	s_and_b32 s68, s1, -4
	s_wait_alu 0xfffe
	s_add_co_i32 s1, s20, s4
	v_mul_lo_u32 v5, s10, v1
	s_and_b32 s1, s1, -4
	v_lshlrev_b64_e32 v[2:3], 1, v[1:2]
	s_sub_co_i32 s69, s20, s1
	v_add_nc_u32_e32 v4, 4, v1
	v_add_nc_u32_e32 v1, s69, v1
	v_cmp_gt_u32_e64 s5, 8, v0
	s_cmp_gt_i32 s68, 0
	v_add_co_u32 v24, vcc_lo, s2, v2
	v_cmp_ge_i32_e64 s1, s20, v4
	v_add_co_ci_u32_e64 v25, null, s3, v3, vcc_lo
	v_and_b32_e32 v2, 31, v0
	v_cmp_gt_u32_e64 s3, 32, v0
	v_lshrrev_b32_e32 v4, 3, v0
	v_mov_b32_e32 v0, 0
	v_cmp_ge_i32_e64 s2, s20, v1
	v_add_nc_u32_e32 v1, s10, v5
	v_cmp_eq_u32_e64 s4, 0, v2
	v_lshlrev_b32_e32 v26, 2, v2
	v_and_b32_e32 v27, 28, v4
	v_ashrrev_i32_e32 v6, 31, v5
	v_add_nc_u32_e32 v3, s10, v1
	v_ashrrev_i32_e32 v2, 31, v1
	s_cselect_b32 s70, -1, 0
	s_cmp_gt_i32 s69, 0
	v_lshlrev_b64_e32 v[6:7], 1, v[5:6]
	v_add_nc_u32_e32 v12, s10, v3
	v_ashrrev_i32_e32 v4, 31, v3
	s_cselect_b32 s20, -1, 0
	s_lshl_b32 s34, s30, 1
	v_lshlrev_b64_e32 v[8:9], 1, v[1:2]
	v_ashrrev_i32_e32 v13, 31, v12
	v_lshlrev_b64_e32 v[10:11], 1, v[3:4]
	s_lshl_b64 s[38:39], s[26:27], 2
	s_mov_b64 s[48:49], s[34:35]
	s_mul_i32 s34, s30, 3
	v_lshlrev_b64_e32 v[12:13], 1, v[12:13]
	s_add_nc_u64 s[40:41], s[18:19], s[38:39]
	s_lshl_b64 s[42:43], s[36:37], 2
	s_lshl_b64 s[44:45], s[28:29], 2
	s_lshl_b32 s46, s30, 2
	s_mov_b64 s[50:51], s[34:35]
	s_lshl_b64 s[52:53], s[12:13], 1
	s_branch .LBB576_3
.LBB576_2:                              ;   in Loop: Header=BB576_3 Depth=1
	s_add_co_i32 s24, s24, 0x10000
	s_delay_alu instid0(SALU_CYCLE_1)
	s_cmp_lt_u32 s24, s11
	s_cbranch_scc0 .LBB576_83
.LBB576_3:                              ; =>This Loop Header: Depth=1
                                        ;     Child Loop BB576_6 Depth 2
                                        ;     Child Loop BB576_12 Depth 2
                                        ;       Child Loop BB576_43 Depth 3
                                        ;       Child Loop BB576_46 Depth 3
                                        ;     Child Loop BB576_62 Depth 2
                                        ;       Child Loop BB576_75 Depth 3
                                        ;       Child Loop BB576_78 Depth 3
	s_mov_b32 s25, s35
	s_and_not1_b32 vcc_lo, exec_lo, s23
	s_mov_b32 s6, -1
	s_wait_alu 0xfffe
	s_cbranch_vccnz .LBB576_8
; %bb.4:                                ;   in Loop: Header=BB576_3 Depth=1
	s_and_saveexec_b32 s8, s33
	s_cbranch_execz .LBB576_7
; %bb.5:                                ;   in Loop: Header=BB576_3 Depth=1
	s_mul_u64 s[6:7], s[42:43], s[24:25]
	s_mov_b32 s9, s21
	s_wait_alu 0xfffe
	s_add_nc_u64 s[6:7], s[40:41], s[6:7]
.LBB576_6:                              ;   Parent Loop BB576_3 Depth=1
                                        ; =>  This Inner Loop Header: Depth=2
	s_add_co_i32 s9, s9, -1
	global_store_b32 v0, v0, s[6:7]
	s_wait_alu 0xfffe
	s_cmp_eq_u32 s9, 0
	s_add_nc_u64 s[6:7], s[6:7], s[44:45]
	s_cbranch_scc0 .LBB576_6
.LBB576_7:                              ;   in Loop: Header=BB576_3 Depth=1
	s_wait_alu 0xfffe
	s_or_b32 exec_lo, exec_lo, s8
	s_mov_b32 s6, 0
.LBB576_8:                              ;   in Loop: Header=BB576_3 Depth=1
	s_wait_alu 0xfffe
	s_and_not1_b32 vcc_lo, exec_lo, s6
	s_wait_alu 0xfffe
	s_cbranch_vccnz .LBB576_2
; %bb.9:                                ;   in Loop: Header=BB576_3 Depth=1
	s_mul_u64 s[6:7], s[16:17], s[24:25]
	s_mul_u64 s[8:9], s[12:13], s[24:25]
	s_wait_alu 0xfffe
	s_lshl_b64 s[6:7], s[6:7], 1
	s_mul_u64 s[58:59], s[36:37], s[24:25]
	s_wait_alu 0xfffe
	s_add_nc_u64 s[54:55], s[14:15], s[6:7]
	s_lshl_b64 s[6:7], s[8:9], 1
	v_cmp_gt_u32_e64 s9, 24, v28
	s_wait_alu 0xfffe
	v_add_co_u32 v30, vcc_lo, v24, s6
	s_wait_alu 0xfffd
	v_add_co_ci_u32_e64 v31, null, s7, v25, vcc_lo
	v_cmp_gt_u32_e64 s8, 28, v28
	v_cmp_gt_u32_e64 s7, 30, v28
	v_cmp_ne_u32_e64 s6, 31, v28
	s_lshl_b64 s[58:59], s[58:59], 2
	s_mul_u64 s[56:57], s[52:53], s[24:25]
	s_and_not1_b32 vcc_lo, exec_lo, s70
	s_wait_alu 0xfffe
	s_add_nc_u64 s[58:59], s[18:19], s[58:59]
	s_cbranch_vccnz .LBB576_58
; %bb.10:                               ;   in Loop: Header=BB576_3 Depth=1
	v_cndmask_b32_e64 v3, 0, 2, s7
	v_add_co_u32 v14, vcc_lo, s54, v6
	s_wait_alu 0xfffd
	v_add_co_ci_u32_e64 v15, null, s55, v7, vcc_lo
	v_add_co_u32 v16, vcc_lo, s54, v8
	v_cndmask_b32_e64 v1, 0, 8, s9
	v_cndmask_b32_e64 v2, 0, 4, s8
	v_add_co_ci_u32_e64 v4, null, 0, v28, s6
	v_add_lshl_u32 v34, v3, v28, 2
	s_wait_alu 0xfffd
	v_add_co_ci_u32_e64 v17, null, s55, v9, vcc_lo
	v_add_co_u32 v18, vcc_lo, s54, v10
	v_mov_b32_e32 v3, v0
	s_wait_alu 0xfffd
	v_add_co_ci_u32_e64 v19, null, s55, v11, vcc_lo
	v_add_co_u32 v20, vcc_lo, s54, v12
	v_add_lshl_u32 v32, v1, v28, 2
	v_add_lshl_u32 v33, v2, v28, 2
	v_dual_mov_b32 v2, v0 :: v_dual_lshlrev_b32 v35, 2, v4
	s_wait_alu 0xfffd
	v_add_co_ci_u32_e64 v21, null, s55, v13, vcc_lo
	v_mov_b32_e32 v1, v0
	v_add_co_u32 v36, vcc_lo, v24, s56
	v_mov_b32_e32 v4, v3
	s_wait_alu 0xfffd
	v_add_co_ci_u32_e64 v37, null, s57, v25, vcc_lo
	v_mov_b32_e32 v3, v2
	v_mov_b32_e32 v2, v1
	;; [unrolled: 1-line block ×3, first 2 shown]
	s_mov_b32 s8, 0
	s_mov_b64 s[60:61], s[50:51]
	s_mov_b64 s[62:63], s[48:49]
	;; [unrolled: 1-line block ×3, first 2 shown]
	s_mov_b32 s25, 0
	s_branch .LBB576_12
.LBB576_11:                             ;   in Loop: Header=BB576_12 Depth=2
	s_wait_alu 0xfffe
	s_or_b32 exec_lo, exec_lo, s6
	s_add_co_i32 s25, s25, 4
	s_add_co_i32 s8, s8, s46
	s_add_nc_u64 s[64:65], s[64:65], s[46:47]
	s_add_nc_u64 s[62:63], s[62:63], s[46:47]
	s_cmp_ge_i32 s25, s68
	s_add_nc_u64 s[60:61], s[60:61], s[46:47]
	s_cbranch_scc1 .LBB576_59
.LBB576_12:                             ;   Parent Loop BB576_3 Depth=1
                                        ; =>  This Loop Header: Depth=2
                                        ;       Child Loop BB576_43 Depth 3
                                        ;       Child Loop BB576_46 Depth 3
                                        ; implicit-def: $vgpr38
                                        ; implicit-def: $vgpr39
                                        ; implicit-def: $vgpr40
                                        ; implicit-def: $vgpr41
	s_and_saveexec_b32 s6, s1
	s_wait_alu 0xfffe
	s_xor_b32 s6, exec_lo, s6
	s_cbranch_execnz .LBB576_39
; %bb.13:                               ;   in Loop: Header=BB576_12 Depth=2
	s_wait_alu 0xfffe
	s_and_not1_saveexec_b32 s27, s6
	s_cbranch_execnz .LBB576_40
.LBB576_14:                             ;   in Loop: Header=BB576_12 Depth=2
	s_or_b32 exec_lo, exec_lo, s27
	s_and_saveexec_b32 s6, s3
.LBB576_15:                             ;   in Loop: Header=BB576_12 Depth=2
	ds_store_b32 v26, v0
.LBB576_16:                             ;   in Loop: Header=BB576_12 Depth=2
	s_wait_alu 0xfffe
	s_or_b32 exec_lo, exec_lo, s6
	s_wait_dscnt 0x0
	ds_bpermute_b32 v22, v29, v41
	s_wait_storecnt_dscnt 0x0
	s_barrier_signal -1
	s_barrier_wait -1
	global_inv scope:SCOPE_SE
	v_add_f32_e32 v22, v41, v22
	ds_bpermute_b32 v23, v32, v22
	s_wait_dscnt 0x0
	v_add_f32_e32 v22, v22, v23
	ds_bpermute_b32 v23, v33, v22
	s_wait_dscnt 0x0
	;; [unrolled: 3-line block ×3, first 2 shown]
	v_add_f32_e32 v22, v22, v23
	ds_bpermute_b32 v23, v35, v22
	s_and_saveexec_b32 s6, s4
	s_cbranch_execz .LBB576_18
; %bb.17:                               ;   in Loop: Header=BB576_12 Depth=2
	s_wait_dscnt 0x0
	v_add_f32_e32 v22, v22, v23
	ds_store_b32 v27, v22
.LBB576_18:                             ;   in Loop: Header=BB576_12 Depth=2
	s_wait_alu 0xfffe
	s_or_b32 exec_lo, exec_lo, s6
	v_mov_b32_e32 v22, 0
	s_wait_loadcnt_dscnt 0x0
	s_barrier_signal -1
	s_barrier_wait -1
	global_inv scope:SCOPE_SE
	s_and_saveexec_b32 s6, s5
	s_cbranch_execnz .LBB576_47
; %bb.19:                               ;   in Loop: Header=BB576_12 Depth=2
	s_wait_alu 0xfffe
	s_or_b32 exec_lo, exec_lo, s6
	s_and_saveexec_b32 s6, s3
	s_cbranch_execnz .LBB576_48
.LBB576_20:                             ;   in Loop: Header=BB576_12 Depth=2
	s_wait_alu 0xfffe
	s_or_b32 exec_lo, exec_lo, s6
	s_and_saveexec_b32 s6, s3
.LBB576_21:                             ;   in Loop: Header=BB576_12 Depth=2
	ds_store_b32 v26, v0
.LBB576_22:                             ;   in Loop: Header=BB576_12 Depth=2
	s_wait_alu 0xfffe
	s_or_b32 exec_lo, exec_lo, s6
	ds_bpermute_b32 v23, v29, v40
	s_wait_loadcnt_dscnt 0x0
	s_barrier_signal -1
	s_barrier_wait -1
	global_inv scope:SCOPE_SE
	v_add_f32_e32 v23, v40, v23
	ds_bpermute_b32 v40, v32, v23
	s_wait_dscnt 0x0
	v_add_f32_e32 v23, v23, v40
	ds_bpermute_b32 v40, v33, v23
	s_wait_dscnt 0x0
	;; [unrolled: 3-line block ×3, first 2 shown]
	v_add_f32_e32 v23, v23, v40
	ds_bpermute_b32 v40, v35, v23
	s_and_saveexec_b32 s6, s4
	s_cbranch_execz .LBB576_24
; %bb.23:                               ;   in Loop: Header=BB576_12 Depth=2
	s_wait_dscnt 0x0
	v_add_f32_e32 v23, v23, v40
	ds_store_b32 v27, v23
.LBB576_24:                             ;   in Loop: Header=BB576_12 Depth=2
	s_wait_alu 0xfffe
	s_or_b32 exec_lo, exec_lo, s6
	v_mov_b32_e32 v23, 0
	s_wait_loadcnt_dscnt 0x0
	s_barrier_signal -1
	s_barrier_wait -1
	global_inv scope:SCOPE_SE
	s_and_saveexec_b32 s6, s5
	s_cbranch_execnz .LBB576_49
; %bb.25:                               ;   in Loop: Header=BB576_12 Depth=2
	s_wait_alu 0xfffe
	s_or_b32 exec_lo, exec_lo, s6
	s_and_saveexec_b32 s6, s3
	s_cbranch_execnz .LBB576_50
.LBB576_26:                             ;   in Loop: Header=BB576_12 Depth=2
	s_wait_alu 0xfffe
	s_or_b32 exec_lo, exec_lo, s6
	s_and_saveexec_b32 s6, s3
.LBB576_27:                             ;   in Loop: Header=BB576_12 Depth=2
	ds_store_b32 v26, v0
.LBB576_28:                             ;   in Loop: Header=BB576_12 Depth=2
	s_wait_alu 0xfffe
	s_or_b32 exec_lo, exec_lo, s6
	ds_bpermute_b32 v40, v29, v39
	s_wait_loadcnt_dscnt 0x0
	s_barrier_signal -1
	s_barrier_wait -1
	global_inv scope:SCOPE_SE
	v_add_f32_e32 v39, v39, v40
	ds_bpermute_b32 v40, v32, v39
	s_wait_dscnt 0x0
	v_add_f32_e32 v39, v39, v40
	ds_bpermute_b32 v40, v33, v39
	s_wait_dscnt 0x0
	;; [unrolled: 3-line block ×3, first 2 shown]
	v_add_f32_e32 v39, v39, v40
	ds_bpermute_b32 v40, v35, v39
	s_and_saveexec_b32 s6, s4
	s_cbranch_execz .LBB576_30
; %bb.29:                               ;   in Loop: Header=BB576_12 Depth=2
	s_wait_dscnt 0x0
	v_add_f32_e32 v39, v39, v40
	ds_store_b32 v27, v39
.LBB576_30:                             ;   in Loop: Header=BB576_12 Depth=2
	s_wait_alu 0xfffe
	s_or_b32 exec_lo, exec_lo, s6
	v_mov_b32_e32 v39, 0
	s_wait_loadcnt_dscnt 0x0
	s_barrier_signal -1
	s_barrier_wait -1
	global_inv scope:SCOPE_SE
	s_and_saveexec_b32 s6, s5
	s_cbranch_execnz .LBB576_51
; %bb.31:                               ;   in Loop: Header=BB576_12 Depth=2
	s_wait_alu 0xfffe
	s_or_b32 exec_lo, exec_lo, s6
	s_and_saveexec_b32 s6, s3
	s_cbranch_execnz .LBB576_52
.LBB576_32:                             ;   in Loop: Header=BB576_12 Depth=2
	s_wait_alu 0xfffe
	s_or_b32 exec_lo, exec_lo, s6
	s_and_saveexec_b32 s6, s3
.LBB576_33:                             ;   in Loop: Header=BB576_12 Depth=2
	ds_store_b32 v26, v0
.LBB576_34:                             ;   in Loop: Header=BB576_12 Depth=2
	s_wait_alu 0xfffe
	s_or_b32 exec_lo, exec_lo, s6
	ds_bpermute_b32 v40, v29, v38
	s_wait_loadcnt_dscnt 0x0
	s_barrier_signal -1
	s_barrier_wait -1
	global_inv scope:SCOPE_SE
	v_add_f32_e32 v38, v38, v40
	ds_bpermute_b32 v40, v32, v38
	s_wait_dscnt 0x0
	v_add_f32_e32 v38, v38, v40
	ds_bpermute_b32 v40, v33, v38
	s_wait_dscnt 0x0
	;; [unrolled: 3-line block ×3, first 2 shown]
	v_add_f32_e32 v38, v38, v40
	ds_bpermute_b32 v40, v35, v38
	s_and_saveexec_b32 s6, s4
	s_cbranch_execz .LBB576_36
; %bb.35:                               ;   in Loop: Header=BB576_12 Depth=2
	s_wait_dscnt 0x0
	v_add_f32_e32 v38, v38, v40
	ds_store_b32 v27, v38
.LBB576_36:                             ;   in Loop: Header=BB576_12 Depth=2
	s_wait_alu 0xfffe
	s_or_b32 exec_lo, exec_lo, s6
	v_mov_b32_e32 v38, 0
	s_wait_loadcnt_dscnt 0x0
	s_barrier_signal -1
	s_barrier_wait -1
	global_inv scope:SCOPE_SE
	s_and_saveexec_b32 s6, s5
	s_cbranch_execnz .LBB576_53
; %bb.37:                               ;   in Loop: Header=BB576_12 Depth=2
	s_wait_alu 0xfffe
	s_or_b32 exec_lo, exec_lo, s6
	s_and_saveexec_b32 s6, s3
	s_cbranch_execnz .LBB576_54
.LBB576_38:                             ;   in Loop: Header=BB576_12 Depth=2
	s_wait_alu 0xfffe
	s_or_b32 exec_lo, exec_lo, s6
	s_and_saveexec_b32 s6, s0
	s_cbranch_execz .LBB576_11
	s_branch .LBB576_55
.LBB576_39:                             ;   in Loop: Header=BB576_12 Depth=2
	s_mul_i32 s66, s25, s30
	s_wait_alu 0xfffe
	s_ashr_i32 s67, s66, 31
	s_add_co_i32 s72, s66, s30
	s_wait_alu 0xfffe
	s_lshl_b64 s[66:67], s[66:67], 1
	s_ashr_i32 s73, s72, 31
	s_wait_alu 0xfffe
	v_add_co_u32 v1, vcc_lo, v30, s66
	s_wait_alu 0xfffd
	v_add_co_ci_u32_e64 v2, null, s67, v31, vcc_lo
	s_lshl_b64 s[66:67], s[72:73], 1
	s_wait_alu 0xfffe
	v_add_co_u32 v3, vcc_lo, v30, s66
	s_add_co_i32 s66, s72, s30
	s_wait_alu 0xfffd
	v_add_co_ci_u32_e64 v4, null, s67, v31, vcc_lo
	s_wait_alu 0xfffe
	s_ashr_i32 s67, s66, 31
	s_add_co_i32 s72, s66, s30
	s_wait_alu 0xfffe
	s_lshl_b64 s[66:67], s[66:67], 1
	s_wait_dscnt 0x0
	s_clause 0x1
	global_load_b64 v[22:23], v[1:2], off
	global_load_b64 v[38:39], v[3:4], off
	s_ashr_i32 s73, s72, 31
	s_wait_alu 0xfffe
	v_add_co_u32 v1, vcc_lo, v30, s66
	s_wait_alu 0xfffd
	v_add_co_ci_u32_e64 v2, null, s67, v31, vcc_lo
	s_lshl_b64 s[66:67], s[72:73], 1
	s_clause 0x2
	global_load_u16 v44, v[14:15], off
	global_load_u16 v45, v[16:17], off
	global_load_u16 v46, v[18:19], off
	s_wait_alu 0xfffe
	v_add_co_u32 v3, vcc_lo, v30, s66
	s_wait_alu 0xfffd
	v_add_co_ci_u32_e64 v4, null, s67, v31, vcc_lo
	s_clause 0x1
	global_load_b64 v[40:41], v[1:2], off
	global_load_b64 v[42:43], v[3:4], off
	global_load_u16 v4, v[20:21], off
	s_wait_loadcnt 0x6
	v_and_b32_e32 v49, 0xffff0000, v39
	s_wait_loadcnt 0x2
	v_and_b32_e32 v52, 0xffff0000, v41
	v_and_b32_e32 v50, 0xffff0000, v40
	s_wait_loadcnt 0x0
	v_lshlrev_b32_e32 v4, 16, v4
	v_lshlrev_b32_e32 v3, 16, v46
	v_lshlrev_b32_e32 v46, 16, v38
	v_lshlrev_b32_e32 v51, 16, v41
	v_lshlrev_b32_e32 v2, 16, v45
	v_lshlrev_b32_e32 v48, 16, v39
	v_and_b32_e32 v47, 0xffff0000, v38
	v_lshlrev_b32_e32 v1, 16, v44
	v_lshlrev_b32_e32 v38, 16, v40
	;; [unrolled: 1-line block ×3, first 2 shown]
	v_and_b32_e32 v42, 0xffff0000, v42
	s_delay_alu instid0(VALU_DEP_4) | instskip(NEXT) | instid1(VALU_DEP_1)
	v_fma_f32 v40, v1, v46, 0
	v_fmac_f32_e32 v40, v2, v47
	v_fma_f32 v39, v1, v38, 0
	v_fma_f32 v38, v53, v1, 0
	s_delay_alu instid0(VALU_DEP_2) | instskip(NEXT) | instid1(VALU_DEP_1)
	v_dual_fmac_f32 v40, v3, v48 :: v_dual_fmac_f32 v39, v2, v50
	v_dual_fmac_f32 v40, v4, v49 :: v_dual_fmac_f32 v39, v3, v51
	s_delay_alu instid0(VALU_DEP_3) | instskip(NEXT) | instid1(VALU_DEP_2)
	v_dual_fmac_f32 v38, v2, v42 :: v_dual_lshlrev_b32 v45, 16, v23
	v_dual_fmac_f32 v39, v4, v52 :: v_dual_lshlrev_b32 v44, 16, v22
	s_delay_alu instid0(VALU_DEP_1) | instskip(SKIP_3) | instid1(VALU_DEP_1)
	v_fma_f32 v41, v1, v44, 0
	v_and_b32_e32 v44, 0xffff0000, v43
	v_and_b32_e32 v23, 0xffff0000, v23
	v_and_b32_e32 v22, 0xffff0000, v22
	v_dual_fmac_f32 v41, v2, v22 :: v_dual_lshlrev_b32 v22, 16, v43
	s_delay_alu instid0(VALU_DEP_1) | instskip(NEXT) | instid1(VALU_DEP_1)
	v_dual_fmac_f32 v41, v3, v45 :: v_dual_fmac_f32 v38, v22, v3
	v_fmac_f32_e32 v38, v4, v44
	s_delay_alu instid0(VALU_DEP_2)
	v_fmac_f32_e32 v41, v4, v23
	s_and_not1_saveexec_b32 s27, s6
	s_cbranch_execz .LBB576_14
.LBB576_40:                             ;   in Loop: Header=BB576_12 Depth=2
	s_wait_dscnt 0x0
	v_dual_mov_b32 v38, 0 :: v_dual_mov_b32 v39, 0
	v_dual_mov_b32 v40, 0 :: v_dual_mov_b32 v41, 0
	s_and_saveexec_b32 s34, s2
	s_cbranch_execz .LBB576_57
; %bb.41:                               ;   in Loop: Header=BB576_12 Depth=2
	s_and_not1_b32 vcc_lo, exec_lo, s20
	s_wait_alu 0xfffe
	s_cbranch_vccnz .LBB576_44
; %bb.42:                               ;   in Loop: Header=BB576_12 Depth=2
	v_mov_b32_e32 v22, v5
	s_mov_b64 s[66:67], 0
.LBB576_43:                             ;   Parent Loop BB576_3 Depth=1
                                        ;     Parent Loop BB576_12 Depth=2
                                        ; =>    This Inner Loop Header: Depth=3
	s_delay_alu instid0(VALU_DEP_1) | instskip(SKIP_2) | instid1(VALU_DEP_1)
	v_ashrrev_i32_e32 v23, 31, v22
	s_wait_alu 0xfffe
	s_cmp_eq_u32 s66, 3
	v_lshlrev_b64_e32 v[38:39], 1, v[22:23]
	s_delay_alu instid0(VALU_DEP_1) | instskip(SKIP_1) | instid1(VALU_DEP_2)
	v_add_co_u32 v38, vcc_lo, s54, v38
	s_wait_alu 0xfffd
	v_add_co_ci_u32_e64 v39, null, s55, v39, vcc_lo
	s_cselect_b32 vcc_lo, -1, 0
	s_cmp_eq_u32 s66, 2
	s_cselect_b32 s6, -1, 0
	global_load_u16 v23, v[38:39], off
	s_cmp_eq_u32 s66, 1
	s_cselect_b32 s7, -1, 0
	s_cmp_eq_u32 s66, 0
	s_add_nc_u64 s[66:67], s[66:67], 1
	s_wait_loadcnt 0x0
	v_lshlrev_b32_e32 v23, 16, v23
	s_wait_alu 0xfffe
	s_delay_alu instid0(VALU_DEP_1)
	v_cndmask_b32_e32 v4, v4, v23, vcc_lo
	s_cselect_b32 vcc_lo, -1, 0
	s_wait_alu 0xfffe
	v_dual_cndmask_b32 v1, v1, v23 :: v_dual_add_nc_u32 v22, s10, v22
	v_cndmask_b32_e64 v3, v3, v23, s6
	v_cndmask_b32_e64 v2, v2, v23, s7
	s_cmp_eq_u32 s69, s66
	s_cbranch_scc0 .LBB576_43
.LBB576_44:                             ;   in Loop: Header=BB576_12 Depth=2
	s_and_not1_b32 vcc_lo, exec_lo, s20
	s_wait_alu 0xfffe
	s_cbranch_vccnz .LBB576_56
; %bb.45:                               ;   in Loop: Header=BB576_12 Depth=2
	s_ashr_i32 s9, s8, 31
	v_dual_mov_b32 v41, 0 :: v_dual_mov_b32 v40, 0
	s_wait_alu 0xfffe
	s_lshl_b64 s[6:7], s[8:9], 1
	v_dual_mov_b32 v39, 0 :: v_dual_mov_b32 v38, 0
	s_wait_alu 0xfffe
	v_add_co_u32 v22, vcc_lo, v36, s6
	s_wait_alu 0xfffd
	v_add_co_ci_u32_e64 v23, null, s7, v37, vcc_lo
	s_mov_b64 s[66:67], 0
.LBB576_46:                             ;   Parent Loop BB576_3 Depth=1
                                        ;     Parent Loop BB576_12 Depth=2
                                        ; =>    This Inner Loop Header: Depth=3
	s_wait_alu 0xfffe
	s_cmp_eq_u32 s66, 1
	s_cselect_b32 vcc_lo, -1, 0
	s_cmp_eq_u32 s66, 2
	s_wait_alu 0xfffe
	v_cndmask_b32_e32 v42, v1, v2, vcc_lo
	s_cselect_b32 vcc_lo, -1, 0
	s_cmp_eq_u32 s66, 3
	s_wait_alu 0xfffe
	s_delay_alu instid0(VALU_DEP_1)
	v_cndmask_b32_e32 v48, v42, v3, vcc_lo
	s_cselect_b32 vcc_lo, -1, 0
	s_add_co_i32 s6, s64, s66
	s_add_co_i32 s72, s62, s66
	s_wait_alu 0xfffe
	s_ashr_i32 s7, s6, 31
	s_add_co_i32 s74, s60, s66
	s_ashr_i32 s73, s72, 31
	s_wait_alu 0xfffe
	s_lshl_b64 s[6:7], s[6:7], 1
	s_ashr_i32 s75, s74, 31
	s_lshl_b64 s[72:73], s[72:73], 1
	s_wait_alu 0xfffe
	v_add_co_u32 v42, s6, v30, s6
	s_lshl_b64 s[74:75], s[74:75], 1
	v_add_co_ci_u32_e64 v43, null, s7, v31, s6
	v_add_co_u32 v44, s6, v30, s72
	s_wait_alu 0xf1ff
	v_add_co_ci_u32_e64 v45, null, s73, v31, s6
	s_wait_alu 0xfffe
	v_add_co_u32 v46, s6, v30, s74
	s_wait_alu 0xf1ff
	v_add_co_ci_u32_e64 v47, null, s75, v31, s6
	global_load_u16 v49, v[22:23], off
	s_clause 0x2
	global_load_u16 v42, v[42:43], off
	global_load_u16 v43, v[44:45], off
	;; [unrolled: 1-line block ×3, first 2 shown]
	v_cndmask_b32_e32 v45, v48, v4, vcc_lo
	v_add_co_u32 v22, s6, v22, 2
	s_wait_alu 0xf1ff
	v_add_co_ci_u32_e64 v23, null, 0, v23, s6
	s_add_nc_u64 s[66:67], s[66:67], 1
	s_wait_alu 0xfffe
	s_cmp_lg_u32 s69, s66
	s_wait_loadcnt 0x2
	v_lshlrev_b32_e32 v42, 16, v42
	s_wait_loadcnt 0x1
	v_lshlrev_b32_e32 v43, 16, v43
	;; [unrolled: 2-line block ×3, first 2 shown]
	v_fmac_f32_e32 v40, v45, v42
	s_delay_alu instid0(VALU_DEP_3) | instskip(NEXT) | instid1(VALU_DEP_3)
	v_dual_fmac_f32 v39, v45, v43 :: v_dual_lshlrev_b32 v46, 16, v49
	v_fmac_f32_e32 v38, v45, v44
	s_delay_alu instid0(VALU_DEP_2)
	v_fmac_f32_e32 v41, v45, v46
	s_cbranch_scc1 .LBB576_46
	s_branch .LBB576_57
.LBB576_47:                             ;   in Loop: Header=BB576_12 Depth=2
	ds_load_b32 v22, v26
	s_wait_alu 0xfffe
	s_or_b32 exec_lo, exec_lo, s6
	s_and_saveexec_b32 s6, s3
	s_cbranch_execz .LBB576_20
.LBB576_48:                             ;   in Loop: Header=BB576_12 Depth=2
	s_wait_dscnt 0x0
	ds_bpermute_b32 v23, v33, v22
	s_wait_dscnt 0x0
	v_add_f32_e32 v22, v22, v23
	ds_bpermute_b32 v23, v34, v22
	s_wait_dscnt 0x0
	v_add_f32_e32 v22, v22, v23
	;; [unrolled: 3-line block ×3, first 2 shown]
	s_wait_alu 0xfffe
	s_or_b32 exec_lo, exec_lo, s6
	s_and_saveexec_b32 s6, s3
	s_cbranch_execnz .LBB576_21
	s_branch .LBB576_22
.LBB576_49:                             ;   in Loop: Header=BB576_12 Depth=2
	ds_load_b32 v23, v26
	s_wait_alu 0xfffe
	s_or_b32 exec_lo, exec_lo, s6
	s_and_saveexec_b32 s6, s3
	s_cbranch_execz .LBB576_26
.LBB576_50:                             ;   in Loop: Header=BB576_12 Depth=2
	s_wait_dscnt 0x0
	ds_bpermute_b32 v40, v33, v23
	s_wait_dscnt 0x0
	v_add_f32_e32 v23, v23, v40
	ds_bpermute_b32 v40, v34, v23
	s_wait_dscnt 0x0
	v_add_f32_e32 v23, v23, v40
	;; [unrolled: 3-line block ×3, first 2 shown]
	s_wait_alu 0xfffe
	s_or_b32 exec_lo, exec_lo, s6
	s_and_saveexec_b32 s6, s3
	s_cbranch_execnz .LBB576_27
	s_branch .LBB576_28
.LBB576_51:                             ;   in Loop: Header=BB576_12 Depth=2
	ds_load_b32 v39, v26
	s_wait_alu 0xfffe
	s_or_b32 exec_lo, exec_lo, s6
	s_and_saveexec_b32 s6, s3
	s_cbranch_execz .LBB576_32
.LBB576_52:                             ;   in Loop: Header=BB576_12 Depth=2
	s_wait_dscnt 0x0
	ds_bpermute_b32 v40, v33, v39
	s_wait_dscnt 0x0
	v_add_f32_e32 v39, v39, v40
	ds_bpermute_b32 v40, v34, v39
	s_wait_dscnt 0x0
	v_add_f32_e32 v39, v39, v40
	;; [unrolled: 3-line block ×3, first 2 shown]
	s_wait_alu 0xfffe
	s_or_b32 exec_lo, exec_lo, s6
	s_and_saveexec_b32 s6, s3
	s_cbranch_execnz .LBB576_33
	s_branch .LBB576_34
.LBB576_53:                             ;   in Loop: Header=BB576_12 Depth=2
	ds_load_b32 v38, v26
	s_wait_alu 0xfffe
	s_or_b32 exec_lo, exec_lo, s6
	s_and_saveexec_b32 s6, s3
	s_cbranch_execz .LBB576_38
.LBB576_54:                             ;   in Loop: Header=BB576_12 Depth=2
	s_wait_dscnt 0x0
	ds_bpermute_b32 v40, v33, v38
	s_wait_dscnt 0x0
	v_add_f32_e32 v38, v38, v40
	ds_bpermute_b32 v40, v34, v38
	s_wait_dscnt 0x0
	v_add_f32_e32 v38, v38, v40
	;; [unrolled: 3-line block ×3, first 2 shown]
	s_wait_alu 0xfffe
	s_or_b32 exec_lo, exec_lo, s6
	s_and_saveexec_b32 s6, s0
	s_cbranch_execz .LBB576_11
.LBB576_55:                             ;   in Loop: Header=BB576_12 Depth=2
	s_mul_i32 s7, s25, s28
	v_dual_mul_f32 v22, s22, v22 :: v_dual_mul_f32 v23, s22, v23
	s_wait_alu 0xfffe
	s_add_co_i32 s34, s7, s26
	s_wait_alu 0xfffe
	s_lshl_b64 s[66:67], s[34:35], 2
	s_add_co_i32 s34, s34, s28
	s_wait_alu 0xfffe
	s_add_nc_u64 s[66:67], s[58:59], s[66:67]
	s_lshl_b64 s[72:73], s[34:35], 2
	s_add_co_i32 s34, s34, s28
	s_wait_alu 0xfffe
	s_add_nc_u64 s[72:73], s[58:59], s[72:73]
	s_clause 0x1
	global_store_b32 v0, v22, s[66:67]
	global_store_b32 v0, v23, s[72:73]
	s_wait_dscnt 0x0
	v_dual_mul_f32 v22, s22, v39 :: v_dual_mul_f32 v23, s22, v38
	s_lshl_b64 s[66:67], s[34:35], 2
	s_add_co_i32 s34, s34, s28
	s_wait_alu 0xfffe
	s_add_nc_u64 s[66:67], s[58:59], s[66:67]
	s_lshl_b64 s[72:73], s[34:35], 2
	s_wait_alu 0xfffe
	s_add_nc_u64 s[72:73], s[58:59], s[72:73]
	s_clause 0x1
	global_store_b32 v0, v22, s[66:67]
	global_store_b32 v0, v23, s[72:73]
	s_branch .LBB576_11
.LBB576_56:                             ;   in Loop: Header=BB576_12 Depth=2
	v_dual_mov_b32 v38, 0 :: v_dual_mov_b32 v39, 0
	v_dual_mov_b32 v40, 0 :: v_dual_mov_b32 v41, 0
.LBB576_57:                             ;   in Loop: Header=BB576_12 Depth=2
	s_wait_alu 0xfffe
	s_or_b32 exec_lo, exec_lo, s34
	s_delay_alu instid0(SALU_CYCLE_1)
	s_or_b32 exec_lo, exec_lo, s27
	s_and_saveexec_b32 s6, s3
	s_cbranch_execnz .LBB576_15
	s_branch .LBB576_16
.LBB576_58:                             ;   in Loop: Header=BB576_3 Depth=1
	v_mov_b32_e32 v3, v0
	v_dual_mov_b32 v1, v0 :: v_dual_mov_b32 v2, v0
	s_mov_b32 s25, 0
	s_delay_alu instid0(VALU_DEP_2) | instskip(NEXT) | instid1(VALU_DEP_2)
	v_mov_b32_e32 v4, v3
	v_mov_b32_e32 v3, v2
	s_delay_alu instid0(VALU_DEP_3)
	v_mov_b32_e32 v2, v1
	v_mov_b32_e32 v1, v0
.LBB576_59:                             ;   in Loop: Header=BB576_3 Depth=1
	s_cmp_ge_i32 s25, s21
	s_cbranch_scc1 .LBB576_2
; %bb.60:                               ;   in Loop: Header=BB576_3 Depth=1
	v_cmp_gt_u32_e32 vcc_lo, 24, v28
	s_wait_alu 0xfffe
	s_add_nc_u64 s[8:9], s[58:59], s[38:39]
	s_mov_b32 s34, s25
	s_wait_alu 0xfffd
	v_cndmask_b32_e64 v14, 0, 8, vcc_lo
	v_cmp_gt_u32_e32 vcc_lo, 28, v28
	s_delay_alu instid0(VALU_DEP_2) | instskip(SKIP_3) | instid1(VALU_DEP_2)
	v_add_lshl_u32 v32, v14, v28, 2
	s_wait_alu 0xfffd
	v_cndmask_b32_e64 v15, 0, 4, vcc_lo
	v_cmp_gt_u32_e32 vcc_lo, 30, v28
	v_add_lshl_u32 v33, v15, v28, 2
	s_wait_alu 0xfffd
	v_cndmask_b32_e64 v16, 0, 2, vcc_lo
	v_cmp_ne_u32_e32 vcc_lo, 31, v28
	s_delay_alu instid0(VALU_DEP_2)
	v_add_lshl_u32 v34, v16, v28, 2
	s_wait_alu 0xfffd
	v_add_co_ci_u32_e64 v17, null, 0, v28, vcc_lo
	v_add_co_u32 v14, vcc_lo, s54, v6
	s_wait_alu 0xfffd
	v_add_co_ci_u32_e64 v15, null, s55, v7, vcc_lo
	v_add_co_u32 v16, vcc_lo, s54, v8
	v_lshlrev_b32_e32 v35, 2, v17
	s_wait_alu 0xfffd
	v_add_co_ci_u32_e64 v17, null, s55, v9, vcc_lo
	v_add_co_u32 v18, vcc_lo, s54, v10
	s_wait_alu 0xfffd
	v_add_co_ci_u32_e64 v19, null, s55, v11, vcc_lo
	v_add_co_u32 v20, vcc_lo, s54, v12
	s_wait_alu 0xfffd
	v_add_co_ci_u32_e64 v21, null, s55, v13, vcc_lo
	v_add_co_u32 v36, vcc_lo, v24, s56
	s_wait_alu 0xfffd
	v_add_co_ci_u32_e64 v37, null, s57, v25, vcc_lo
	s_mul_i32 s56, s30, s25
	s_branch .LBB576_62
.LBB576_61:                             ;   in Loop: Header=BB576_62 Depth=2
	s_wait_alu 0xfffe
	s_or_b32 exec_lo, exec_lo, s6
	s_add_co_i32 s34, s34, 1
	s_add_co_i32 s56, s56, s30
	s_wait_alu 0xfffe
	s_cmp_ge_i32 s34, s21
	s_cbranch_scc1 .LBB576_2
.LBB576_62:                             ;   Parent Loop BB576_3 Depth=1
                                        ; =>  This Loop Header: Depth=2
                                        ;       Child Loop BB576_75 Depth 3
                                        ;       Child Loop BB576_78 Depth 3
	s_wait_dscnt 0x0
	v_mov_b32_e32 v38, s35
	s_and_saveexec_b32 s6, s1
	s_wait_alu 0xfffe
	s_xor_b32 s6, exec_lo, s6
	s_cbranch_execnz .LBB576_71
; %bb.63:                               ;   in Loop: Header=BB576_62 Depth=2
	s_wait_alu 0xfffe
	s_and_not1_saveexec_b32 s25, s6
	s_cbranch_execnz .LBB576_72
.LBB576_64:                             ;   in Loop: Header=BB576_62 Depth=2
	s_or_b32 exec_lo, exec_lo, s25
	s_and_saveexec_b32 s6, s3
.LBB576_65:                             ;   in Loop: Header=BB576_62 Depth=2
	ds_store_b32 v26, v0
.LBB576_66:                             ;   in Loop: Header=BB576_62 Depth=2
	s_wait_alu 0xfffe
	s_or_b32 exec_lo, exec_lo, s6
	ds_bpermute_b32 v22, v29, v38
	s_wait_storecnt 0x0
	s_wait_loadcnt_dscnt 0x0
	s_barrier_signal -1
	s_barrier_wait -1
	global_inv scope:SCOPE_SE
	v_add_f32_e32 v22, v38, v22
	ds_bpermute_b32 v23, v32, v22
	s_wait_dscnt 0x0
	v_add_f32_e32 v22, v22, v23
	ds_bpermute_b32 v23, v33, v22
	s_wait_dscnt 0x0
	;; [unrolled: 3-line block ×3, first 2 shown]
	v_add_f32_e32 v22, v22, v23
	ds_bpermute_b32 v23, v35, v22
	s_and_saveexec_b32 s6, s4
	s_cbranch_execz .LBB576_68
; %bb.67:                               ;   in Loop: Header=BB576_62 Depth=2
	s_wait_dscnt 0x0
	v_add_f32_e32 v22, v22, v23
	ds_store_b32 v27, v22
.LBB576_68:                             ;   in Loop: Header=BB576_62 Depth=2
	s_wait_alu 0xfffe
	s_or_b32 exec_lo, exec_lo, s6
	v_mov_b32_e32 v22, 0
	s_wait_loadcnt_dscnt 0x0
	s_barrier_signal -1
	s_barrier_wait -1
	global_inv scope:SCOPE_SE
	s_and_saveexec_b32 s6, s5
	s_cbranch_execnz .LBB576_80
; %bb.69:                               ;   in Loop: Header=BB576_62 Depth=2
	s_wait_alu 0xfffe
	s_or_b32 exec_lo, exec_lo, s6
	s_and_saveexec_b32 s6, s3
	s_cbranch_execnz .LBB576_81
.LBB576_70:                             ;   in Loop: Header=BB576_62 Depth=2
	s_wait_alu 0xfffe
	s_or_b32 exec_lo, exec_lo, s6
	s_and_saveexec_b32 s6, s0
	s_cbranch_execz .LBB576_61
	s_branch .LBB576_82
.LBB576_71:                             ;   in Loop: Header=BB576_62 Depth=2
	s_mul_i32 s58, s34, s30
	s_wait_alu 0xfffe
	s_ashr_i32 s59, s58, 31
	s_wait_alu 0xfffe
	s_lshl_b64 s[58:59], s[58:59], 1
	s_wait_alu 0xfffe
	v_add_co_u32 v1, vcc_lo, v30, s58
	s_wait_alu 0xfffd
	v_add_co_ci_u32_e64 v2, null, s59, v31, vcc_lo
	global_load_u16 v3, v[14:15], off
	global_load_b64 v[22:23], v[1:2], off
	s_clause 0x2
	global_load_u16 v2, v[16:17], off
	global_load_u16 v4, v[18:19], off
	;; [unrolled: 1-line block ×3, first 2 shown]
	s_wait_loadcnt 0x2
	v_lshlrev_b32_e32 v2, 16, v2
	v_lshlrev_b32_e32 v1, 16, v3
	;; [unrolled: 1-line block ×3, first 2 shown]
	v_and_b32_e32 v22, 0xffff0000, v22
	s_delay_alu instid0(VALU_DEP_2)
	v_fma_f32 v38, v1, v3, 0
	s_wait_loadcnt 0x1
	v_lshlrev_b32_e32 v3, 16, v4
	s_wait_loadcnt 0x0
	v_lshlrev_b32_e32 v4, 16, v39
	v_fmac_f32_e32 v38, v2, v22
	v_lshlrev_b32_e32 v22, 16, v23
	s_delay_alu instid0(VALU_DEP_1) | instskip(NEXT) | instid1(VALU_DEP_1)
	v_dual_fmac_f32 v38, v3, v22 :: v_dual_and_b32 v23, 0xffff0000, v23
	v_fmac_f32_e32 v38, v4, v23
	s_and_not1_saveexec_b32 s25, s6
	s_cbranch_execz .LBB576_64
.LBB576_72:                             ;   in Loop: Header=BB576_62 Depth=2
	s_and_saveexec_b32 s27, s2
	s_cbranch_execz .LBB576_79
; %bb.73:                               ;   in Loop: Header=BB576_62 Depth=2
	s_and_not1_b32 vcc_lo, exec_lo, s20
	s_wait_alu 0xfffe
	s_cbranch_vccnz .LBB576_76
; %bb.74:                               ;   in Loop: Header=BB576_62 Depth=2
	v_mov_b32_e32 v22, v5
	s_mov_b64 s[58:59], 0
.LBB576_75:                             ;   Parent Loop BB576_3 Depth=1
                                        ;     Parent Loop BB576_62 Depth=2
                                        ; =>    This Inner Loop Header: Depth=3
	s_delay_alu instid0(VALU_DEP_1) | instskip(SKIP_2) | instid1(VALU_DEP_1)
	v_ashrrev_i32_e32 v23, 31, v22
	s_wait_alu 0xfffe
	s_cmp_eq_u32 s58, 3
	v_lshlrev_b64_e32 v[39:40], 1, v[22:23]
	s_delay_alu instid0(VALU_DEP_1) | instskip(SKIP_1) | instid1(VALU_DEP_2)
	v_add_co_u32 v39, vcc_lo, s54, v39
	s_wait_alu 0xfffd
	v_add_co_ci_u32_e64 v40, null, s55, v40, vcc_lo
	s_cselect_b32 vcc_lo, -1, 0
	s_cmp_eq_u32 s58, 2
	s_cselect_b32 s6, -1, 0
	global_load_u16 v23, v[39:40], off
	s_cmp_eq_u32 s58, 1
	s_cselect_b32 s7, -1, 0
	s_cmp_eq_u32 s58, 0
	s_add_nc_u64 s[58:59], s[58:59], 1
	s_wait_loadcnt 0x0
	v_lshlrev_b32_e32 v23, 16, v23
	s_wait_alu 0xfffe
	s_delay_alu instid0(VALU_DEP_1)
	v_cndmask_b32_e32 v4, v4, v23, vcc_lo
	s_cselect_b32 vcc_lo, -1, 0
	s_wait_alu 0xfffe
	v_dual_cndmask_b32 v1, v1, v23 :: v_dual_add_nc_u32 v22, s10, v22
	v_cndmask_b32_e64 v3, v3, v23, s6
	v_cndmask_b32_e64 v2, v2, v23, s7
	s_cmp_eq_u32 s69, s58
	s_cbranch_scc0 .LBB576_75
.LBB576_76:                             ;   in Loop: Header=BB576_62 Depth=2
	s_and_not1_b32 vcc_lo, exec_lo, s20
	s_wait_alu 0xfffe
	s_cbranch_vccnz .LBB576_79
; %bb.77:                               ;   in Loop: Header=BB576_62 Depth=2
	s_ashr_i32 s57, s56, 31
	s_wait_alu 0xfffe
	s_lshl_b64 s[6:7], s[56:57], 1
	s_wait_alu 0xfffe
	v_add_co_u32 v22, vcc_lo, v36, s6
	s_wait_alu 0xfffd
	v_add_co_ci_u32_e64 v23, null, s7, v37, vcc_lo
	s_mov_b64 s[6:7], 0
.LBB576_78:                             ;   Parent Loop BB576_3 Depth=1
                                        ;     Parent Loop BB576_62 Depth=2
                                        ; =>    This Inner Loop Header: Depth=3
	global_load_u16 v39, v[22:23], off
	s_wait_alu 0xfffe
	s_cmp_eq_u32 s6, 1
	s_cselect_b32 vcc_lo, -1, 0
	s_cmp_eq_u32 s6, 2
	s_wait_alu 0xfffe
	v_cndmask_b32_e32 v40, v1, v2, vcc_lo
	s_cselect_b32 vcc_lo, -1, 0
	s_cmp_eq_u32 s6, 3
	s_add_nc_u64 s[6:7], s[6:7], 1
	s_wait_loadcnt 0x0
	v_lshlrev_b32_e32 v39, 16, v39
	s_wait_alu 0xfffe
	v_cndmask_b32_e32 v40, v40, v3, vcc_lo
	s_cselect_b32 vcc_lo, -1, 0
	s_cmp_lg_u32 s69, s6
	s_wait_alu 0xfffe
	s_delay_alu instid0(VALU_DEP_1) | instskip(SKIP_3) | instid1(VALU_DEP_3)
	v_cndmask_b32_e32 v40, v40, v4, vcc_lo
	v_add_co_u32 v22, vcc_lo, v22, 2
	s_wait_alu 0xfffd
	v_add_co_ci_u32_e64 v23, null, 0, v23, vcc_lo
	v_fmac_f32_e32 v38, v40, v39
	s_cbranch_scc1 .LBB576_78
.LBB576_79:                             ;   in Loop: Header=BB576_62 Depth=2
	s_or_b32 exec_lo, exec_lo, s27
	s_delay_alu instid0(SALU_CYCLE_1)
	s_or_b32 exec_lo, exec_lo, s25
	s_and_saveexec_b32 s6, s3
	s_cbranch_execnz .LBB576_65
	s_branch .LBB576_66
.LBB576_80:                             ;   in Loop: Header=BB576_62 Depth=2
	ds_load_b32 v22, v26
	s_wait_alu 0xfffe
	s_or_b32 exec_lo, exec_lo, s6
	s_and_saveexec_b32 s6, s3
	s_cbranch_execz .LBB576_70
.LBB576_81:                             ;   in Loop: Header=BB576_62 Depth=2
	s_wait_dscnt 0x0
	ds_bpermute_b32 v23, v33, v22
	s_wait_dscnt 0x0
	v_add_f32_e32 v22, v22, v23
	ds_bpermute_b32 v23, v34, v22
	s_wait_dscnt 0x0
	v_add_f32_e32 v22, v22, v23
	;; [unrolled: 3-line block ×3, first 2 shown]
	s_wait_alu 0xfffe
	s_or_b32 exec_lo, exec_lo, s6
	s_and_saveexec_b32 s6, s0
	s_cbranch_execz .LBB576_61
.LBB576_82:                             ;   in Loop: Header=BB576_62 Depth=2
	s_mul_u64 s[58:59], s[34:35], s[28:29]
	s_wait_dscnt 0x0
	v_mul_f32_e32 v22, s22, v22
	s_wait_alu 0xfffe
	s_lshl_b64 s[58:59], s[58:59], 2
	s_wait_alu 0xfffe
	s_add_nc_u64 s[58:59], s[8:9], s[58:59]
	global_store_b32 v0, v22, s[58:59]
	s_branch .LBB576_61
.LBB576_83:
	s_endpgm
	.section	.rodata,"a",@progbits
	.p2align	6, 0x0
	.amdhsa_kernel _ZL23rocblas_gemvt_sn_kernelILb1ELi256ELi4Ei16rocblas_bfloat16ffEviiT4_lPKT3_lilS4_lilPT5_i
		.amdhsa_group_segment_fixed_size 128
		.amdhsa_private_segment_fixed_size 0
		.amdhsa_kernarg_size 360
		.amdhsa_user_sgpr_count 2
		.amdhsa_user_sgpr_dispatch_ptr 0
		.amdhsa_user_sgpr_queue_ptr 0
		.amdhsa_user_sgpr_kernarg_segment_ptr 1
		.amdhsa_user_sgpr_dispatch_id 0
		.amdhsa_user_sgpr_private_segment_size 0
		.amdhsa_wavefront_size32 1
		.amdhsa_uses_dynamic_stack 0
		.amdhsa_enable_private_segment 0
		.amdhsa_system_sgpr_workgroup_id_x 1
		.amdhsa_system_sgpr_workgroup_id_y 0
		.amdhsa_system_sgpr_workgroup_id_z 1
		.amdhsa_system_sgpr_workgroup_info 0
		.amdhsa_system_vgpr_workitem_id 0
		.amdhsa_next_free_vgpr 54
		.amdhsa_next_free_sgpr 76
		.amdhsa_reserve_vcc 1
		.amdhsa_float_round_mode_32 0
		.amdhsa_float_round_mode_16_64 0
		.amdhsa_float_denorm_mode_32 3
		.amdhsa_float_denorm_mode_16_64 3
		.amdhsa_fp16_overflow 0
		.amdhsa_workgroup_processor_mode 1
		.amdhsa_memory_ordered 1
		.amdhsa_forward_progress 1
		.amdhsa_inst_pref_size 37
		.amdhsa_round_robin_scheduling 0
		.amdhsa_exception_fp_ieee_invalid_op 0
		.amdhsa_exception_fp_denorm_src 0
		.amdhsa_exception_fp_ieee_div_zero 0
		.amdhsa_exception_fp_ieee_overflow 0
		.amdhsa_exception_fp_ieee_underflow 0
		.amdhsa_exception_fp_ieee_inexact 0
		.amdhsa_exception_int_div_zero 0
	.end_amdhsa_kernel
	.section	.text._ZL23rocblas_gemvt_sn_kernelILb1ELi256ELi4Ei16rocblas_bfloat16ffEviiT4_lPKT3_lilS4_lilPT5_i,"axG",@progbits,_ZL23rocblas_gemvt_sn_kernelILb1ELi256ELi4Ei16rocblas_bfloat16ffEviiT4_lPKT3_lilS4_lilPT5_i,comdat
.Lfunc_end576:
	.size	_ZL23rocblas_gemvt_sn_kernelILb1ELi256ELi4Ei16rocblas_bfloat16ffEviiT4_lPKT3_lilS4_lilPT5_i, .Lfunc_end576-_ZL23rocblas_gemvt_sn_kernelILb1ELi256ELi4Ei16rocblas_bfloat16ffEviiT4_lPKT3_lilS4_lilPT5_i
                                        ; -- End function
	.set _ZL23rocblas_gemvt_sn_kernelILb1ELi256ELi4Ei16rocblas_bfloat16ffEviiT4_lPKT3_lilS4_lilPT5_i.num_vgpr, 54
	.set _ZL23rocblas_gemvt_sn_kernelILb1ELi256ELi4Ei16rocblas_bfloat16ffEviiT4_lPKT3_lilS4_lilPT5_i.num_agpr, 0
	.set _ZL23rocblas_gemvt_sn_kernelILb1ELi256ELi4Ei16rocblas_bfloat16ffEviiT4_lPKT3_lilS4_lilPT5_i.numbered_sgpr, 76
	.set _ZL23rocblas_gemvt_sn_kernelILb1ELi256ELi4Ei16rocblas_bfloat16ffEviiT4_lPKT3_lilS4_lilPT5_i.num_named_barrier, 0
	.set _ZL23rocblas_gemvt_sn_kernelILb1ELi256ELi4Ei16rocblas_bfloat16ffEviiT4_lPKT3_lilS4_lilPT5_i.private_seg_size, 0
	.set _ZL23rocblas_gemvt_sn_kernelILb1ELi256ELi4Ei16rocblas_bfloat16ffEviiT4_lPKT3_lilS4_lilPT5_i.uses_vcc, 1
	.set _ZL23rocblas_gemvt_sn_kernelILb1ELi256ELi4Ei16rocblas_bfloat16ffEviiT4_lPKT3_lilS4_lilPT5_i.uses_flat_scratch, 0
	.set _ZL23rocblas_gemvt_sn_kernelILb1ELi256ELi4Ei16rocblas_bfloat16ffEviiT4_lPKT3_lilS4_lilPT5_i.has_dyn_sized_stack, 0
	.set _ZL23rocblas_gemvt_sn_kernelILb1ELi256ELi4Ei16rocblas_bfloat16ffEviiT4_lPKT3_lilS4_lilPT5_i.has_recursion, 0
	.set _ZL23rocblas_gemvt_sn_kernelILb1ELi256ELi4Ei16rocblas_bfloat16ffEviiT4_lPKT3_lilS4_lilPT5_i.has_indirect_call, 0
	.section	.AMDGPU.csdata,"",@progbits
; Kernel info:
; codeLenInByte = 4688
; TotalNumSgprs: 78
; NumVgprs: 54
; ScratchSize: 0
; MemoryBound: 0
; FloatMode: 240
; IeeeMode: 1
; LDSByteSize: 128 bytes/workgroup (compile time only)
; SGPRBlocks: 0
; VGPRBlocks: 6
; NumSGPRsForWavesPerEU: 78
; NumVGPRsForWavesPerEU: 54
; Occupancy: 16
; WaveLimiterHint : 0
; COMPUTE_PGM_RSRC2:SCRATCH_EN: 0
; COMPUTE_PGM_RSRC2:USER_SGPR: 2
; COMPUTE_PGM_RSRC2:TRAP_HANDLER: 0
; COMPUTE_PGM_RSRC2:TGID_X_EN: 1
; COMPUTE_PGM_RSRC2:TGID_Y_EN: 0
; COMPUTE_PGM_RSRC2:TGID_Z_EN: 1
; COMPUTE_PGM_RSRC2:TIDIG_COMP_CNT: 0
	.section	.text._ZL23rocblas_gemvt_sn_kernelILb1ELi256ELi4El16rocblas_bfloat16ffEviiT4_lPKT3_lilS4_lilPT5_i,"axG",@progbits,_ZL23rocblas_gemvt_sn_kernelILb1ELi256ELi4El16rocblas_bfloat16ffEviiT4_lPKT3_lilS4_lilPT5_i,comdat
	.globl	_ZL23rocblas_gemvt_sn_kernelILb1ELi256ELi4El16rocblas_bfloat16ffEviiT4_lPKT3_lilS4_lilPT5_i ; -- Begin function _ZL23rocblas_gemvt_sn_kernelILb1ELi256ELi4El16rocblas_bfloat16ffEviiT4_lPKT3_lilS4_lilPT5_i
	.p2align	8
	.type	_ZL23rocblas_gemvt_sn_kernelILb1ELi256ELi4El16rocblas_bfloat16ffEviiT4_lPKT3_lilS4_lilPT5_i,@function
_ZL23rocblas_gemvt_sn_kernelILb1ELi256ELi4El16rocblas_bfloat16ffEviiT4_lPKT3_lilS4_lilPT5_i: ; @_ZL23rocblas_gemvt_sn_kernelILb1ELi256ELi4El16rocblas_bfloat16ffEviiT4_lPKT3_lilS4_lilPT5_i
; %bb.0:
	s_load_b32 s23, s[0:1], 0x60
	s_lshr_b32 s10, ttmp7, 16
	s_wait_kmcnt 0x0
	s_cmp_ge_u32 s10, s23
	s_cbranch_scc1 .LBB577_83
; %bb.1:
	s_clause 0x6
	s_load_b32 s26, s[0:1], 0x28
	s_load_b96 s[4:6], s[0:1], 0x40
	s_load_b128 s[36:39], s[0:1], 0x18
	s_load_b96 s[20:22], s[0:1], 0x0
	s_load_b128 s[12:15], s[0:1], 0x30
	s_load_b32 s28, s[0:1], 0x68
	s_load_b128 s[16:19], s[0:1], 0x50
	v_cmp_eq_u32_e64 s0, 0, v0
	v_mbcnt_lo_u32_b32 v33, -1, 0
	s_mov_b32 s25, 0
	s_mov_b32 s24, ttmp9
	s_mov_b32 s29, s25
	s_delay_alu instid0(VALU_DEP_1)
	v_lshl_or_b32 v34, v33, 2, 64
	s_wait_kmcnt 0x0
	s_ashr_i32 s27, s26, 31
	s_ashr_i32 s9, s6, 31
	s_lshl_b64 s[2:3], s[4:5], 1
	s_lshl_b64 s[4:5], s[38:39], 1
	s_ashr_i32 s35, s21, 31
	s_cmp_eq_f32 s22, 0
	s_add_nc_u64 s[14:15], s[14:15], s[2:3]
	s_add_nc_u64 s[2:3], s[36:37], s[4:5]
	s_mov_b32 s34, s21
	s_cselect_b32 s33, -1, 0
	s_cmp_gt_i32 s21, 0
	s_mov_b32 s8, s6
	s_cselect_b32 s1, -1, 0
	s_lshl_b32 s4, ttmp9, 10
	s_lshr_b32 s5, s35, 30
	v_lshl_or_b32 v1, v0, 2, s4
	s_ashr_i32 s4, s20, 31
	s_and_b32 s62, s0, s1
	s_wait_alu 0xfffe
	s_lshr_b32 s4, s4, 30
	s_add_co_i32 s1, s21, s5
	v_ashrrev_i32_e32 v2, 31, v1
	s_wait_alu 0xfffe
	s_add_co_i32 s4, s20, s4
	v_add_nc_u32_e32 v4, 4, v1
	v_cmp_gt_u32_e64 s5, 8, v0
	s_and_b32 s63, s1, -4
	v_lshlrev_b64_e32 v[2:3], 1, v[1:2]
	s_wait_alu 0xfffe
	s_and_b32 s1, s4, -4
	s_mul_u64 s[30:31], s[34:35], s[28:29]
	s_sub_co_i32 s64, s20, s1
	v_cmp_ge_i32_e64 s1, s20, v4
	v_add_nc_u32_e32 v5, s64, v1
	v_add_co_u32 v29, vcc_lo, s2, v2
	s_delay_alu instid0(VALU_DEP_1)
	v_add_co_ci_u32_e64 v30, null, s3, v3, vcc_lo
	v_and_b32_e32 v2, 31, v0
	v_lshrrev_b32_e32 v3, 3, v0
	v_cmp_gt_u32_e64 s3, 32, v0
	v_or_b32_e32 v0, 1, v1
	v_or_b32_e32 v4, 2, v1
	v_cmp_eq_u32_e64 s4, 0, v2
	v_lshlrev_b32_e32 v31, 2, v2
	v_and_b32_e32 v32, 28, v3
	v_mad_co_i64_i32 v[2:3], null, s6, v1, 0
	v_mad_co_i64_i32 v[9:10], null, s6, v0, 0
	v_or_b32_e32 v0, 3, v1
	v_cmp_ge_i32_e64 s2, s20, v5
	v_mad_co_i64_i32 v[11:12], null, s6, v4, 0
	v_lshlrev_b64_e32 v[5:6], 1, v[2:3]
	s_delay_alu instid0(VALU_DEP_4)
	v_mad_co_i64_i32 v[1:2], null, s6, v0, 0
	s_cmp_gt_i32 s63, 0
	v_lshlrev_b64_e32 v[9:10], 1, v[9:10]
	s_cselect_b32 s65, -1, 0
	v_add_co_u32 v7, vcc_lo, s14, v5
	s_cmp_gt_i32 s64, 0
	v_lshlrev_b64_e32 v[11:12], 1, v[11:12]
	v_lshlrev_b64_e32 v[13:14], 1, v[1:2]
	s_wait_alu 0xfffd
	v_add_co_ci_u32_e64 v8, null, s15, v6, vcc_lo
	v_mov_b32_e32 v0, 0
	s_cselect_b32 s20, -1, 0
	s_lshl_b64 s[34:35], s[24:25], 2
	s_lshl_b64 s[38:39], s[30:31], 2
	s_add_nc_u64 s[36:37], s[18:19], s[34:35]
	s_lshl_b64 s[40:41], s[28:29], 2
	s_lshl_b64 s[42:43], s[16:17], 1
	;; [unrolled: 1-line block ×4, first 2 shown]
	s_mul_u64 s[48:49], s[26:27], 6
	s_lshl_b64 s[50:51], s[26:27], 3
	s_lshl_b64 s[52:53], s[26:27], 1
	;; [unrolled: 1-line block ×3, first 2 shown]
	s_branch .LBB577_3
.LBB577_2:                              ;   in Loop: Header=BB577_3 Depth=1
	s_add_co_i32 s10, s10, 0x10000
	s_wait_alu 0xfffe
	s_cmp_lt_u32 s10, s23
	s_cbranch_scc0 .LBB577_83
.LBB577_3:                              ; =>This Loop Header: Depth=1
                                        ;     Child Loop BB577_6 Depth 2
                                        ;     Child Loop BB577_12 Depth 2
                                        ;       Child Loop BB577_43 Depth 3
                                        ;       Child Loop BB577_46 Depth 3
                                        ;     Child Loop BB577_62 Depth 2
                                        ;       Child Loop BB577_75 Depth 3
                                        ;       Child Loop BB577_78 Depth 3
	s_mov_b32 s11, s25
	s_and_not1_b32 vcc_lo, exec_lo, s33
	s_mov_b32 s6, -1
	s_wait_alu 0xfffe
	s_cbranch_vccnz .LBB577_8
; %bb.4:                                ;   in Loop: Header=BB577_3 Depth=1
	s_and_saveexec_b32 s8, s62
	s_cbranch_execz .LBB577_7
; %bb.5:                                ;   in Loop: Header=BB577_3 Depth=1
	s_mul_u64 s[6:7], s[38:39], s[10:11]
	s_mov_b32 s9, s21
	s_wait_alu 0xfffe
	s_add_nc_u64 s[6:7], s[36:37], s[6:7]
.LBB577_6:                              ;   Parent Loop BB577_3 Depth=1
                                        ; =>  This Inner Loop Header: Depth=2
	s_add_co_i32 s9, s9, -1
	global_store_b32 v0, v0, s[6:7]
	s_wait_alu 0xfffe
	s_cmp_eq_u32 s9, 0
	s_add_nc_u64 s[6:7], s[6:7], s[40:41]
	s_cbranch_scc0 .LBB577_6
.LBB577_7:                              ;   in Loop: Header=BB577_3 Depth=1
	s_wait_alu 0xfffe
	s_or_b32 exec_lo, exec_lo, s8
	s_mov_b32 s6, 0
.LBB577_8:                              ;   in Loop: Header=BB577_3 Depth=1
	s_wait_alu 0xfffe
	s_and_not1_b32 vcc_lo, exec_lo, s6
	s_wait_alu 0xfffe
	s_cbranch_vccnz .LBB577_2
; %bb.9:                                ;   in Loop: Header=BB577_3 Depth=1
	v_mad_co_u64_u32 v[15:16], null, s42, s10, v[7:8]
	s_mul_u64 s[66:67], s[12:13], s[10:11]
	s_mul_u64 s[56:57], s[16:17], s[10:11]
	s_wait_alu 0xfffe
	s_lshl_b64 s[66:67], s[66:67], 1
	s_mul_u64 s[60:61], s[30:31], s[10:11]
	s_wait_alu 0xfffe
	v_add_co_u32 v35, vcc_lo, v29, s66
	v_mov_b32_e32 v1, v16
	s_lshl_b64 s[56:57], s[56:57], 1
	s_lshl_b64 s[68:69], s[60:61], 2
	v_cmp_gt_u32_e64 s7, 24, v33
	v_cmp_gt_u32_e64 s8, 28, v33
	v_mad_co_u64_u32 v[1:2], null, s43, s10, v[1:2]
	v_cmp_gt_u32_e64 s6, 30, v33
	s_wait_alu 0xfffd
	v_add_co_ci_u32_e64 v36, null, s67, v30, vcc_lo
	v_cmp_ne_u32_e64 s9, 31, v33
	s_add_nc_u64 s[60:61], s[14:15], s[56:57]
	s_add_nc_u64 s[56:57], s[18:19], s[68:69]
	v_mov_b32_e32 v16, v1
	s_mul_u64 s[58:59], s[46:47], s[10:11]
	s_and_not1_b32 vcc_lo, exec_lo, s65
	s_add_nc_u64 s[56:57], s[56:57], s[34:35]
	s_wait_alu 0xfffe
	s_cbranch_vccnz .LBB577_58
; %bb.10:                               ;   in Loop: Header=BB577_3 Depth=1
	v_cndmask_b32_e64 v2, 0, 4, s8
	v_cndmask_b32_e64 v3, 0, 2, s6
	v_add_co_u32 v17, vcc_lo, v29, s58
	s_wait_alu 0xfffd
	v_add_co_ci_u32_e64 v18, null, s59, v30, vcc_lo
	v_add_co_u32 v19, vcc_lo, s60, v5
	v_cndmask_b32_e64 v1, 0, 8, s7
	v_add_co_ci_u32_e64 v4, null, 0, v33, s9
	v_add_lshl_u32 v38, v2, v33, 2
	v_add_lshl_u32 v39, v3, v33, 2
	s_wait_alu 0xfffd
	v_add_co_ci_u32_e64 v20, null, s61, v6, vcc_lo
	v_add_co_u32 v21, vcc_lo, s60, v9
	v_dual_mov_b32 v2, v0 :: v_dual_mov_b32 v3, v0
	s_wait_alu 0xfffd
	v_add_co_ci_u32_e64 v22, null, s61, v10, vcc_lo
	v_add_co_u32 v23, vcc_lo, s60, v11
	v_add_lshl_u32 v37, v1, v33, 2
	v_dual_mov_b32 v1, v0 :: v_dual_lshlrev_b32 v40, 2, v4
	s_wait_alu 0xfffd
	v_add_co_ci_u32_e64 v24, null, s61, v12, vcc_lo
	v_add_co_u32 v25, vcc_lo, s60, v13
	v_mov_b32_e32 v4, v3
	s_wait_alu 0xfffd
	v_add_co_ci_u32_e64 v26, null, s61, v14, vcc_lo
	v_mov_b32_e32 v3, v2
	v_mov_b32_e32 v2, v1
	;; [unrolled: 1-line block ×3, first 2 shown]
	s_mov_b32 s24, 0
	s_branch .LBB577_12
.LBB577_11:                             ;   in Loop: Header=BB577_12 Depth=2
	s_wait_alu 0xfffe
	s_or_b32 exec_lo, exec_lo, s6
	v_add_co_u32 v17, vcc_lo, v17, s50
	s_wait_alu 0xfffd
	v_add_co_ci_u32_e64 v18, null, s51, v18, vcc_lo
	s_add_co_i32 s24, s24, 4
	s_wait_alu 0xfffe
	s_cmp_ge_i32 s24, s63
	s_cbranch_scc1 .LBB577_59
.LBB577_12:                             ;   Parent Loop BB577_3 Depth=1
                                        ; =>  This Loop Header: Depth=2
                                        ;       Child Loop BB577_43 Depth 3
                                        ;       Child Loop BB577_46 Depth 3
                                        ; implicit-def: $vgpr41
                                        ; implicit-def: $vgpr42
                                        ; implicit-def: $vgpr43
                                        ; implicit-def: $vgpr44
	s_and_saveexec_b32 s6, s1
	s_wait_alu 0xfffe
	s_xor_b32 s6, exec_lo, s6
	s_cbranch_execnz .LBB577_39
; %bb.13:                               ;   in Loop: Header=BB577_12 Depth=2
	s_wait_alu 0xfffe
	s_and_not1_saveexec_b32 s11, s6
	s_cbranch_execnz .LBB577_40
.LBB577_14:                             ;   in Loop: Header=BB577_12 Depth=2
	s_wait_alu 0xfffe
	s_or_b32 exec_lo, exec_lo, s11
	s_and_saveexec_b32 s6, s3
.LBB577_15:                             ;   in Loop: Header=BB577_12 Depth=2
	ds_store_b32 v31, v0
.LBB577_16:                             ;   in Loop: Header=BB577_12 Depth=2
	s_wait_alu 0xfffe
	s_or_b32 exec_lo, exec_lo, s6
	s_wait_dscnt 0x0
	ds_bpermute_b32 v27, v34, v44
	s_wait_storecnt_dscnt 0x0
	s_barrier_signal -1
	s_barrier_wait -1
	global_inv scope:SCOPE_SE
	v_add_f32_e32 v27, v44, v27
	ds_bpermute_b32 v28, v37, v27
	s_wait_dscnt 0x0
	v_add_f32_e32 v27, v27, v28
	ds_bpermute_b32 v28, v38, v27
	s_wait_dscnt 0x0
	;; [unrolled: 3-line block ×3, first 2 shown]
	v_add_f32_e32 v27, v27, v28
	ds_bpermute_b32 v28, v40, v27
	s_and_saveexec_b32 s6, s4
	s_cbranch_execz .LBB577_18
; %bb.17:                               ;   in Loop: Header=BB577_12 Depth=2
	s_wait_dscnt 0x0
	v_add_f32_e32 v27, v27, v28
	ds_store_b32 v32, v27
.LBB577_18:                             ;   in Loop: Header=BB577_12 Depth=2
	s_wait_alu 0xfffe
	s_or_b32 exec_lo, exec_lo, s6
	v_mov_b32_e32 v27, 0
	s_wait_loadcnt_dscnt 0x0
	s_barrier_signal -1
	s_barrier_wait -1
	global_inv scope:SCOPE_SE
	s_and_saveexec_b32 s6, s5
	s_cbranch_execnz .LBB577_47
; %bb.19:                               ;   in Loop: Header=BB577_12 Depth=2
	s_wait_alu 0xfffe
	s_or_b32 exec_lo, exec_lo, s6
	s_and_saveexec_b32 s6, s3
	s_cbranch_execnz .LBB577_48
.LBB577_20:                             ;   in Loop: Header=BB577_12 Depth=2
	s_wait_alu 0xfffe
	s_or_b32 exec_lo, exec_lo, s6
	s_and_saveexec_b32 s6, s3
.LBB577_21:                             ;   in Loop: Header=BB577_12 Depth=2
	ds_store_b32 v31, v0
.LBB577_22:                             ;   in Loop: Header=BB577_12 Depth=2
	s_wait_alu 0xfffe
	s_or_b32 exec_lo, exec_lo, s6
	ds_bpermute_b32 v28, v34, v43
	s_wait_loadcnt_dscnt 0x0
	s_barrier_signal -1
	s_barrier_wait -1
	global_inv scope:SCOPE_SE
	v_add_f32_e32 v28, v43, v28
	ds_bpermute_b32 v43, v37, v28
	s_wait_dscnt 0x0
	v_add_f32_e32 v28, v28, v43
	ds_bpermute_b32 v43, v38, v28
	s_wait_dscnt 0x0
	;; [unrolled: 3-line block ×3, first 2 shown]
	v_add_f32_e32 v28, v28, v43
	ds_bpermute_b32 v43, v40, v28
	s_and_saveexec_b32 s6, s4
	s_cbranch_execz .LBB577_24
; %bb.23:                               ;   in Loop: Header=BB577_12 Depth=2
	s_wait_dscnt 0x0
	v_add_f32_e32 v28, v28, v43
	ds_store_b32 v32, v28
.LBB577_24:                             ;   in Loop: Header=BB577_12 Depth=2
	s_wait_alu 0xfffe
	s_or_b32 exec_lo, exec_lo, s6
	v_mov_b32_e32 v28, 0
	s_wait_loadcnt_dscnt 0x0
	s_barrier_signal -1
	s_barrier_wait -1
	global_inv scope:SCOPE_SE
	s_and_saveexec_b32 s6, s5
	s_cbranch_execnz .LBB577_49
; %bb.25:                               ;   in Loop: Header=BB577_12 Depth=2
	s_wait_alu 0xfffe
	s_or_b32 exec_lo, exec_lo, s6
	s_and_saveexec_b32 s6, s3
	s_cbranch_execnz .LBB577_50
.LBB577_26:                             ;   in Loop: Header=BB577_12 Depth=2
	s_wait_alu 0xfffe
	s_or_b32 exec_lo, exec_lo, s6
	s_and_saveexec_b32 s6, s3
.LBB577_27:                             ;   in Loop: Header=BB577_12 Depth=2
	ds_store_b32 v31, v0
.LBB577_28:                             ;   in Loop: Header=BB577_12 Depth=2
	s_wait_alu 0xfffe
	s_or_b32 exec_lo, exec_lo, s6
	ds_bpermute_b32 v43, v34, v42
	s_wait_loadcnt_dscnt 0x0
	s_barrier_signal -1
	s_barrier_wait -1
	global_inv scope:SCOPE_SE
	v_add_f32_e32 v42, v42, v43
	ds_bpermute_b32 v43, v37, v42
	s_wait_dscnt 0x0
	v_add_f32_e32 v42, v42, v43
	ds_bpermute_b32 v43, v38, v42
	s_wait_dscnt 0x0
	;; [unrolled: 3-line block ×3, first 2 shown]
	v_add_f32_e32 v42, v42, v43
	ds_bpermute_b32 v43, v40, v42
	s_and_saveexec_b32 s6, s4
	s_cbranch_execz .LBB577_30
; %bb.29:                               ;   in Loop: Header=BB577_12 Depth=2
	s_wait_dscnt 0x0
	v_add_f32_e32 v42, v42, v43
	ds_store_b32 v32, v42
.LBB577_30:                             ;   in Loop: Header=BB577_12 Depth=2
	s_wait_alu 0xfffe
	s_or_b32 exec_lo, exec_lo, s6
	v_mov_b32_e32 v42, 0
	s_wait_loadcnt_dscnt 0x0
	s_barrier_signal -1
	s_barrier_wait -1
	global_inv scope:SCOPE_SE
	s_and_saveexec_b32 s6, s5
	s_cbranch_execnz .LBB577_51
; %bb.31:                               ;   in Loop: Header=BB577_12 Depth=2
	s_wait_alu 0xfffe
	s_or_b32 exec_lo, exec_lo, s6
	s_and_saveexec_b32 s6, s3
	s_cbranch_execnz .LBB577_52
.LBB577_32:                             ;   in Loop: Header=BB577_12 Depth=2
	s_wait_alu 0xfffe
	s_or_b32 exec_lo, exec_lo, s6
	s_and_saveexec_b32 s6, s3
.LBB577_33:                             ;   in Loop: Header=BB577_12 Depth=2
	ds_store_b32 v31, v0
.LBB577_34:                             ;   in Loop: Header=BB577_12 Depth=2
	s_wait_alu 0xfffe
	s_or_b32 exec_lo, exec_lo, s6
	ds_bpermute_b32 v43, v34, v41
	s_wait_loadcnt_dscnt 0x0
	s_barrier_signal -1
	s_barrier_wait -1
	global_inv scope:SCOPE_SE
	v_add_f32_e32 v41, v41, v43
	ds_bpermute_b32 v43, v37, v41
	s_wait_dscnt 0x0
	v_add_f32_e32 v41, v41, v43
	ds_bpermute_b32 v43, v38, v41
	s_wait_dscnt 0x0
	;; [unrolled: 3-line block ×3, first 2 shown]
	v_add_f32_e32 v41, v41, v43
	ds_bpermute_b32 v43, v40, v41
	s_and_saveexec_b32 s6, s4
	s_cbranch_execz .LBB577_36
; %bb.35:                               ;   in Loop: Header=BB577_12 Depth=2
	s_wait_dscnt 0x0
	v_add_f32_e32 v41, v41, v43
	ds_store_b32 v32, v41
.LBB577_36:                             ;   in Loop: Header=BB577_12 Depth=2
	s_wait_alu 0xfffe
	s_or_b32 exec_lo, exec_lo, s6
	v_mov_b32_e32 v41, 0
	s_wait_loadcnt_dscnt 0x0
	s_barrier_signal -1
	s_barrier_wait -1
	global_inv scope:SCOPE_SE
	s_and_saveexec_b32 s6, s5
	s_cbranch_execnz .LBB577_53
; %bb.37:                               ;   in Loop: Header=BB577_12 Depth=2
	s_wait_alu 0xfffe
	s_or_b32 exec_lo, exec_lo, s6
	s_and_saveexec_b32 s6, s3
	s_cbranch_execnz .LBB577_54
.LBB577_38:                             ;   in Loop: Header=BB577_12 Depth=2
	s_wait_alu 0xfffe
	s_or_b32 exec_lo, exec_lo, s6
	s_and_saveexec_b32 s6, s0
	s_cbranch_execz .LBB577_11
	s_branch .LBB577_55
.LBB577_39:                             ;   in Loop: Header=BB577_12 Depth=2
	s_mul_u64 s[8:9], s[24:25], s[26:27]
	s_or_b32 s66, s24, 2
	s_wait_alu 0xfffe
	s_lshl_b64 s[8:9], s[8:9], 1
	s_mov_b32 s67, s25
	s_wait_alu 0xfffe
	v_add_co_u32 v1, vcc_lo, v35, s8
	s_wait_alu 0xfffd
	v_add_co_ci_u32_e64 v2, null, s9, v36, vcc_lo
	s_or_b32 s8, s24, 1
	s_mov_b32 s9, s25
	s_wait_alu 0xfffe
	s_mul_u64 s[8:9], s[8:9], s[26:27]
	s_wait_dscnt 0x0
	global_load_b64 v[27:28], v[1:2], off
	s_wait_alu 0xfffe
	s_lshl_b64 s[8:9], s[8:9], 1
	s_clause 0x3
	global_load_u16 v49, v[19:20], off
	global_load_u16 v50, v[21:22], off
	;; [unrolled: 1-line block ×4, first 2 shown]
	s_wait_alu 0xfffe
	v_add_co_u32 v1, vcc_lo, v35, s8
	s_wait_alu 0xfffd
	v_add_co_ci_u32_e64 v2, null, s9, v36, vcc_lo
	s_mul_u64 s[8:9], s[66:67], s[26:27]
	s_or_b32 s66, s24, 3
	s_wait_alu 0xfffe
	s_lshl_b64 s[8:9], s[8:9], 1
	s_mul_u64 s[66:67], s[66:67], s[26:27]
	s_wait_alu 0xfffe
	v_add_co_u32 v3, vcc_lo, v35, s8
	s_wait_alu 0xfffd
	v_add_co_ci_u32_e64 v4, null, s9, v36, vcc_lo
	s_lshl_b64 s[8:9], s[66:67], 1
	s_wait_alu 0xfffe
	v_add_co_u32 v41, vcc_lo, v35, s8
	s_wait_alu 0xfffd
	v_add_co_ci_u32_e64 v42, null, s9, v36, vcc_lo
	s_clause 0x2
	global_load_b64 v[43:44], v[1:2], off
	global_load_b64 v[45:46], v[3:4], off
	;; [unrolled: 1-line block ×3, first 2 shown]
	s_wait_loadcnt 0x4
	v_lshlrev_b32_e32 v3, 16, v51
	v_lshlrev_b32_e32 v41, 16, v27
	s_wait_loadcnt 0x2
	v_lshlrev_b32_e32 v53, 16, v44
	v_lshlrev_b32_e32 v2, 16, v50
	s_wait_loadcnt 0x1
	v_lshlrev_b32_e32 v54, 16, v46
	v_and_b32_e32 v27, 0xffff0000, v27
	v_lshlrev_b32_e32 v1, 16, v49
	v_lshlrev_b32_e32 v42, 16, v43
	v_and_b32_e32 v55, 0xffff0000, v44
	v_and_b32_e32 v51, 0xffff0000, v43
	;; [unrolled: 1-line block ×3, first 2 shown]
	v_fma_f32 v44, v1, v41, 0
	s_delay_alu instid0(VALU_DEP_1)
	v_fmac_f32_e32 v44, v2, v27
	v_fma_f32 v43, v1, v42, 0
	v_lshlrev_b32_e32 v4, 16, v52
	s_wait_loadcnt 0x0
	v_and_b32_e32 v52, 0xffff0000, v47
	v_lshlrev_b32_e32 v47, 16, v47
	v_and_b32_e32 v27, 0xffff0000, v48
	v_fmac_f32_e32 v43, v2, v51
	s_delay_alu instid0(VALU_DEP_3) | instskip(SKIP_1) | instid1(VALU_DEP_3)
	v_fma_f32 v41, v47, v1, 0
	v_lshlrev_b32_e32 v47, 16, v48
	v_fmac_f32_e32 v43, v3, v53
	v_lshlrev_b32_e32 v50, 16, v45
	v_and_b32_e32 v45, 0xffff0000, v45
	v_fmac_f32_e32 v41, v2, v52
	s_delay_alu instid0(VALU_DEP_4) | instskip(NEXT) | instid1(VALU_DEP_4)
	v_fmac_f32_e32 v43, v4, v55
	v_fma_f32 v42, v1, v50, 0
	s_delay_alu instid0(VALU_DEP_1) | instskip(NEXT) | instid1(VALU_DEP_1)
	v_dual_fmac_f32 v42, v2, v45 :: v_dual_fmac_f32 v41, v47, v3
	v_dual_fmac_f32 v42, v3, v54 :: v_dual_lshlrev_b32 v49, 16, v28
	s_delay_alu instid0(VALU_DEP_2) | instskip(NEXT) | instid1(VALU_DEP_2)
	v_dual_fmac_f32 v41, v4, v27 :: v_dual_and_b32 v28, 0xffff0000, v28
	v_fmac_f32_e32 v42, v4, v46
	s_delay_alu instid0(VALU_DEP_3) | instskip(NEXT) | instid1(VALU_DEP_1)
	v_fmac_f32_e32 v44, v3, v49
	v_fmac_f32_e32 v44, v4, v28
	s_and_not1_saveexec_b32 s11, s6
	s_cbranch_execz .LBB577_14
.LBB577_40:                             ;   in Loop: Header=BB577_12 Depth=2
	s_wait_dscnt 0x0
	v_dual_mov_b32 v41, 0 :: v_dual_mov_b32 v42, 0
	v_dual_mov_b32 v43, 0 :: v_dual_mov_b32 v44, 0
	s_and_saveexec_b32 s66, s2
	s_cbranch_execz .LBB577_57
; %bb.41:                               ;   in Loop: Header=BB577_12 Depth=2
	s_and_not1_b32 vcc_lo, exec_lo, s20
	s_wait_alu 0xfffe
	s_cbranch_vccnz .LBB577_44
; %bb.42:                               ;   in Loop: Header=BB577_12 Depth=2
	v_dual_mov_b32 v28, v16 :: v_dual_mov_b32 v27, v15
	s_mov_b64 s[8:9], 0
.LBB577_43:                             ;   Parent Loop BB577_3 Depth=1
                                        ;     Parent Loop BB577_12 Depth=2
                                        ; =>    This Inner Loop Header: Depth=3
	global_load_u16 v41, v[27:28], off
	s_wait_alu 0xfffe
	s_cmp_eq_u32 s8, 3
	v_add_co_u32 v27, vcc_lo, v27, s44
	s_wait_alu 0xfffd
	v_add_co_ci_u32_e64 v28, null, s45, v28, vcc_lo
	s_cselect_b32 vcc_lo, -1, 0
	s_cmp_eq_u32 s8, 2
	s_cselect_b32 s6, -1, 0
	s_cmp_eq_u32 s8, 1
	s_cselect_b32 s7, -1, 0
	s_cmp_eq_u32 s8, 0
	s_add_nc_u64 s[8:9], s[8:9], 1
	s_wait_loadcnt 0x0
	v_lshlrev_b32_e32 v41, 16, v41
	s_wait_alu 0xfffe
	s_delay_alu instid0(VALU_DEP_1)
	v_cndmask_b32_e32 v4, v4, v41, vcc_lo
	s_cselect_b32 vcc_lo, -1, 0
	v_cndmask_b32_e64 v3, v3, v41, s6
	v_cndmask_b32_e64 v2, v2, v41, s7
	s_wait_alu 0xfffe
	v_cndmask_b32_e32 v1, v1, v41, vcc_lo
	s_cmp_eq_u32 s64, s8
	s_cbranch_scc0 .LBB577_43
.LBB577_44:                             ;   in Loop: Header=BB577_12 Depth=2
	s_and_not1_b32 vcc_lo, exec_lo, s20
	s_wait_alu 0xfffe
	s_cbranch_vccnz .LBB577_56
; %bb.45:                               ;   in Loop: Header=BB577_12 Depth=2
	v_dual_mov_b32 v28, v18 :: v_dual_mov_b32 v43, 0
	v_dual_mov_b32 v44, 0 :: v_dual_mov_b32 v27, v17
	;; [unrolled: 1-line block ×3, first 2 shown]
	s_mov_b64 s[8:9], 0
.LBB577_46:                             ;   Parent Loop BB577_3 Depth=1
                                        ;     Parent Loop BB577_12 Depth=2
                                        ; =>    This Inner Loop Header: Depth=3
	s_delay_alu instid0(VALU_DEP_2)
	v_add_co_u32 v45, vcc_lo, v27, s52
	s_wait_alu 0xfffd
	v_add_co_ci_u32_e64 v46, null, s53, v28, vcc_lo
	v_add_co_u32 v47, vcc_lo, v27, s54
	s_wait_alu 0xfffd
	v_add_co_ci_u32_e64 v48, null, s55, v28, vcc_lo
	;; [unrolled: 3-line block ×3, first 2 shown]
	s_clause 0x3
	global_load_u16 v51, v[27:28], off
	global_load_u16 v45, v[45:46], off
	;; [unrolled: 1-line block ×4, first 2 shown]
	s_wait_alu 0xfffe
	s_cmp_eq_u32 s8, 1
	v_add_co_u32 v27, s6, v27, 2
	s_cselect_b32 vcc_lo, -1, 0
	s_cmp_eq_u32 s8, 2
	s_wait_alu 0xfffe
	v_cndmask_b32_e32 v48, v1, v2, vcc_lo
	s_cselect_b32 vcc_lo, -1, 0
	s_cmp_eq_u32 s8, 3
	v_add_co_ci_u32_e64 v28, null, 0, v28, s6
	s_add_nc_u64 s[8:9], s[8:9], 1
	s_wait_loadcnt 0x3
	v_lshlrev_b32_e32 v49, 16, v51
	s_wait_loadcnt 0x2
	s_wait_alu 0xfffe
	v_dual_cndmask_b32 v48, v48, v3 :: v_dual_lshlrev_b32 v45, 16, v45
	s_cselect_b32 vcc_lo, -1, 0
	s_wait_loadcnt 0x0
	v_lshlrev_b32_e32 v47, 16, v47
	s_cmp_lg_u32 s64, s8
	s_wait_alu 0xfffe
	v_cndmask_b32_e32 v48, v48, v4, vcc_lo
	s_delay_alu instid0(VALU_DEP_1) | instskip(SKIP_1) | instid1(VALU_DEP_2)
	v_dual_fmac_f32 v43, v48, v45 :: v_dual_lshlrev_b32 v46, 16, v46
	v_fmac_f32_e32 v44, v48, v49
	v_fmac_f32_e32 v42, v48, v46
	;; [unrolled: 1-line block ×3, first 2 shown]
	s_cbranch_scc1 .LBB577_46
	s_branch .LBB577_57
.LBB577_47:                             ;   in Loop: Header=BB577_12 Depth=2
	ds_load_b32 v27, v31
	s_wait_alu 0xfffe
	s_or_b32 exec_lo, exec_lo, s6
	s_and_saveexec_b32 s6, s3
	s_cbranch_execz .LBB577_20
.LBB577_48:                             ;   in Loop: Header=BB577_12 Depth=2
	s_wait_dscnt 0x0
	ds_bpermute_b32 v28, v38, v27
	s_wait_dscnt 0x0
	v_add_f32_e32 v27, v27, v28
	ds_bpermute_b32 v28, v39, v27
	s_wait_dscnt 0x0
	v_add_f32_e32 v27, v27, v28
	;; [unrolled: 3-line block ×3, first 2 shown]
	s_wait_alu 0xfffe
	s_or_b32 exec_lo, exec_lo, s6
	s_and_saveexec_b32 s6, s3
	s_cbranch_execnz .LBB577_21
	s_branch .LBB577_22
.LBB577_49:                             ;   in Loop: Header=BB577_12 Depth=2
	ds_load_b32 v28, v31
	s_wait_alu 0xfffe
	s_or_b32 exec_lo, exec_lo, s6
	s_and_saveexec_b32 s6, s3
	s_cbranch_execz .LBB577_26
.LBB577_50:                             ;   in Loop: Header=BB577_12 Depth=2
	s_wait_dscnt 0x0
	ds_bpermute_b32 v43, v38, v28
	s_wait_dscnt 0x0
	v_add_f32_e32 v28, v28, v43
	ds_bpermute_b32 v43, v39, v28
	s_wait_dscnt 0x0
	v_add_f32_e32 v28, v28, v43
	;; [unrolled: 3-line block ×3, first 2 shown]
	s_wait_alu 0xfffe
	s_or_b32 exec_lo, exec_lo, s6
	s_and_saveexec_b32 s6, s3
	s_cbranch_execnz .LBB577_27
	s_branch .LBB577_28
.LBB577_51:                             ;   in Loop: Header=BB577_12 Depth=2
	ds_load_b32 v42, v31
	s_wait_alu 0xfffe
	s_or_b32 exec_lo, exec_lo, s6
	s_and_saveexec_b32 s6, s3
	s_cbranch_execz .LBB577_32
.LBB577_52:                             ;   in Loop: Header=BB577_12 Depth=2
	s_wait_dscnt 0x0
	ds_bpermute_b32 v43, v38, v42
	s_wait_dscnt 0x0
	v_add_f32_e32 v42, v42, v43
	ds_bpermute_b32 v43, v39, v42
	s_wait_dscnt 0x0
	v_add_f32_e32 v42, v42, v43
	;; [unrolled: 3-line block ×3, first 2 shown]
	s_wait_alu 0xfffe
	s_or_b32 exec_lo, exec_lo, s6
	s_and_saveexec_b32 s6, s3
	s_cbranch_execnz .LBB577_33
	s_branch .LBB577_34
.LBB577_53:                             ;   in Loop: Header=BB577_12 Depth=2
	ds_load_b32 v41, v31
	s_wait_alu 0xfffe
	s_or_b32 exec_lo, exec_lo, s6
	s_and_saveexec_b32 s6, s3
	s_cbranch_execz .LBB577_38
.LBB577_54:                             ;   in Loop: Header=BB577_12 Depth=2
	s_wait_dscnt 0x0
	ds_bpermute_b32 v43, v38, v41
	s_wait_dscnt 0x0
	v_add_f32_e32 v41, v41, v43
	ds_bpermute_b32 v43, v39, v41
	s_wait_dscnt 0x0
	v_add_f32_e32 v41, v41, v43
	;; [unrolled: 3-line block ×3, first 2 shown]
	s_wait_alu 0xfffe
	s_or_b32 exec_lo, exec_lo, s6
	s_and_saveexec_b32 s6, s0
	s_cbranch_execz .LBB577_11
.LBB577_55:                             ;   in Loop: Header=BB577_12 Depth=2
	s_mul_u64 s[8:9], s[24:25], s[28:29]
	v_dual_mul_f32 v27, s22, v27 :: v_dual_mul_f32 v28, s22, v28
	s_or_b32 s66, s24, 1
	s_mov_b32 s67, s25
	s_wait_alu 0xfffe
	s_lshl_b64 s[8:9], s[8:9], 2
	s_mul_u64 s[66:67], s[66:67], s[28:29]
	s_wait_alu 0xfffe
	s_add_nc_u64 s[8:9], s[56:57], s[8:9]
	s_or_b32 s68, s24, 2
	s_mov_b32 s69, s25
	global_store_b32 v0, v27, s[8:9]
	s_lshl_b64 s[8:9], s[66:67], 2
	s_mul_u64 s[66:67], s[68:69], s[28:29]
	s_or_b32 s68, s24, 3
	s_wait_alu 0xfffe
	s_add_nc_u64 s[8:9], s[56:57], s[8:9]
	s_mul_u64 s[68:69], s[68:69], s[28:29]
	v_mul_f32_e32 v27, s22, v42
	global_store_b32 v0, v28, s[8:9]
	s_lshl_b64 s[8:9], s[66:67], 2
	s_wait_dscnt 0x0
	v_mul_f32_e32 v28, s22, v41
	s_lshl_b64 s[66:67], s[68:69], 2
	s_wait_alu 0xfffe
	s_add_nc_u64 s[8:9], s[56:57], s[8:9]
	s_add_nc_u64 s[66:67], s[56:57], s[66:67]
	s_clause 0x1
	global_store_b32 v0, v27, s[8:9]
	global_store_b32 v0, v28, s[66:67]
	s_branch .LBB577_11
.LBB577_56:                             ;   in Loop: Header=BB577_12 Depth=2
	v_dual_mov_b32 v41, 0 :: v_dual_mov_b32 v42, 0
	v_dual_mov_b32 v43, 0 :: v_dual_mov_b32 v44, 0
.LBB577_57:                             ;   in Loop: Header=BB577_12 Depth=2
	s_wait_alu 0xfffe
	s_or_b32 exec_lo, exec_lo, s66
	s_delay_alu instid0(SALU_CYCLE_1)
	s_or_b32 exec_lo, exec_lo, s11
	s_and_saveexec_b32 s6, s3
	s_cbranch_execnz .LBB577_15
	s_branch .LBB577_16
.LBB577_58:                             ;   in Loop: Header=BB577_3 Depth=1
	v_mov_b32_e32 v3, v0
	v_dual_mov_b32 v1, v0 :: v_dual_mov_b32 v2, v0
	s_mov_b32 s24, 0
	s_delay_alu instid0(VALU_DEP_2) | instskip(NEXT) | instid1(VALU_DEP_2)
	v_mov_b32_e32 v4, v3
	v_mov_b32_e32 v3, v2
	s_delay_alu instid0(VALU_DEP_3)
	v_mov_b32_e32 v2, v1
	v_mov_b32_e32 v1, v0
.LBB577_59:                             ;   in Loop: Header=BB577_3 Depth=1
	s_wait_alu 0xfffe
	s_cmp_ge_i32 s24, s21
	s_cbranch_scc1 .LBB577_2
; %bb.60:                               ;   in Loop: Header=BB577_3 Depth=1
	v_cmp_gt_u32_e32 vcc_lo, 24, v33
	s_mul_u64 s[6:7], s[52:53], s[24:25]
	s_wait_alu 0xfffe
	s_add_nc_u64 s[6:7], s[6:7], s[58:59]
	s_wait_alu 0xfffd
	v_cndmask_b32_e64 v17, 0, 8, vcc_lo
	v_cmp_gt_u32_e32 vcc_lo, 28, v33
	s_delay_alu instid0(VALU_DEP_2) | instskip(SKIP_3) | instid1(VALU_DEP_2)
	v_add_lshl_u32 v37, v17, v33, 2
	s_wait_alu 0xfffd
	v_cndmask_b32_e64 v18, 0, 4, vcc_lo
	v_cmp_gt_u32_e32 vcc_lo, 30, v33
	v_add_lshl_u32 v38, v18, v33, 2
	s_wait_alu 0xfffd
	v_cndmask_b32_e64 v19, 0, 2, vcc_lo
	v_cmp_ne_u32_e32 vcc_lo, 31, v33
	s_delay_alu instid0(VALU_DEP_2)
	v_add_lshl_u32 v39, v19, v33, 2
	s_wait_alu 0xfffd
	v_add_co_ci_u32_e64 v20, null, 0, v33, vcc_lo
	v_add_co_u32 v17, vcc_lo, s60, v5
	s_wait_alu 0xfffd
	v_add_co_ci_u32_e64 v18, null, s61, v6, vcc_lo
	v_add_co_u32 v19, vcc_lo, s60, v9
	v_lshlrev_b32_e32 v40, 2, v20
	s_wait_alu 0xfffd
	v_add_co_ci_u32_e64 v20, null, s61, v10, vcc_lo
	v_add_co_u32 v21, vcc_lo, s60, v11
	s_wait_alu 0xfffd
	v_add_co_ci_u32_e64 v22, null, s61, v12, vcc_lo
	v_add_co_u32 v23, vcc_lo, s60, v13
	s_wait_alu 0xfffd
	v_add_co_ci_u32_e64 v24, null, s61, v14, vcc_lo
	s_wait_alu 0xfffe
	v_add_co_u32 v25, vcc_lo, v29, s6
	s_wait_alu 0xfffd
	v_add_co_ci_u32_e64 v26, null, s7, v30, vcc_lo
	s_branch .LBB577_62
.LBB577_61:                             ;   in Loop: Header=BB577_62 Depth=2
	s_wait_alu 0xfffe
	s_or_b32 exec_lo, exec_lo, s6
	v_add_co_u32 v25, vcc_lo, v25, s52
	s_wait_alu 0xfffd
	v_add_co_ci_u32_e64 v26, null, s53, v26, vcc_lo
	s_add_co_i32 s24, s24, 1
	s_wait_alu 0xfffe
	s_cmp_ge_i32 s24, s21
	s_cbranch_scc1 .LBB577_2
.LBB577_62:                             ;   Parent Loop BB577_3 Depth=1
                                        ; =>  This Loop Header: Depth=2
                                        ;       Child Loop BB577_75 Depth 3
                                        ;       Child Loop BB577_78 Depth 3
	s_wait_dscnt 0x0
	v_mov_b32_e32 v41, s25
	s_and_saveexec_b32 s6, s1
	s_wait_alu 0xfffe
	s_xor_b32 s6, exec_lo, s6
	s_cbranch_execnz .LBB577_71
; %bb.63:                               ;   in Loop: Header=BB577_62 Depth=2
	s_wait_alu 0xfffe
	s_and_not1_saveexec_b32 s11, s6
	s_cbranch_execnz .LBB577_72
.LBB577_64:                             ;   in Loop: Header=BB577_62 Depth=2
	s_wait_alu 0xfffe
	s_or_b32 exec_lo, exec_lo, s11
	s_and_saveexec_b32 s6, s3
.LBB577_65:                             ;   in Loop: Header=BB577_62 Depth=2
	ds_store_b32 v31, v0
.LBB577_66:                             ;   in Loop: Header=BB577_62 Depth=2
	s_wait_alu 0xfffe
	s_or_b32 exec_lo, exec_lo, s6
	ds_bpermute_b32 v27, v34, v41
	s_wait_storecnt 0x0
	s_wait_loadcnt_dscnt 0x0
	s_barrier_signal -1
	s_barrier_wait -1
	global_inv scope:SCOPE_SE
	v_add_f32_e32 v27, v41, v27
	ds_bpermute_b32 v28, v37, v27
	s_wait_dscnt 0x0
	v_add_f32_e32 v27, v27, v28
	ds_bpermute_b32 v28, v38, v27
	s_wait_dscnt 0x0
	;; [unrolled: 3-line block ×3, first 2 shown]
	v_add_f32_e32 v27, v27, v28
	ds_bpermute_b32 v28, v40, v27
	s_and_saveexec_b32 s6, s4
	s_cbranch_execz .LBB577_68
; %bb.67:                               ;   in Loop: Header=BB577_62 Depth=2
	s_wait_dscnt 0x0
	v_add_f32_e32 v27, v27, v28
	ds_store_b32 v32, v27
.LBB577_68:                             ;   in Loop: Header=BB577_62 Depth=2
	s_wait_alu 0xfffe
	s_or_b32 exec_lo, exec_lo, s6
	v_mov_b32_e32 v27, 0
	s_wait_loadcnt_dscnt 0x0
	s_barrier_signal -1
	s_barrier_wait -1
	global_inv scope:SCOPE_SE
	s_and_saveexec_b32 s6, s5
	s_cbranch_execnz .LBB577_80
; %bb.69:                               ;   in Loop: Header=BB577_62 Depth=2
	s_wait_alu 0xfffe
	s_or_b32 exec_lo, exec_lo, s6
	s_and_saveexec_b32 s6, s3
	s_cbranch_execnz .LBB577_81
.LBB577_70:                             ;   in Loop: Header=BB577_62 Depth=2
	s_wait_alu 0xfffe
	s_or_b32 exec_lo, exec_lo, s6
	s_and_saveexec_b32 s6, s0
	s_cbranch_execz .LBB577_61
	s_branch .LBB577_82
.LBB577_71:                             ;   in Loop: Header=BB577_62 Depth=2
	s_mul_u64 s[8:9], s[24:25], s[26:27]
	s_wait_alu 0xfffe
	s_lshl_b64 s[8:9], s[8:9], 1
	s_wait_alu 0xfffe
	v_add_co_u32 v1, vcc_lo, v35, s8
	s_wait_alu 0xfffd
	v_add_co_ci_u32_e64 v2, null, s9, v36, vcc_lo
	global_load_u16 v3, v[17:18], off
	global_load_b64 v[27:28], v[1:2], off
	s_clause 0x2
	global_load_u16 v2, v[19:20], off
	global_load_u16 v4, v[21:22], off
	;; [unrolled: 1-line block ×3, first 2 shown]
	s_wait_loadcnt 0x4
	v_lshlrev_b32_e32 v1, 16, v3
	s_wait_loadcnt 0x3
	v_lshlrev_b32_e32 v3, 16, v27
	v_and_b32_e32 v27, 0xffff0000, v27
	s_delay_alu instid0(VALU_DEP_2) | instskip(SKIP_4) | instid1(VALU_DEP_1)
	v_fma_f32 v41, v1, v3, 0
	s_wait_loadcnt 0x1
	v_lshlrev_b32_e32 v3, 16, v4
	v_lshlrev_b32_e32 v2, 16, v2
	s_wait_loadcnt 0x0
	v_dual_fmac_f32 v41, v2, v27 :: v_dual_lshlrev_b32 v4, 16, v42
	v_lshlrev_b32_e32 v27, 16, v28
	s_delay_alu instid0(VALU_DEP_1) | instskip(NEXT) | instid1(VALU_DEP_1)
	v_dual_fmac_f32 v41, v3, v27 :: v_dual_and_b32 v28, 0xffff0000, v28
	v_fmac_f32_e32 v41, v4, v28
	s_and_not1_saveexec_b32 s11, s6
	s_cbranch_execz .LBB577_64
.LBB577_72:                             ;   in Loop: Header=BB577_62 Depth=2
	s_and_saveexec_b32 s58, s2
	s_cbranch_execz .LBB577_79
; %bb.73:                               ;   in Loop: Header=BB577_62 Depth=2
	s_and_not1_b32 vcc_lo, exec_lo, s20
	s_wait_alu 0xfffe
	s_cbranch_vccnz .LBB577_76
; %bb.74:                               ;   in Loop: Header=BB577_62 Depth=2
	v_dual_mov_b32 v28, v16 :: v_dual_mov_b32 v27, v15
	s_mov_b64 s[8:9], 0
.LBB577_75:                             ;   Parent Loop BB577_3 Depth=1
                                        ;     Parent Loop BB577_62 Depth=2
                                        ; =>    This Inner Loop Header: Depth=3
	global_load_u16 v42, v[27:28], off
	s_wait_alu 0xfffe
	s_cmp_eq_u32 s8, 3
	v_add_co_u32 v27, vcc_lo, v27, s44
	s_wait_alu 0xfffd
	v_add_co_ci_u32_e64 v28, null, s45, v28, vcc_lo
	s_cselect_b32 vcc_lo, -1, 0
	s_cmp_eq_u32 s8, 2
	s_cselect_b32 s6, -1, 0
	s_cmp_eq_u32 s8, 1
	s_cselect_b32 s7, -1, 0
	s_cmp_eq_u32 s8, 0
	s_add_nc_u64 s[8:9], s[8:9], 1
	s_wait_loadcnt 0x0
	v_lshlrev_b32_e32 v42, 16, v42
	s_wait_alu 0xfffe
	s_delay_alu instid0(VALU_DEP_1)
	v_cndmask_b32_e32 v4, v4, v42, vcc_lo
	s_cselect_b32 vcc_lo, -1, 0
	v_cndmask_b32_e64 v3, v3, v42, s6
	v_cndmask_b32_e64 v2, v2, v42, s7
	s_wait_alu 0xfffe
	v_cndmask_b32_e32 v1, v1, v42, vcc_lo
	s_cmp_eq_u32 s64, s8
	s_cbranch_scc0 .LBB577_75
.LBB577_76:                             ;   in Loop: Header=BB577_62 Depth=2
	s_and_not1_b32 vcc_lo, exec_lo, s20
	s_wait_alu 0xfffe
	s_cbranch_vccnz .LBB577_79
; %bb.77:                               ;   in Loop: Header=BB577_62 Depth=2
	v_dual_mov_b32 v28, v26 :: v_dual_mov_b32 v27, v25
	s_mov_b64 s[6:7], 0
.LBB577_78:                             ;   Parent Loop BB577_3 Depth=1
                                        ;     Parent Loop BB577_62 Depth=2
                                        ; =>    This Inner Loop Header: Depth=3
	global_load_u16 v42, v[27:28], off
	s_wait_alu 0xfffe
	s_cmp_eq_u32 s6, 1
	s_cselect_b32 vcc_lo, -1, 0
	s_cmp_eq_u32 s6, 2
	s_wait_alu 0xfffe
	v_cndmask_b32_e32 v43, v1, v2, vcc_lo
	s_cselect_b32 vcc_lo, -1, 0
	s_cmp_eq_u32 s6, 3
	s_add_nc_u64 s[6:7], s[6:7], 1
	s_wait_alu 0xfffe
	v_cndmask_b32_e32 v43, v43, v3, vcc_lo
	s_cselect_b32 vcc_lo, -1, 0
	s_cmp_lg_u32 s64, s6
	s_wait_loadcnt 0x0
	s_wait_alu 0xfffe
	v_dual_cndmask_b32 v43, v43, v4 :: v_dual_lshlrev_b32 v42, 16, v42
	v_add_co_u32 v27, vcc_lo, v27, 2
	s_wait_alu 0xfffd
	v_add_co_ci_u32_e64 v28, null, 0, v28, vcc_lo
	s_delay_alu instid0(VALU_DEP_3)
	v_fmac_f32_e32 v41, v43, v42
	s_cbranch_scc1 .LBB577_78
.LBB577_79:                             ;   in Loop: Header=BB577_62 Depth=2
	s_wait_alu 0xfffe
	s_or_b32 exec_lo, exec_lo, s58
	s_delay_alu instid0(SALU_CYCLE_1)
	s_or_b32 exec_lo, exec_lo, s11
	s_and_saveexec_b32 s6, s3
	s_cbranch_execnz .LBB577_65
	s_branch .LBB577_66
.LBB577_80:                             ;   in Loop: Header=BB577_62 Depth=2
	ds_load_b32 v27, v31
	s_wait_alu 0xfffe
	s_or_b32 exec_lo, exec_lo, s6
	s_and_saveexec_b32 s6, s3
	s_cbranch_execz .LBB577_70
.LBB577_81:                             ;   in Loop: Header=BB577_62 Depth=2
	s_wait_dscnt 0x0
	ds_bpermute_b32 v28, v38, v27
	s_wait_dscnt 0x0
	v_add_f32_e32 v27, v27, v28
	ds_bpermute_b32 v28, v39, v27
	s_wait_dscnt 0x0
	v_add_f32_e32 v27, v27, v28
	;; [unrolled: 3-line block ×3, first 2 shown]
	s_wait_alu 0xfffe
	s_or_b32 exec_lo, exec_lo, s6
	s_and_saveexec_b32 s6, s0
	s_cbranch_execz .LBB577_61
.LBB577_82:                             ;   in Loop: Header=BB577_62 Depth=2
	s_mul_u64 s[8:9], s[24:25], s[28:29]
	s_wait_dscnt 0x0
	v_mul_f32_e32 v27, s22, v27
	s_wait_alu 0xfffe
	s_lshl_b64 s[8:9], s[8:9], 2
	s_wait_alu 0xfffe
	s_add_nc_u64 s[8:9], s[56:57], s[8:9]
	global_store_b32 v0, v27, s[8:9]
	s_branch .LBB577_61
.LBB577_83:
	s_endpgm
	.section	.rodata,"a",@progbits
	.p2align	6, 0x0
	.amdhsa_kernel _ZL23rocblas_gemvt_sn_kernelILb1ELi256ELi4El16rocblas_bfloat16ffEviiT4_lPKT3_lilS4_lilPT5_i
		.amdhsa_group_segment_fixed_size 128
		.amdhsa_private_segment_fixed_size 0
		.amdhsa_kernarg_size 360
		.amdhsa_user_sgpr_count 2
		.amdhsa_user_sgpr_dispatch_ptr 0
		.amdhsa_user_sgpr_queue_ptr 0
		.amdhsa_user_sgpr_kernarg_segment_ptr 1
		.amdhsa_user_sgpr_dispatch_id 0
		.amdhsa_user_sgpr_private_segment_size 0
		.amdhsa_wavefront_size32 1
		.amdhsa_uses_dynamic_stack 0
		.amdhsa_enable_private_segment 0
		.amdhsa_system_sgpr_workgroup_id_x 1
		.amdhsa_system_sgpr_workgroup_id_y 0
		.amdhsa_system_sgpr_workgroup_id_z 1
		.amdhsa_system_sgpr_workgroup_info 0
		.amdhsa_system_vgpr_workitem_id 0
		.amdhsa_next_free_vgpr 56
		.amdhsa_next_free_sgpr 70
		.amdhsa_reserve_vcc 1
		.amdhsa_float_round_mode_32 0
		.amdhsa_float_round_mode_16_64 0
		.amdhsa_float_denorm_mode_32 3
		.amdhsa_float_denorm_mode_16_64 3
		.amdhsa_fp16_overflow 0
		.amdhsa_workgroup_processor_mode 1
		.amdhsa_memory_ordered 1
		.amdhsa_forward_progress 1
		.amdhsa_inst_pref_size 37
		.amdhsa_round_robin_scheduling 0
		.amdhsa_exception_fp_ieee_invalid_op 0
		.amdhsa_exception_fp_denorm_src 0
		.amdhsa_exception_fp_ieee_div_zero 0
		.amdhsa_exception_fp_ieee_overflow 0
		.amdhsa_exception_fp_ieee_underflow 0
		.amdhsa_exception_fp_ieee_inexact 0
		.amdhsa_exception_int_div_zero 0
	.end_amdhsa_kernel
	.section	.text._ZL23rocblas_gemvt_sn_kernelILb1ELi256ELi4El16rocblas_bfloat16ffEviiT4_lPKT3_lilS4_lilPT5_i,"axG",@progbits,_ZL23rocblas_gemvt_sn_kernelILb1ELi256ELi4El16rocblas_bfloat16ffEviiT4_lPKT3_lilS4_lilPT5_i,comdat
.Lfunc_end577:
	.size	_ZL23rocblas_gemvt_sn_kernelILb1ELi256ELi4El16rocblas_bfloat16ffEviiT4_lPKT3_lilS4_lilPT5_i, .Lfunc_end577-_ZL23rocblas_gemvt_sn_kernelILb1ELi256ELi4El16rocblas_bfloat16ffEviiT4_lPKT3_lilS4_lilPT5_i
                                        ; -- End function
	.set _ZL23rocblas_gemvt_sn_kernelILb1ELi256ELi4El16rocblas_bfloat16ffEviiT4_lPKT3_lilS4_lilPT5_i.num_vgpr, 56
	.set _ZL23rocblas_gemvt_sn_kernelILb1ELi256ELi4El16rocblas_bfloat16ffEviiT4_lPKT3_lilS4_lilPT5_i.num_agpr, 0
	.set _ZL23rocblas_gemvt_sn_kernelILb1ELi256ELi4El16rocblas_bfloat16ffEviiT4_lPKT3_lilS4_lilPT5_i.numbered_sgpr, 70
	.set _ZL23rocblas_gemvt_sn_kernelILb1ELi256ELi4El16rocblas_bfloat16ffEviiT4_lPKT3_lilS4_lilPT5_i.num_named_barrier, 0
	.set _ZL23rocblas_gemvt_sn_kernelILb1ELi256ELi4El16rocblas_bfloat16ffEviiT4_lPKT3_lilS4_lilPT5_i.private_seg_size, 0
	.set _ZL23rocblas_gemvt_sn_kernelILb1ELi256ELi4El16rocblas_bfloat16ffEviiT4_lPKT3_lilS4_lilPT5_i.uses_vcc, 1
	.set _ZL23rocblas_gemvt_sn_kernelILb1ELi256ELi4El16rocblas_bfloat16ffEviiT4_lPKT3_lilS4_lilPT5_i.uses_flat_scratch, 0
	.set _ZL23rocblas_gemvt_sn_kernelILb1ELi256ELi4El16rocblas_bfloat16ffEviiT4_lPKT3_lilS4_lilPT5_i.has_dyn_sized_stack, 0
	.set _ZL23rocblas_gemvt_sn_kernelILb1ELi256ELi4El16rocblas_bfloat16ffEviiT4_lPKT3_lilS4_lilPT5_i.has_recursion, 0
	.set _ZL23rocblas_gemvt_sn_kernelILb1ELi256ELi4El16rocblas_bfloat16ffEviiT4_lPKT3_lilS4_lilPT5_i.has_indirect_call, 0
	.section	.AMDGPU.csdata,"",@progbits
; Kernel info:
; codeLenInByte = 4648
; TotalNumSgprs: 72
; NumVgprs: 56
; ScratchSize: 0
; MemoryBound: 0
; FloatMode: 240
; IeeeMode: 1
; LDSByteSize: 128 bytes/workgroup (compile time only)
; SGPRBlocks: 0
; VGPRBlocks: 6
; NumSGPRsForWavesPerEU: 72
; NumVGPRsForWavesPerEU: 56
; Occupancy: 16
; WaveLimiterHint : 0
; COMPUTE_PGM_RSRC2:SCRATCH_EN: 0
; COMPUTE_PGM_RSRC2:USER_SGPR: 2
; COMPUTE_PGM_RSRC2:TRAP_HANDLER: 0
; COMPUTE_PGM_RSRC2:TGID_X_EN: 1
; COMPUTE_PGM_RSRC2:TGID_Y_EN: 0
; COMPUTE_PGM_RSRC2:TGID_Z_EN: 1
; COMPUTE_PGM_RSRC2:TIDIG_COMP_CNT: 0
	.section	.text._ZL20rocblas_gemvt_kernelILb1ELi256E16rocblas_bfloat16PKfS0_EviiT2_lPKT1_lilS6_lilS3_lPT3_lili,"axG",@progbits,_ZL20rocblas_gemvt_kernelILb1ELi256E16rocblas_bfloat16PKfS0_EviiT2_lPKT1_lilS6_lilS3_lPT3_lili,comdat
	.globl	_ZL20rocblas_gemvt_kernelILb1ELi256E16rocblas_bfloat16PKfS0_EviiT2_lPKT1_lilS6_lilS3_lPT3_lili ; -- Begin function _ZL20rocblas_gemvt_kernelILb1ELi256E16rocblas_bfloat16PKfS0_EviiT2_lPKT1_lilS6_lilS3_lPT3_lili
	.p2align	8
	.type	_ZL20rocblas_gemvt_kernelILb1ELi256E16rocblas_bfloat16PKfS0_EviiT2_lPKT1_lilS6_lilS3_lPT3_lili,@function
_ZL20rocblas_gemvt_kernelILb1ELi256E16rocblas_bfloat16PKfS0_EviiT2_lPKT1_lilS6_lilS3_lPT3_lili: ; @_ZL20rocblas_gemvt_kernelILb1ELi256E16rocblas_bfloat16PKfS0_EviiT2_lPKT1_lilS6_lilS3_lPT3_lili
; %bb.0:
	s_load_b32 s33, s[0:1], 0x88
	s_lshr_b32 s10, ttmp7, 16
	s_wait_kmcnt 0x0
	s_cmp_ge_u32 s10, s33
	s_cbranch_scc1 .LBB578_65
; %bb.1:
	s_clause 0x7
	s_load_b32 s8, s[0:1], 0x28
	s_load_b96 s[4:6], s[0:1], 0x40
	s_load_b96 s[36:38], s[0:1], 0x70
	s_load_b256 s[12:19], s[0:1], 0x8
	s_load_b32 s7, s[0:1], 0x0
	s_load_b128 s[28:31], s[0:1], 0x30
	s_load_b256 s[20:27], s[0:1], 0x50
	s_load_b64 s[34:35], s[0:1], 0x80
	s_mov_b32 s2, ttmp9
	s_ashr_i32 s3, ttmp9, 31
	v_lshlrev_b32_e32 v13, 2, v0
	s_mov_b32 s11, 0
	v_mov_b32_e32 v10, 0
	s_wait_kmcnt 0x0
	s_ashr_i32 s9, s8, 31
	s_lshl_b64 s[0:1], s[4:5], 1
	s_lshl_b64 s[4:5], s[36:37], 1
	;; [unrolled: 1-line block ×3, first 2 shown]
	v_cmp_gt_i32_e32 vcc_lo, s7, v0
	s_ashr_i32 s39, s38, 31
	s_add_nc_u64 s[26:27], s[26:27], s[4:5]
	s_add_nc_u64 s[4:5], s[16:17], s[36:37]
	s_mul_u64 s[42:43], s[38:39], s[2:3]
	v_cndmask_b32_e32 v1, 0, v0, vcc_lo
	s_mul_u64 s[2:3], s[8:9], s[2:3]
	s_add_nc_u64 s[18:19], s[30:31], s[0:1]
	s_ashr_i32 s1, s7, 31
	s_lshl_b64 s[38:39], s[2:3], 1
	v_lshlrev_b32_e32 v3, 1, v1
	s_lshr_b32 s1, s1, 24
	s_ashr_i32 s41, s6, 31
	s_add_co_i32 s1, s7, s1
	s_mov_b32 s40, s6
	v_add_co_u32 v1, s4, s4, v3
	s_wait_alu 0xf1ff
	v_add_co_ci_u32_e64 v2, null, s5, 0, s4
	s_and_b32 s30, s1, 0xffffff00
	v_add_co_u32 v11, vcc_lo, v1, s38
	s_wait_alu 0xfffd
	v_add_co_ci_u32_e64 v12, null, s39, v2, vcc_lo
	v_mad_co_i64_i32 v[1:2], null, s6, v0, 0
	v_or_b32_e32 v4, s30, v0
	s_add_nc_u64 s[38:39], s[38:39], s[36:37]
	v_cmp_eq_u32_e64 s0, 0, v0
	s_cmp_gt_i32 s7, 0xff
	v_cmp_gt_u32_e64 s2, 0x80, v0
	v_cmp_gt_i32_e64 s1, s7, v4
	v_lshlrev_b64_e32 v[1:2], 1, v[1:2]
	v_mad_co_i64_i32 v[4:5], null, s6, v4, 0
	v_cmp_gt_u32_e64 s3, 64, v0
	v_cmp_gt_u32_e64 s4, 32, v0
	;; [unrolled: 1-line block ×6, first 2 shown]
	v_add_co_u32 v0, vcc_lo, s18, v1
	s_wait_alu 0xfffe
	s_add_nc_u64 s[16:17], s[16:17], s[38:39]
	s_wait_alu 0xfffd
	v_add_co_ci_u32_e64 v1, null, s19, v2, vcc_lo
	v_add_co_u32 v2, s9, s16, v3
	v_lshlrev_b64_e32 v[4:5], 1, v[4:5]
	v_add_co_ci_u32_e64 v3, null, s17, 0, s9
	s_cselect_b32 s44, -1, 0
	s_ashr_i32 s31, s30, 31
	s_lshl_b64 s[36:37], s[20:21], 1
	s_lshl_b64 s[16:17], s[40:41], 9
	;; [unrolled: 1-line block ×4, first 2 shown]
	s_branch .LBB578_4
.LBB578_2:                              ;   in Loop: Header=BB578_4 Depth=1
	s_or_b32 exec_lo, exec_lo, s45
.LBB578_3:                              ;   in Loop: Header=BB578_4 Depth=1
	s_add_co_i32 s10, s10, 0x10000
	s_wait_alu 0xfffe
	s_cmp_lt_u32 s10, s33
	s_cbranch_scc0 .LBB578_65
.LBB578_4:                              ; =>This Loop Header: Depth=1
                                        ;     Child Loop BB578_19 Depth 2
	s_mul_u64 s[42:43], s[14:15], s[10:11]
	s_mul_u64 s[46:47], s[24:25], s[10:11]
	s_lshl_b64 s[42:43], s[42:43], 2
	s_lshl_b64 s[46:47], s[46:47], 2
	s_add_nc_u64 s[42:43], s[12:13], s[42:43]
	s_add_nc_u64 s[46:47], s[22:23], s[46:47]
	s_clause 0x1
	global_load_b32 v6, v10, s[42:43]
	global_load_b32 v7, v10, s[46:47]
	s_wait_loadcnt 0x1
	v_cmp_eq_f32_e32 vcc_lo, 0, v6
	s_wait_loadcnt 0x0
	v_cmp_eq_f32_e64 s9, 1.0, v7
	v_readfirstlane_b32 s46, v6
	v_readfirstlane_b32 s45, v7
	s_and_b32 s9, vcc_lo, s9
	s_wait_alu 0xfffe
	s_and_b32 vcc_lo, exec_lo, s9
	s_wait_alu 0xfffe
	s_cbranch_vccnz .LBB578_3
; %bb.5:                                ;   in Loop: Header=BB578_4 Depth=1
	s_mul_u64 s[42:43], s[34:35], s[10:11]
	s_delay_alu instid0(SALU_CYCLE_1)
	s_lshl_b64 s[42:43], s[42:43], 1
	s_cmp_neq_f32 s46, 0
	s_add_nc_u64 s[42:43], s[26:27], s[42:43]
	s_cbranch_scc1 .LBB578_13
; %bb.6:                                ;   in Loop: Header=BB578_4 Depth=1
	s_mov_b32 s47, 0
	s_mov_b32 s9, 0
                                        ; implicit-def: $sgpr48
	s_and_saveexec_b32 s49, s0
	s_cbranch_execz .LBB578_14
; %bb.7:                                ;   in Loop: Header=BB578_4 Depth=1
	s_cmp_eq_f32 s45, 0
	s_cbranch_scc1 .LBB578_15
; %bb.8:                                ;   in Loop: Header=BB578_4 Depth=1
	s_add_nc_u64 s[50:51], s[42:43], s[40:41]
	global_load_u16 v6, v10, s[50:51]
	s_mov_b32 s50, -1
	s_wait_loadcnt 0x0
	v_readfirstlane_b32 s9, v6
	s_wait_alu 0xfffe
	s_lshl_b32 s9, s9, 16
	s_wait_alu 0xfffe
	s_mul_f32 s9, s45, s9
	s_wait_alu 0xfffe
	s_delay_alu instid0(SALU_CYCLE_2)
	s_and_b32 s48, s9, 0x7f800000
	s_wait_alu 0xfffe
	s_cmp_eq_u32 s48, 0x7f800000
                                        ; implicit-def: $sgpr48
	s_cbranch_scc1 .LBB578_10
; %bb.9:                                ;   in Loop: Header=BB578_4 Depth=1
	s_bfe_u32 s48, s9, 0x10010
	s_mov_b32 s50, 0
	s_wait_alu 0xfffe
	s_add_co_i32 s48, s9, s48
	s_wait_alu 0xfffe
	s_addk_co_i32 s48, 0x7fff
.LBB578_10:                             ;   in Loop: Header=BB578_4 Depth=1
	s_and_not1_b32 vcc_lo, exec_lo, s50
	s_wait_alu 0xfffe
	s_cbranch_vccnz .LBB578_12
; %bb.11:                               ;   in Loop: Header=BB578_4 Depth=1
	s_and_b32 s48, s9, 0xffff
	s_or_b32 s50, s9, 0x10000
	s_wait_alu 0xfffe
	s_cmp_eq_u32 s48, 0
	s_cselect_b32 s48, s9, s50
.LBB578_12:                             ;   in Loop: Header=BB578_4 Depth=1
	s_wait_alu 0xfffe
	s_lshr_b32 s48, s48, 16
	s_mov_b32 s9, exec_lo
	s_or_b32 exec_lo, exec_lo, s49
	s_delay_alu instid0(SALU_CYCLE_1)
	s_and_b32 vcc_lo, exec_lo, s47
	s_wait_alu 0xfffe
	s_cbranch_vccnz .LBB578_16
	s_branch .LBB578_63
.LBB578_13:                             ;   in Loop: Header=BB578_4 Depth=1
	s_mov_b32 s9, 0
                                        ; implicit-def: $sgpr48
	s_cbranch_execnz .LBB578_16
	s_branch .LBB578_63
.LBB578_14:                             ;   in Loop: Header=BB578_4 Depth=1
	s_wait_alu 0xfffe
	s_or_b32 exec_lo, exec_lo, s49
	s_delay_alu instid0(SALU_CYCLE_1)
	s_and_b32 vcc_lo, exec_lo, s47
	s_wait_alu 0xfffe
	s_cbranch_vccnz .LBB578_16
	s_branch .LBB578_63
.LBB578_15:                             ;   in Loop: Header=BB578_4 Depth=1
	s_mov_b32 s48, 0
	s_mov_b32 s9, exec_lo
	s_wait_alu 0xfffe
	s_or_b32 exec_lo, exec_lo, s49
	s_delay_alu instid0(SALU_CYCLE_1)
	s_and_b32 vcc_lo, exec_lo, s47
	s_wait_alu 0xfffe
	s_cbranch_vccz .LBB578_63
.LBB578_16:                             ;   in Loop: Header=BB578_4 Depth=1
	v_mov_b32_e32 v14, 0
	s_and_not1_b32 vcc_lo, exec_lo, s44
	s_wait_alu 0xfffe
	s_cbranch_vccnz .LBB578_23
; %bb.17:                               ;   in Loop: Header=BB578_4 Depth=1
	v_mad_co_u64_u32 v[6:7], null, s36, s10, v[0:1]
	v_mad_co_u64_u32 v[8:9], null, s38, s10, v[2:3]
	s_mov_b32 s47, 0
	v_mad_co_u64_u32 v[14:15], null, s37, s10, v[7:8]
	v_mad_co_u64_u32 v[15:16], null, s39, s10, v[9:10]
	s_delay_alu instid0(VALU_DEP_2) | instskip(NEXT) | instid1(VALU_DEP_2)
	v_dual_mov_b32 v7, v14 :: v_dual_mov_b32 v14, 0
	v_mov_b32_e32 v9, v15
	s_branch .LBB578_19
.LBB578_18:                             ;   in Loop: Header=BB578_19 Depth=2
	s_wait_alu 0xfffe
	s_or_b32 exec_lo, exec_lo, s48
	s_delay_alu instid0(VALU_DEP_1)
	v_and_b32_e32 v15, 0xffff0000, v16
	v_add_co_u32 v6, vcc_lo, v6, s16
	s_wait_alu 0xfffd
	v_add_co_ci_u32_e64 v7, null, s17, v7, vcc_lo
	v_add_co_u32 v8, vcc_lo, 0x200, v8
	v_add_f32_e32 v14, v14, v15
	s_wait_alu 0xfffd
	v_add_co_ci_u32_e64 v9, null, 0, v9, vcc_lo
	s_addk_co_i32 s47, 0x100
	s_delay_alu instid0(SALU_CYCLE_1)
	s_cmp_ge_i32 s47, s30
	s_cbranch_scc1 .LBB578_23
.LBB578_19:                             ;   Parent Loop BB578_4 Depth=1
                                        ; =>  This Inner Loop Header: Depth=2
	global_load_u16 v15, v[6:7], off
	global_load_u16 v16, v[8:9], off
	s_wait_loadcnt 0x1
	v_lshlrev_b32_e32 v15, 16, v15
	s_wait_loadcnt 0x0
	v_lshlrev_b32_e32 v16, 16, v16
	s_delay_alu instid0(VALU_DEP_1) | instskip(NEXT) | instid1(VALU_DEP_1)
	v_mul_f32_e32 v15, v16, v15
	v_and_b32_e32 v16, 0x7f800000, v15
	s_delay_alu instid0(VALU_DEP_1)
	v_cmp_ne_u32_e32 vcc_lo, 0x7f800000, v16
                                        ; implicit-def: $vgpr16
	s_and_saveexec_b32 s48, vcc_lo
	s_wait_alu 0xfffe
	s_xor_b32 s48, exec_lo, s48
; %bb.20:                               ;   in Loop: Header=BB578_19 Depth=2
	v_bfe_u32 v16, v15, 16, 1
	s_delay_alu instid0(VALU_DEP_1)
	v_add3_u32 v16, v15, v16, 0x7fff
                                        ; implicit-def: $vgpr15
; %bb.21:                               ;   in Loop: Header=BB578_19 Depth=2
	s_wait_alu 0xfffe
	s_and_not1_saveexec_b32 s48, s48
	s_cbranch_execz .LBB578_18
; %bb.22:                               ;   in Loop: Header=BB578_19 Depth=2
	v_and_b32_e32 v16, 0xffff, v15
	v_or_b32_e32 v17, 0x10000, v15
	s_delay_alu instid0(VALU_DEP_2) | instskip(SKIP_1) | instid1(VALU_DEP_2)
	v_cmp_eq_u32_e32 vcc_lo, 0, v16
	s_wait_alu 0xfffd
	v_cndmask_b32_e32 v16, v17, v15, vcc_lo
	s_branch .LBB578_18
.LBB578_23:                             ;   in Loop: Header=BB578_4 Depth=1
	s_and_saveexec_b32 s47, s1
	s_cbranch_execz .LBB578_29
; %bb.24:                               ;   in Loop: Header=BB578_4 Depth=1
	s_mul_u64 s[48:49], s[28:29], s[10:11]
	s_mul_u64 s[50:51], s[20:21], s[10:11]
	s_wait_alu 0xfffe
	s_lshl_b64 s[48:49], s[48:49], 1
	s_lshl_b64 s[50:51], s[50:51], 1
	s_wait_alu 0xfffe
	v_add_co_u32 v8, vcc_lo, v11, s48
	s_wait_alu 0xfffd
	v_add_co_ci_u32_e64 v9, null, s49, v12, vcc_lo
	s_add_nc_u64 s[48:49], s[18:19], s[50:51]
	s_lshl_b64 s[50:51], s[30:31], 1
	s_wait_alu 0xfffe
	v_add_co_u32 v6, vcc_lo, s48, v4
	s_wait_alu 0xfffd
	v_add_co_ci_u32_e64 v7, null, s49, v5, vcc_lo
	v_add_co_u32 v8, vcc_lo, v8, s50
	s_wait_alu 0xfffd
	v_add_co_ci_u32_e64 v9, null, s51, v9, vcc_lo
	global_load_u16 v6, v[6:7], off
	global_load_u16 v7, v[8:9], off
	s_wait_loadcnt 0x1
	v_lshlrev_b32_e32 v6, 16, v6
	s_wait_loadcnt 0x0
	v_lshlrev_b32_e32 v7, 16, v7
	s_delay_alu instid0(VALU_DEP_1) | instskip(NEXT) | instid1(VALU_DEP_1)
	v_mul_f32_e32 v6, v7, v6
	v_and_b32_e32 v7, 0x7f800000, v6
	s_delay_alu instid0(VALU_DEP_1)
	v_cmp_ne_u32_e32 vcc_lo, 0x7f800000, v7
                                        ; implicit-def: $vgpr7
	s_and_saveexec_b32 s48, vcc_lo
	s_wait_alu 0xfffe
	s_xor_b32 s48, exec_lo, s48
; %bb.25:                               ;   in Loop: Header=BB578_4 Depth=1
	v_bfe_u32 v7, v6, 16, 1
	s_delay_alu instid0(VALU_DEP_1)
	v_add3_u32 v7, v6, v7, 0x7fff
                                        ; implicit-def: $vgpr6
; %bb.26:                               ;   in Loop: Header=BB578_4 Depth=1
	s_wait_alu 0xfffe
	s_and_not1_saveexec_b32 s48, s48
; %bb.27:                               ;   in Loop: Header=BB578_4 Depth=1
	v_and_b32_e32 v7, 0xffff, v6
	v_or_b32_e32 v8, 0x10000, v6
	s_delay_alu instid0(VALU_DEP_2) | instskip(SKIP_1) | instid1(VALU_DEP_2)
	v_cmp_eq_u32_e32 vcc_lo, 0, v7
	s_wait_alu 0xfffd
	v_cndmask_b32_e32 v7, v8, v6, vcc_lo
; %bb.28:                               ;   in Loop: Header=BB578_4 Depth=1
	s_wait_alu 0xfffe
	s_or_b32 exec_lo, exec_lo, s48
	s_delay_alu instid0(VALU_DEP_1) | instskip(NEXT) | instid1(VALU_DEP_1)
	v_and_b32_e32 v6, 0xffff0000, v7
	v_add_f32_e32 v14, v14, v6
.LBB578_29:                             ;   in Loop: Header=BB578_4 Depth=1
	s_or_b32 exec_lo, exec_lo, s47
	ds_store_b32 v13, v14
	s_wait_dscnt 0x0
	s_barrier_signal -1
	s_barrier_wait -1
	global_inv scope:SCOPE_SE
	s_and_saveexec_b32 s47, s2
	s_cbranch_execz .LBB578_31
; %bb.30:                               ;   in Loop: Header=BB578_4 Depth=1
	ds_load_2addr_stride64_b32 v[6:7], v13 offset1:2
	s_wait_dscnt 0x0
	v_add_f32_e32 v6, v7, v6
	ds_store_b32 v13, v6
.LBB578_31:                             ;   in Loop: Header=BB578_4 Depth=1
	s_or_b32 exec_lo, exec_lo, s47
	s_wait_loadcnt_dscnt 0x0
	s_barrier_signal -1
	s_barrier_wait -1
	global_inv scope:SCOPE_SE
	s_and_saveexec_b32 s47, s3
	s_cbranch_execz .LBB578_33
; %bb.32:                               ;   in Loop: Header=BB578_4 Depth=1
	ds_load_2addr_stride64_b32 v[6:7], v13 offset1:1
	s_wait_dscnt 0x0
	v_add_f32_e32 v6, v7, v6
	ds_store_b32 v13, v6
.LBB578_33:                             ;   in Loop: Header=BB578_4 Depth=1
	s_or_b32 exec_lo, exec_lo, s47
	s_wait_loadcnt_dscnt 0x0
	s_barrier_signal -1
	s_barrier_wait -1
	global_inv scope:SCOPE_SE
	s_and_saveexec_b32 s47, s4
	s_cbranch_execz .LBB578_35
; %bb.34:                               ;   in Loop: Header=BB578_4 Depth=1
	ds_load_2addr_b32 v[6:7], v13 offset1:32
	s_wait_dscnt 0x0
	v_add_f32_e32 v6, v7, v6
	ds_store_b32 v13, v6
.LBB578_35:                             ;   in Loop: Header=BB578_4 Depth=1
	s_or_b32 exec_lo, exec_lo, s47
	s_wait_loadcnt_dscnt 0x0
	s_barrier_signal -1
	s_barrier_wait -1
	global_inv scope:SCOPE_SE
	s_and_saveexec_b32 s47, s5
	s_cbranch_execz .LBB578_37
; %bb.36:                               ;   in Loop: Header=BB578_4 Depth=1
	ds_load_2addr_b32 v[6:7], v13 offset1:16
	s_wait_dscnt 0x0
	v_add_f32_e32 v6, v7, v6
	ds_store_b32 v13, v6
.LBB578_37:                             ;   in Loop: Header=BB578_4 Depth=1
	;; [unrolled: 13-line block ×5, first 2 shown]
	s_or_b32 exec_lo, exec_lo, s47
	s_wait_loadcnt_dscnt 0x0
	s_barrier_signal -1
	s_barrier_wait -1
	global_inv scope:SCOPE_SE
	s_and_saveexec_b32 s47, s0
	s_cbranch_execz .LBB578_45
; %bb.44:                               ;   in Loop: Header=BB578_4 Depth=1
	ds_load_b64 v[6:7], v10
	s_wait_dscnt 0x0
	v_add_f32_e32 v6, v7, v6
	ds_store_b32 v10, v6
.LBB578_45:                             ;   in Loop: Header=BB578_4 Depth=1
	s_or_b32 exec_lo, exec_lo, s47
	s_wait_loadcnt_dscnt 0x0
	s_barrier_signal -1
	s_barrier_wait -1
	global_inv scope:SCOPE_SE
                                        ; implicit-def: $sgpr48
	s_and_saveexec_b32 s47, s0
	s_cbranch_execz .LBB578_62
; %bb.46:                               ;   in Loop: Header=BB578_4 Depth=1
	ds_load_b32 v6, v10
	s_cmp_eq_f32 s45, 0
	s_wait_dscnt 0x0
	v_readfirstlane_b32 s48, v6
	s_mul_f32 s46, s46, s48
	s_cbranch_scc0 .LBB578_52
; %bb.47:                               ;   in Loop: Header=BB578_4 Depth=1
	s_delay_alu instid0(SALU_CYCLE_2)
	s_and_b32 s48, s46, 0x7f800000
	s_mov_b32 s49, -1
	s_wait_alu 0xfffe
	s_cmp_eq_u32 s48, 0x7f800000
                                        ; implicit-def: $sgpr48
	s_cbranch_scc1 .LBB578_49
; %bb.48:                               ;   in Loop: Header=BB578_4 Depth=1
	s_bfe_u32 s48, s46, 0x10010
	s_mov_b32 s49, 0
	s_wait_alu 0xfffe
	s_add_co_i32 s48, s46, s48
	s_wait_alu 0xfffe
	s_addk_co_i32 s48, 0x7fff
.LBB578_49:                             ;   in Loop: Header=BB578_4 Depth=1
	s_and_not1_b32 vcc_lo, exec_lo, s49
	s_wait_alu 0xfffe
	s_cbranch_vccnz .LBB578_51
; %bb.50:                               ;   in Loop: Header=BB578_4 Depth=1
	s_and_b32 s48, s46, 0xffff
	s_or_b32 s49, s46, 0x10000
	s_wait_alu 0xfffe
	s_cmp_eq_u32 s48, 0
	s_cselect_b32 s48, s46, s49
.LBB578_51:                             ;   in Loop: Header=BB578_4 Depth=1
	s_cbranch_execz .LBB578_53
	s_branch .LBB578_61
.LBB578_52:                             ;   in Loop: Header=BB578_4 Depth=1
                                        ; implicit-def: $sgpr48
.LBB578_53:                             ;   in Loop: Header=BB578_4 Depth=1
	s_add_nc_u64 s[48:49], s[42:43], s[40:41]
	global_load_u16 v6, v10, s[48:49]
	s_mov_b32 s49, -1
	s_wait_loadcnt 0x0
	v_readfirstlane_b32 s48, v6
	s_wait_alu 0xfffe
	s_lshl_b32 s48, s48, 16
	s_wait_alu 0xfffe
	s_mul_f32 s45, s45, s48
	s_delay_alu instid0(SALU_CYCLE_3)
	s_and_b32 s48, s45, 0x7f800000
	s_wait_alu 0xfffe
	s_cmp_eq_u32 s48, 0x7f800000
                                        ; implicit-def: $sgpr48
	s_cbranch_scc1 .LBB578_55
; %bb.54:                               ;   in Loop: Header=BB578_4 Depth=1
	s_bfe_u32 s48, s45, 0x10010
	s_mov_b32 s49, 0
	s_wait_alu 0xfffe
	s_add_co_i32 s48, s45, s48
	s_wait_alu 0xfffe
	s_addk_co_i32 s48, 0x7fff
.LBB578_55:                             ;   in Loop: Header=BB578_4 Depth=1
	s_and_not1_b32 vcc_lo, exec_lo, s49
	s_wait_alu 0xfffe
	s_cbranch_vccnz .LBB578_57
; %bb.56:                               ;   in Loop: Header=BB578_4 Depth=1
	s_and_b32 s48, s45, 0xffff
	s_or_b32 s49, s45, 0x10000
	s_wait_alu 0xfffe
	s_cmp_eq_u32 s48, 0
	s_cselect_b32 s48, s45, s49
.LBB578_57:                             ;   in Loop: Header=BB578_4 Depth=1
	s_wait_alu 0xfffe
	s_and_b32 s45, s48, 0xffff0000
                                        ; implicit-def: $sgpr48
	s_delay_alu instid0(SALU_CYCLE_1) | instskip(NEXT) | instid1(SALU_CYCLE_3)
	s_add_f32 s45, s46, s45
	s_and_b32 s46, s45, 0x7f800000
	s_delay_alu instid0(SALU_CYCLE_1)
	s_cmp_eq_u32 s46, 0x7f800000
	s_mov_b32 s46, -1
	s_cbranch_scc1 .LBB578_59
; %bb.58:                               ;   in Loop: Header=BB578_4 Depth=1
	s_bfe_u32 s46, s45, 0x10010
	s_delay_alu instid0(SALU_CYCLE_1) | instskip(NEXT) | instid1(SALU_CYCLE_1)
	s_add_co_i32 s46, s45, s46
	s_add_co_i32 s48, s46, 0x7fff
	s_mov_b32 s46, 0
.LBB578_59:                             ;   in Loop: Header=BB578_4 Depth=1
	s_delay_alu instid0(SALU_CYCLE_1)
	s_and_not1_b32 vcc_lo, exec_lo, s46
	s_wait_alu 0xfffe
	s_cbranch_vccnz .LBB578_61
; %bb.60:                               ;   in Loop: Header=BB578_4 Depth=1
	s_and_b32 s46, s45, 0xffff
	s_or_b32 s48, s45, 0x10000
	s_cmp_eq_u32 s46, 0
	s_wait_alu 0xfffe
	s_cselect_b32 s48, s45, s48
.LBB578_61:                             ;   in Loop: Header=BB578_4 Depth=1
	s_wait_alu 0xfffe
	s_lshr_b32 s48, s48, 16
	s_or_b32 s9, s9, exec_lo
.LBB578_62:                             ;   in Loop: Header=BB578_4 Depth=1
	s_or_b32 exec_lo, exec_lo, s47
.LBB578_63:                             ;   in Loop: Header=BB578_4 Depth=1
	s_wait_alu 0xfffe
	s_and_saveexec_b32 s45, s9
	s_cbranch_execz .LBB578_2
; %bb.64:                               ;   in Loop: Header=BB578_4 Depth=1
	v_mov_b32_e32 v6, s48
	s_add_nc_u64 s[42:43], s[42:43], s[40:41]
	global_store_b16 v10, v6, s[42:43]
	s_branch .LBB578_2
.LBB578_65:
	s_endpgm
	.section	.rodata,"a",@progbits
	.p2align	6, 0x0
	.amdhsa_kernel _ZL20rocblas_gemvt_kernelILb1ELi256E16rocblas_bfloat16PKfS0_EviiT2_lPKT1_lilS6_lilS3_lPT3_lili
		.amdhsa_group_segment_fixed_size 1024
		.amdhsa_private_segment_fixed_size 0
		.amdhsa_kernarg_size 140
		.amdhsa_user_sgpr_count 2
		.amdhsa_user_sgpr_dispatch_ptr 0
		.amdhsa_user_sgpr_queue_ptr 0
		.amdhsa_user_sgpr_kernarg_segment_ptr 1
		.amdhsa_user_sgpr_dispatch_id 0
		.amdhsa_user_sgpr_private_segment_size 0
		.amdhsa_wavefront_size32 1
		.amdhsa_uses_dynamic_stack 0
		.amdhsa_enable_private_segment 0
		.amdhsa_system_sgpr_workgroup_id_x 1
		.amdhsa_system_sgpr_workgroup_id_y 0
		.amdhsa_system_sgpr_workgroup_id_z 1
		.amdhsa_system_sgpr_workgroup_info 0
		.amdhsa_system_vgpr_workitem_id 0
		.amdhsa_next_free_vgpr 18
		.amdhsa_next_free_sgpr 52
		.amdhsa_reserve_vcc 1
		.amdhsa_float_round_mode_32 0
		.amdhsa_float_round_mode_16_64 0
		.amdhsa_float_denorm_mode_32 3
		.amdhsa_float_denorm_mode_16_64 3
		.amdhsa_fp16_overflow 0
		.amdhsa_workgroup_processor_mode 1
		.amdhsa_memory_ordered 1
		.amdhsa_forward_progress 1
		.amdhsa_inst_pref_size 19
		.amdhsa_round_robin_scheduling 0
		.amdhsa_exception_fp_ieee_invalid_op 0
		.amdhsa_exception_fp_denorm_src 0
		.amdhsa_exception_fp_ieee_div_zero 0
		.amdhsa_exception_fp_ieee_overflow 0
		.amdhsa_exception_fp_ieee_underflow 0
		.amdhsa_exception_fp_ieee_inexact 0
		.amdhsa_exception_int_div_zero 0
	.end_amdhsa_kernel
	.section	.text._ZL20rocblas_gemvt_kernelILb1ELi256E16rocblas_bfloat16PKfS0_EviiT2_lPKT1_lilS6_lilS3_lPT3_lili,"axG",@progbits,_ZL20rocblas_gemvt_kernelILb1ELi256E16rocblas_bfloat16PKfS0_EviiT2_lPKT1_lilS6_lilS3_lPT3_lili,comdat
.Lfunc_end578:
	.size	_ZL20rocblas_gemvt_kernelILb1ELi256E16rocblas_bfloat16PKfS0_EviiT2_lPKT1_lilS6_lilS3_lPT3_lili, .Lfunc_end578-_ZL20rocblas_gemvt_kernelILb1ELi256E16rocblas_bfloat16PKfS0_EviiT2_lPKT1_lilS6_lilS3_lPT3_lili
                                        ; -- End function
	.set _ZL20rocblas_gemvt_kernelILb1ELi256E16rocblas_bfloat16PKfS0_EviiT2_lPKT1_lilS6_lilS3_lPT3_lili.num_vgpr, 18
	.set _ZL20rocblas_gemvt_kernelILb1ELi256E16rocblas_bfloat16PKfS0_EviiT2_lPKT1_lilS6_lilS3_lPT3_lili.num_agpr, 0
	.set _ZL20rocblas_gemvt_kernelILb1ELi256E16rocblas_bfloat16PKfS0_EviiT2_lPKT1_lilS6_lilS3_lPT3_lili.numbered_sgpr, 52
	.set _ZL20rocblas_gemvt_kernelILb1ELi256E16rocblas_bfloat16PKfS0_EviiT2_lPKT1_lilS6_lilS3_lPT3_lili.num_named_barrier, 0
	.set _ZL20rocblas_gemvt_kernelILb1ELi256E16rocblas_bfloat16PKfS0_EviiT2_lPKT1_lilS6_lilS3_lPT3_lili.private_seg_size, 0
	.set _ZL20rocblas_gemvt_kernelILb1ELi256E16rocblas_bfloat16PKfS0_EviiT2_lPKT1_lilS6_lilS3_lPT3_lili.uses_vcc, 1
	.set _ZL20rocblas_gemvt_kernelILb1ELi256E16rocblas_bfloat16PKfS0_EviiT2_lPKT1_lilS6_lilS3_lPT3_lili.uses_flat_scratch, 0
	.set _ZL20rocblas_gemvt_kernelILb1ELi256E16rocblas_bfloat16PKfS0_EviiT2_lPKT1_lilS6_lilS3_lPT3_lili.has_dyn_sized_stack, 0
	.set _ZL20rocblas_gemvt_kernelILb1ELi256E16rocblas_bfloat16PKfS0_EviiT2_lPKT1_lilS6_lilS3_lPT3_lili.has_recursion, 0
	.set _ZL20rocblas_gemvt_kernelILb1ELi256E16rocblas_bfloat16PKfS0_EviiT2_lPKT1_lilS6_lilS3_lPT3_lili.has_indirect_call, 0
	.section	.AMDGPU.csdata,"",@progbits
; Kernel info:
; codeLenInByte = 2408
; TotalNumSgprs: 54
; NumVgprs: 18
; ScratchSize: 0
; MemoryBound: 0
; FloatMode: 240
; IeeeMode: 1
; LDSByteSize: 1024 bytes/workgroup (compile time only)
; SGPRBlocks: 0
; VGPRBlocks: 2
; NumSGPRsForWavesPerEU: 54
; NumVGPRsForWavesPerEU: 18
; Occupancy: 16
; WaveLimiterHint : 0
; COMPUTE_PGM_RSRC2:SCRATCH_EN: 0
; COMPUTE_PGM_RSRC2:USER_SGPR: 2
; COMPUTE_PGM_RSRC2:TRAP_HANDLER: 0
; COMPUTE_PGM_RSRC2:TGID_X_EN: 1
; COMPUTE_PGM_RSRC2:TGID_Y_EN: 0
; COMPUTE_PGM_RSRC2:TGID_Z_EN: 1
; COMPUTE_PGM_RSRC2:TIDIG_COMP_CNT: 0
	.section	.text._ZL20rocblas_gemvt_kernelILb1ELi256E16rocblas_bfloat16fS0_EviiT2_lPKT1_lilS4_lilS1_lPT3_lili,"axG",@progbits,_ZL20rocblas_gemvt_kernelILb1ELi256E16rocblas_bfloat16fS0_EviiT2_lPKT1_lilS4_lilS1_lPT3_lili,comdat
	.globl	_ZL20rocblas_gemvt_kernelILb1ELi256E16rocblas_bfloat16fS0_EviiT2_lPKT1_lilS4_lilS1_lPT3_lili ; -- Begin function _ZL20rocblas_gemvt_kernelILb1ELi256E16rocblas_bfloat16fS0_EviiT2_lPKT1_lilS4_lilS1_lPT3_lili
	.p2align	8
	.type	_ZL20rocblas_gemvt_kernelILb1ELi256E16rocblas_bfloat16fS0_EviiT2_lPKT1_lilS4_lilS1_lPT3_lili,@function
_ZL20rocblas_gemvt_kernelILb1ELi256E16rocblas_bfloat16fS0_EviiT2_lPKT1_lilS4_lilS1_lPT3_lili: ; @_ZL20rocblas_gemvt_kernelILb1ELi256E16rocblas_bfloat16fS0_EviiT2_lPKT1_lilS4_lilS1_lPT3_lili
; %bb.0:
	s_load_b32 s9, s[0:1], 0x88
	s_lshr_b32 s10, ttmp7, 16
	s_wait_kmcnt 0x0
	s_cmp_ge_u32 s10, s9
	s_cbranch_scc1 .LBB579_65
; %bb.1:
	s_clause 0x9
	s_load_b32 s26, s[0:1], 0x28
	s_load_b96 s[4:6], s[0:1], 0x40
	s_load_b32 s34, s[0:1], 0x78
	s_load_b128 s[28:31], s[0:1], 0x68
	s_load_b128 s[16:19], s[0:1], 0x18
	s_load_b32 s23, s[0:1], 0x8
	s_load_b96 s[20:22], s[0:1], 0x50
	s_load_b32 s7, s[0:1], 0x0
	s_load_b128 s[12:15], s[0:1], 0x30
	s_load_b64 s[24:25], s[0:1], 0x80
	s_mov_b32 s2, ttmp9
	v_cmp_eq_u32_e64 s0, 0, v0
	v_lshlrev_b32_e32 v13, 2, v0
	v_cmp_gt_u32_e64 s8, 2, v0
	s_mov_b32 s11, 0
	s_wait_kmcnt 0x0
	s_ashr_i32 s27, s26, 31
	s_ashr_i32 s37, s6, 31
	;; [unrolled: 1-line block ×3, first 2 shown]
	s_lshl_b64 s[4:5], s[4:5], 1
	s_lshl_b64 s[30:31], s[30:31], 1
	;; [unrolled: 1-line block ×3, first 2 shown]
	s_cmp_eq_f32 s23, 0
	v_cmp_gt_i32_e32 vcc_lo, s7, v0
	v_mov_b32_e32 v10, 0
	s_add_nc_u64 s[14:15], s[14:15], s[4:5]
	s_cselect_b32 s33, -1, 0
	s_cmp_neq_f32 s23, 0
	v_cndmask_b32_e32 v1, 0, v0, vcc_lo
	s_add_nc_u64 s[4:5], s[16:17], s[38:39]
	s_add_nc_u64 s[18:19], s[28:29], s[30:31]
	s_cselect_b32 s1, -1, 0
	s_cmp_neq_f32 s22, 1.0
	v_lshlrev_b32_e32 v3, 1, v1
	s_mov_b32 s36, s6
	s_cselect_b32 s3, -1, 0
	s_delay_alu instid0(SALU_CYCLE_1)
	s_or_b32 s40, s1, s3
	s_cmp_neq_f32 s22, 0
	v_add_co_u32 v1, s4, s4, v3
	s_wait_alu 0xf1ff
	v_add_co_ci_u32_e64 v2, null, s5, 0, s4
	s_cselect_b32 s41, -1, 0
	s_cmp_eq_f32 s22, 0
	v_cmp_gt_u32_e64 s4, 32, v0
	v_cmp_gt_u32_e64 s5, 16, v0
	s_cselect_b32 s42, -1, 0
	s_ashr_i32 s3, ttmp9, 31
	s_ashr_i32 s1, s7, 31
	s_mul_u64 s[28:29], s[26:27], s[2:3]
	s_lshr_b32 s1, s1, 24
	s_lshl_b64 s[30:31], s[28:29], 1
	s_add_co_i32 s1, s7, s1
	v_add_co_u32 v11, vcc_lo, v1, s30
	s_wait_alu 0xfffd
	v_add_co_ci_u32_e64 v12, null, s31, v2, vcc_lo
	v_mad_co_i64_i32 v[1:2], null, s6, v0, 0
	s_and_b32 s26, s1, 0xffffff00
	s_add_nc_u64 s[38:39], s[30:31], s[38:39]
	v_or_b32_e32 v4, s26, v0
	s_mul_u64 s[34:35], s[34:35], s[2:3]
	s_cmp_gt_i32 s7, 0xff
	v_cmp_gt_u32_e64 s2, 0x80, v0
	v_lshlrev_b64_e32 v[1:2], 1, v[1:2]
	v_cmp_gt_i32_e64 s1, s7, v4
	v_mad_co_i64_i32 v[4:5], null, s6, v4, 0
	v_cmp_gt_u32_e64 s3, 64, v0
	v_cmp_gt_u32_e64 s6, 8, v0
	;; [unrolled: 1-line block ×3, first 2 shown]
	v_add_co_u32 v0, vcc_lo, s14, v1
	s_add_nc_u64 s[16:17], s[16:17], s[38:39]
	s_wait_alu 0xfffd
	v_add_co_ci_u32_e64 v1, null, s15, v2, vcc_lo
	v_add_co_u32 v2, s16, s16, v3
	v_lshlrev_b64_e32 v[4:5], 1, v[4:5]
	s_wait_alu 0xf1ff
	v_add_co_ci_u32_e64 v3, null, s17, 0, s16
	s_cselect_b32 s43, -1, 0
	s_ashr_i32 s27, s26, 31
	s_lshl_b64 s[28:29], s[20:21], 1
	s_lshl_b64 s[30:31], s[36:37], 9
	;; [unrolled: 1-line block ×4, first 2 shown]
	s_wait_alu 0xfffe
	s_lshl_b64 s[36:37], s[26:27], 1
	s_branch .LBB579_4
.LBB579_2:                              ;   in Loop: Header=BB579_4 Depth=1
	s_wait_alu 0xfffe
	s_or_b32 exec_lo, exec_lo, s44
.LBB579_3:                              ;   in Loop: Header=BB579_4 Depth=1
	s_add_co_i32 s10, s10, 0x10000
	s_wait_alu 0xfffe
	s_cmp_lt_u32 s10, s9
	s_cbranch_scc0 .LBB579_65
.LBB579_4:                              ; =>This Loop Header: Depth=1
                                        ;     Child Loop BB579_19 Depth 2
	s_and_not1_b32 vcc_lo, exec_lo, s40
	s_wait_alu 0xfffe
	s_cbranch_vccnz .LBB579_3
; %bb.5:                                ;   in Loop: Header=BB579_4 Depth=1
	s_mul_u64 s[38:39], s[24:25], s[10:11]
	s_and_not1_b32 vcc_lo, exec_lo, s33
	s_lshl_b64 s[38:39], s[38:39], 1
	s_delay_alu instid0(SALU_CYCLE_1)
	s_add_nc_u64 s[38:39], s[18:19], s[38:39]
	s_wait_alu 0xfffe
	s_cbranch_vccnz .LBB579_13
; %bb.6:                                ;   in Loop: Header=BB579_4 Depth=1
	s_mov_b32 s44, 0
	s_mov_b32 s27, 0
                                        ; implicit-def: $sgpr45
	s_and_saveexec_b32 s46, s0
	s_cbranch_execz .LBB579_14
; %bb.7:                                ;   in Loop: Header=BB579_4 Depth=1
	s_and_not1_b32 vcc_lo, exec_lo, s41
	s_wait_alu 0xfffe
	s_cbranch_vccnz .LBB579_15
; %bb.8:                                ;   in Loop: Header=BB579_4 Depth=1
	s_add_nc_u64 s[48:49], s[38:39], s[34:35]
	s_mov_b32 s47, -1
	global_load_u16 v6, v10, s[48:49]
	s_wait_loadcnt 0x0
	v_readfirstlane_b32 s27, v6
	s_lshl_b32 s27, s27, 16
	s_wait_alu 0xfffe
	s_mul_f32 s27, s22, s27
	s_wait_alu 0xfffe
	s_delay_alu instid0(SALU_CYCLE_2)
	s_and_b32 s45, s27, 0x7f800000
	s_wait_alu 0xfffe
	s_cmp_eq_u32 s45, 0x7f800000
                                        ; implicit-def: $sgpr45
	s_cbranch_scc1 .LBB579_10
; %bb.9:                                ;   in Loop: Header=BB579_4 Depth=1
	s_bfe_u32 s45, s27, 0x10010
	s_mov_b32 s47, 0
	s_wait_alu 0xfffe
	s_add_co_i32 s45, s27, s45
	s_wait_alu 0xfffe
	s_addk_co_i32 s45, 0x7fff
.LBB579_10:                             ;   in Loop: Header=BB579_4 Depth=1
	s_wait_alu 0xfffe
	s_and_not1_b32 vcc_lo, exec_lo, s47
	s_wait_alu 0xfffe
	s_cbranch_vccnz .LBB579_12
; %bb.11:                               ;   in Loop: Header=BB579_4 Depth=1
	s_and_b32 s45, s27, 0xffff
	s_or_b32 s47, s27, 0x10000
	s_wait_alu 0xfffe
	s_cmp_eq_u32 s45, 0
	s_cselect_b32 s45, s27, s47
.LBB579_12:                             ;   in Loop: Header=BB579_4 Depth=1
	s_wait_alu 0xfffe
	s_lshr_b32 s45, s45, 16
	s_mov_b32 s27, exec_lo
	s_or_b32 exec_lo, exec_lo, s46
	s_delay_alu instid0(SALU_CYCLE_1)
	s_and_b32 vcc_lo, exec_lo, s44
	s_wait_alu 0xfffe
	s_cbranch_vccnz .LBB579_16
	s_branch .LBB579_63
.LBB579_13:                             ;   in Loop: Header=BB579_4 Depth=1
	s_mov_b32 s27, 0
                                        ; implicit-def: $sgpr45
	s_cbranch_execnz .LBB579_16
	s_branch .LBB579_63
.LBB579_14:                             ;   in Loop: Header=BB579_4 Depth=1
	s_wait_alu 0xfffe
	s_or_b32 exec_lo, exec_lo, s46
	s_delay_alu instid0(SALU_CYCLE_1)
	s_and_b32 vcc_lo, exec_lo, s44
	s_wait_alu 0xfffe
	s_cbranch_vccnz .LBB579_16
	s_branch .LBB579_63
.LBB579_15:                             ;   in Loop: Header=BB579_4 Depth=1
	s_mov_b32 s45, 0
	s_mov_b32 s27, exec_lo
	s_or_b32 exec_lo, exec_lo, s46
	s_delay_alu instid0(SALU_CYCLE_1)
	s_and_b32 vcc_lo, exec_lo, s44
	s_wait_alu 0xfffe
	s_cbranch_vccz .LBB579_63
.LBB579_16:                             ;   in Loop: Header=BB579_4 Depth=1
	v_mov_b32_e32 v14, 0
	s_and_not1_b32 vcc_lo, exec_lo, s43
	s_wait_alu 0xfffe
	s_cbranch_vccnz .LBB579_23
; %bb.17:                               ;   in Loop: Header=BB579_4 Depth=1
	v_mad_co_u64_u32 v[6:7], null, s28, s10, v[0:1]
	v_mad_co_u64_u32 v[8:9], null, s16, s10, v[2:3]
	s_mov_b32 s44, 0
	v_mad_co_u64_u32 v[14:15], null, s29, s10, v[7:8]
	v_mad_co_u64_u32 v[15:16], null, s17, s10, v[9:10]
	s_delay_alu instid0(VALU_DEP_2) | instskip(NEXT) | instid1(VALU_DEP_2)
	v_dual_mov_b32 v7, v14 :: v_dual_mov_b32 v14, 0
	v_mov_b32_e32 v9, v15
	s_branch .LBB579_19
.LBB579_18:                             ;   in Loop: Header=BB579_19 Depth=2
	s_wait_alu 0xfffe
	s_or_b32 exec_lo, exec_lo, s45
	s_delay_alu instid0(VALU_DEP_1)
	v_and_b32_e32 v15, 0xffff0000, v16
	v_add_co_u32 v6, vcc_lo, v6, s30
	s_wait_alu 0xfffd
	v_add_co_ci_u32_e64 v7, null, s31, v7, vcc_lo
	v_add_co_u32 v8, vcc_lo, 0x200, v8
	v_add_f32_e32 v14, v14, v15
	s_wait_alu 0xfffd
	v_add_co_ci_u32_e64 v9, null, 0, v9, vcc_lo
	s_addk_co_i32 s44, 0x100
	s_wait_alu 0xfffe
	s_cmp_ge_i32 s44, s26
	s_cbranch_scc1 .LBB579_23
.LBB579_19:                             ;   Parent Loop BB579_4 Depth=1
                                        ; =>  This Inner Loop Header: Depth=2
	global_load_u16 v15, v[6:7], off
	global_load_u16 v16, v[8:9], off
	s_wait_loadcnt 0x1
	v_lshlrev_b32_e32 v15, 16, v15
	s_wait_loadcnt 0x0
	v_lshlrev_b32_e32 v16, 16, v16
	s_delay_alu instid0(VALU_DEP_1) | instskip(NEXT) | instid1(VALU_DEP_1)
	v_mul_f32_e32 v15, v16, v15
	v_and_b32_e32 v16, 0x7f800000, v15
	s_delay_alu instid0(VALU_DEP_1)
	v_cmp_ne_u32_e32 vcc_lo, 0x7f800000, v16
                                        ; implicit-def: $vgpr16
	s_and_saveexec_b32 s45, vcc_lo
	s_wait_alu 0xfffe
	s_xor_b32 s45, exec_lo, s45
; %bb.20:                               ;   in Loop: Header=BB579_19 Depth=2
	v_bfe_u32 v16, v15, 16, 1
	s_delay_alu instid0(VALU_DEP_1)
	v_add3_u32 v16, v15, v16, 0x7fff
                                        ; implicit-def: $vgpr15
; %bb.21:                               ;   in Loop: Header=BB579_19 Depth=2
	s_wait_alu 0xfffe
	s_and_not1_saveexec_b32 s45, s45
	s_cbranch_execz .LBB579_18
; %bb.22:                               ;   in Loop: Header=BB579_19 Depth=2
	v_and_b32_e32 v16, 0xffff, v15
	v_or_b32_e32 v17, 0x10000, v15
	s_delay_alu instid0(VALU_DEP_2) | instskip(SKIP_1) | instid1(VALU_DEP_2)
	v_cmp_eq_u32_e32 vcc_lo, 0, v16
	s_wait_alu 0xfffd
	v_cndmask_b32_e32 v16, v17, v15, vcc_lo
	s_branch .LBB579_18
.LBB579_23:                             ;   in Loop: Header=BB579_4 Depth=1
	s_and_saveexec_b32 s44, s1
	s_cbranch_execz .LBB579_29
; %bb.24:                               ;   in Loop: Header=BB579_4 Depth=1
	s_mul_u64 s[46:47], s[12:13], s[10:11]
	s_mul_u64 s[48:49], s[20:21], s[10:11]
	s_wait_alu 0xfffe
	s_lshl_b64 s[46:47], s[46:47], 1
	s_lshl_b64 s[48:49], s[48:49], 1
	s_wait_alu 0xfffe
	v_add_co_u32 v8, vcc_lo, v11, s46
	s_wait_alu 0xfffd
	v_add_co_ci_u32_e64 v9, null, s47, v12, vcc_lo
	s_add_nc_u64 s[46:47], s[14:15], s[48:49]
	s_wait_alu 0xfffe
	v_add_co_u32 v6, vcc_lo, s46, v4
	s_wait_alu 0xfffd
	v_add_co_ci_u32_e64 v7, null, s47, v5, vcc_lo
	v_add_co_u32 v8, vcc_lo, v8, s36
	s_wait_alu 0xfffd
	v_add_co_ci_u32_e64 v9, null, s37, v9, vcc_lo
	global_load_u16 v6, v[6:7], off
	global_load_u16 v7, v[8:9], off
	s_wait_loadcnt 0x1
	v_lshlrev_b32_e32 v6, 16, v6
	s_wait_loadcnt 0x0
	v_lshlrev_b32_e32 v7, 16, v7
	s_delay_alu instid0(VALU_DEP_1) | instskip(NEXT) | instid1(VALU_DEP_1)
	v_mul_f32_e32 v6, v7, v6
	v_and_b32_e32 v7, 0x7f800000, v6
	s_delay_alu instid0(VALU_DEP_1)
	v_cmp_ne_u32_e32 vcc_lo, 0x7f800000, v7
                                        ; implicit-def: $vgpr7
	s_and_saveexec_b32 s45, vcc_lo
	s_wait_alu 0xfffe
	s_xor_b32 s45, exec_lo, s45
; %bb.25:                               ;   in Loop: Header=BB579_4 Depth=1
	v_bfe_u32 v7, v6, 16, 1
	s_delay_alu instid0(VALU_DEP_1)
	v_add3_u32 v7, v6, v7, 0x7fff
                                        ; implicit-def: $vgpr6
; %bb.26:                               ;   in Loop: Header=BB579_4 Depth=1
	s_wait_alu 0xfffe
	s_and_not1_saveexec_b32 s45, s45
; %bb.27:                               ;   in Loop: Header=BB579_4 Depth=1
	v_and_b32_e32 v7, 0xffff, v6
	v_or_b32_e32 v8, 0x10000, v6
	s_delay_alu instid0(VALU_DEP_2) | instskip(SKIP_1) | instid1(VALU_DEP_2)
	v_cmp_eq_u32_e32 vcc_lo, 0, v7
	s_wait_alu 0xfffd
	v_cndmask_b32_e32 v7, v8, v6, vcc_lo
; %bb.28:                               ;   in Loop: Header=BB579_4 Depth=1
	s_wait_alu 0xfffe
	s_or_b32 exec_lo, exec_lo, s45
	s_delay_alu instid0(VALU_DEP_1) | instskip(NEXT) | instid1(VALU_DEP_1)
	v_and_b32_e32 v6, 0xffff0000, v7
	v_add_f32_e32 v14, v14, v6
.LBB579_29:                             ;   in Loop: Header=BB579_4 Depth=1
	s_wait_alu 0xfffe
	s_or_b32 exec_lo, exec_lo, s44
	ds_store_b32 v13, v14
	s_wait_dscnt 0x0
	s_barrier_signal -1
	s_barrier_wait -1
	global_inv scope:SCOPE_SE
	s_and_saveexec_b32 s44, s2
	s_cbranch_execz .LBB579_31
; %bb.30:                               ;   in Loop: Header=BB579_4 Depth=1
	ds_load_2addr_stride64_b32 v[6:7], v13 offset1:2
	s_wait_dscnt 0x0
	v_add_f32_e32 v6, v7, v6
	ds_store_b32 v13, v6
.LBB579_31:                             ;   in Loop: Header=BB579_4 Depth=1
	s_wait_alu 0xfffe
	s_or_b32 exec_lo, exec_lo, s44
	s_wait_loadcnt_dscnt 0x0
	s_barrier_signal -1
	s_barrier_wait -1
	global_inv scope:SCOPE_SE
	s_and_saveexec_b32 s44, s3
	s_cbranch_execz .LBB579_33
; %bb.32:                               ;   in Loop: Header=BB579_4 Depth=1
	ds_load_2addr_stride64_b32 v[6:7], v13 offset1:1
	s_wait_dscnt 0x0
	v_add_f32_e32 v6, v7, v6
	ds_store_b32 v13, v6
.LBB579_33:                             ;   in Loop: Header=BB579_4 Depth=1
	s_wait_alu 0xfffe
	s_or_b32 exec_lo, exec_lo, s44
	s_wait_loadcnt_dscnt 0x0
	s_barrier_signal -1
	s_barrier_wait -1
	global_inv scope:SCOPE_SE
	s_and_saveexec_b32 s44, s4
	s_cbranch_execz .LBB579_35
; %bb.34:                               ;   in Loop: Header=BB579_4 Depth=1
	ds_load_2addr_b32 v[6:7], v13 offset1:32
	s_wait_dscnt 0x0
	v_add_f32_e32 v6, v7, v6
	ds_store_b32 v13, v6
.LBB579_35:                             ;   in Loop: Header=BB579_4 Depth=1
	s_wait_alu 0xfffe
	s_or_b32 exec_lo, exec_lo, s44
	s_wait_loadcnt_dscnt 0x0
	s_barrier_signal -1
	s_barrier_wait -1
	global_inv scope:SCOPE_SE
	s_and_saveexec_b32 s44, s5
	s_cbranch_execz .LBB579_37
; %bb.36:                               ;   in Loop: Header=BB579_4 Depth=1
	ds_load_2addr_b32 v[6:7], v13 offset1:16
	s_wait_dscnt 0x0
	v_add_f32_e32 v6, v7, v6
	ds_store_b32 v13, v6
.LBB579_37:                             ;   in Loop: Header=BB579_4 Depth=1
	;; [unrolled: 14-line block ×5, first 2 shown]
	s_wait_alu 0xfffe
	s_or_b32 exec_lo, exec_lo, s44
	s_wait_loadcnt_dscnt 0x0
	s_barrier_signal -1
	s_barrier_wait -1
	global_inv scope:SCOPE_SE
	s_and_saveexec_b32 s44, s0
	s_cbranch_execz .LBB579_45
; %bb.44:                               ;   in Loop: Header=BB579_4 Depth=1
	ds_load_b64 v[6:7], v10
	s_wait_dscnt 0x0
	v_add_f32_e32 v6, v7, v6
	ds_store_b32 v10, v6
.LBB579_45:                             ;   in Loop: Header=BB579_4 Depth=1
	s_wait_alu 0xfffe
	s_or_b32 exec_lo, exec_lo, s44
	s_wait_loadcnt_dscnt 0x0
	s_barrier_signal -1
	s_barrier_wait -1
	global_inv scope:SCOPE_SE
                                        ; implicit-def: $sgpr45
	s_and_saveexec_b32 s44, s0
	s_cbranch_execz .LBB579_62
; %bb.46:                               ;   in Loop: Header=BB579_4 Depth=1
	ds_load_b32 v6, v10
	s_and_b32 vcc_lo, exec_lo, s42
	s_mov_b32 s47, -1
                                        ; implicit-def: $sgpr46
	s_wait_dscnt 0x0
	v_readfirstlane_b32 s45, v6
	s_mul_f32 s45, s23, s45
	s_wait_alu 0xfffe
	s_cbranch_vccz .LBB579_52
; %bb.47:                               ;   in Loop: Header=BB579_4 Depth=1
	s_delay_alu instid0(SALU_CYCLE_1)
	s_and_b32 s46, s45, 0x7f800000
	s_wait_alu 0xfffe
	s_cmp_eq_u32 s46, 0x7f800000
                                        ; implicit-def: $sgpr46
	s_cbranch_scc1 .LBB579_49
; %bb.48:                               ;   in Loop: Header=BB579_4 Depth=1
	s_bfe_u32 s46, s45, 0x10010
	s_mov_b32 s47, 0
	s_wait_alu 0xfffe
	s_add_co_i32 s46, s45, s46
	s_wait_alu 0xfffe
	s_addk_co_i32 s46, 0x7fff
.LBB579_49:                             ;   in Loop: Header=BB579_4 Depth=1
	s_and_not1_b32 vcc_lo, exec_lo, s47
	s_wait_alu 0xfffe
	s_cbranch_vccnz .LBB579_51
; %bb.50:                               ;   in Loop: Header=BB579_4 Depth=1
	s_and_b32 s46, s45, 0xffff
	s_or_b32 s47, s45, 0x10000
	s_wait_alu 0xfffe
	s_cmp_eq_u32 s46, 0
	s_cselect_b32 s46, s45, s47
.LBB579_51:                             ;   in Loop: Header=BB579_4 Depth=1
	s_mov_b32 s47, 0
.LBB579_52:                             ;   in Loop: Header=BB579_4 Depth=1
	s_wait_alu 0xfffe
	s_and_not1_b32 vcc_lo, exec_lo, s47
	s_wait_alu 0xfffe
	s_cbranch_vccnz .LBB579_61
; %bb.53:                               ;   in Loop: Header=BB579_4 Depth=1
	s_add_nc_u64 s[46:47], s[38:39], s[34:35]
	s_mov_b32 s48, -1
	global_load_u16 v6, v10, s[46:47]
	s_wait_loadcnt 0x0
	v_readfirstlane_b32 s46, v6
	s_wait_alu 0xfffe
	s_lshl_b32 s46, s46, 16
	s_wait_alu 0xfffe
	s_mul_f32 s46, s22, s46
	s_wait_alu 0xfffe
	s_delay_alu instid0(SALU_CYCLE_2)
	s_and_b32 s47, s46, 0x7f800000
	s_wait_alu 0xfffe
	s_cmp_eq_u32 s47, 0x7f800000
                                        ; implicit-def: $sgpr47
	s_cbranch_scc1 .LBB579_55
; %bb.54:                               ;   in Loop: Header=BB579_4 Depth=1
	s_bfe_u32 s47, s46, 0x10010
	s_mov_b32 s48, 0
	s_wait_alu 0xfffe
	s_add_co_i32 s47, s46, s47
	s_wait_alu 0xfffe
	s_addk_co_i32 s47, 0x7fff
.LBB579_55:                             ;   in Loop: Header=BB579_4 Depth=1
	s_and_not1_b32 vcc_lo, exec_lo, s48
	s_wait_alu 0xfffe
	s_cbranch_vccnz .LBB579_57
; %bb.56:                               ;   in Loop: Header=BB579_4 Depth=1
	s_and_b32 s47, s46, 0xffff
	s_or_b32 s48, s46, 0x10000
	s_wait_alu 0xfffe
	s_cmp_eq_u32 s47, 0
	s_cselect_b32 s47, s46, s48
.LBB579_57:                             ;   in Loop: Header=BB579_4 Depth=1
	s_wait_alu 0xfffe
	s_and_b32 s46, s47, 0xffff0000
	s_mov_b32 s47, -1
	s_wait_alu 0xfffe
	s_add_f32 s45, s45, s46
	s_wait_alu 0xfffe
	s_delay_alu instid0(SALU_CYCLE_2)
	s_and_b32 s46, s45, 0x7f800000
	s_wait_alu 0xfffe
	s_cmp_eq_u32 s46, 0x7f800000
                                        ; implicit-def: $sgpr46
	s_cbranch_scc1 .LBB579_59
; %bb.58:                               ;   in Loop: Header=BB579_4 Depth=1
	s_bfe_u32 s46, s45, 0x10010
	s_mov_b32 s47, 0
	s_wait_alu 0xfffe
	s_add_co_i32 s46, s45, s46
	s_wait_alu 0xfffe
	s_addk_co_i32 s46, 0x7fff
.LBB579_59:                             ;   in Loop: Header=BB579_4 Depth=1
	s_and_not1_b32 vcc_lo, exec_lo, s47
	s_wait_alu 0xfffe
	s_cbranch_vccnz .LBB579_61
; %bb.60:                               ;   in Loop: Header=BB579_4 Depth=1
	s_and_b32 s46, s45, 0xffff
	s_or_b32 s47, s45, 0x10000
	s_wait_alu 0xfffe
	s_cmp_eq_u32 s46, 0
	s_cselect_b32 s46, s45, s47
.LBB579_61:                             ;   in Loop: Header=BB579_4 Depth=1
	s_wait_alu 0xfffe
	s_lshr_b32 s45, s46, 16
	s_or_b32 s27, s27, exec_lo
.LBB579_62:                             ;   in Loop: Header=BB579_4 Depth=1
	s_wait_alu 0xfffe
	s_or_b32 exec_lo, exec_lo, s44
.LBB579_63:                             ;   in Loop: Header=BB579_4 Depth=1
	s_wait_alu 0xfffe
	s_and_saveexec_b32 s44, s27
	s_cbranch_execz .LBB579_2
; %bb.64:                               ;   in Loop: Header=BB579_4 Depth=1
	v_mov_b32_e32 v6, s45
	s_add_nc_u64 s[38:39], s[38:39], s[34:35]
	global_store_b16 v10, v6, s[38:39]
	s_branch .LBB579_2
.LBB579_65:
	s_endpgm
	.section	.rodata,"a",@progbits
	.p2align	6, 0x0
	.amdhsa_kernel _ZL20rocblas_gemvt_kernelILb1ELi256E16rocblas_bfloat16fS0_EviiT2_lPKT1_lilS4_lilS1_lPT3_lili
		.amdhsa_group_segment_fixed_size 1024
		.amdhsa_private_segment_fixed_size 0
		.amdhsa_kernarg_size 140
		.amdhsa_user_sgpr_count 2
		.amdhsa_user_sgpr_dispatch_ptr 0
		.amdhsa_user_sgpr_queue_ptr 0
		.amdhsa_user_sgpr_kernarg_segment_ptr 1
		.amdhsa_user_sgpr_dispatch_id 0
		.amdhsa_user_sgpr_private_segment_size 0
		.amdhsa_wavefront_size32 1
		.amdhsa_uses_dynamic_stack 0
		.amdhsa_enable_private_segment 0
		.amdhsa_system_sgpr_workgroup_id_x 1
		.amdhsa_system_sgpr_workgroup_id_y 0
		.amdhsa_system_sgpr_workgroup_id_z 1
		.amdhsa_system_sgpr_workgroup_info 0
		.amdhsa_system_vgpr_workitem_id 0
		.amdhsa_next_free_vgpr 18
		.amdhsa_next_free_sgpr 50
		.amdhsa_reserve_vcc 1
		.amdhsa_float_round_mode_32 0
		.amdhsa_float_round_mode_16_64 0
		.amdhsa_float_denorm_mode_32 3
		.amdhsa_float_denorm_mode_16_64 3
		.amdhsa_fp16_overflow 0
		.amdhsa_workgroup_processor_mode 1
		.amdhsa_memory_ordered 1
		.amdhsa_forward_progress 1
		.amdhsa_inst_pref_size 20
		.amdhsa_round_robin_scheduling 0
		.amdhsa_exception_fp_ieee_invalid_op 0
		.amdhsa_exception_fp_denorm_src 0
		.amdhsa_exception_fp_ieee_div_zero 0
		.amdhsa_exception_fp_ieee_overflow 0
		.amdhsa_exception_fp_ieee_underflow 0
		.amdhsa_exception_fp_ieee_inexact 0
		.amdhsa_exception_int_div_zero 0
	.end_amdhsa_kernel
	.section	.text._ZL20rocblas_gemvt_kernelILb1ELi256E16rocblas_bfloat16fS0_EviiT2_lPKT1_lilS4_lilS1_lPT3_lili,"axG",@progbits,_ZL20rocblas_gemvt_kernelILb1ELi256E16rocblas_bfloat16fS0_EviiT2_lPKT1_lilS4_lilS1_lPT3_lili,comdat
.Lfunc_end579:
	.size	_ZL20rocblas_gemvt_kernelILb1ELi256E16rocblas_bfloat16fS0_EviiT2_lPKT1_lilS4_lilS1_lPT3_lili, .Lfunc_end579-_ZL20rocblas_gemvt_kernelILb1ELi256E16rocblas_bfloat16fS0_EviiT2_lPKT1_lilS4_lilS1_lPT3_lili
                                        ; -- End function
	.set _ZL20rocblas_gemvt_kernelILb1ELi256E16rocblas_bfloat16fS0_EviiT2_lPKT1_lilS4_lilS1_lPT3_lili.num_vgpr, 18
	.set _ZL20rocblas_gemvt_kernelILb1ELi256E16rocblas_bfloat16fS0_EviiT2_lPKT1_lilS4_lilS1_lPT3_lili.num_agpr, 0
	.set _ZL20rocblas_gemvt_kernelILb1ELi256E16rocblas_bfloat16fS0_EviiT2_lPKT1_lilS4_lilS1_lPT3_lili.numbered_sgpr, 50
	.set _ZL20rocblas_gemvt_kernelILb1ELi256E16rocblas_bfloat16fS0_EviiT2_lPKT1_lilS4_lilS1_lPT3_lili.num_named_barrier, 0
	.set _ZL20rocblas_gemvt_kernelILb1ELi256E16rocblas_bfloat16fS0_EviiT2_lPKT1_lilS4_lilS1_lPT3_lili.private_seg_size, 0
	.set _ZL20rocblas_gemvt_kernelILb1ELi256E16rocblas_bfloat16fS0_EviiT2_lPKT1_lilS4_lilS1_lPT3_lili.uses_vcc, 1
	.set _ZL20rocblas_gemvt_kernelILb1ELi256E16rocblas_bfloat16fS0_EviiT2_lPKT1_lilS4_lilS1_lPT3_lili.uses_flat_scratch, 0
	.set _ZL20rocblas_gemvt_kernelILb1ELi256E16rocblas_bfloat16fS0_EviiT2_lPKT1_lilS4_lilS1_lPT3_lili.has_dyn_sized_stack, 0
	.set _ZL20rocblas_gemvt_kernelILb1ELi256E16rocblas_bfloat16fS0_EviiT2_lPKT1_lilS4_lilS1_lPT3_lili.has_recursion, 0
	.set _ZL20rocblas_gemvt_kernelILb1ELi256E16rocblas_bfloat16fS0_EviiT2_lPKT1_lilS4_lilS1_lPT3_lili.has_indirect_call, 0
	.section	.AMDGPU.csdata,"",@progbits
; Kernel info:
; codeLenInByte = 2460
; TotalNumSgprs: 52
; NumVgprs: 18
; ScratchSize: 0
; MemoryBound: 0
; FloatMode: 240
; IeeeMode: 1
; LDSByteSize: 1024 bytes/workgroup (compile time only)
; SGPRBlocks: 0
; VGPRBlocks: 2
; NumSGPRsForWavesPerEU: 52
; NumVGPRsForWavesPerEU: 18
; Occupancy: 16
; WaveLimiterHint : 0
; COMPUTE_PGM_RSRC2:SCRATCH_EN: 0
; COMPUTE_PGM_RSRC2:USER_SGPR: 2
; COMPUTE_PGM_RSRC2:TRAP_HANDLER: 0
; COMPUTE_PGM_RSRC2:TGID_X_EN: 1
; COMPUTE_PGM_RSRC2:TGID_Y_EN: 0
; COMPUTE_PGM_RSRC2:TGID_Z_EN: 1
; COMPUTE_PGM_RSRC2:TIDIG_COMP_CNT: 0
	.section	.text._ZL32rocblas_gemvt_warp_reduce_kernelILb1ELi1024Ei16rocblas_bfloat16PKfS0_EviiT3_lPKT2_lT1_lS6_lS7_lS3_lPT4_lS7_li,"axG",@progbits,_ZL32rocblas_gemvt_warp_reduce_kernelILb1ELi1024Ei16rocblas_bfloat16PKfS0_EviiT3_lPKT2_lT1_lS6_lS7_lS3_lPT4_lS7_li,comdat
	.globl	_ZL32rocblas_gemvt_warp_reduce_kernelILb1ELi1024Ei16rocblas_bfloat16PKfS0_EviiT3_lPKT2_lT1_lS6_lS7_lS3_lPT4_lS7_li ; -- Begin function _ZL32rocblas_gemvt_warp_reduce_kernelILb1ELi1024Ei16rocblas_bfloat16PKfS0_EviiT3_lPKT2_lT1_lS6_lS7_lS3_lPT4_lS7_li
	.p2align	8
	.type	_ZL32rocblas_gemvt_warp_reduce_kernelILb1ELi1024Ei16rocblas_bfloat16PKfS0_EviiT3_lPKT2_lT1_lS6_lS7_lS3_lPT4_lS7_li,@function
_ZL32rocblas_gemvt_warp_reduce_kernelILb1ELi1024Ei16rocblas_bfloat16PKfS0_EviiT3_lPKT2_lT1_lS6_lS7_lS3_lPT4_lS7_li: ; @_ZL32rocblas_gemvt_warp_reduce_kernelILb1ELi1024Ei16rocblas_bfloat16PKfS0_EviiT3_lPKT2_lT1_lS6_lS7_lS3_lPT4_lS7_li
; %bb.0:
	s_load_b32 s33, s[0:1], 0x88
	s_lshr_b32 s28, ttmp7, 16
	s_wait_kmcnt 0x0
	s_cmp_ge_u32 s28, s33
	s_cbranch_scc1 .LBB580_59
; %bb.1:
	s_clause 0x7
	s_load_b96 s[4:6], s[0:1], 0x40
	s_load_b96 s[36:38], s[0:1], 0x70
	s_load_b256 s[8:15], s[0:1], 0x8
	s_load_b32 s7, s[0:1], 0x0
	s_load_b32 s39, s[0:1], 0x28
	s_load_b128 s[24:27], s[0:1], 0x30
	s_load_b256 s[16:23], s[0:1], 0x50
	s_load_b64 s[30:31], s[0:1], 0x80
	v_mov_b32_e32 v9, 0
	v_mbcnt_lo_u32_b32 v15, -1, 0
	v_cmp_eq_u32_e64 s0, 0, v0
	s_mov_b32 s29, 0
	v_lshl_or_b32 v16, v15, 2, 64
	s_wait_kmcnt 0x0
	s_lshl_b64 s[2:3], s[4:5], 1
	s_lshl_b64 s[4:5], s[36:37], 1
	;; [unrolled: 1-line block ×3, first 2 shown]
	v_cmp_gt_i32_e32 vcc_lo, s7, v0
	s_ashr_i32 s1, s7, 31
	s_add_nc_u64 s[14:15], s[26:27], s[2:3]
	s_lshr_b32 s1, s1, 22
	s_add_nc_u64 s[2:3], s[12:13], s[34:35]
	s_add_co_i32 s1, s7, s1
	v_cndmask_b32_e32 v1, 0, v0, vcc_lo
	s_and_b32 s26, s1, 0xfffffc00
	s_mul_i32 s36, s38, ttmp9
	v_or_b32_e32 v2, s26, v0
	s_mul_i32 s38, s39, ttmp9
	v_lshlrev_b32_e32 v1, 1, v1
	s_ashr_i32 s39, s38, 31
	v_mul_lo_u32 v14, v0, s6
	v_mul_lo_u32 v3, s6, v2
	s_lshl_b64 s[38:39], s[38:39], 1
	v_add_co_u32 v4, s1, s2, v1
	s_delay_alu instid0(VALU_DEP_1)
	v_add_co_ci_u32_e64 v5, null, s3, 0, s1
	s_add_nc_u64 s[34:35], s[34:35], s[38:39]
	v_add_co_u32 v10, vcc_lo, v4, s38
	v_ashrrev_i32_e32 v4, 31, v3
	s_wait_alu 0xfffd
	v_add_co_ci_u32_e64 v11, null, s39, v5, vcc_lo
	v_cmp_gt_i32_e64 s2, s7, v2
	v_and_b32_e32 v2, 31, v0
	v_lshrrev_b32_e32 v5, 3, v0
	s_lshl_b32 s40, s6, 10
	s_add_nc_u64 s[6:7], s[12:13], s[34:35]
	s_add_nc_u64 s[22:23], s[22:23], s[4:5]
	s_wait_alu 0xfffe
	v_add_co_u32 v1, s5, s6, v1
	v_lshlrev_b64_e32 v[3:4], 1, v[3:4]
	v_cmp_gt_i32_e64 s1, s26, v0
	v_cmp_gt_u32_e64 s3, 32, v0
	v_lshlrev_b32_e32 v12, 2, v2
	v_cmp_eq_u32_e64 s4, 0, v2
	v_and_b32_e32 v13, 0x7c, v5
	v_add_co_ci_u32_e64 v2, null, s7, 0, s5
	s_ashr_i32 s37, s36, 31
	s_ashr_i32 s27, s26, 31
	s_lshl_b64 s[6:7], s[24:25], 1
	s_lshl_b64 s[12:13], s[36:37], 1
	s_wait_alu 0xfffe
	s_lshl_b64 s[34:35], s[26:27], 1
	s_branch .LBB580_4
.LBB580_2:                              ;   in Loop: Header=BB580_4 Depth=1
	s_wait_alu 0xfffe
	s_or_b32 exec_lo, exec_lo, s5
.LBB580_3:                              ;   in Loop: Header=BB580_4 Depth=1
	s_add_co_i32 s28, s28, 0x10000
	s_wait_alu 0xfffe
	s_cmp_lt_u32 s28, s33
	s_cbranch_scc0 .LBB580_59
.LBB580_4:                              ; =>This Loop Header: Depth=1
                                        ;     Child Loop BB580_26 Depth 2
	s_mul_u64 s[36:37], s[10:11], s[28:29]
	s_mul_u64 s[38:39], s[20:21], s[28:29]
	s_lshl_b64 s[36:37], s[36:37], 2
	s_wait_alu 0xfffe
	s_lshl_b64 s[38:39], s[38:39], 2
	s_add_nc_u64 s[36:37], s[8:9], s[36:37]
	s_wait_alu 0xfffe
	s_add_nc_u64 s[38:39], s[18:19], s[38:39]
	s_clause 0x1
	global_load_b32 v17, v9, s[36:37]
	global_load_b32 v5, v9, s[38:39]
	s_wait_loadcnt 0x1
	v_cmp_eq_f32_e32 vcc_lo, 0, v17
	s_wait_loadcnt 0x0
	v_cmp_eq_f32_e64 s5, 1.0, v5
	v_readfirstlane_b32 s41, v5
	s_and_b32 s5, vcc_lo, s5
	s_wait_alu 0xfffe
	s_and_b32 vcc_lo, exec_lo, s5
	s_wait_alu 0xfffe
	s_cbranch_vccnz .LBB580_3
; %bb.5:                                ;   in Loop: Header=BB580_4 Depth=1
	v_cmp_neq_f32_e32 vcc_lo, 0, v17
	s_mul_u64 s[36:37], s[30:31], s[28:29]
	s_delay_alu instid0(SALU_CYCLE_1) | instskip(NEXT) | instid1(SALU_CYCLE_1)
	s_lshl_b64 s[36:37], s[36:37], 1
	s_add_nc_u64 s[36:37], s[22:23], s[36:37]
	s_cbranch_vccnz .LBB580_13
; %bb.6:                                ;   in Loop: Header=BB580_4 Depth=1
	s_mov_b32 s5, 0
	s_mov_b32 s27, 0
                                        ; implicit-def: $sgpr39
	s_and_saveexec_b32 s38, s0
	s_cbranch_execz .LBB580_14
; %bb.7:                                ;   in Loop: Header=BB580_4 Depth=1
	s_cmp_eq_f32 s41, 0
	s_cbranch_scc1 .LBB580_44
; %bb.8:                                ;   in Loop: Header=BB580_4 Depth=1
	s_add_nc_u64 s[42:43], s[36:37], s[12:13]
	global_load_u16 v5, v9, s[42:43]
	s_mov_b32 s42, -1
	s_wait_loadcnt 0x0
	v_readfirstlane_b32 s27, v5
	s_wait_alu 0xfffe
	s_lshl_b32 s27, s27, 16
	s_wait_alu 0xfffe
	s_mul_f32 s27, s41, s27
	s_wait_alu 0xfffe
	s_delay_alu instid0(SALU_CYCLE_2)
	s_and_b32 s39, s27, 0x7f800000
	s_wait_alu 0xfffe
	s_cmp_eq_u32 s39, 0x7f800000
                                        ; implicit-def: $sgpr39
	s_cbranch_scc1 .LBB580_10
; %bb.9:                                ;   in Loop: Header=BB580_4 Depth=1
	s_bfe_u32 s39, s27, 0x10010
	s_mov_b32 s42, 0
	s_wait_alu 0xfffe
	s_add_co_i32 s39, s27, s39
	s_wait_alu 0xfffe
	s_addk_co_i32 s39, 0x7fff
.LBB580_10:                             ;   in Loop: Header=BB580_4 Depth=1
	s_and_not1_b32 vcc_lo, exec_lo, s42
	s_wait_alu 0xfffe
	s_cbranch_vccnz .LBB580_12
; %bb.11:                               ;   in Loop: Header=BB580_4 Depth=1
	s_and_b32 s39, s27, 0xffff
	s_or_b32 s42, s27, 0x10000
	s_wait_alu 0xfffe
	s_cmp_eq_u32 s39, 0
	s_cselect_b32 s39, s27, s42
.LBB580_12:                             ;   in Loop: Header=BB580_4 Depth=1
	s_wait_alu 0xfffe
	s_lshr_b32 s39, s39, 16
	s_mov_b32 s27, exec_lo
	s_or_b32 exec_lo, exec_lo, s38
	s_delay_alu instid0(SALU_CYCLE_1)
	s_and_b32 vcc_lo, exec_lo, s5
	s_wait_alu 0xfffe
	s_cbranch_vccnz .LBB580_15
	s_branch .LBB580_45
.LBB580_13:                             ;   in Loop: Header=BB580_4 Depth=1
	s_mov_b32 s27, 0
                                        ; implicit-def: $sgpr39
	s_cbranch_execnz .LBB580_15
	s_branch .LBB580_45
.LBB580_14:                             ;   in Loop: Header=BB580_4 Depth=1
	s_wait_alu 0xfffe
	s_or_b32 exec_lo, exec_lo, s38
	s_delay_alu instid0(SALU_CYCLE_1)
	s_and_b32 vcc_lo, exec_lo, s5
	s_wait_alu 0xfffe
	s_cbranch_vccz .LBB580_45
.LBB580_15:                             ;   in Loop: Header=BB580_4 Depth=1
	s_mul_u64 s[38:39], s[16:17], s[28:29]
	s_wait_dscnt 0x0
	v_mov_b32_e32 v18, 0
	s_wait_alu 0xfffe
	s_lshl_b64 s[38:39], s[38:39], 1
	s_wait_alu 0xfffe
	s_add_nc_u64 s[38:39], s[14:15], s[38:39]
	s_and_saveexec_b32 s42, s1
	s_cbranch_execnz .LBB580_24
; %bb.16:                               ;   in Loop: Header=BB580_4 Depth=1
	s_wait_alu 0xfffe
	s_or_b32 exec_lo, exec_lo, s42
	s_and_saveexec_b32 s5, s2
	s_cbranch_execnz .LBB580_39
.LBB580_17:                             ;   in Loop: Header=BB580_4 Depth=1
	s_wait_alu 0xfffe
	s_or_b32 exec_lo, exec_lo, s5
	s_and_saveexec_b32 s5, s3
.LBB580_18:                             ;   in Loop: Header=BB580_4 Depth=1
	ds_store_b32 v12, v9
.LBB580_19:                             ;   in Loop: Header=BB580_4 Depth=1
	s_wait_alu 0xfffe
	s_or_b32 exec_lo, exec_lo, s5
	ds_bpermute_b32 v6, v16, v18
	v_cmp_gt_u32_e32 vcc_lo, 24, v15
	s_wait_dscnt 0x0
	s_barrier_signal -1
	s_barrier_wait -1
	global_inv scope:SCOPE_SE
	s_wait_alu 0xfffd
	v_cndmask_b32_e64 v5, 0, 8, vcc_lo
	v_cmp_gt_u32_e32 vcc_lo, 28, v15
	s_delay_alu instid0(VALU_DEP_2)
	v_add_lshl_u32 v5, v5, v15, 2
	v_add_f32_e32 v7, v18, v6
	s_wait_alu 0xfffd
	v_cndmask_b32_e64 v6, 0, 4, vcc_lo
	v_cmp_gt_u32_e32 vcc_lo, 30, v15
	ds_bpermute_b32 v8, v5, v7
	v_add_lshl_u32 v6, v6, v15, 2
	s_wait_dscnt 0x0
	v_add_f32_e32 v8, v7, v8
	s_wait_alu 0xfffd
	v_cndmask_b32_e64 v7, 0, 2, vcc_lo
	v_cmp_ne_u32_e32 vcc_lo, 31, v15
	ds_bpermute_b32 v18, v6, v8
	v_add_lshl_u32 v7, v7, v15, 2
	s_wait_alu 0xfffd
	v_add_co_ci_u32_e64 v19, null, 0, v15, vcc_lo
	s_wait_dscnt 0x0
	v_add_f32_e32 v8, v8, v18
	ds_bpermute_b32 v18, v7, v8
	s_wait_dscnt 0x0
	v_add_f32_e32 v18, v8, v18
	v_lshlrev_b32_e32 v8, 2, v19
	ds_bpermute_b32 v19, v8, v18
	s_and_saveexec_b32 s5, s4
	s_cbranch_execz .LBB580_21
; %bb.20:                               ;   in Loop: Header=BB580_4 Depth=1
	s_wait_dscnt 0x0
	v_add_f32_e32 v18, v18, v19
	ds_store_b32 v13, v18
.LBB580_21:                             ;   in Loop: Header=BB580_4 Depth=1
	s_wait_alu 0xfffe
	s_or_b32 exec_lo, exec_lo, s5
	v_mov_b32_e32 v18, 0
	s_wait_loadcnt_dscnt 0x0
	s_barrier_signal -1
	s_barrier_wait -1
	global_inv scope:SCOPE_SE
	s_and_saveexec_b32 s5, s3
	s_cbranch_execnz .LBB580_30
; %bb.22:                               ;   in Loop: Header=BB580_4 Depth=1
	s_wait_alu 0xfffe
	s_or_b32 exec_lo, exec_lo, s5
	s_and_saveexec_b32 s5, s3
	s_cbranch_execnz .LBB580_31
.LBB580_23:                             ;   in Loop: Header=BB580_4 Depth=1
	s_wait_alu 0xfffe
	s_or_b32 exec_lo, exec_lo, s5
                                        ; implicit-def: $vgpr5
	s_and_saveexec_b32 s5, s0
	s_cbranch_execnz .LBB580_32
	s_branch .LBB580_57
.LBB580_24:                             ;   in Loop: Header=BB580_4 Depth=1
	v_mad_co_u64_u32 v[5:6], null, s6, s28, v[1:2]
	v_dual_mov_b32 v18, 0 :: v_dual_mov_b32 v19, v0
	s_mov_b32 s43, 0
	s_delay_alu instid0(VALU_DEP_2)
	v_mad_co_u64_u32 v[6:7], null, s7, s28, v[6:7]
	v_mov_b32_e32 v7, v14
	s_branch .LBB580_26
.LBB580_25:                             ;   in Loop: Header=BB580_26 Depth=2
	s_wait_alu 0xfffe
	s_or_b32 exec_lo, exec_lo, s5
	s_delay_alu instid0(VALU_DEP_1) | instskip(SKIP_2) | instid1(VALU_DEP_3)
	v_and_b32_e32 v8, 0xffff0000, v20
	v_add_nc_u32_e32 v19, 0x400, v19
	v_add_co_u32 v5, s5, 0x800, v5
	v_dual_add_f32 v18, v18, v8 :: v_dual_add_nc_u32 v7, s40, v7
	s_delay_alu instid0(VALU_DEP_3)
	v_cmp_le_i32_e32 vcc_lo, s26, v19
	s_wait_alu 0xf1ff
	v_add_co_ci_u32_e64 v6, null, 0, v6, s5
	s_or_b32 s43, vcc_lo, s43
	s_wait_alu 0xfffe
	s_and_not1_b32 exec_lo, exec_lo, s43
	s_cbranch_execz .LBB580_38
.LBB580_26:                             ;   Parent Loop BB580_4 Depth=1
                                        ; =>  This Inner Loop Header: Depth=2
	s_delay_alu instid0(VALU_DEP_1) | instskip(NEXT) | instid1(VALU_DEP_1)
	v_ashrrev_i32_e32 v8, 31, v7
	v_lshlrev_b64_e32 v[20:21], 1, v[7:8]
	s_wait_alu 0xfffe
	s_delay_alu instid0(VALU_DEP_1) | instskip(SKIP_1) | instid1(VALU_DEP_2)
	v_add_co_u32 v20, vcc_lo, s38, v20
	s_wait_alu 0xfffd
	v_add_co_ci_u32_e64 v21, null, s39, v21, vcc_lo
	global_load_u16 v8, v[5:6], off
	global_load_u16 v20, v[20:21], off
	s_wait_loadcnt 0x1
	v_lshlrev_b32_e32 v8, 16, v8
	s_wait_loadcnt 0x0
	v_lshlrev_b32_e32 v20, 16, v20
	s_delay_alu instid0(VALU_DEP_1) | instskip(NEXT) | instid1(VALU_DEP_1)
	v_mul_f32_e32 v8, v8, v20
	v_and_b32_e32 v20, 0x7f800000, v8
	s_delay_alu instid0(VALU_DEP_1)
	v_cmp_ne_u32_e32 vcc_lo, 0x7f800000, v20
                                        ; implicit-def: $vgpr20
	s_and_saveexec_b32 s5, vcc_lo
	s_wait_alu 0xfffe
	s_xor_b32 s5, exec_lo, s5
; %bb.27:                               ;   in Loop: Header=BB580_26 Depth=2
	v_bfe_u32 v20, v8, 16, 1
	s_delay_alu instid0(VALU_DEP_1)
	v_add3_u32 v20, v8, v20, 0x7fff
                                        ; implicit-def: $vgpr8
; %bb.28:                               ;   in Loop: Header=BB580_26 Depth=2
	s_wait_alu 0xfffe
	s_and_not1_saveexec_b32 s5, s5
	s_cbranch_execz .LBB580_25
; %bb.29:                               ;   in Loop: Header=BB580_26 Depth=2
	v_and_b32_e32 v20, 0xffff, v8
	v_or_b32_e32 v21, 0x10000, v8
	s_delay_alu instid0(VALU_DEP_2) | instskip(SKIP_1) | instid1(VALU_DEP_2)
	v_cmp_eq_u32_e32 vcc_lo, 0, v20
	s_wait_alu 0xfffd
	v_cndmask_b32_e32 v20, v21, v8, vcc_lo
	s_branch .LBB580_25
.LBB580_30:                             ;   in Loop: Header=BB580_4 Depth=1
	ds_load_b32 v18, v12
	s_wait_alu 0xfffe
	s_or_b32 exec_lo, exec_lo, s5
	s_and_saveexec_b32 s5, s3
	s_cbranch_execz .LBB580_23
.LBB580_31:                             ;   in Loop: Header=BB580_4 Depth=1
	s_wait_dscnt 0x0
	ds_bpermute_b32 v19, v16, v18
	s_wait_dscnt 0x0
	v_add_f32_e32 v18, v18, v19
	ds_bpermute_b32 v5, v5, v18
	s_wait_dscnt 0x0
	v_add_f32_e32 v5, v18, v5
	;; [unrolled: 3-line block ×5, first 2 shown]
	s_wait_alu 0xfffe
	s_or_b32 exec_lo, exec_lo, s5
                                        ; implicit-def: $vgpr5
	s_and_saveexec_b32 s5, s0
	s_cbranch_execz .LBB580_57
.LBB580_32:                             ;   in Loop: Header=BB580_4 Depth=1
	s_wait_dscnt 0x0
	v_mul_f32_e32 v5, v17, v18
	s_cmp_eq_f32 s41, 0
	s_cbranch_scc0 .LBB580_46
; %bb.33:                               ;   in Loop: Header=BB580_4 Depth=1
	s_delay_alu instid0(VALU_DEP_1) | instskip(NEXT) | instid1(VALU_DEP_1)
	v_and_b32_e32 v6, 0x7f800000, v5
	v_cmp_ne_u32_e32 vcc_lo, 0x7f800000, v6
                                        ; implicit-def: $vgpr6
	s_and_saveexec_b32 s38, vcc_lo
	s_wait_alu 0xfffe
	s_xor_b32 s38, exec_lo, s38
; %bb.34:                               ;   in Loop: Header=BB580_4 Depth=1
	v_bfe_u32 v6, v5, 16, 1
	s_delay_alu instid0(VALU_DEP_1)
	v_add3_u32 v6, v5, v6, 0x7fff
; %bb.35:                               ;   in Loop: Header=BB580_4 Depth=1
	s_wait_alu 0xfffe
	s_and_not1_saveexec_b32 s38, s38
; %bb.36:                               ;   in Loop: Header=BB580_4 Depth=1
	v_and_b32_e32 v6, 0xffff, v5
	v_or_b32_e32 v7, 0x10000, v5
	s_delay_alu instid0(VALU_DEP_2) | instskip(SKIP_1) | instid1(VALU_DEP_2)
	v_cmp_eq_u32_e32 vcc_lo, 0, v6
	s_wait_alu 0xfffd
	v_cndmask_b32_e32 v6, v7, v5, vcc_lo
; %bb.37:                               ;   in Loop: Header=BB580_4 Depth=1
	s_wait_alu 0xfffe
	s_or_b32 exec_lo, exec_lo, s38
	s_cbranch_execz .LBB580_47
	s_branch .LBB580_56
.LBB580_38:                             ;   in Loop: Header=BB580_4 Depth=1
	s_or_b32 exec_lo, exec_lo, s43
	s_delay_alu instid0(SALU_CYCLE_1)
	s_or_b32 exec_lo, exec_lo, s42
	s_and_saveexec_b32 s5, s2
	s_cbranch_execz .LBB580_17
.LBB580_39:                             ;   in Loop: Header=BB580_4 Depth=1
	s_mul_u64 s[42:43], s[24:25], s[28:29]
	s_wait_alu 0xfffe
	s_lshl_b64 s[42:43], s[42:43], 1
	s_wait_alu 0xfffe
	v_add_co_u32 v5, vcc_lo, v10, s42
	s_wait_alu 0xfffd
	v_add_co_ci_u32_e64 v6, null, s43, v11, vcc_lo
	s_delay_alu instid0(VALU_DEP_2) | instskip(SKIP_1) | instid1(VALU_DEP_2)
	v_add_co_u32 v5, vcc_lo, v5, s34
	s_wait_alu 0xfffd
	v_add_co_ci_u32_e64 v6, null, s35, v6, vcc_lo
	v_add_co_u32 v7, vcc_lo, s38, v3
	s_wait_alu 0xfffd
	v_add_co_ci_u32_e64 v8, null, s39, v4, vcc_lo
	global_load_u16 v5, v[5:6], off
	global_load_u16 v6, v[7:8], off
	s_wait_loadcnt 0x1
	v_lshlrev_b32_e32 v5, 16, v5
	s_wait_loadcnt 0x0
	v_lshlrev_b32_e32 v6, 16, v6
	s_delay_alu instid0(VALU_DEP_1) | instskip(NEXT) | instid1(VALU_DEP_1)
	v_mul_f32_e32 v5, v5, v6
	v_and_b32_e32 v6, 0x7f800000, v5
	s_delay_alu instid0(VALU_DEP_1)
	v_cmp_ne_u32_e32 vcc_lo, 0x7f800000, v6
                                        ; implicit-def: $vgpr6
	s_and_saveexec_b32 s38, vcc_lo
	s_wait_alu 0xfffe
	s_xor_b32 s38, exec_lo, s38
; %bb.40:                               ;   in Loop: Header=BB580_4 Depth=1
	v_bfe_u32 v6, v5, 16, 1
	s_delay_alu instid0(VALU_DEP_1)
	v_add3_u32 v6, v5, v6, 0x7fff
                                        ; implicit-def: $vgpr5
; %bb.41:                               ;   in Loop: Header=BB580_4 Depth=1
	s_wait_alu 0xfffe
	s_and_not1_saveexec_b32 s38, s38
; %bb.42:                               ;   in Loop: Header=BB580_4 Depth=1
	v_and_b32_e32 v6, 0xffff, v5
	v_or_b32_e32 v7, 0x10000, v5
	s_delay_alu instid0(VALU_DEP_2) | instskip(SKIP_1) | instid1(VALU_DEP_2)
	v_cmp_eq_u32_e32 vcc_lo, 0, v6
	s_wait_alu 0xfffd
	v_cndmask_b32_e32 v6, v7, v5, vcc_lo
; %bb.43:                               ;   in Loop: Header=BB580_4 Depth=1
	s_wait_alu 0xfffe
	s_or_b32 exec_lo, exec_lo, s38
	s_delay_alu instid0(VALU_DEP_1) | instskip(NEXT) | instid1(VALU_DEP_1)
	v_and_b32_e32 v5, 0xffff0000, v6
	v_add_f32_e32 v18, v18, v5
	s_or_b32 exec_lo, exec_lo, s5
	s_and_saveexec_b32 s5, s3
	s_cbranch_execnz .LBB580_18
	s_branch .LBB580_19
.LBB580_44:                             ;   in Loop: Header=BB580_4 Depth=1
	s_mov_b32 s39, 0
	s_mov_b32 s27, exec_lo
	s_wait_alu 0xfffe
	s_or_b32 exec_lo, exec_lo, s38
	s_delay_alu instid0(SALU_CYCLE_1)
	s_and_b32 vcc_lo, exec_lo, s5
	s_wait_alu 0xfffe
	s_cbranch_vccnz .LBB580_15
.LBB580_45:                             ;   in Loop: Header=BB580_4 Depth=1
	v_mov_b32_e32 v5, s39
	s_wait_alu 0xfffe
	s_and_saveexec_b32 s5, s27
	s_cbranch_execz .LBB580_2
	s_branch .LBB580_58
.LBB580_46:                             ;   in Loop: Header=BB580_4 Depth=1
                                        ; implicit-def: $vgpr6
.LBB580_47:                             ;   in Loop: Header=BB580_4 Depth=1
	s_add_nc_u64 s[38:39], s[36:37], s[12:13]
	global_load_u16 v6, v9, s[38:39]
	s_wait_loadcnt 0x0
	v_readfirstlane_b32 s38, v6
	s_wait_alu 0xfffe
	s_lshl_b32 s38, s38, 16
	s_wait_alu 0xfffe
	s_mul_f32 s38, s41, s38
	s_mov_b32 s41, -1
	s_wait_alu 0xfffe
	s_delay_alu instid0(SALU_CYCLE_1)
	s_and_b32 s39, s38, 0x7f800000
	s_wait_alu 0xfffe
	s_cmp_eq_u32 s39, 0x7f800000
                                        ; implicit-def: $sgpr39
	s_cbranch_scc1 .LBB580_49
; %bb.48:                               ;   in Loop: Header=BB580_4 Depth=1
	s_bfe_u32 s39, s38, 0x10010
	s_mov_b32 s41, 0
	s_wait_alu 0xfffe
	s_add_co_i32 s39, s38, s39
	s_wait_alu 0xfffe
	s_addk_co_i32 s39, 0x7fff
.LBB580_49:                             ;   in Loop: Header=BB580_4 Depth=1
	s_and_not1_b32 vcc_lo, exec_lo, s41
	s_wait_alu 0xfffe
	s_cbranch_vccnz .LBB580_51
; %bb.50:                               ;   in Loop: Header=BB580_4 Depth=1
	s_and_b32 s39, s38, 0xffff
	s_or_b32 s41, s38, 0x10000
	s_wait_alu 0xfffe
	s_cmp_eq_u32 s39, 0
	s_cselect_b32 s39, s38, s41
.LBB580_51:                             ;   in Loop: Header=BB580_4 Depth=1
	s_wait_alu 0xfffe
	s_and_b32 s38, s39, 0xffff0000
	s_wait_alu 0xfffe
	v_add_f32_e32 v5, s38, v5
	s_delay_alu instid0(VALU_DEP_1) | instskip(NEXT) | instid1(VALU_DEP_1)
	v_and_b32_e32 v6, 0x7f800000, v5
	v_cmp_ne_u32_e32 vcc_lo, 0x7f800000, v6
                                        ; implicit-def: $vgpr6
	s_and_saveexec_b32 s38, vcc_lo
	s_wait_alu 0xfffe
	s_xor_b32 s38, exec_lo, s38
; %bb.52:                               ;   in Loop: Header=BB580_4 Depth=1
	v_bfe_u32 v6, v5, 16, 1
	s_delay_alu instid0(VALU_DEP_1)
	v_add3_u32 v6, v5, v6, 0x7fff
                                        ; implicit-def: $vgpr5
; %bb.53:                               ;   in Loop: Header=BB580_4 Depth=1
	s_wait_alu 0xfffe
	s_and_not1_saveexec_b32 s38, s38
; %bb.54:                               ;   in Loop: Header=BB580_4 Depth=1
	v_and_b32_e32 v6, 0xffff, v5
	v_or_b32_e32 v7, 0x10000, v5
	s_delay_alu instid0(VALU_DEP_2) | instskip(SKIP_1) | instid1(VALU_DEP_2)
	v_cmp_eq_u32_e32 vcc_lo, 0, v6
	s_wait_alu 0xfffd
	v_cndmask_b32_e32 v6, v7, v5, vcc_lo
; %bb.55:                               ;   in Loop: Header=BB580_4 Depth=1
	s_wait_alu 0xfffe
	s_or_b32 exec_lo, exec_lo, s38
.LBB580_56:                             ;   in Loop: Header=BB580_4 Depth=1
	s_delay_alu instid0(VALU_DEP_1)
	v_lshrrev_b32_e32 v5, 16, v6
	s_or_b32 s27, s27, exec_lo
.LBB580_57:                             ;   in Loop: Header=BB580_4 Depth=1
	s_wait_alu 0xfffe
	s_or_b32 exec_lo, exec_lo, s5
	s_and_saveexec_b32 s5, s27
	s_cbranch_execz .LBB580_2
.LBB580_58:                             ;   in Loop: Header=BB580_4 Depth=1
	s_add_nc_u64 s[36:37], s[36:37], s[12:13]
	global_store_b16 v9, v5, s[36:37]
	s_branch .LBB580_2
.LBB580_59:
	s_endpgm
	.section	.rodata,"a",@progbits
	.p2align	6, 0x0
	.amdhsa_kernel _ZL32rocblas_gemvt_warp_reduce_kernelILb1ELi1024Ei16rocblas_bfloat16PKfS0_EviiT3_lPKT2_lT1_lS6_lS7_lS3_lPT4_lS7_li
		.amdhsa_group_segment_fixed_size 128
		.amdhsa_private_segment_fixed_size 0
		.amdhsa_kernarg_size 140
		.amdhsa_user_sgpr_count 2
		.amdhsa_user_sgpr_dispatch_ptr 0
		.amdhsa_user_sgpr_queue_ptr 0
		.amdhsa_user_sgpr_kernarg_segment_ptr 1
		.amdhsa_user_sgpr_dispatch_id 0
		.amdhsa_user_sgpr_private_segment_size 0
		.amdhsa_wavefront_size32 1
		.amdhsa_uses_dynamic_stack 0
		.amdhsa_enable_private_segment 0
		.amdhsa_system_sgpr_workgroup_id_x 1
		.amdhsa_system_sgpr_workgroup_id_y 0
		.amdhsa_system_sgpr_workgroup_id_z 1
		.amdhsa_system_sgpr_workgroup_info 0
		.amdhsa_system_vgpr_workitem_id 0
		.amdhsa_next_free_vgpr 22
		.amdhsa_next_free_sgpr 44
		.amdhsa_reserve_vcc 1
		.amdhsa_float_round_mode_32 0
		.amdhsa_float_round_mode_16_64 0
		.amdhsa_float_denorm_mode_32 3
		.amdhsa_float_denorm_mode_16_64 3
		.amdhsa_fp16_overflow 0
		.amdhsa_workgroup_processor_mode 1
		.amdhsa_memory_ordered 1
		.amdhsa_forward_progress 1
		.amdhsa_inst_pref_size 19
		.amdhsa_round_robin_scheduling 0
		.amdhsa_exception_fp_ieee_invalid_op 0
		.amdhsa_exception_fp_denorm_src 0
		.amdhsa_exception_fp_ieee_div_zero 0
		.amdhsa_exception_fp_ieee_overflow 0
		.amdhsa_exception_fp_ieee_underflow 0
		.amdhsa_exception_fp_ieee_inexact 0
		.amdhsa_exception_int_div_zero 0
	.end_amdhsa_kernel
	.section	.text._ZL32rocblas_gemvt_warp_reduce_kernelILb1ELi1024Ei16rocblas_bfloat16PKfS0_EviiT3_lPKT2_lT1_lS6_lS7_lS3_lPT4_lS7_li,"axG",@progbits,_ZL32rocblas_gemvt_warp_reduce_kernelILb1ELi1024Ei16rocblas_bfloat16PKfS0_EviiT3_lPKT2_lT1_lS6_lS7_lS3_lPT4_lS7_li,comdat
.Lfunc_end580:
	.size	_ZL32rocblas_gemvt_warp_reduce_kernelILb1ELi1024Ei16rocblas_bfloat16PKfS0_EviiT3_lPKT2_lT1_lS6_lS7_lS3_lPT4_lS7_li, .Lfunc_end580-_ZL32rocblas_gemvt_warp_reduce_kernelILb1ELi1024Ei16rocblas_bfloat16PKfS0_EviiT3_lPKT2_lT1_lS6_lS7_lS3_lPT4_lS7_li
                                        ; -- End function
	.set _ZL32rocblas_gemvt_warp_reduce_kernelILb1ELi1024Ei16rocblas_bfloat16PKfS0_EviiT3_lPKT2_lT1_lS6_lS7_lS3_lPT4_lS7_li.num_vgpr, 22
	.set _ZL32rocblas_gemvt_warp_reduce_kernelILb1ELi1024Ei16rocblas_bfloat16PKfS0_EviiT3_lPKT2_lT1_lS6_lS7_lS3_lPT4_lS7_li.num_agpr, 0
	.set _ZL32rocblas_gemvt_warp_reduce_kernelILb1ELi1024Ei16rocblas_bfloat16PKfS0_EviiT3_lPKT2_lT1_lS6_lS7_lS3_lPT4_lS7_li.numbered_sgpr, 44
	.set _ZL32rocblas_gemvt_warp_reduce_kernelILb1ELi1024Ei16rocblas_bfloat16PKfS0_EviiT3_lPKT2_lT1_lS6_lS7_lS3_lPT4_lS7_li.num_named_barrier, 0
	.set _ZL32rocblas_gemvt_warp_reduce_kernelILb1ELi1024Ei16rocblas_bfloat16PKfS0_EviiT3_lPKT2_lT1_lS6_lS7_lS3_lPT4_lS7_li.private_seg_size, 0
	.set _ZL32rocblas_gemvt_warp_reduce_kernelILb1ELi1024Ei16rocblas_bfloat16PKfS0_EviiT3_lPKT2_lT1_lS6_lS7_lS3_lPT4_lS7_li.uses_vcc, 1
	.set _ZL32rocblas_gemvt_warp_reduce_kernelILb1ELi1024Ei16rocblas_bfloat16PKfS0_EviiT3_lPKT2_lT1_lS6_lS7_lS3_lPT4_lS7_li.uses_flat_scratch, 0
	.set _ZL32rocblas_gemvt_warp_reduce_kernelILb1ELi1024Ei16rocblas_bfloat16PKfS0_EviiT3_lPKT2_lT1_lS6_lS7_lS3_lPT4_lS7_li.has_dyn_sized_stack, 0
	.set _ZL32rocblas_gemvt_warp_reduce_kernelILb1ELi1024Ei16rocblas_bfloat16PKfS0_EviiT3_lPKT2_lT1_lS6_lS7_lS3_lPT4_lS7_li.has_recursion, 0
	.set _ZL32rocblas_gemvt_warp_reduce_kernelILb1ELi1024Ei16rocblas_bfloat16PKfS0_EviiT3_lPKT2_lT1_lS6_lS7_lS3_lPT4_lS7_li.has_indirect_call, 0
	.section	.AMDGPU.csdata,"",@progbits
; Kernel info:
; codeLenInByte = 2372
; TotalNumSgprs: 46
; NumVgprs: 22
; ScratchSize: 0
; MemoryBound: 0
; FloatMode: 240
; IeeeMode: 1
; LDSByteSize: 128 bytes/workgroup (compile time only)
; SGPRBlocks: 0
; VGPRBlocks: 2
; NumSGPRsForWavesPerEU: 46
; NumVGPRsForWavesPerEU: 22
; Occupancy: 16
; WaveLimiterHint : 0
; COMPUTE_PGM_RSRC2:SCRATCH_EN: 0
; COMPUTE_PGM_RSRC2:USER_SGPR: 2
; COMPUTE_PGM_RSRC2:TRAP_HANDLER: 0
; COMPUTE_PGM_RSRC2:TGID_X_EN: 1
; COMPUTE_PGM_RSRC2:TGID_Y_EN: 0
; COMPUTE_PGM_RSRC2:TGID_Z_EN: 1
; COMPUTE_PGM_RSRC2:TIDIG_COMP_CNT: 0
	.section	.text._ZL32rocblas_gemvt_warp_reduce_kernelILb1ELi1024El16rocblas_bfloat16PKfS0_EviiT3_lPKT2_lT1_lS6_lS7_lS3_lPT4_lS7_li,"axG",@progbits,_ZL32rocblas_gemvt_warp_reduce_kernelILb1ELi1024El16rocblas_bfloat16PKfS0_EviiT3_lPKT2_lT1_lS6_lS7_lS3_lPT4_lS7_li,comdat
	.globl	_ZL32rocblas_gemvt_warp_reduce_kernelILb1ELi1024El16rocblas_bfloat16PKfS0_EviiT3_lPKT2_lT1_lS6_lS7_lS3_lPT4_lS7_li ; -- Begin function _ZL32rocblas_gemvt_warp_reduce_kernelILb1ELi1024El16rocblas_bfloat16PKfS0_EviiT3_lPKT2_lT1_lS6_lS7_lS3_lPT4_lS7_li
	.p2align	8
	.type	_ZL32rocblas_gemvt_warp_reduce_kernelILb1ELi1024El16rocblas_bfloat16PKfS0_EviiT3_lPKT2_lT1_lS6_lS7_lS3_lPT4_lS7_li,@function
_ZL32rocblas_gemvt_warp_reduce_kernelILb1ELi1024El16rocblas_bfloat16PKfS0_EviiT3_lPKT2_lT1_lS6_lS7_lS3_lPT4_lS7_li: ; @_ZL32rocblas_gemvt_warp_reduce_kernelILb1ELi1024El16rocblas_bfloat16PKfS0_EviiT3_lPKT2_lT1_lS6_lS7_lS3_lPT4_lS7_li
; %bb.0:
	s_load_b32 s30, s[0:1], 0x88
	s_lshr_b32 s6, ttmp7, 16
	s_wait_kmcnt 0x0
	s_cmp_ge_u32 s6, s30
	s_cbranch_scc1 .LBB581_59
; %bb.1:
	s_clause 0x2
	s_load_b512 s[8:23], s[0:1], 0x8
	s_load_b512 s[36:51], s[0:1], 0x48
	s_load_b32 s28, s[0:1], 0x0
	s_mov_b32 s2, ttmp9
	s_ashr_i32 s3, ttmp9, 31
	v_mbcnt_lo_u32_b32 v16, -1, 0
	v_cmp_eq_u32_e64 s0, 0, v0
	s_mov_b32 s7, 0
	v_lshl_or_b32 v17, v16, 2, 64
	s_wait_kmcnt 0x0
	s_lshl_b64 s[4:5], s[22:23], 1
	s_lshl_b64 s[24:25], s[14:15], 1
	v_cmp_gt_i32_e32 vcc_lo, s28, v0
	s_ashr_i32 s1, s28, 31
	v_mad_co_u64_u32 v[1:2], null, s36, v0, 0
	s_lshr_b32 s1, s1, 22
	v_cndmask_b32_e32 v3, 0, v0, vcc_lo
	s_add_nc_u64 s[14:15], s[20:21], s[4:5]
	s_add_nc_u64 s[4:5], s[12:13], s[24:25]
	s_add_co_i32 s1, s28, s1
	s_lshl_b64 s[22:23], s[46:47], 1
	v_lshlrev_b32_e32 v7, 1, v3
	s_and_b32 s20, s1, 0xfffffc00
	s_mul_u64 s[26:27], s[48:49], s[2:3]
	s_mul_u64 s[2:3], s[16:17], s[2:3]
	v_or_b32_e32 v4, s20, v0
	v_add_co_u32 v3, s1, s4, v7
	s_delay_alu instid0(VALU_DEP_1)
	v_add_co_ci_u32_e64 v5, null, s5, 0, s1
	s_add_nc_u64 s[16:17], s[44:45], s[22:23]
	s_lshl_b64 s[22:23], s[2:3], 1
	v_mul_lo_u32 v8, s37, v4
	v_add_co_u32 v12, vcc_lo, v3, s22
	v_mad_co_u64_u32 v[2:3], null, s37, v0, v[2:3]
	s_wait_alu 0xfffd
	v_add_co_ci_u32_e64 v13, null, s23, v5, vcc_lo
	v_mad_co_u64_u32 v[5:6], null, s36, v4, 0
	v_and_b32_e32 v3, 31, v0
	v_cmp_gt_i32_e64 s2, s28, v4
	v_lshrrev_b32_e32 v4, 3, v0
	s_ashr_i32 s21, s20, 31
	v_dual_mov_b32 v11, 0 :: v_dual_lshlrev_b32 v14, 2, v3
	s_wait_alu 0xfffe
	s_mul_i32 s3, s36, s21
	v_cmp_eq_u32_e64 s4, 0, v3
	v_and_b32_e32 v15, 0x7c, v4
	v_lshlrev_b64_e32 v[3:4], 1, v[1:2]
	v_add3_u32 v6, v6, s3, v8
	s_add_nc_u64 s[22:23], s[22:23], s[24:25]
	v_cmp_gt_i32_e64 s1, s20, v0
	s_wait_alu 0xfffe
	s_add_nc_u64 s[12:13], s[12:13], s[22:23]
	v_cmp_gt_u32_e64 s3, 32, v0
	v_add_co_u32 v1, s5, s12, v7
	v_add_co_u32 v3, vcc_lo, s14, v3
	v_lshlrev_b64_e32 v[5:6], 1, v[5:6]
	s_wait_alu 0xf1ff
	v_add_co_ci_u32_e64 v2, null, s13, 0, s5
	s_wait_alu 0xfffd
	v_add_co_ci_u32_e64 v4, null, s15, v4, vcc_lo
	s_lshl_b64 s[12:13], s[18:19], 1
	s_lshl_b64 s[22:23], s[38:39], 1
	;; [unrolled: 1-line block ×4, first 2 shown]
	s_branch .LBB581_4
.LBB581_2:                              ;   in Loop: Header=BB581_4 Depth=1
	s_wait_alu 0xfffe
	s_or_b32 exec_lo, exec_lo, s5
.LBB581_3:                              ;   in Loop: Header=BB581_4 Depth=1
	s_add_co_i32 s6, s6, 0x10000
	s_wait_alu 0xfffe
	s_cmp_lt_u32 s6, s30
	s_cbranch_scc0 .LBB581_59
.LBB581_4:                              ; =>This Loop Header: Depth=1
                                        ;     Child Loop BB581_26 Depth 2
	s_mul_u64 s[28:29], s[10:11], s[6:7]
	s_mul_u64 s[34:35], s[42:43], s[6:7]
	s_wait_alu 0xfffe
	s_lshl_b64 s[28:29], s[28:29], 2
	s_lshl_b64 s[34:35], s[34:35], 2
	s_wait_alu 0xfffe
	s_add_nc_u64 s[28:29], s[8:9], s[28:29]
	s_add_nc_u64 s[34:35], s[40:41], s[34:35]
	s_clause 0x1
	global_load_b32 v18, v11, s[28:29]
	global_load_b32 v7, v11, s[34:35]
	s_wait_loadcnt 0x1
	v_cmp_eq_f32_e32 vcc_lo, 0, v18
	s_wait_loadcnt 0x0
	v_cmp_eq_f32_e64 s5, 1.0, v7
	v_readfirstlane_b32 s33, v7
	s_and_b32 s5, vcc_lo, s5
	s_wait_alu 0xfffe
	s_and_b32 vcc_lo, exec_lo, s5
	s_wait_alu 0xfffe
	s_cbranch_vccnz .LBB581_3
; %bb.5:                                ;   in Loop: Header=BB581_4 Depth=1
	v_cmp_neq_f32_e32 vcc_lo, 0, v18
	s_mul_u64 s[28:29], s[50:51], s[6:7]
	s_wait_alu 0xfffe
	s_lshl_b64 s[28:29], s[28:29], 1
	s_wait_alu 0xfffe
	s_add_nc_u64 s[28:29], s[16:17], s[28:29]
	s_cbranch_vccnz .LBB581_13
; %bb.6:                                ;   in Loop: Header=BB581_4 Depth=1
	s_mov_b32 s5, 0
	s_mov_b32 s31, 0
                                        ; implicit-def: $sgpr35
	s_and_saveexec_b32 s34, s0
	s_cbranch_execz .LBB581_14
; %bb.7:                                ;   in Loop: Header=BB581_4 Depth=1
	s_cmp_eq_f32 s33, 0
	s_cbranch_scc1 .LBB581_44
; %bb.8:                                ;   in Loop: Header=BB581_4 Depth=1
	s_wait_alu 0xfffe
	s_add_nc_u64 s[36:37], s[28:29], s[26:27]
	global_load_u16 v7, v11, s[36:37]
	s_mov_b32 s36, -1
	s_wait_loadcnt 0x0
	v_readfirstlane_b32 s31, v7
	s_lshl_b32 s31, s31, 16
	s_delay_alu instid0(SALU_CYCLE_1) | instskip(NEXT) | instid1(SALU_CYCLE_3)
	s_mul_f32 s31, s33, s31
	s_and_b32 s35, s31, 0x7f800000
	s_wait_alu 0xfffe
	s_cmp_eq_u32 s35, 0x7f800000
                                        ; implicit-def: $sgpr35
	s_cbranch_scc1 .LBB581_10
; %bb.9:                                ;   in Loop: Header=BB581_4 Depth=1
	s_bfe_u32 s35, s31, 0x10010
	s_mov_b32 s36, 0
	s_wait_alu 0xfffe
	s_add_co_i32 s35, s31, s35
	s_wait_alu 0xfffe
	s_addk_co_i32 s35, 0x7fff
.LBB581_10:                             ;   in Loop: Header=BB581_4 Depth=1
	s_wait_alu 0xfffe
	s_and_not1_b32 vcc_lo, exec_lo, s36
	s_wait_alu 0xfffe
	s_cbranch_vccnz .LBB581_12
; %bb.11:                               ;   in Loop: Header=BB581_4 Depth=1
	s_and_b32 s35, s31, 0xffff
	s_or_b32 s36, s31, 0x10000
	s_wait_alu 0xfffe
	s_cmp_eq_u32 s35, 0
	s_cselect_b32 s35, s31, s36
.LBB581_12:                             ;   in Loop: Header=BB581_4 Depth=1
	s_wait_alu 0xfffe
	s_lshr_b32 s35, s35, 16
	s_mov_b32 s31, exec_lo
	s_or_b32 exec_lo, exec_lo, s34
	s_delay_alu instid0(SALU_CYCLE_1)
	s_and_b32 vcc_lo, exec_lo, s5
	s_wait_alu 0xfffe
	s_cbranch_vccnz .LBB581_15
	s_branch .LBB581_45
.LBB581_13:                             ;   in Loop: Header=BB581_4 Depth=1
	s_mov_b32 s31, 0
                                        ; implicit-def: $sgpr35
	s_cbranch_execnz .LBB581_15
	s_branch .LBB581_45
.LBB581_14:                             ;   in Loop: Header=BB581_4 Depth=1
	s_wait_alu 0xfffe
	s_or_b32 exec_lo, exec_lo, s34
	s_delay_alu instid0(SALU_CYCLE_1)
	s_and_b32 vcc_lo, exec_lo, s5
	s_wait_alu 0xfffe
	s_cbranch_vccz .LBB581_45
.LBB581_15:                             ;   in Loop: Header=BB581_4 Depth=1
	s_wait_dscnt 0x0
	v_mov_b32_e32 v19, 0
	s_and_saveexec_b32 s34, s1
	s_cbranch_execnz .LBB581_24
; %bb.16:                               ;   in Loop: Header=BB581_4 Depth=1
	s_wait_alu 0xfffe
	s_or_b32 exec_lo, exec_lo, s34
	s_and_saveexec_b32 s5, s2
	s_cbranch_execnz .LBB581_39
.LBB581_17:                             ;   in Loop: Header=BB581_4 Depth=1
	s_wait_alu 0xfffe
	s_or_b32 exec_lo, exec_lo, s5
	s_and_saveexec_b32 s5, s3
.LBB581_18:                             ;   in Loop: Header=BB581_4 Depth=1
	ds_store_b32 v14, v11
.LBB581_19:                             ;   in Loop: Header=BB581_4 Depth=1
	s_wait_alu 0xfffe
	s_or_b32 exec_lo, exec_lo, s5
	ds_bpermute_b32 v8, v17, v19
	v_cmp_gt_u32_e32 vcc_lo, 24, v16
	s_wait_dscnt 0x0
	s_barrier_signal -1
	s_barrier_wait -1
	global_inv scope:SCOPE_SE
	s_wait_alu 0xfffd
	v_cndmask_b32_e64 v7, 0, 8, vcc_lo
	v_cmp_gt_u32_e32 vcc_lo, 28, v16
	s_delay_alu instid0(VALU_DEP_2)
	v_add_lshl_u32 v7, v7, v16, 2
	v_add_f32_e32 v9, v19, v8
	s_wait_alu 0xfffd
	v_cndmask_b32_e64 v8, 0, 4, vcc_lo
	v_cmp_gt_u32_e32 vcc_lo, 30, v16
	ds_bpermute_b32 v10, v7, v9
	v_add_lshl_u32 v8, v8, v16, 2
	s_wait_dscnt 0x0
	v_add_f32_e32 v10, v9, v10
	s_wait_alu 0xfffd
	v_cndmask_b32_e64 v9, 0, 2, vcc_lo
	v_cmp_ne_u32_e32 vcc_lo, 31, v16
	ds_bpermute_b32 v19, v8, v10
	v_add_lshl_u32 v9, v9, v16, 2
	s_wait_alu 0xfffd
	v_add_co_ci_u32_e64 v20, null, 0, v16, vcc_lo
	s_wait_dscnt 0x0
	v_add_f32_e32 v10, v10, v19
	ds_bpermute_b32 v19, v9, v10
	s_wait_dscnt 0x0
	v_dual_add_f32 v19, v10, v19 :: v_dual_lshlrev_b32 v10, 2, v20
	ds_bpermute_b32 v20, v10, v19
	s_and_saveexec_b32 s5, s4
	s_cbranch_execz .LBB581_21
; %bb.20:                               ;   in Loop: Header=BB581_4 Depth=1
	s_wait_dscnt 0x0
	v_add_f32_e32 v19, v19, v20
	ds_store_b32 v15, v19
.LBB581_21:                             ;   in Loop: Header=BB581_4 Depth=1
	s_wait_alu 0xfffe
	s_or_b32 exec_lo, exec_lo, s5
	v_mov_b32_e32 v19, 0
	s_wait_loadcnt_dscnt 0x0
	s_barrier_signal -1
	s_barrier_wait -1
	global_inv scope:SCOPE_SE
	s_and_saveexec_b32 s5, s3
	s_cbranch_execnz .LBB581_30
; %bb.22:                               ;   in Loop: Header=BB581_4 Depth=1
	s_wait_alu 0xfffe
	s_or_b32 exec_lo, exec_lo, s5
	s_and_saveexec_b32 s5, s3
	s_cbranch_execnz .LBB581_31
.LBB581_23:                             ;   in Loop: Header=BB581_4 Depth=1
	s_wait_alu 0xfffe
	s_or_b32 exec_lo, exec_lo, s5
                                        ; implicit-def: $vgpr7
	s_and_saveexec_b32 s5, s0
	s_cbranch_execnz .LBB581_32
	s_branch .LBB581_57
.LBB581_24:                             ;   in Loop: Header=BB581_4 Depth=1
	v_mad_co_u64_u32 v[7:8], null, s12, s6, v[1:2]
	v_mad_co_u64_u32 v[9:10], null, s22, s6, v[3:4]
	s_mov_b32 s35, 0
	v_mad_co_u64_u32 v[20:21], null, s13, s6, v[8:9]
	v_mad_co_u64_u32 v[21:22], null, s23, s6, v[10:11]
	s_delay_alu instid0(VALU_DEP_2) | instskip(SKIP_1) | instid1(VALU_DEP_3)
	v_dual_mov_b32 v19, 0 :: v_dual_mov_b32 v8, v20
	v_mov_b32_e32 v20, v0
	v_mov_b32_e32 v10, v21
	s_branch .LBB581_26
.LBB581_25:                             ;   in Loop: Header=BB581_26 Depth=2
	s_wait_alu 0xfffe
	s_or_b32 exec_lo, exec_lo, s5
	s_delay_alu instid0(VALU_DEP_1)
	v_and_b32_e32 v21, 0xffff0000, v22
	v_add_nc_u32_e32 v20, 0x400, v20
	v_add_co_u32 v7, vcc_lo, 0x800, v7
	s_wait_alu 0xfffd
	v_add_co_ci_u32_e64 v8, null, 0, v8, vcc_lo
	v_add_f32_e32 v19, v19, v21
	v_cmp_le_i32_e32 vcc_lo, s20, v20
	v_add_co_u32 v9, s5, v9, s24
	s_wait_alu 0xf1ff
	v_add_co_ci_u32_e64 v10, null, s25, v10, s5
	s_or_b32 s35, vcc_lo, s35
	s_wait_alu 0xfffe
	s_and_not1_b32 exec_lo, exec_lo, s35
	s_cbranch_execz .LBB581_38
.LBB581_26:                             ;   Parent Loop BB581_4 Depth=1
                                        ; =>  This Inner Loop Header: Depth=2
	global_load_u16 v21, v[9:10], off
	global_load_u16 v22, v[7:8], off
	s_wait_loadcnt 0x1
	v_lshlrev_b32_e32 v21, 16, v21
	s_wait_loadcnt 0x0
	v_lshlrev_b32_e32 v22, 16, v22
	s_delay_alu instid0(VALU_DEP_1) | instskip(NEXT) | instid1(VALU_DEP_1)
	v_mul_f32_e32 v21, v22, v21
	v_and_b32_e32 v22, 0x7f800000, v21
	s_delay_alu instid0(VALU_DEP_1)
	v_cmp_ne_u32_e32 vcc_lo, 0x7f800000, v22
                                        ; implicit-def: $vgpr22
	s_and_saveexec_b32 s5, vcc_lo
	s_wait_alu 0xfffe
	s_xor_b32 s5, exec_lo, s5
; %bb.27:                               ;   in Loop: Header=BB581_26 Depth=2
	v_bfe_u32 v22, v21, 16, 1
	s_delay_alu instid0(VALU_DEP_1)
	v_add3_u32 v22, v21, v22, 0x7fff
                                        ; implicit-def: $vgpr21
; %bb.28:                               ;   in Loop: Header=BB581_26 Depth=2
	s_wait_alu 0xfffe
	s_and_not1_saveexec_b32 s5, s5
	s_cbranch_execz .LBB581_25
; %bb.29:                               ;   in Loop: Header=BB581_26 Depth=2
	v_and_b32_e32 v22, 0xffff, v21
	v_or_b32_e32 v23, 0x10000, v21
	s_delay_alu instid0(VALU_DEP_2) | instskip(SKIP_1) | instid1(VALU_DEP_2)
	v_cmp_eq_u32_e32 vcc_lo, 0, v22
	s_wait_alu 0xfffd
	v_cndmask_b32_e32 v22, v23, v21, vcc_lo
	s_branch .LBB581_25
.LBB581_30:                             ;   in Loop: Header=BB581_4 Depth=1
	ds_load_b32 v19, v14
	s_wait_alu 0xfffe
	s_or_b32 exec_lo, exec_lo, s5
	s_and_saveexec_b32 s5, s3
	s_cbranch_execz .LBB581_23
.LBB581_31:                             ;   in Loop: Header=BB581_4 Depth=1
	s_wait_dscnt 0x0
	ds_bpermute_b32 v20, v17, v19
	s_wait_dscnt 0x0
	v_add_f32_e32 v19, v19, v20
	ds_bpermute_b32 v7, v7, v19
	s_wait_dscnt 0x0
	v_add_f32_e32 v7, v19, v7
	;; [unrolled: 3-line block ×5, first 2 shown]
	s_wait_alu 0xfffe
	s_or_b32 exec_lo, exec_lo, s5
                                        ; implicit-def: $vgpr7
	s_and_saveexec_b32 s5, s0
	s_cbranch_execz .LBB581_57
.LBB581_32:                             ;   in Loop: Header=BB581_4 Depth=1
	s_wait_dscnt 0x0
	v_mul_f32_e32 v7, v18, v19
	s_cmp_eq_f32 s33, 0
	s_cbranch_scc0 .LBB581_46
; %bb.33:                               ;   in Loop: Header=BB581_4 Depth=1
	s_delay_alu instid0(VALU_DEP_1) | instskip(NEXT) | instid1(VALU_DEP_1)
	v_and_b32_e32 v8, 0x7f800000, v7
	v_cmp_ne_u32_e32 vcc_lo, 0x7f800000, v8
                                        ; implicit-def: $vgpr8
	s_and_saveexec_b32 s34, vcc_lo
	s_wait_alu 0xfffe
	s_xor_b32 s34, exec_lo, s34
; %bb.34:                               ;   in Loop: Header=BB581_4 Depth=1
	v_bfe_u32 v8, v7, 16, 1
	s_delay_alu instid0(VALU_DEP_1)
	v_add3_u32 v8, v7, v8, 0x7fff
; %bb.35:                               ;   in Loop: Header=BB581_4 Depth=1
	s_wait_alu 0xfffe
	s_and_not1_saveexec_b32 s34, s34
; %bb.36:                               ;   in Loop: Header=BB581_4 Depth=1
	v_and_b32_e32 v8, 0xffff, v7
	v_or_b32_e32 v9, 0x10000, v7
	s_delay_alu instid0(VALU_DEP_2) | instskip(SKIP_1) | instid1(VALU_DEP_2)
	v_cmp_eq_u32_e32 vcc_lo, 0, v8
	s_wait_alu 0xfffd
	v_cndmask_b32_e32 v8, v9, v7, vcc_lo
; %bb.37:                               ;   in Loop: Header=BB581_4 Depth=1
	s_wait_alu 0xfffe
	s_or_b32 exec_lo, exec_lo, s34
	s_cbranch_execz .LBB581_47
	s_branch .LBB581_56
.LBB581_38:                             ;   in Loop: Header=BB581_4 Depth=1
	s_or_b32 exec_lo, exec_lo, s35
	s_delay_alu instid0(SALU_CYCLE_1)
	s_or_b32 exec_lo, exec_lo, s34
	s_and_saveexec_b32 s5, s2
	s_cbranch_execz .LBB581_17
.LBB581_39:                             ;   in Loop: Header=BB581_4 Depth=1
	s_mul_u64 s[34:35], s[18:19], s[6:7]
	s_mul_u64 s[36:37], s[38:39], s[6:7]
	s_wait_alu 0xfffe
	s_lshl_b64 s[34:35], s[34:35], 1
	s_lshl_b64 s[36:37], s[36:37], 1
	s_wait_alu 0xfffe
	v_add_co_u32 v9, vcc_lo, v12, s34
	s_wait_alu 0xfffd
	v_add_co_ci_u32_e64 v10, null, s35, v13, vcc_lo
	s_add_nc_u64 s[34:35], s[14:15], s[36:37]
	s_lshl_b64 s[36:37], s[20:21], 1
	s_wait_alu 0xfffe
	v_add_co_u32 v7, vcc_lo, s34, v5
	s_wait_alu 0xfffd
	v_add_co_ci_u32_e64 v8, null, s35, v6, vcc_lo
	v_add_co_u32 v9, vcc_lo, v9, s36
	s_wait_alu 0xfffd
	v_add_co_ci_u32_e64 v10, null, s37, v10, vcc_lo
	global_load_u16 v7, v[7:8], off
	global_load_u16 v8, v[9:10], off
	s_wait_loadcnt 0x1
	v_lshlrev_b32_e32 v7, 16, v7
	s_wait_loadcnt 0x0
	v_lshlrev_b32_e32 v8, 16, v8
	s_delay_alu instid0(VALU_DEP_1) | instskip(NEXT) | instid1(VALU_DEP_1)
	v_mul_f32_e32 v7, v8, v7
	v_and_b32_e32 v8, 0x7f800000, v7
	s_delay_alu instid0(VALU_DEP_1)
	v_cmp_ne_u32_e32 vcc_lo, 0x7f800000, v8
                                        ; implicit-def: $vgpr8
	s_and_saveexec_b32 s34, vcc_lo
	s_wait_alu 0xfffe
	s_xor_b32 s34, exec_lo, s34
; %bb.40:                               ;   in Loop: Header=BB581_4 Depth=1
	v_bfe_u32 v8, v7, 16, 1
	s_delay_alu instid0(VALU_DEP_1)
	v_add3_u32 v8, v7, v8, 0x7fff
                                        ; implicit-def: $vgpr7
; %bb.41:                               ;   in Loop: Header=BB581_4 Depth=1
	s_wait_alu 0xfffe
	s_and_not1_saveexec_b32 s34, s34
; %bb.42:                               ;   in Loop: Header=BB581_4 Depth=1
	v_and_b32_e32 v8, 0xffff, v7
	v_or_b32_e32 v9, 0x10000, v7
	s_delay_alu instid0(VALU_DEP_2) | instskip(SKIP_1) | instid1(VALU_DEP_2)
	v_cmp_eq_u32_e32 vcc_lo, 0, v8
	s_wait_alu 0xfffd
	v_cndmask_b32_e32 v8, v9, v7, vcc_lo
; %bb.43:                               ;   in Loop: Header=BB581_4 Depth=1
	s_wait_alu 0xfffe
	s_or_b32 exec_lo, exec_lo, s34
	s_delay_alu instid0(VALU_DEP_1) | instskip(NEXT) | instid1(VALU_DEP_1)
	v_and_b32_e32 v7, 0xffff0000, v8
	v_add_f32_e32 v19, v19, v7
	s_or_b32 exec_lo, exec_lo, s5
	s_and_saveexec_b32 s5, s3
	s_cbranch_execnz .LBB581_18
	s_branch .LBB581_19
.LBB581_44:                             ;   in Loop: Header=BB581_4 Depth=1
	s_mov_b32 s35, 0
	s_mov_b32 s31, exec_lo
	s_wait_alu 0xfffe
	s_or_b32 exec_lo, exec_lo, s34
	s_delay_alu instid0(SALU_CYCLE_1)
	s_and_b32 vcc_lo, exec_lo, s5
	s_wait_alu 0xfffe
	s_cbranch_vccnz .LBB581_15
.LBB581_45:                             ;   in Loop: Header=BB581_4 Depth=1
	v_mov_b32_e32 v7, s35
	s_and_saveexec_b32 s5, s31
	s_cbranch_execz .LBB581_2
	s_branch .LBB581_58
.LBB581_46:                             ;   in Loop: Header=BB581_4 Depth=1
                                        ; implicit-def: $vgpr8
.LBB581_47:                             ;   in Loop: Header=BB581_4 Depth=1
	s_add_nc_u64 s[34:35], s[28:29], s[26:27]
	global_load_u16 v8, v11, s[34:35]
	s_mov_b32 s35, -1
	s_wait_loadcnt 0x0
	v_readfirstlane_b32 s34, v8
	s_wait_alu 0xfffe
	s_lshl_b32 s34, s34, 16
	s_wait_alu 0xfffe
	s_mul_f32 s33, s33, s34
	s_wait_alu 0xfffe
	s_delay_alu instid0(SALU_CYCLE_2)
	s_and_b32 s34, s33, 0x7f800000
	s_wait_alu 0xfffe
	s_cmp_eq_u32 s34, 0x7f800000
                                        ; implicit-def: $sgpr34
	s_cbranch_scc1 .LBB581_49
; %bb.48:                               ;   in Loop: Header=BB581_4 Depth=1
	s_bfe_u32 s34, s33, 0x10010
	s_mov_b32 s35, 0
	s_wait_alu 0xfffe
	s_add_co_i32 s34, s33, s34
	s_wait_alu 0xfffe
	s_addk_co_i32 s34, 0x7fff
.LBB581_49:                             ;   in Loop: Header=BB581_4 Depth=1
	s_and_not1_b32 vcc_lo, exec_lo, s35
	s_wait_alu 0xfffe
	s_cbranch_vccnz .LBB581_51
; %bb.50:                               ;   in Loop: Header=BB581_4 Depth=1
	s_and_b32 s34, s33, 0xffff
	s_or_b32 s35, s33, 0x10000
	s_wait_alu 0xfffe
	s_cmp_eq_u32 s34, 0
	s_cselect_b32 s34, s33, s35
.LBB581_51:                             ;   in Loop: Header=BB581_4 Depth=1
	s_wait_alu 0xfffe
	s_and_b32 s33, s34, 0xffff0000
	s_wait_alu 0xfffe
	v_add_f32_e32 v7, s33, v7
	s_delay_alu instid0(VALU_DEP_1) | instskip(NEXT) | instid1(VALU_DEP_1)
	v_and_b32_e32 v8, 0x7f800000, v7
	v_cmp_ne_u32_e32 vcc_lo, 0x7f800000, v8
                                        ; implicit-def: $vgpr8
	s_and_saveexec_b32 s33, vcc_lo
	s_wait_alu 0xfffe
	s_xor_b32 s33, exec_lo, s33
; %bb.52:                               ;   in Loop: Header=BB581_4 Depth=1
	v_bfe_u32 v8, v7, 16, 1
	s_delay_alu instid0(VALU_DEP_1)
	v_add3_u32 v8, v7, v8, 0x7fff
                                        ; implicit-def: $vgpr7
; %bb.53:                               ;   in Loop: Header=BB581_4 Depth=1
	s_wait_alu 0xfffe
	s_and_not1_saveexec_b32 s33, s33
; %bb.54:                               ;   in Loop: Header=BB581_4 Depth=1
	v_and_b32_e32 v8, 0xffff, v7
	v_or_b32_e32 v9, 0x10000, v7
	s_delay_alu instid0(VALU_DEP_2) | instskip(SKIP_1) | instid1(VALU_DEP_2)
	v_cmp_eq_u32_e32 vcc_lo, 0, v8
	s_wait_alu 0xfffd
	v_cndmask_b32_e32 v8, v9, v7, vcc_lo
; %bb.55:                               ;   in Loop: Header=BB581_4 Depth=1
	s_wait_alu 0xfffe
	s_or_b32 exec_lo, exec_lo, s33
.LBB581_56:                             ;   in Loop: Header=BB581_4 Depth=1
	s_delay_alu instid0(VALU_DEP_1)
	v_lshrrev_b32_e32 v7, 16, v8
	s_or_b32 s31, s31, exec_lo
.LBB581_57:                             ;   in Loop: Header=BB581_4 Depth=1
	s_wait_alu 0xfffe
	s_or_b32 exec_lo, exec_lo, s5
	s_and_saveexec_b32 s5, s31
	s_cbranch_execz .LBB581_2
.LBB581_58:                             ;   in Loop: Header=BB581_4 Depth=1
	s_wait_alu 0xfffe
	s_add_nc_u64 s[28:29], s[28:29], s[26:27]
	global_store_b16 v11, v7, s[28:29]
	s_branch .LBB581_2
.LBB581_59:
	s_endpgm
	.section	.rodata,"a",@progbits
	.p2align	6, 0x0
	.amdhsa_kernel _ZL32rocblas_gemvt_warp_reduce_kernelILb1ELi1024El16rocblas_bfloat16PKfS0_EviiT3_lPKT2_lT1_lS6_lS7_lS3_lPT4_lS7_li
		.amdhsa_group_segment_fixed_size 128
		.amdhsa_private_segment_fixed_size 0
		.amdhsa_kernarg_size 140
		.amdhsa_user_sgpr_count 2
		.amdhsa_user_sgpr_dispatch_ptr 0
		.amdhsa_user_sgpr_queue_ptr 0
		.amdhsa_user_sgpr_kernarg_segment_ptr 1
		.amdhsa_user_sgpr_dispatch_id 0
		.amdhsa_user_sgpr_private_segment_size 0
		.amdhsa_wavefront_size32 1
		.amdhsa_uses_dynamic_stack 0
		.amdhsa_enable_private_segment 0
		.amdhsa_system_sgpr_workgroup_id_x 1
		.amdhsa_system_sgpr_workgroup_id_y 0
		.amdhsa_system_sgpr_workgroup_id_z 1
		.amdhsa_system_sgpr_workgroup_info 0
		.amdhsa_system_vgpr_workitem_id 0
		.amdhsa_next_free_vgpr 24
		.amdhsa_next_free_sgpr 52
		.amdhsa_reserve_vcc 1
		.amdhsa_float_round_mode_32 0
		.amdhsa_float_round_mode_16_64 0
		.amdhsa_float_denorm_mode_32 3
		.amdhsa_float_denorm_mode_16_64 3
		.amdhsa_fp16_overflow 0
		.amdhsa_workgroup_processor_mode 1
		.amdhsa_memory_ordered 1
		.amdhsa_forward_progress 1
		.amdhsa_inst_pref_size 19
		.amdhsa_round_robin_scheduling 0
		.amdhsa_exception_fp_ieee_invalid_op 0
		.amdhsa_exception_fp_denorm_src 0
		.amdhsa_exception_fp_ieee_div_zero 0
		.amdhsa_exception_fp_ieee_overflow 0
		.amdhsa_exception_fp_ieee_underflow 0
		.amdhsa_exception_fp_ieee_inexact 0
		.amdhsa_exception_int_div_zero 0
	.end_amdhsa_kernel
	.section	.text._ZL32rocblas_gemvt_warp_reduce_kernelILb1ELi1024El16rocblas_bfloat16PKfS0_EviiT3_lPKT2_lT1_lS6_lS7_lS3_lPT4_lS7_li,"axG",@progbits,_ZL32rocblas_gemvt_warp_reduce_kernelILb1ELi1024El16rocblas_bfloat16PKfS0_EviiT3_lPKT2_lT1_lS6_lS7_lS3_lPT4_lS7_li,comdat
.Lfunc_end581:
	.size	_ZL32rocblas_gemvt_warp_reduce_kernelILb1ELi1024El16rocblas_bfloat16PKfS0_EviiT3_lPKT2_lT1_lS6_lS7_lS3_lPT4_lS7_li, .Lfunc_end581-_ZL32rocblas_gemvt_warp_reduce_kernelILb1ELi1024El16rocblas_bfloat16PKfS0_EviiT3_lPKT2_lT1_lS6_lS7_lS3_lPT4_lS7_li
                                        ; -- End function
	.set _ZL32rocblas_gemvt_warp_reduce_kernelILb1ELi1024El16rocblas_bfloat16PKfS0_EviiT3_lPKT2_lT1_lS6_lS7_lS3_lPT4_lS7_li.num_vgpr, 24
	.set _ZL32rocblas_gemvt_warp_reduce_kernelILb1ELi1024El16rocblas_bfloat16PKfS0_EviiT3_lPKT2_lT1_lS6_lS7_lS3_lPT4_lS7_li.num_agpr, 0
	.set _ZL32rocblas_gemvt_warp_reduce_kernelILb1ELi1024El16rocblas_bfloat16PKfS0_EviiT3_lPKT2_lT1_lS6_lS7_lS3_lPT4_lS7_li.numbered_sgpr, 52
	.set _ZL32rocblas_gemvt_warp_reduce_kernelILb1ELi1024El16rocblas_bfloat16PKfS0_EviiT3_lPKT2_lT1_lS6_lS7_lS3_lPT4_lS7_li.num_named_barrier, 0
	.set _ZL32rocblas_gemvt_warp_reduce_kernelILb1ELi1024El16rocblas_bfloat16PKfS0_EviiT3_lPKT2_lT1_lS6_lS7_lS3_lPT4_lS7_li.private_seg_size, 0
	.set _ZL32rocblas_gemvt_warp_reduce_kernelILb1ELi1024El16rocblas_bfloat16PKfS0_EviiT3_lPKT2_lT1_lS6_lS7_lS3_lPT4_lS7_li.uses_vcc, 1
	.set _ZL32rocblas_gemvt_warp_reduce_kernelILb1ELi1024El16rocblas_bfloat16PKfS0_EviiT3_lPKT2_lT1_lS6_lS7_lS3_lPT4_lS7_li.uses_flat_scratch, 0
	.set _ZL32rocblas_gemvt_warp_reduce_kernelILb1ELi1024El16rocblas_bfloat16PKfS0_EviiT3_lPKT2_lT1_lS6_lS7_lS3_lPT4_lS7_li.has_dyn_sized_stack, 0
	.set _ZL32rocblas_gemvt_warp_reduce_kernelILb1ELi1024El16rocblas_bfloat16PKfS0_EviiT3_lPKT2_lT1_lS6_lS7_lS3_lPT4_lS7_li.has_recursion, 0
	.set _ZL32rocblas_gemvt_warp_reduce_kernelILb1ELi1024El16rocblas_bfloat16PKfS0_EviiT3_lPKT2_lT1_lS6_lS7_lS3_lPT4_lS7_li.has_indirect_call, 0
	.section	.AMDGPU.csdata,"",@progbits
; Kernel info:
; codeLenInByte = 2372
; TotalNumSgprs: 54
; NumVgprs: 24
; ScratchSize: 0
; MemoryBound: 0
; FloatMode: 240
; IeeeMode: 1
; LDSByteSize: 128 bytes/workgroup (compile time only)
; SGPRBlocks: 0
; VGPRBlocks: 2
; NumSGPRsForWavesPerEU: 54
; NumVGPRsForWavesPerEU: 24
; Occupancy: 16
; WaveLimiterHint : 0
; COMPUTE_PGM_RSRC2:SCRATCH_EN: 0
; COMPUTE_PGM_RSRC2:USER_SGPR: 2
; COMPUTE_PGM_RSRC2:TRAP_HANDLER: 0
; COMPUTE_PGM_RSRC2:TGID_X_EN: 1
; COMPUTE_PGM_RSRC2:TGID_Y_EN: 0
; COMPUTE_PGM_RSRC2:TGID_Z_EN: 1
; COMPUTE_PGM_RSRC2:TIDIG_COMP_CNT: 0
	.section	.text._ZL32rocblas_gemvt_warp_reduce_kernelILb1ELi1024Ei16rocblas_bfloat16fS0_EviiT3_lPKT2_lT1_lS4_lS5_lS1_lPT4_lS5_li,"axG",@progbits,_ZL32rocblas_gemvt_warp_reduce_kernelILb1ELi1024Ei16rocblas_bfloat16fS0_EviiT3_lPKT2_lT1_lS4_lS5_lS1_lPT4_lS5_li,comdat
	.globl	_ZL32rocblas_gemvt_warp_reduce_kernelILb1ELi1024Ei16rocblas_bfloat16fS0_EviiT3_lPKT2_lT1_lS4_lS5_lS1_lPT4_lS5_li ; -- Begin function _ZL32rocblas_gemvt_warp_reduce_kernelILb1ELi1024Ei16rocblas_bfloat16fS0_EviiT3_lPKT2_lT1_lS4_lS5_lS1_lPT4_lS5_li
	.p2align	8
	.type	_ZL32rocblas_gemvt_warp_reduce_kernelILb1ELi1024Ei16rocblas_bfloat16fS0_EviiT3_lPKT2_lT1_lS4_lS5_lS1_lPT4_lS5_li,@function
_ZL32rocblas_gemvt_warp_reduce_kernelILb1ELi1024Ei16rocblas_bfloat16fS0_EviiT3_lPKT2_lT1_lS4_lS5_lS1_lPT4_lS5_li: ; @_ZL32rocblas_gemvt_warp_reduce_kernelILb1ELi1024Ei16rocblas_bfloat16fS0_EviiT3_lPKT2_lT1_lS4_lS5_lS1_lPT4_lS5_li
; %bb.0:
	s_load_b32 s19, s[0:1], 0x88
	s_lshr_b32 s24, ttmp7, 16
	s_wait_kmcnt 0x0
	s_cmp_ge_u32 s24, s19
	s_cbranch_scc1 .LBB582_59
; %bb.1:
	s_clause 0x9
	s_load_b96 s[20:22], s[0:1], 0x40
	s_load_b128 s[12:15], s[0:1], 0x68
	s_load_b128 s[4:7], s[0:1], 0x18
	s_load_b32 s33, s[0:1], 0x8
	s_load_b96 s[16:18], s[0:1], 0x50
	s_load_b128 s[8:11], s[0:1], 0x30
	s_load_b32 s23, s[0:1], 0x0
	s_load_b32 s3, s[0:1], 0x28
	;; [unrolled: 1-line block ×3, first 2 shown]
	s_load_b64 s[26:27], s[0:1], 0x80
	v_and_b32_e32 v1, 31, v0
	v_mov_b32_e32 v9, 0
	v_lshrrev_b32_e32 v2, 3, v0
	v_mbcnt_lo_u32_b32 v15, -1, 0
	v_cmp_eq_u32_e64 s0, 0, v0
	v_lshlrev_b32_e32 v10, 2, v1
	v_cmp_eq_u32_e64 s2, 0, v1
	v_and_b32_e32 v11, 0x7c, v2
	v_cmp_gt_u32_e64 s1, 32, v0
	v_lshl_or_b32 v16, v15, 2, 64
	s_wait_kmcnt 0x0
	s_lshl_b64 s[20:21], s[20:21], 1
	s_lshl_b64 s[14:15], s[14:15], 1
	s_lshl_b64 s[28:29], s[6:7], 1
	s_cmp_eq_f32 s33, 0
	v_mul_lo_u32 v12, v0, s22
	s_mov_b32 s25, 0
	v_cmp_gt_i32_e32 vcc_lo, s23, v0
	s_cselect_b32 s34, -1, 0
	s_cmp_neq_f32 s33, 0
	s_mul_i32 s38, s3, ttmp9
	s_mul_i32 s30, s30, ttmp9
	v_cndmask_b32_e32 v1, 0, v0, vcc_lo
	s_cselect_b32 s6, -1, 0
	s_cmp_neq_f32 s18, 1.0
	s_delay_alu instid0(VALU_DEP_1) | instskip(SKIP_1) | instid1(SALU_CYCLE_1)
	v_lshlrev_b32_e32 v1, 1, v1
	s_cselect_b32 s7, -1, 0
	s_or_b32 s35, s6, s7
	s_cmp_neq_f32 s18, 0
	s_add_nc_u64 s[6:7], s[10:11], s[20:21]
	s_add_nc_u64 s[10:11], s[12:13], s[14:15]
	;; [unrolled: 1-line block ×3, first 2 shown]
	s_cselect_b32 s36, -1, 0
	s_cmp_eq_f32 s18, 0
	v_add_co_u32 v2, s12, s12, v1
	s_wait_alu 0xf1ff
	v_add_co_ci_u32_e64 v4, null, s13, 0, s12
	s_cselect_b32 s37, -1, 0
	s_ashr_i32 s3, s23, 31
	s_ashr_i32 s39, s38, 31
	s_lshr_b32 s3, s3, 22
	s_lshl_b64 s[14:15], s[38:39], 1
	s_add_co_i32 s3, s23, s3
	v_add_co_u32 v13, vcc_lo, v2, s14
	s_and_b32 s12, s3, 0xfffffc00
	s_add_nc_u64 s[20:21], s[28:29], s[14:15]
	s_wait_alu 0xfffe
	v_or_b32_e32 v5, s12, v0
	s_wait_alu 0xfffd
	v_add_co_ci_u32_e64 v14, null, s15, v4, vcc_lo
	s_add_nc_u64 s[14:15], s[4:5], s[20:21]
	v_cmp_gt_i32_e64 s3, s12, v0
	v_mul_lo_u32 v3, s22, v5
	s_wait_alu 0xfffe
	v_add_co_u32 v1, s5, s14, v1
	v_cmp_gt_i32_e64 s4, s23, v5
	v_add_co_ci_u32_e64 v2, null, s15, 0, s5
	s_ashr_i32 s31, s30, 31
	s_ashr_i32 s13, s12, 31
	v_ashrrev_i32_e32 v4, 31, v3
	s_lshl_b32 s38, s22, 10
	s_lshl_b64 s[14:15], s[8:9], 1
	s_lshl_b64 s[20:21], s[30:31], 1
	s_wait_alu 0xfffe
	s_lshl_b64 s[22:23], s[12:13], 1
	v_lshlrev_b64_e32 v[3:4], 1, v[3:4]
	s_branch .LBB582_4
.LBB582_2:                              ;   in Loop: Header=BB582_4 Depth=1
	s_wait_alu 0xfffe
	s_or_b32 exec_lo, exec_lo, s5
.LBB582_3:                              ;   in Loop: Header=BB582_4 Depth=1
	s_add_co_i32 s24, s24, 0x10000
	s_wait_alu 0xfffe
	s_cmp_lt_u32 s24, s19
	s_cbranch_scc0 .LBB582_59
.LBB582_4:                              ; =>This Loop Header: Depth=1
                                        ;     Child Loop BB582_26 Depth 2
	s_and_not1_b32 vcc_lo, exec_lo, s35
	s_wait_alu 0xfffe
	s_cbranch_vccnz .LBB582_3
; %bb.5:                                ;   in Loop: Header=BB582_4 Depth=1
	s_mul_u64 s[28:29], s[26:27], s[24:25]
	s_and_not1_b32 vcc_lo, exec_lo, s34
	s_lshl_b64 s[28:29], s[28:29], 1
	s_delay_alu instid0(SALU_CYCLE_1)
	s_add_nc_u64 s[28:29], s[10:11], s[28:29]
	s_wait_alu 0xfffe
	s_cbranch_vccnz .LBB582_13
; %bb.6:                                ;   in Loop: Header=BB582_4 Depth=1
	s_mov_b32 s5, 0
	s_mov_b32 s13, 0
                                        ; implicit-def: $sgpr31
	s_and_saveexec_b32 s30, s0
	s_cbranch_execz .LBB582_14
; %bb.7:                                ;   in Loop: Header=BB582_4 Depth=1
	s_and_not1_b32 vcc_lo, exec_lo, s36
	s_wait_alu 0xfffe
	s_cbranch_vccnz .LBB582_56
; %bb.8:                                ;   in Loop: Header=BB582_4 Depth=1
	s_add_nc_u64 s[40:41], s[28:29], s[20:21]
	s_mov_b32 s39, -1
	global_load_u16 v5, v9, s[40:41]
	s_wait_loadcnt 0x0
	v_readfirstlane_b32 s13, v5
	s_lshl_b32 s13, s13, 16
	s_wait_alu 0xfffe
	s_mul_f32 s13, s18, s13
	s_wait_alu 0xfffe
	s_delay_alu instid0(SALU_CYCLE_2)
	s_and_b32 s31, s13, 0x7f800000
	s_wait_alu 0xfffe
	s_cmp_eq_u32 s31, 0x7f800000
                                        ; implicit-def: $sgpr31
	s_cbranch_scc1 .LBB582_10
; %bb.9:                                ;   in Loop: Header=BB582_4 Depth=1
	s_bfe_u32 s31, s13, 0x10010
	s_mov_b32 s39, 0
	s_wait_alu 0xfffe
	s_add_co_i32 s31, s13, s31
	s_wait_alu 0xfffe
	s_addk_co_i32 s31, 0x7fff
.LBB582_10:                             ;   in Loop: Header=BB582_4 Depth=1
	s_and_not1_b32 vcc_lo, exec_lo, s39
	s_wait_alu 0xfffe
	s_cbranch_vccnz .LBB582_12
; %bb.11:                               ;   in Loop: Header=BB582_4 Depth=1
	s_and_b32 s31, s13, 0xffff
	s_or_b32 s39, s13, 0x10000
	s_wait_alu 0xfffe
	s_cmp_eq_u32 s31, 0
	s_cselect_b32 s31, s13, s39
.LBB582_12:                             ;   in Loop: Header=BB582_4 Depth=1
	s_wait_alu 0xfffe
	s_lshr_b32 s31, s31, 16
	s_mov_b32 s13, exec_lo
	s_or_b32 exec_lo, exec_lo, s30
	s_delay_alu instid0(SALU_CYCLE_1)
	s_and_b32 vcc_lo, exec_lo, s5
	s_wait_alu 0xfffe
	s_cbranch_vccnz .LBB582_15
	s_branch .LBB582_57
.LBB582_13:                             ;   in Loop: Header=BB582_4 Depth=1
	s_mov_b32 s13, 0
                                        ; implicit-def: $sgpr31
	s_cbranch_execnz .LBB582_15
	s_branch .LBB582_57
.LBB582_14:                             ;   in Loop: Header=BB582_4 Depth=1
	s_wait_alu 0xfffe
	s_or_b32 exec_lo, exec_lo, s30
	s_delay_alu instid0(SALU_CYCLE_1)
	s_and_b32 vcc_lo, exec_lo, s5
	s_wait_alu 0xfffe
	s_cbranch_vccz .LBB582_57
.LBB582_15:                             ;   in Loop: Header=BB582_4 Depth=1
	s_mul_u64 s[30:31], s[16:17], s[24:25]
	s_wait_dscnt 0x0
	v_mov_b32_e32 v17, 0
	s_wait_alu 0xfffe
	s_lshl_b64 s[30:31], s[30:31], 1
	s_wait_alu 0xfffe
	s_add_nc_u64 s[30:31], s[6:7], s[30:31]
	s_and_saveexec_b32 s39, s3
	s_cbranch_execnz .LBB582_24
; %bb.16:                               ;   in Loop: Header=BB582_4 Depth=1
	s_wait_alu 0xfffe
	s_or_b32 exec_lo, exec_lo, s39
	s_and_saveexec_b32 s5, s4
	s_cbranch_execnz .LBB582_51
.LBB582_17:                             ;   in Loop: Header=BB582_4 Depth=1
	s_wait_alu 0xfffe
	s_or_b32 exec_lo, exec_lo, s5
	s_and_saveexec_b32 s5, s1
.LBB582_18:                             ;   in Loop: Header=BB582_4 Depth=1
	ds_store_b32 v10, v9
.LBB582_19:                             ;   in Loop: Header=BB582_4 Depth=1
	s_wait_alu 0xfffe
	s_or_b32 exec_lo, exec_lo, s5
	ds_bpermute_b32 v6, v16, v17
	v_cmp_gt_u32_e32 vcc_lo, 24, v15
	s_wait_dscnt 0x0
	s_barrier_signal -1
	s_barrier_wait -1
	global_inv scope:SCOPE_SE
	s_wait_alu 0xfffd
	v_cndmask_b32_e64 v5, 0, 8, vcc_lo
	v_cmp_gt_u32_e32 vcc_lo, 28, v15
	s_delay_alu instid0(VALU_DEP_2)
	v_add_lshl_u32 v5, v5, v15, 2
	v_add_f32_e32 v7, v17, v6
	s_wait_alu 0xfffd
	v_cndmask_b32_e64 v6, 0, 4, vcc_lo
	v_cmp_gt_u32_e32 vcc_lo, 30, v15
	ds_bpermute_b32 v8, v5, v7
	v_add_lshl_u32 v6, v6, v15, 2
	s_wait_dscnt 0x0
	v_add_f32_e32 v8, v7, v8
	s_wait_alu 0xfffd
	v_cndmask_b32_e64 v7, 0, 2, vcc_lo
	v_cmp_ne_u32_e32 vcc_lo, 31, v15
	ds_bpermute_b32 v17, v6, v8
	v_add_lshl_u32 v7, v7, v15, 2
	s_wait_alu 0xfffd
	v_add_co_ci_u32_e64 v18, null, 0, v15, vcc_lo
	s_wait_dscnt 0x0
	v_add_f32_e32 v8, v8, v17
	ds_bpermute_b32 v17, v7, v8
	s_wait_dscnt 0x0
	v_dual_add_f32 v17, v8, v17 :: v_dual_lshlrev_b32 v8, 2, v18
	ds_bpermute_b32 v18, v8, v17
	s_and_saveexec_b32 s5, s2
	s_cbranch_execz .LBB582_21
; %bb.20:                               ;   in Loop: Header=BB582_4 Depth=1
	s_wait_dscnt 0x0
	v_add_f32_e32 v17, v17, v18
	ds_store_b32 v11, v17
.LBB582_21:                             ;   in Loop: Header=BB582_4 Depth=1
	s_wait_alu 0xfffe
	s_or_b32 exec_lo, exec_lo, s5
	v_mov_b32_e32 v17, 0
	s_wait_loadcnt_dscnt 0x0
	s_barrier_signal -1
	s_barrier_wait -1
	global_inv scope:SCOPE_SE
	s_and_saveexec_b32 s5, s1
	s_cbranch_execnz .LBB582_30
; %bb.22:                               ;   in Loop: Header=BB582_4 Depth=1
	s_wait_alu 0xfffe
	s_or_b32 exec_lo, exec_lo, s5
	s_and_saveexec_b32 s5, s1
	s_cbranch_execnz .LBB582_31
.LBB582_23:                             ;   in Loop: Header=BB582_4 Depth=1
	s_wait_alu 0xfffe
	s_or_b32 exec_lo, exec_lo, s5
                                        ; implicit-def: $vgpr5
	s_and_saveexec_b32 s5, s0
	s_cbranch_execnz .LBB582_32
	s_branch .LBB582_49
.LBB582_24:                             ;   in Loop: Header=BB582_4 Depth=1
	v_mad_co_u64_u32 v[5:6], null, s14, s24, v[1:2]
	v_dual_mov_b32 v17, 0 :: v_dual_mov_b32 v18, v0
	s_mov_b32 s40, 0
	s_delay_alu instid0(VALU_DEP_2)
	v_mad_co_u64_u32 v[6:7], null, s15, s24, v[6:7]
	v_mov_b32_e32 v7, v12
	s_branch .LBB582_26
.LBB582_25:                             ;   in Loop: Header=BB582_26 Depth=2
	s_wait_alu 0xfffe
	s_or_b32 exec_lo, exec_lo, s5
	s_delay_alu instid0(VALU_DEP_1) | instskip(SKIP_3) | instid1(VALU_DEP_4)
	v_and_b32_e32 v8, 0xffff0000, v19
	v_add_nc_u32_e32 v18, 0x400, v18
	v_add_co_u32 v5, s5, 0x800, v5
	v_add_nc_u32_e32 v7, s38, v7
	v_add_f32_e32 v17, v17, v8
	s_delay_alu instid0(VALU_DEP_4)
	v_cmp_le_i32_e32 vcc_lo, s12, v18
	s_wait_alu 0xf1ff
	v_add_co_ci_u32_e64 v6, null, 0, v6, s5
	s_or_b32 s40, vcc_lo, s40
	s_wait_alu 0xfffe
	s_and_not1_b32 exec_lo, exec_lo, s40
	s_cbranch_execz .LBB582_50
.LBB582_26:                             ;   Parent Loop BB582_4 Depth=1
                                        ; =>  This Inner Loop Header: Depth=2
	s_delay_alu instid0(VALU_DEP_1) | instskip(NEXT) | instid1(VALU_DEP_1)
	v_ashrrev_i32_e32 v8, 31, v7
	v_lshlrev_b64_e32 v[19:20], 1, v[7:8]
	s_wait_alu 0xfffe
	s_delay_alu instid0(VALU_DEP_1) | instskip(SKIP_1) | instid1(VALU_DEP_2)
	v_add_co_u32 v19, vcc_lo, s30, v19
	s_wait_alu 0xfffd
	v_add_co_ci_u32_e64 v20, null, s31, v20, vcc_lo
	global_load_u16 v8, v[5:6], off
	global_load_u16 v19, v[19:20], off
	s_wait_loadcnt 0x1
	v_lshlrev_b32_e32 v8, 16, v8
	s_wait_loadcnt 0x0
	v_lshlrev_b32_e32 v19, 16, v19
	s_delay_alu instid0(VALU_DEP_1) | instskip(NEXT) | instid1(VALU_DEP_1)
	v_mul_f32_e32 v8, v8, v19
	v_and_b32_e32 v19, 0x7f800000, v8
	s_delay_alu instid0(VALU_DEP_1)
	v_cmp_ne_u32_e32 vcc_lo, 0x7f800000, v19
                                        ; implicit-def: $vgpr19
	s_and_saveexec_b32 s5, vcc_lo
	s_wait_alu 0xfffe
	s_xor_b32 s5, exec_lo, s5
; %bb.27:                               ;   in Loop: Header=BB582_26 Depth=2
	v_bfe_u32 v19, v8, 16, 1
	s_delay_alu instid0(VALU_DEP_1)
	v_add3_u32 v19, v8, v19, 0x7fff
                                        ; implicit-def: $vgpr8
; %bb.28:                               ;   in Loop: Header=BB582_26 Depth=2
	s_wait_alu 0xfffe
	s_and_not1_saveexec_b32 s5, s5
	s_cbranch_execz .LBB582_25
; %bb.29:                               ;   in Loop: Header=BB582_26 Depth=2
	v_and_b32_e32 v19, 0xffff, v8
	v_or_b32_e32 v20, 0x10000, v8
	s_delay_alu instid0(VALU_DEP_2) | instskip(SKIP_1) | instid1(VALU_DEP_2)
	v_cmp_eq_u32_e32 vcc_lo, 0, v19
	s_wait_alu 0xfffd
	v_cndmask_b32_e32 v19, v20, v8, vcc_lo
	s_branch .LBB582_25
.LBB582_30:                             ;   in Loop: Header=BB582_4 Depth=1
	ds_load_b32 v17, v10
	s_wait_alu 0xfffe
	s_or_b32 exec_lo, exec_lo, s5
	s_and_saveexec_b32 s5, s1
	s_cbranch_execz .LBB582_23
.LBB582_31:                             ;   in Loop: Header=BB582_4 Depth=1
	s_wait_dscnt 0x0
	ds_bpermute_b32 v18, v16, v17
	s_wait_dscnt 0x0
	v_add_f32_e32 v17, v17, v18
	ds_bpermute_b32 v5, v5, v17
	s_wait_dscnt 0x0
	v_add_f32_e32 v5, v17, v5
	;; [unrolled: 3-line block ×5, first 2 shown]
	s_wait_alu 0xfffe
	s_or_b32 exec_lo, exec_lo, s5
                                        ; implicit-def: $vgpr5
	s_and_saveexec_b32 s5, s0
	s_cbranch_execz .LBB582_49
.LBB582_32:                             ;   in Loop: Header=BB582_4 Depth=1
	s_wait_dscnt 0x0
	v_mul_f32_e32 v5, s33, v17
	s_and_b32 vcc_lo, exec_lo, s37
	s_mov_b32 s30, -1
                                        ; implicit-def: $vgpr6
	s_wait_alu 0xfffe
	s_cbranch_vccz .LBB582_38
; %bb.33:                               ;   in Loop: Header=BB582_4 Depth=1
	v_and_b32_e32 v6, 0x7f800000, v5
	s_delay_alu instid0(VALU_DEP_1)
	v_cmp_ne_u32_e32 vcc_lo, 0x7f800000, v6
                                        ; implicit-def: $vgpr6
	s_and_saveexec_b32 s30, vcc_lo
	s_wait_alu 0xfffe
	s_xor_b32 s30, exec_lo, s30
; %bb.34:                               ;   in Loop: Header=BB582_4 Depth=1
	v_bfe_u32 v6, v5, 16, 1
	s_delay_alu instid0(VALU_DEP_1)
	v_add3_u32 v6, v5, v6, 0x7fff
; %bb.35:                               ;   in Loop: Header=BB582_4 Depth=1
	s_wait_alu 0xfffe
	s_and_not1_saveexec_b32 s30, s30
; %bb.36:                               ;   in Loop: Header=BB582_4 Depth=1
	v_and_b32_e32 v6, 0xffff, v5
	v_or_b32_e32 v7, 0x10000, v5
	s_delay_alu instid0(VALU_DEP_2) | instskip(SKIP_1) | instid1(VALU_DEP_2)
	v_cmp_eq_u32_e32 vcc_lo, 0, v6
	s_wait_alu 0xfffd
	v_cndmask_b32_e32 v6, v7, v5, vcc_lo
; %bb.37:                               ;   in Loop: Header=BB582_4 Depth=1
	s_wait_alu 0xfffe
	s_or_b32 exec_lo, exec_lo, s30
	s_mov_b32 s30, 0
.LBB582_38:                             ;   in Loop: Header=BB582_4 Depth=1
	s_wait_alu 0xfffe
	s_and_not1_b32 vcc_lo, exec_lo, s30
	s_wait_alu 0xfffe
	s_cbranch_vccnz .LBB582_48
; %bb.39:                               ;   in Loop: Header=BB582_4 Depth=1
	s_add_nc_u64 s[30:31], s[28:29], s[20:21]
	s_mov_b32 s39, -1
	global_load_u16 v6, v9, s[30:31]
	s_wait_loadcnt 0x0
	v_readfirstlane_b32 s30, v6
	s_wait_alu 0xfffe
	s_lshl_b32 s30, s30, 16
	s_wait_alu 0xfffe
	s_mul_f32 s30, s18, s30
	s_wait_alu 0xfffe
	s_delay_alu instid0(SALU_CYCLE_2)
	s_and_b32 s31, s30, 0x7f800000
	s_wait_alu 0xfffe
	s_cmp_eq_u32 s31, 0x7f800000
                                        ; implicit-def: $sgpr31
	s_cbranch_scc1 .LBB582_41
; %bb.40:                               ;   in Loop: Header=BB582_4 Depth=1
	s_bfe_u32 s31, s30, 0x10010
	s_mov_b32 s39, 0
	s_wait_alu 0xfffe
	s_add_co_i32 s31, s30, s31
	s_wait_alu 0xfffe
	s_addk_co_i32 s31, 0x7fff
.LBB582_41:                             ;   in Loop: Header=BB582_4 Depth=1
	s_and_not1_b32 vcc_lo, exec_lo, s39
	s_wait_alu 0xfffe
	s_cbranch_vccnz .LBB582_43
; %bb.42:                               ;   in Loop: Header=BB582_4 Depth=1
	s_and_b32 s31, s30, 0xffff
	s_or_b32 s39, s30, 0x10000
	s_wait_alu 0xfffe
	s_cmp_eq_u32 s31, 0
	s_cselect_b32 s31, s30, s39
.LBB582_43:                             ;   in Loop: Header=BB582_4 Depth=1
	s_wait_alu 0xfffe
	s_and_b32 s30, s31, 0xffff0000
	s_wait_alu 0xfffe
	v_add_f32_e32 v5, s30, v5
	s_delay_alu instid0(VALU_DEP_1) | instskip(NEXT) | instid1(VALU_DEP_1)
	v_and_b32_e32 v6, 0x7f800000, v5
	v_cmp_ne_u32_e32 vcc_lo, 0x7f800000, v6
                                        ; implicit-def: $vgpr6
	s_and_saveexec_b32 s30, vcc_lo
	s_wait_alu 0xfffe
	s_xor_b32 s30, exec_lo, s30
; %bb.44:                               ;   in Loop: Header=BB582_4 Depth=1
	v_bfe_u32 v6, v5, 16, 1
	s_delay_alu instid0(VALU_DEP_1)
	v_add3_u32 v6, v5, v6, 0x7fff
                                        ; implicit-def: $vgpr5
; %bb.45:                               ;   in Loop: Header=BB582_4 Depth=1
	s_wait_alu 0xfffe
	s_and_not1_saveexec_b32 s30, s30
; %bb.46:                               ;   in Loop: Header=BB582_4 Depth=1
	v_and_b32_e32 v6, 0xffff, v5
	v_or_b32_e32 v7, 0x10000, v5
	s_delay_alu instid0(VALU_DEP_2) | instskip(SKIP_1) | instid1(VALU_DEP_2)
	v_cmp_eq_u32_e32 vcc_lo, 0, v6
	s_wait_alu 0xfffd
	v_cndmask_b32_e32 v6, v7, v5, vcc_lo
; %bb.47:                               ;   in Loop: Header=BB582_4 Depth=1
	s_wait_alu 0xfffe
	s_or_b32 exec_lo, exec_lo, s30
.LBB582_48:                             ;   in Loop: Header=BB582_4 Depth=1
	s_delay_alu instid0(VALU_DEP_1)
	v_lshrrev_b32_e32 v5, 16, v6
	s_or_b32 s13, s13, exec_lo
.LBB582_49:                             ;   in Loop: Header=BB582_4 Depth=1
	s_wait_alu 0xfffe
	s_or_b32 exec_lo, exec_lo, s5
	s_and_saveexec_b32 s5, s13
	s_cbranch_execz .LBB582_2
	s_branch .LBB582_58
.LBB582_50:                             ;   in Loop: Header=BB582_4 Depth=1
	s_or_b32 exec_lo, exec_lo, s40
	s_delay_alu instid0(SALU_CYCLE_1)
	s_or_b32 exec_lo, exec_lo, s39
	s_and_saveexec_b32 s5, s4
	s_cbranch_execz .LBB582_17
.LBB582_51:                             ;   in Loop: Header=BB582_4 Depth=1
	s_mul_u64 s[40:41], s[8:9], s[24:25]
	s_wait_alu 0xfffe
	s_lshl_b64 s[40:41], s[40:41], 1
	s_wait_alu 0xfffe
	v_add_co_u32 v5, vcc_lo, v13, s40
	s_wait_alu 0xfffd
	v_add_co_ci_u32_e64 v6, null, s41, v14, vcc_lo
	s_delay_alu instid0(VALU_DEP_2) | instskip(SKIP_1) | instid1(VALU_DEP_2)
	v_add_co_u32 v5, vcc_lo, v5, s22
	s_wait_alu 0xfffd
	v_add_co_ci_u32_e64 v6, null, s23, v6, vcc_lo
	v_add_co_u32 v7, vcc_lo, s30, v3
	s_wait_alu 0xfffd
	v_add_co_ci_u32_e64 v8, null, s31, v4, vcc_lo
	global_load_u16 v5, v[5:6], off
	global_load_u16 v6, v[7:8], off
	s_wait_loadcnt 0x1
	v_lshlrev_b32_e32 v5, 16, v5
	s_wait_loadcnt 0x0
	v_lshlrev_b32_e32 v6, 16, v6
	s_delay_alu instid0(VALU_DEP_1) | instskip(NEXT) | instid1(VALU_DEP_1)
	v_mul_f32_e32 v5, v5, v6
	v_and_b32_e32 v6, 0x7f800000, v5
	s_delay_alu instid0(VALU_DEP_1)
	v_cmp_ne_u32_e32 vcc_lo, 0x7f800000, v6
                                        ; implicit-def: $vgpr6
	s_and_saveexec_b32 s30, vcc_lo
	s_wait_alu 0xfffe
	s_xor_b32 s30, exec_lo, s30
; %bb.52:                               ;   in Loop: Header=BB582_4 Depth=1
	v_bfe_u32 v6, v5, 16, 1
	s_delay_alu instid0(VALU_DEP_1)
	v_add3_u32 v6, v5, v6, 0x7fff
                                        ; implicit-def: $vgpr5
; %bb.53:                               ;   in Loop: Header=BB582_4 Depth=1
	s_wait_alu 0xfffe
	s_and_not1_saveexec_b32 s30, s30
; %bb.54:                               ;   in Loop: Header=BB582_4 Depth=1
	v_and_b32_e32 v6, 0xffff, v5
	v_or_b32_e32 v7, 0x10000, v5
	s_delay_alu instid0(VALU_DEP_2) | instskip(SKIP_1) | instid1(VALU_DEP_2)
	v_cmp_eq_u32_e32 vcc_lo, 0, v6
	s_wait_alu 0xfffd
	v_cndmask_b32_e32 v6, v7, v5, vcc_lo
; %bb.55:                               ;   in Loop: Header=BB582_4 Depth=1
	s_wait_alu 0xfffe
	s_or_b32 exec_lo, exec_lo, s30
	s_delay_alu instid0(VALU_DEP_1) | instskip(NEXT) | instid1(VALU_DEP_1)
	v_and_b32_e32 v5, 0xffff0000, v6
	v_add_f32_e32 v17, v17, v5
	s_or_b32 exec_lo, exec_lo, s5
	s_and_saveexec_b32 s5, s1
	s_cbranch_execnz .LBB582_18
	s_branch .LBB582_19
.LBB582_56:                             ;   in Loop: Header=BB582_4 Depth=1
	s_mov_b32 s31, 0
	s_mov_b32 s13, exec_lo
	s_or_b32 exec_lo, exec_lo, s30
	s_delay_alu instid0(SALU_CYCLE_1)
	s_and_b32 vcc_lo, exec_lo, s5
	s_wait_alu 0xfffe
	s_cbranch_vccnz .LBB582_15
.LBB582_57:                             ;   in Loop: Header=BB582_4 Depth=1
	v_mov_b32_e32 v5, s31
	s_wait_alu 0xfffe
	s_and_saveexec_b32 s5, s13
	s_cbranch_execz .LBB582_2
.LBB582_58:                             ;   in Loop: Header=BB582_4 Depth=1
	s_add_nc_u64 s[28:29], s[28:29], s[20:21]
	global_store_b16 v9, v5, s[28:29]
	s_branch .LBB582_2
.LBB582_59:
	s_endpgm
	.section	.rodata,"a",@progbits
	.p2align	6, 0x0
	.amdhsa_kernel _ZL32rocblas_gemvt_warp_reduce_kernelILb1ELi1024Ei16rocblas_bfloat16fS0_EviiT3_lPKT2_lT1_lS4_lS5_lS1_lPT4_lS5_li
		.amdhsa_group_segment_fixed_size 128
		.amdhsa_private_segment_fixed_size 0
		.amdhsa_kernarg_size 140
		.amdhsa_user_sgpr_count 2
		.amdhsa_user_sgpr_dispatch_ptr 0
		.amdhsa_user_sgpr_queue_ptr 0
		.amdhsa_user_sgpr_kernarg_segment_ptr 1
		.amdhsa_user_sgpr_dispatch_id 0
		.amdhsa_user_sgpr_private_segment_size 0
		.amdhsa_wavefront_size32 1
		.amdhsa_uses_dynamic_stack 0
		.amdhsa_enable_private_segment 0
		.amdhsa_system_sgpr_workgroup_id_x 1
		.amdhsa_system_sgpr_workgroup_id_y 0
		.amdhsa_system_sgpr_workgroup_id_z 1
		.amdhsa_system_sgpr_workgroup_info 0
		.amdhsa_system_vgpr_workitem_id 0
		.amdhsa_next_free_vgpr 21
		.amdhsa_next_free_sgpr 42
		.amdhsa_reserve_vcc 1
		.amdhsa_float_round_mode_32 0
		.amdhsa_float_round_mode_16_64 0
		.amdhsa_float_denorm_mode_32 3
		.amdhsa_float_denorm_mode_16_64 3
		.amdhsa_fp16_overflow 0
		.amdhsa_workgroup_processor_mode 1
		.amdhsa_memory_ordered 1
		.amdhsa_forward_progress 1
		.amdhsa_inst_pref_size 19
		.amdhsa_round_robin_scheduling 0
		.amdhsa_exception_fp_ieee_invalid_op 0
		.amdhsa_exception_fp_denorm_src 0
		.amdhsa_exception_fp_ieee_div_zero 0
		.amdhsa_exception_fp_ieee_overflow 0
		.amdhsa_exception_fp_ieee_underflow 0
		.amdhsa_exception_fp_ieee_inexact 0
		.amdhsa_exception_int_div_zero 0
	.end_amdhsa_kernel
	.section	.text._ZL32rocblas_gemvt_warp_reduce_kernelILb1ELi1024Ei16rocblas_bfloat16fS0_EviiT3_lPKT2_lT1_lS4_lS5_lS1_lPT4_lS5_li,"axG",@progbits,_ZL32rocblas_gemvt_warp_reduce_kernelILb1ELi1024Ei16rocblas_bfloat16fS0_EviiT3_lPKT2_lT1_lS4_lS5_lS1_lPT4_lS5_li,comdat
.Lfunc_end582:
	.size	_ZL32rocblas_gemvt_warp_reduce_kernelILb1ELi1024Ei16rocblas_bfloat16fS0_EviiT3_lPKT2_lT1_lS4_lS5_lS1_lPT4_lS5_li, .Lfunc_end582-_ZL32rocblas_gemvt_warp_reduce_kernelILb1ELi1024Ei16rocblas_bfloat16fS0_EviiT3_lPKT2_lT1_lS4_lS5_lS1_lPT4_lS5_li
                                        ; -- End function
	.set _ZL32rocblas_gemvt_warp_reduce_kernelILb1ELi1024Ei16rocblas_bfloat16fS0_EviiT3_lPKT2_lT1_lS4_lS5_lS1_lPT4_lS5_li.num_vgpr, 21
	.set _ZL32rocblas_gemvt_warp_reduce_kernelILb1ELi1024Ei16rocblas_bfloat16fS0_EviiT3_lPKT2_lT1_lS4_lS5_lS1_lPT4_lS5_li.num_agpr, 0
	.set _ZL32rocblas_gemvt_warp_reduce_kernelILb1ELi1024Ei16rocblas_bfloat16fS0_EviiT3_lPKT2_lT1_lS4_lS5_lS1_lPT4_lS5_li.numbered_sgpr, 42
	.set _ZL32rocblas_gemvt_warp_reduce_kernelILb1ELi1024Ei16rocblas_bfloat16fS0_EviiT3_lPKT2_lT1_lS4_lS5_lS1_lPT4_lS5_li.num_named_barrier, 0
	.set _ZL32rocblas_gemvt_warp_reduce_kernelILb1ELi1024Ei16rocblas_bfloat16fS0_EviiT3_lPKT2_lT1_lS4_lS5_lS1_lPT4_lS5_li.private_seg_size, 0
	.set _ZL32rocblas_gemvt_warp_reduce_kernelILb1ELi1024Ei16rocblas_bfloat16fS0_EviiT3_lPKT2_lT1_lS4_lS5_lS1_lPT4_lS5_li.uses_vcc, 1
	.set _ZL32rocblas_gemvt_warp_reduce_kernelILb1ELi1024Ei16rocblas_bfloat16fS0_EviiT3_lPKT2_lT1_lS4_lS5_lS1_lPT4_lS5_li.uses_flat_scratch, 0
	.set _ZL32rocblas_gemvt_warp_reduce_kernelILb1ELi1024Ei16rocblas_bfloat16fS0_EviiT3_lPKT2_lT1_lS4_lS5_lS1_lPT4_lS5_li.has_dyn_sized_stack, 0
	.set _ZL32rocblas_gemvt_warp_reduce_kernelILb1ELi1024Ei16rocblas_bfloat16fS0_EviiT3_lPKT2_lT1_lS4_lS5_lS1_lPT4_lS5_li.has_recursion, 0
	.set _ZL32rocblas_gemvt_warp_reduce_kernelILb1ELi1024Ei16rocblas_bfloat16fS0_EviiT3_lPKT2_lT1_lS4_lS5_lS1_lPT4_lS5_li.has_indirect_call, 0
	.section	.AMDGPU.csdata,"",@progbits
; Kernel info:
; codeLenInByte = 2368
; TotalNumSgprs: 44
; NumVgprs: 21
; ScratchSize: 0
; MemoryBound: 0
; FloatMode: 240
; IeeeMode: 1
; LDSByteSize: 128 bytes/workgroup (compile time only)
; SGPRBlocks: 0
; VGPRBlocks: 2
; NumSGPRsForWavesPerEU: 44
; NumVGPRsForWavesPerEU: 21
; Occupancy: 16
; WaveLimiterHint : 0
; COMPUTE_PGM_RSRC2:SCRATCH_EN: 0
; COMPUTE_PGM_RSRC2:USER_SGPR: 2
; COMPUTE_PGM_RSRC2:TRAP_HANDLER: 0
; COMPUTE_PGM_RSRC2:TGID_X_EN: 1
; COMPUTE_PGM_RSRC2:TGID_Y_EN: 0
; COMPUTE_PGM_RSRC2:TGID_Z_EN: 1
; COMPUTE_PGM_RSRC2:TIDIG_COMP_CNT: 0
	.section	.text._ZL32rocblas_gemvt_warp_reduce_kernelILb1ELi1024El16rocblas_bfloat16fS0_EviiT3_lPKT2_lT1_lS4_lS5_lS1_lPT4_lS5_li,"axG",@progbits,_ZL32rocblas_gemvt_warp_reduce_kernelILb1ELi1024El16rocblas_bfloat16fS0_EviiT3_lPKT2_lT1_lS4_lS5_lS1_lPT4_lS5_li,comdat
	.globl	_ZL32rocblas_gemvt_warp_reduce_kernelILb1ELi1024El16rocblas_bfloat16fS0_EviiT3_lPKT2_lT1_lS4_lS5_lS1_lPT4_lS5_li ; -- Begin function _ZL32rocblas_gemvt_warp_reduce_kernelILb1ELi1024El16rocblas_bfloat16fS0_EviiT3_lPKT2_lT1_lS4_lS5_lS1_lPT4_lS5_li
	.p2align	8
	.type	_ZL32rocblas_gemvt_warp_reduce_kernelILb1ELi1024El16rocblas_bfloat16fS0_EviiT3_lPKT2_lT1_lS4_lS5_lS1_lPT4_lS5_li,@function
_ZL32rocblas_gemvt_warp_reduce_kernelILb1ELi1024El16rocblas_bfloat16fS0_EviiT3_lPKT2_lT1_lS4_lS5_lS1_lPT4_lS5_li: ; @_ZL32rocblas_gemvt_warp_reduce_kernelILb1ELi1024El16rocblas_bfloat16fS0_EviiT3_lPKT2_lT1_lS4_lS5_lS1_lPT4_lS5_li
; %bb.0:
	s_load_b32 s33, s[0:1], 0x88
	s_lshr_b32 s6, ttmp7, 16
	s_wait_kmcnt 0x0
	s_cmp_ge_u32 s6, s33
	s_cbranch_scc1 .LBB583_59
; %bb.1:
	s_clause 0x4
	s_load_b512 s[8:23], s[0:1], 0x18
	s_load_b256 s[24:31], s[0:1], 0x68
	s_load_b32 s34, s[0:1], 0x8
	s_load_b32 s35, s[0:1], 0x58
	;; [unrolled: 1-line block ×3, first 2 shown]
	v_and_b32_e32 v1, 31, v0
	v_mov_b32_e32 v11, 0
	s_mov_b32 s4, ttmp9
	v_lshrrev_b32_e32 v4, 3, v0
	v_mbcnt_lo_u32_b32 v16, -1, 0
	v_lshlrev_b32_e32 v12, 2, v1
	v_cmp_eq_u32_e64 s2, 0, v1
	v_cmp_eq_u32_e64 s0, 0, v0
	v_and_b32_e32 v15, 0x7c, v4
	v_cmp_gt_u32_e64 s1, 32, v0
	v_lshl_or_b32 v17, v16, 2, 64
	s_mov_b32 s7, 0
	s_wait_kmcnt 0x0
	s_lshl_b64 s[18:19], s[18:19], 1
	s_lshl_b64 s[26:27], s[26:27], 1
	;; [unrolled: 1-line block ×3, first 2 shown]
	s_cmp_eq_f32 s34, 0
	v_cmp_gt_i32_e32 vcc_lo, s42, v0
	v_mad_co_u64_u32 v[1:2], null, s20, v0, 0
	s_cselect_b32 s36, -1, 0
	s_cmp_neq_f32 s34, 0
	v_cndmask_b32_e32 v3, 0, v0, vcc_lo
	s_add_nc_u64 s[10:11], s[16:17], s[18:19]
	s_add_nc_u64 s[18:19], s[8:9], s[40:41]
	s_cselect_b32 s3, -1, 0
	s_cmp_neq_f32 s35, 1.0
	v_lshlrev_b32_e32 v7, 1, v3
	v_mad_co_u64_u32 v[2:3], null, s21, v0, v[2:3]
	s_cselect_b32 s5, -1, 0
	s_add_nc_u64 s[16:17], s[24:25], s[26:27]
	s_or_b32 s37, s3, s5
	s_cmp_neq_f32 s35, 0
	v_add_co_u32 v3, s5, s18, v7
	s_delay_alu instid0(VALU_DEP_1)
	v_add_co_ci_u32_e64 v8, null, s19, 0, s5
	s_cselect_b32 s38, -1, 0
	s_cmp_eq_f32 s35, 0
	s_cselect_b32 s39, -1, 0
	s_ashr_i32 s3, s42, 31
	s_ashr_i32 s5, ttmp9, 31
	s_lshr_b32 s3, s3, 22
	s_wait_alu 0xfffe
	s_mul_u64 s[12:13], s[12:13], s[4:5]
	s_add_co_i32 s3, s42, s3
	s_mul_u64 s[24:25], s[28:29], s[4:5]
	s_and_b32 s18, s3, 0xfffffc00
	s_lshl_b64 s[4:5], s[12:13], 1
	s_wait_alu 0xfffe
	v_or_b32_e32 v9, s18, v0
	v_add_co_u32 v13, vcc_lo, v3, s4
	s_ashr_i32 s19, s18, 31
	s_wait_alu 0xfffd
	v_add_co_ci_u32_e64 v14, null, s5, v8, vcc_lo
	v_mul_lo_u32 v10, s21, v9
	v_mad_co_u64_u32 v[5:6], null, s20, v9, 0
	s_add_nc_u64 s[12:13], s[4:5], s[40:41]
	s_wait_alu 0xfffe
	s_mul_i32 s5, s20, s19
	v_lshlrev_b64_e32 v[3:4], 1, v[1:2]
	s_add_nc_u64 s[8:9], s[8:9], s[12:13]
	v_cmp_gt_i32_e64 s3, s18, v0
	v_cmp_gt_i32_e64 s4, s42, v9
	s_wait_alu 0xfffe
	v_add3_u32 v6, v6, s5, v10
	v_add_co_u32 v1, s5, s8, v7
	v_add_co_u32 v3, vcc_lo, s10, v3
	s_delay_alu instid0(VALU_DEP_3)
	v_lshlrev_b64_e32 v[5:6], 1, v[5:6]
	s_wait_alu 0xf1ff
	v_add_co_ci_u32_e64 v2, null, s9, 0, s5
	s_wait_alu 0xfffd
	v_add_co_ci_u32_e64 v4, null, s11, v4, vcc_lo
	s_lshl_b64 s[8:9], s[14:15], 1
	s_lshl_b64 s[12:13], s[22:23], 1
	;; [unrolled: 1-line block ×5, first 2 shown]
	s_branch .LBB583_4
.LBB583_2:                              ;   in Loop: Header=BB583_4 Depth=1
	s_wait_alu 0xfffe
	s_or_b32 exec_lo, exec_lo, s5
.LBB583_3:                              ;   in Loop: Header=BB583_4 Depth=1
	s_add_co_i32 s6, s6, 0x10000
	s_wait_alu 0xfffe
	s_cmp_lt_u32 s6, s33
	s_cbranch_scc0 .LBB583_59
.LBB583_4:                              ; =>This Loop Header: Depth=1
                                        ;     Child Loop BB583_26 Depth 2
	s_and_not1_b32 vcc_lo, exec_lo, s37
	s_wait_alu 0xfffe
	s_cbranch_vccnz .LBB583_3
; %bb.5:                                ;   in Loop: Header=BB583_4 Depth=1
	s_mul_u64 s[28:29], s[30:31], s[6:7]
	s_and_not1_b32 vcc_lo, exec_lo, s36
	s_lshl_b64 s[28:29], s[28:29], 1
	s_delay_alu instid0(SALU_CYCLE_1)
	s_add_nc_u64 s[28:29], s[16:17], s[28:29]
	s_wait_alu 0xfffe
	s_cbranch_vccnz .LBB583_13
; %bb.6:                                ;   in Loop: Header=BB583_4 Depth=1
	s_mov_b32 s5, 0
	s_mov_b32 s19, 0
                                        ; implicit-def: $sgpr41
	s_and_saveexec_b32 s40, s0
	s_cbranch_execz .LBB583_14
; %bb.7:                                ;   in Loop: Header=BB583_4 Depth=1
	s_and_not1_b32 vcc_lo, exec_lo, s38
	s_wait_alu 0xfffe
	s_cbranch_vccnz .LBB583_56
; %bb.8:                                ;   in Loop: Header=BB583_4 Depth=1
	s_add_nc_u64 s[42:43], s[28:29], s[24:25]
	global_load_u16 v7, v11, s[42:43]
	s_mov_b32 s42, -1
	s_wait_loadcnt 0x0
	v_readfirstlane_b32 s19, v7
	s_lshl_b32 s19, s19, 16
	s_wait_alu 0xfffe
	s_mul_f32 s19, s35, s19
	s_wait_alu 0xfffe
	s_delay_alu instid0(SALU_CYCLE_2)
	s_and_b32 s41, s19, 0x7f800000
	s_wait_alu 0xfffe
	s_cmp_eq_u32 s41, 0x7f800000
                                        ; implicit-def: $sgpr41
	s_cbranch_scc1 .LBB583_10
; %bb.9:                                ;   in Loop: Header=BB583_4 Depth=1
	s_bfe_u32 s41, s19, 0x10010
	s_mov_b32 s42, 0
	s_wait_alu 0xfffe
	s_add_co_i32 s41, s19, s41
	s_wait_alu 0xfffe
	s_addk_co_i32 s41, 0x7fff
.LBB583_10:                             ;   in Loop: Header=BB583_4 Depth=1
	s_wait_alu 0xfffe
	s_and_not1_b32 vcc_lo, exec_lo, s42
	s_wait_alu 0xfffe
	s_cbranch_vccnz .LBB583_12
; %bb.11:                               ;   in Loop: Header=BB583_4 Depth=1
	s_and_b32 s41, s19, 0xffff
	s_or_b32 s42, s19, 0x10000
	s_wait_alu 0xfffe
	s_cmp_eq_u32 s41, 0
	s_cselect_b32 s41, s19, s42
.LBB583_12:                             ;   in Loop: Header=BB583_4 Depth=1
	s_wait_alu 0xfffe
	s_lshr_b32 s41, s41, 16
	s_mov_b32 s19, exec_lo
	s_or_b32 exec_lo, exec_lo, s40
	s_delay_alu instid0(SALU_CYCLE_1)
	s_and_b32 vcc_lo, exec_lo, s5
	s_wait_alu 0xfffe
	s_cbranch_vccnz .LBB583_15
	s_branch .LBB583_57
.LBB583_13:                             ;   in Loop: Header=BB583_4 Depth=1
	s_mov_b32 s19, 0
                                        ; implicit-def: $sgpr41
	s_cbranch_execnz .LBB583_15
	s_branch .LBB583_57
.LBB583_14:                             ;   in Loop: Header=BB583_4 Depth=1
	s_wait_alu 0xfffe
	s_or_b32 exec_lo, exec_lo, s40
	s_delay_alu instid0(SALU_CYCLE_1)
	s_and_b32 vcc_lo, exec_lo, s5
	s_wait_alu 0xfffe
	s_cbranch_vccz .LBB583_57
.LBB583_15:                             ;   in Loop: Header=BB583_4 Depth=1
	s_wait_dscnt 0x0
	v_mov_b32_e32 v18, 0
	s_and_saveexec_b32 s40, s3
	s_cbranch_execnz .LBB583_24
; %bb.16:                               ;   in Loop: Header=BB583_4 Depth=1
	s_wait_alu 0xfffe
	s_or_b32 exec_lo, exec_lo, s40
	s_and_saveexec_b32 s5, s4
	s_cbranch_execnz .LBB583_51
.LBB583_17:                             ;   in Loop: Header=BB583_4 Depth=1
	s_wait_alu 0xfffe
	s_or_b32 exec_lo, exec_lo, s5
	s_and_saveexec_b32 s5, s1
.LBB583_18:                             ;   in Loop: Header=BB583_4 Depth=1
	ds_store_b32 v12, v11
.LBB583_19:                             ;   in Loop: Header=BB583_4 Depth=1
	s_wait_alu 0xfffe
	s_or_b32 exec_lo, exec_lo, s5
	ds_bpermute_b32 v8, v17, v18
	v_cmp_gt_u32_e32 vcc_lo, 24, v16
	s_wait_dscnt 0x0
	s_barrier_signal -1
	s_barrier_wait -1
	global_inv scope:SCOPE_SE
	s_wait_alu 0xfffd
	v_cndmask_b32_e64 v7, 0, 8, vcc_lo
	v_cmp_gt_u32_e32 vcc_lo, 28, v16
	s_delay_alu instid0(VALU_DEP_2)
	v_add_lshl_u32 v7, v7, v16, 2
	v_add_f32_e32 v9, v18, v8
	s_wait_alu 0xfffd
	v_cndmask_b32_e64 v8, 0, 4, vcc_lo
	v_cmp_gt_u32_e32 vcc_lo, 30, v16
	ds_bpermute_b32 v10, v7, v9
	v_add_lshl_u32 v8, v8, v16, 2
	s_wait_dscnt 0x0
	v_add_f32_e32 v10, v9, v10
	s_wait_alu 0xfffd
	v_cndmask_b32_e64 v9, 0, 2, vcc_lo
	v_cmp_ne_u32_e32 vcc_lo, 31, v16
	ds_bpermute_b32 v18, v8, v10
	v_add_lshl_u32 v9, v9, v16, 2
	s_wait_alu 0xfffd
	v_add_co_ci_u32_e64 v19, null, 0, v16, vcc_lo
	s_wait_dscnt 0x0
	v_add_f32_e32 v10, v10, v18
	ds_bpermute_b32 v18, v9, v10
	s_wait_dscnt 0x0
	v_add_f32_e32 v18, v10, v18
	v_lshlrev_b32_e32 v10, 2, v19
	ds_bpermute_b32 v19, v10, v18
	s_and_saveexec_b32 s5, s2
	s_cbranch_execz .LBB583_21
; %bb.20:                               ;   in Loop: Header=BB583_4 Depth=1
	s_wait_dscnt 0x0
	v_add_f32_e32 v18, v18, v19
	ds_store_b32 v15, v18
.LBB583_21:                             ;   in Loop: Header=BB583_4 Depth=1
	s_wait_alu 0xfffe
	s_or_b32 exec_lo, exec_lo, s5
	v_mov_b32_e32 v18, 0
	s_wait_loadcnt_dscnt 0x0
	s_barrier_signal -1
	s_barrier_wait -1
	global_inv scope:SCOPE_SE
	s_and_saveexec_b32 s5, s1
	s_cbranch_execnz .LBB583_30
; %bb.22:                               ;   in Loop: Header=BB583_4 Depth=1
	s_wait_alu 0xfffe
	s_or_b32 exec_lo, exec_lo, s5
	s_and_saveexec_b32 s5, s1
	s_cbranch_execnz .LBB583_31
.LBB583_23:                             ;   in Loop: Header=BB583_4 Depth=1
	s_wait_alu 0xfffe
	s_or_b32 exec_lo, exec_lo, s5
                                        ; implicit-def: $vgpr7
	s_and_saveexec_b32 s5, s0
	s_cbranch_execnz .LBB583_32
	s_branch .LBB583_49
.LBB583_24:                             ;   in Loop: Header=BB583_4 Depth=1
	v_mad_co_u64_u32 v[7:8], null, s8, s6, v[1:2]
	v_mad_co_u64_u32 v[9:10], null, s12, s6, v[3:4]
	v_mov_b32_e32 v18, 0
	s_mov_b32 s41, 0
	s_delay_alu instid0(VALU_DEP_2) | instskip(NEXT) | instid1(VALU_DEP_3)
	v_mad_co_u64_u32 v[19:20], null, s9, s6, v[8:9]
	v_mad_co_u64_u32 v[20:21], null, s13, s6, v[10:11]
	s_delay_alu instid0(VALU_DEP_2) | instskip(NEXT) | instid1(VALU_DEP_2)
	v_dual_mov_b32 v8, v19 :: v_dual_mov_b32 v19, v0
	v_mov_b32_e32 v10, v20
	s_branch .LBB583_26
.LBB583_25:                             ;   in Loop: Header=BB583_26 Depth=2
	s_wait_alu 0xfffe
	s_or_b32 exec_lo, exec_lo, s5
	s_delay_alu instid0(VALU_DEP_1)
	v_and_b32_e32 v20, 0xffff0000, v21
	v_add_nc_u32_e32 v19, 0x400, v19
	v_add_co_u32 v7, vcc_lo, 0x800, v7
	s_wait_alu 0xfffd
	v_add_co_ci_u32_e64 v8, null, 0, v8, vcc_lo
	v_add_f32_e32 v18, v18, v20
	v_cmp_le_i32_e32 vcc_lo, s18, v19
	v_add_co_u32 v9, s5, v9, s20
	s_wait_alu 0xf1ff
	v_add_co_ci_u32_e64 v10, null, s21, v10, s5
	s_or_b32 s41, vcc_lo, s41
	s_wait_alu 0xfffe
	s_and_not1_b32 exec_lo, exec_lo, s41
	s_cbranch_execz .LBB583_50
.LBB583_26:                             ;   Parent Loop BB583_4 Depth=1
                                        ; =>  This Inner Loop Header: Depth=2
	global_load_u16 v20, v[9:10], off
	global_load_u16 v21, v[7:8], off
	s_wait_loadcnt 0x1
	v_lshlrev_b32_e32 v20, 16, v20
	s_wait_loadcnt 0x0
	v_lshlrev_b32_e32 v21, 16, v21
	s_delay_alu instid0(VALU_DEP_1) | instskip(NEXT) | instid1(VALU_DEP_1)
	v_mul_f32_e32 v20, v21, v20
	v_and_b32_e32 v21, 0x7f800000, v20
	s_delay_alu instid0(VALU_DEP_1)
	v_cmp_ne_u32_e32 vcc_lo, 0x7f800000, v21
                                        ; implicit-def: $vgpr21
	s_and_saveexec_b32 s5, vcc_lo
	s_wait_alu 0xfffe
	s_xor_b32 s5, exec_lo, s5
; %bb.27:                               ;   in Loop: Header=BB583_26 Depth=2
	v_bfe_u32 v21, v20, 16, 1
	s_delay_alu instid0(VALU_DEP_1)
	v_add3_u32 v21, v20, v21, 0x7fff
                                        ; implicit-def: $vgpr20
; %bb.28:                               ;   in Loop: Header=BB583_26 Depth=2
	s_wait_alu 0xfffe
	s_and_not1_saveexec_b32 s5, s5
	s_cbranch_execz .LBB583_25
; %bb.29:                               ;   in Loop: Header=BB583_26 Depth=2
	v_and_b32_e32 v21, 0xffff, v20
	v_or_b32_e32 v22, 0x10000, v20
	s_delay_alu instid0(VALU_DEP_2) | instskip(SKIP_1) | instid1(VALU_DEP_2)
	v_cmp_eq_u32_e32 vcc_lo, 0, v21
	s_wait_alu 0xfffd
	v_cndmask_b32_e32 v21, v22, v20, vcc_lo
	s_branch .LBB583_25
.LBB583_30:                             ;   in Loop: Header=BB583_4 Depth=1
	ds_load_b32 v18, v12
	s_wait_alu 0xfffe
	s_or_b32 exec_lo, exec_lo, s5
	s_and_saveexec_b32 s5, s1
	s_cbranch_execz .LBB583_23
.LBB583_31:                             ;   in Loop: Header=BB583_4 Depth=1
	s_wait_dscnt 0x0
	ds_bpermute_b32 v19, v17, v18
	s_wait_dscnt 0x0
	v_add_f32_e32 v18, v18, v19
	ds_bpermute_b32 v7, v7, v18
	s_wait_dscnt 0x0
	v_add_f32_e32 v7, v18, v7
	;; [unrolled: 3-line block ×5, first 2 shown]
	s_wait_alu 0xfffe
	s_or_b32 exec_lo, exec_lo, s5
                                        ; implicit-def: $vgpr7
	s_and_saveexec_b32 s5, s0
	s_cbranch_execz .LBB583_49
.LBB583_32:                             ;   in Loop: Header=BB583_4 Depth=1
	s_wait_dscnt 0x0
	v_mul_f32_e32 v7, s34, v18
	s_and_b32 vcc_lo, exec_lo, s39
	s_mov_b32 s40, -1
                                        ; implicit-def: $vgpr8
	s_wait_alu 0xfffe
	s_cbranch_vccz .LBB583_38
; %bb.33:                               ;   in Loop: Header=BB583_4 Depth=1
	v_and_b32_e32 v8, 0x7f800000, v7
	s_delay_alu instid0(VALU_DEP_1)
	v_cmp_ne_u32_e32 vcc_lo, 0x7f800000, v8
                                        ; implicit-def: $vgpr8
	s_and_saveexec_b32 s40, vcc_lo
	s_wait_alu 0xfffe
	s_xor_b32 s40, exec_lo, s40
; %bb.34:                               ;   in Loop: Header=BB583_4 Depth=1
	v_bfe_u32 v8, v7, 16, 1
	s_delay_alu instid0(VALU_DEP_1)
	v_add3_u32 v8, v7, v8, 0x7fff
; %bb.35:                               ;   in Loop: Header=BB583_4 Depth=1
	s_wait_alu 0xfffe
	s_and_not1_saveexec_b32 s40, s40
; %bb.36:                               ;   in Loop: Header=BB583_4 Depth=1
	v_and_b32_e32 v8, 0xffff, v7
	v_or_b32_e32 v9, 0x10000, v7
	s_delay_alu instid0(VALU_DEP_2) | instskip(SKIP_1) | instid1(VALU_DEP_2)
	v_cmp_eq_u32_e32 vcc_lo, 0, v8
	s_wait_alu 0xfffd
	v_cndmask_b32_e32 v8, v9, v7, vcc_lo
; %bb.37:                               ;   in Loop: Header=BB583_4 Depth=1
	s_wait_alu 0xfffe
	s_or_b32 exec_lo, exec_lo, s40
	s_mov_b32 s40, 0
.LBB583_38:                             ;   in Loop: Header=BB583_4 Depth=1
	s_wait_alu 0xfffe
	s_and_not1_b32 vcc_lo, exec_lo, s40
	s_wait_alu 0xfffe
	s_cbranch_vccnz .LBB583_48
; %bb.39:                               ;   in Loop: Header=BB583_4 Depth=1
	s_add_nc_u64 s[40:41], s[28:29], s[24:25]
	s_mov_b32 s42, -1
	global_load_u16 v8, v11, s[40:41]
	s_wait_loadcnt 0x0
	v_readfirstlane_b32 s40, v8
	s_wait_alu 0xfffe
	s_lshl_b32 s40, s40, 16
	s_wait_alu 0xfffe
	s_mul_f32 s40, s35, s40
	s_wait_alu 0xfffe
	s_delay_alu instid0(SALU_CYCLE_2)
	s_and_b32 s41, s40, 0x7f800000
	s_wait_alu 0xfffe
	s_cmp_eq_u32 s41, 0x7f800000
                                        ; implicit-def: $sgpr41
	s_cbranch_scc1 .LBB583_41
; %bb.40:                               ;   in Loop: Header=BB583_4 Depth=1
	s_bfe_u32 s41, s40, 0x10010
	s_mov_b32 s42, 0
	s_wait_alu 0xfffe
	s_add_co_i32 s41, s40, s41
	s_wait_alu 0xfffe
	s_addk_co_i32 s41, 0x7fff
.LBB583_41:                             ;   in Loop: Header=BB583_4 Depth=1
	s_wait_alu 0xfffe
	s_and_not1_b32 vcc_lo, exec_lo, s42
	s_wait_alu 0xfffe
	s_cbranch_vccnz .LBB583_43
; %bb.42:                               ;   in Loop: Header=BB583_4 Depth=1
	s_and_b32 s41, s40, 0xffff
	s_or_b32 s42, s40, 0x10000
	s_wait_alu 0xfffe
	s_cmp_eq_u32 s41, 0
	s_cselect_b32 s41, s40, s42
.LBB583_43:                             ;   in Loop: Header=BB583_4 Depth=1
	s_wait_alu 0xfffe
	s_and_b32 s40, s41, 0xffff0000
	s_wait_alu 0xfffe
	v_add_f32_e32 v7, s40, v7
	s_delay_alu instid0(VALU_DEP_1) | instskip(NEXT) | instid1(VALU_DEP_1)
	v_and_b32_e32 v8, 0x7f800000, v7
	v_cmp_ne_u32_e32 vcc_lo, 0x7f800000, v8
                                        ; implicit-def: $vgpr8
	s_and_saveexec_b32 s40, vcc_lo
	s_wait_alu 0xfffe
	s_xor_b32 s40, exec_lo, s40
; %bb.44:                               ;   in Loop: Header=BB583_4 Depth=1
	v_bfe_u32 v8, v7, 16, 1
	s_delay_alu instid0(VALU_DEP_1)
	v_add3_u32 v8, v7, v8, 0x7fff
                                        ; implicit-def: $vgpr7
; %bb.45:                               ;   in Loop: Header=BB583_4 Depth=1
	s_wait_alu 0xfffe
	s_and_not1_saveexec_b32 s40, s40
; %bb.46:                               ;   in Loop: Header=BB583_4 Depth=1
	v_and_b32_e32 v8, 0xffff, v7
	v_or_b32_e32 v9, 0x10000, v7
	s_delay_alu instid0(VALU_DEP_2) | instskip(SKIP_1) | instid1(VALU_DEP_2)
	v_cmp_eq_u32_e32 vcc_lo, 0, v8
	s_wait_alu 0xfffd
	v_cndmask_b32_e32 v8, v9, v7, vcc_lo
; %bb.47:                               ;   in Loop: Header=BB583_4 Depth=1
	s_wait_alu 0xfffe
	s_or_b32 exec_lo, exec_lo, s40
.LBB583_48:                             ;   in Loop: Header=BB583_4 Depth=1
	s_delay_alu instid0(VALU_DEP_1)
	v_lshrrev_b32_e32 v7, 16, v8
	s_or_b32 s19, s19, exec_lo
.LBB583_49:                             ;   in Loop: Header=BB583_4 Depth=1
	s_wait_alu 0xfffe
	s_or_b32 exec_lo, exec_lo, s5
	s_and_saveexec_b32 s5, s19
	s_cbranch_execz .LBB583_2
	s_branch .LBB583_58
.LBB583_50:                             ;   in Loop: Header=BB583_4 Depth=1
	s_or_b32 exec_lo, exec_lo, s41
	s_delay_alu instid0(SALU_CYCLE_1)
	s_or_b32 exec_lo, exec_lo, s40
	s_and_saveexec_b32 s5, s4
	s_cbranch_execz .LBB583_17
.LBB583_51:                             ;   in Loop: Header=BB583_4 Depth=1
	s_mul_u64 s[40:41], s[14:15], s[6:7]
	s_mul_u64 s[42:43], s[22:23], s[6:7]
	s_wait_alu 0xfffe
	s_lshl_b64 s[40:41], s[40:41], 1
	s_lshl_b64 s[42:43], s[42:43], 1
	s_wait_alu 0xfffe
	v_add_co_u32 v9, vcc_lo, v13, s40
	s_wait_alu 0xfffd
	v_add_co_ci_u32_e64 v10, null, s41, v14, vcc_lo
	s_add_nc_u64 s[40:41], s[10:11], s[42:43]
	s_wait_alu 0xfffe
	v_add_co_u32 v7, vcc_lo, s40, v5
	s_wait_alu 0xfffd
	v_add_co_ci_u32_e64 v8, null, s41, v6, vcc_lo
	v_add_co_u32 v9, vcc_lo, v9, s26
	s_wait_alu 0xfffd
	v_add_co_ci_u32_e64 v10, null, s27, v10, vcc_lo
	global_load_u16 v7, v[7:8], off
	global_load_u16 v8, v[9:10], off
	s_wait_loadcnt 0x1
	v_lshlrev_b32_e32 v7, 16, v7
	s_wait_loadcnt 0x0
	v_lshlrev_b32_e32 v8, 16, v8
	s_delay_alu instid0(VALU_DEP_1) | instskip(NEXT) | instid1(VALU_DEP_1)
	v_mul_f32_e32 v7, v8, v7
	v_and_b32_e32 v8, 0x7f800000, v7
	s_delay_alu instid0(VALU_DEP_1)
	v_cmp_ne_u32_e32 vcc_lo, 0x7f800000, v8
                                        ; implicit-def: $vgpr8
	s_and_saveexec_b32 s40, vcc_lo
	s_wait_alu 0xfffe
	s_xor_b32 s40, exec_lo, s40
; %bb.52:                               ;   in Loop: Header=BB583_4 Depth=1
	v_bfe_u32 v8, v7, 16, 1
	s_delay_alu instid0(VALU_DEP_1)
	v_add3_u32 v8, v7, v8, 0x7fff
                                        ; implicit-def: $vgpr7
; %bb.53:                               ;   in Loop: Header=BB583_4 Depth=1
	s_wait_alu 0xfffe
	s_and_not1_saveexec_b32 s40, s40
; %bb.54:                               ;   in Loop: Header=BB583_4 Depth=1
	v_and_b32_e32 v8, 0xffff, v7
	v_or_b32_e32 v9, 0x10000, v7
	s_delay_alu instid0(VALU_DEP_2) | instskip(SKIP_1) | instid1(VALU_DEP_2)
	v_cmp_eq_u32_e32 vcc_lo, 0, v8
	s_wait_alu 0xfffd
	v_cndmask_b32_e32 v8, v9, v7, vcc_lo
; %bb.55:                               ;   in Loop: Header=BB583_4 Depth=1
	s_wait_alu 0xfffe
	s_or_b32 exec_lo, exec_lo, s40
	s_delay_alu instid0(VALU_DEP_1) | instskip(NEXT) | instid1(VALU_DEP_1)
	v_and_b32_e32 v7, 0xffff0000, v8
	v_add_f32_e32 v18, v18, v7
	s_or_b32 exec_lo, exec_lo, s5
	s_and_saveexec_b32 s5, s1
	s_cbranch_execnz .LBB583_18
	s_branch .LBB583_19
.LBB583_56:                             ;   in Loop: Header=BB583_4 Depth=1
	s_mov_b32 s41, 0
	s_mov_b32 s19, exec_lo
	s_or_b32 exec_lo, exec_lo, s40
	s_delay_alu instid0(SALU_CYCLE_1)
	s_and_b32 vcc_lo, exec_lo, s5
	s_wait_alu 0xfffe
	s_cbranch_vccnz .LBB583_15
.LBB583_57:                             ;   in Loop: Header=BB583_4 Depth=1
	v_mov_b32_e32 v7, s41
	s_wait_alu 0xfffe
	s_and_saveexec_b32 s5, s19
	s_cbranch_execz .LBB583_2
.LBB583_58:                             ;   in Loop: Header=BB583_4 Depth=1
	s_add_nc_u64 s[28:29], s[28:29], s[24:25]
	global_store_b16 v11, v7, s[28:29]
	s_branch .LBB583_2
.LBB583_59:
	s_endpgm
	.section	.rodata,"a",@progbits
	.p2align	6, 0x0
	.amdhsa_kernel _ZL32rocblas_gemvt_warp_reduce_kernelILb1ELi1024El16rocblas_bfloat16fS0_EviiT3_lPKT2_lT1_lS4_lS5_lS1_lPT4_lS5_li
		.amdhsa_group_segment_fixed_size 128
		.amdhsa_private_segment_fixed_size 0
		.amdhsa_kernarg_size 140
		.amdhsa_user_sgpr_count 2
		.amdhsa_user_sgpr_dispatch_ptr 0
		.amdhsa_user_sgpr_queue_ptr 0
		.amdhsa_user_sgpr_kernarg_segment_ptr 1
		.amdhsa_user_sgpr_dispatch_id 0
		.amdhsa_user_sgpr_private_segment_size 0
		.amdhsa_wavefront_size32 1
		.amdhsa_uses_dynamic_stack 0
		.amdhsa_enable_private_segment 0
		.amdhsa_system_sgpr_workgroup_id_x 1
		.amdhsa_system_sgpr_workgroup_id_y 0
		.amdhsa_system_sgpr_workgroup_id_z 1
		.amdhsa_system_sgpr_workgroup_info 0
		.amdhsa_system_vgpr_workitem_id 0
		.amdhsa_next_free_vgpr 23
		.amdhsa_next_free_sgpr 44
		.amdhsa_reserve_vcc 1
		.amdhsa_float_round_mode_32 0
		.amdhsa_float_round_mode_16_64 0
		.amdhsa_float_denorm_mode_32 3
		.amdhsa_float_denorm_mode_16_64 3
		.amdhsa_fp16_overflow 0
		.amdhsa_workgroup_processor_mode 1
		.amdhsa_memory_ordered 1
		.amdhsa_forward_progress 1
		.amdhsa_inst_pref_size 19
		.amdhsa_round_robin_scheduling 0
		.amdhsa_exception_fp_ieee_invalid_op 0
		.amdhsa_exception_fp_denorm_src 0
		.amdhsa_exception_fp_ieee_div_zero 0
		.amdhsa_exception_fp_ieee_overflow 0
		.amdhsa_exception_fp_ieee_underflow 0
		.amdhsa_exception_fp_ieee_inexact 0
		.amdhsa_exception_int_div_zero 0
	.end_amdhsa_kernel
	.section	.text._ZL32rocblas_gemvt_warp_reduce_kernelILb1ELi1024El16rocblas_bfloat16fS0_EviiT3_lPKT2_lT1_lS4_lS5_lS1_lPT4_lS5_li,"axG",@progbits,_ZL32rocblas_gemvt_warp_reduce_kernelILb1ELi1024El16rocblas_bfloat16fS0_EviiT3_lPKT2_lT1_lS4_lS5_lS1_lPT4_lS5_li,comdat
.Lfunc_end583:
	.size	_ZL32rocblas_gemvt_warp_reduce_kernelILb1ELi1024El16rocblas_bfloat16fS0_EviiT3_lPKT2_lT1_lS4_lS5_lS1_lPT4_lS5_li, .Lfunc_end583-_ZL32rocblas_gemvt_warp_reduce_kernelILb1ELi1024El16rocblas_bfloat16fS0_EviiT3_lPKT2_lT1_lS4_lS5_lS1_lPT4_lS5_li
                                        ; -- End function
	.set _ZL32rocblas_gemvt_warp_reduce_kernelILb1ELi1024El16rocblas_bfloat16fS0_EviiT3_lPKT2_lT1_lS4_lS5_lS1_lPT4_lS5_li.num_vgpr, 23
	.set _ZL32rocblas_gemvt_warp_reduce_kernelILb1ELi1024El16rocblas_bfloat16fS0_EviiT3_lPKT2_lT1_lS4_lS5_lS1_lPT4_lS5_li.num_agpr, 0
	.set _ZL32rocblas_gemvt_warp_reduce_kernelILb1ELi1024El16rocblas_bfloat16fS0_EviiT3_lPKT2_lT1_lS4_lS5_lS1_lPT4_lS5_li.numbered_sgpr, 44
	.set _ZL32rocblas_gemvt_warp_reduce_kernelILb1ELi1024El16rocblas_bfloat16fS0_EviiT3_lPKT2_lT1_lS4_lS5_lS1_lPT4_lS5_li.num_named_barrier, 0
	.set _ZL32rocblas_gemvt_warp_reduce_kernelILb1ELi1024El16rocblas_bfloat16fS0_EviiT3_lPKT2_lT1_lS4_lS5_lS1_lPT4_lS5_li.private_seg_size, 0
	.set _ZL32rocblas_gemvt_warp_reduce_kernelILb1ELi1024El16rocblas_bfloat16fS0_EviiT3_lPKT2_lT1_lS4_lS5_lS1_lPT4_lS5_li.uses_vcc, 1
	.set _ZL32rocblas_gemvt_warp_reduce_kernelILb1ELi1024El16rocblas_bfloat16fS0_EviiT3_lPKT2_lT1_lS4_lS5_lS1_lPT4_lS5_li.uses_flat_scratch, 0
	.set _ZL32rocblas_gemvt_warp_reduce_kernelILb1ELi1024El16rocblas_bfloat16fS0_EviiT3_lPKT2_lT1_lS4_lS5_lS1_lPT4_lS5_li.has_dyn_sized_stack, 0
	.set _ZL32rocblas_gemvt_warp_reduce_kernelILb1ELi1024El16rocblas_bfloat16fS0_EviiT3_lPKT2_lT1_lS4_lS5_lS1_lPT4_lS5_li.has_recursion, 0
	.set _ZL32rocblas_gemvt_warp_reduce_kernelILb1ELi1024El16rocblas_bfloat16fS0_EviiT3_lPKT2_lT1_lS4_lS5_lS1_lPT4_lS5_li.has_indirect_call, 0
	.section	.AMDGPU.csdata,"",@progbits
; Kernel info:
; codeLenInByte = 2384
; TotalNumSgprs: 46
; NumVgprs: 23
; ScratchSize: 0
; MemoryBound: 0
; FloatMode: 240
; IeeeMode: 1
; LDSByteSize: 128 bytes/workgroup (compile time only)
; SGPRBlocks: 0
; VGPRBlocks: 2
; NumSGPRsForWavesPerEU: 46
; NumVGPRsForWavesPerEU: 23
; Occupancy: 16
; WaveLimiterHint : 0
; COMPUTE_PGM_RSRC2:SCRATCH_EN: 0
; COMPUTE_PGM_RSRC2:USER_SGPR: 2
; COMPUTE_PGM_RSRC2:TRAP_HANDLER: 0
; COMPUTE_PGM_RSRC2:TGID_X_EN: 1
; COMPUTE_PGM_RSRC2:TGID_Y_EN: 0
; COMPUTE_PGM_RSRC2:TGID_Z_EN: 1
; COMPUTE_PGM_RSRC2:TIDIG_COMP_CNT: 0
	.section	.text._ZL34rocblas_gemvn_sm_mn_batched_kernelILi32ELi24EPK16rocblas_bfloat16PKfKPS0_EviiT2_lPKT1_lilSA_lilS7_lPT3_lili,"axG",@progbits,_ZL34rocblas_gemvn_sm_mn_batched_kernelILi32ELi24EPK16rocblas_bfloat16PKfKPS0_EviiT2_lPKT1_lilSA_lilS7_lPT3_lili,comdat
	.globl	_ZL34rocblas_gemvn_sm_mn_batched_kernelILi32ELi24EPK16rocblas_bfloat16PKfKPS0_EviiT2_lPKT1_lilSA_lilS7_lPT3_lili ; -- Begin function _ZL34rocblas_gemvn_sm_mn_batched_kernelILi32ELi24EPK16rocblas_bfloat16PKfKPS0_EviiT2_lPKT1_lilSA_lilS7_lPT3_lili
	.p2align	8
	.type	_ZL34rocblas_gemvn_sm_mn_batched_kernelILi32ELi24EPK16rocblas_bfloat16PKfKPS0_EviiT2_lPKT1_lilSA_lilS7_lPT3_lili,@function
_ZL34rocblas_gemvn_sm_mn_batched_kernelILi32ELi24EPK16rocblas_bfloat16PKfKPS0_EviiT2_lPKT1_lilSA_lilS7_lPT3_lili: ; @_ZL34rocblas_gemvn_sm_mn_batched_kernelILi32ELi24EPK16rocblas_bfloat16PKfKPS0_EviiT2_lPKT1_lilSA_lilS7_lPT3_lili
; %bb.0:
	s_endpgm
	.section	.rodata,"a",@progbits
	.p2align	6, 0x0
	.amdhsa_kernel _ZL34rocblas_gemvn_sm_mn_batched_kernelILi32ELi24EPK16rocblas_bfloat16PKfKPS0_EviiT2_lPKT1_lilSA_lilS7_lPT3_lili
		.amdhsa_group_segment_fixed_size 0
		.amdhsa_private_segment_fixed_size 0
		.amdhsa_kernarg_size 140
		.amdhsa_user_sgpr_count 2
		.amdhsa_user_sgpr_dispatch_ptr 0
		.amdhsa_user_sgpr_queue_ptr 0
		.amdhsa_user_sgpr_kernarg_segment_ptr 1
		.amdhsa_user_sgpr_dispatch_id 0
		.amdhsa_user_sgpr_private_segment_size 0
		.amdhsa_wavefront_size32 1
		.amdhsa_uses_dynamic_stack 0
		.amdhsa_enable_private_segment 0
		.amdhsa_system_sgpr_workgroup_id_x 1
		.amdhsa_system_sgpr_workgroup_id_y 0
		.amdhsa_system_sgpr_workgroup_id_z 0
		.amdhsa_system_sgpr_workgroup_info 0
		.amdhsa_system_vgpr_workitem_id 0
		.amdhsa_next_free_vgpr 1
		.amdhsa_next_free_sgpr 1
		.amdhsa_reserve_vcc 0
		.amdhsa_float_round_mode_32 0
		.amdhsa_float_round_mode_16_64 0
		.amdhsa_float_denorm_mode_32 3
		.amdhsa_float_denorm_mode_16_64 3
		.amdhsa_fp16_overflow 0
		.amdhsa_workgroup_processor_mode 1
		.amdhsa_memory_ordered 1
		.amdhsa_forward_progress 1
		.amdhsa_inst_pref_size 1
		.amdhsa_round_robin_scheduling 0
		.amdhsa_exception_fp_ieee_invalid_op 0
		.amdhsa_exception_fp_denorm_src 0
		.amdhsa_exception_fp_ieee_div_zero 0
		.amdhsa_exception_fp_ieee_overflow 0
		.amdhsa_exception_fp_ieee_underflow 0
		.amdhsa_exception_fp_ieee_inexact 0
		.amdhsa_exception_int_div_zero 0
	.end_amdhsa_kernel
	.section	.text._ZL34rocblas_gemvn_sm_mn_batched_kernelILi32ELi24EPK16rocblas_bfloat16PKfKPS0_EviiT2_lPKT1_lilSA_lilS7_lPT3_lili,"axG",@progbits,_ZL34rocblas_gemvn_sm_mn_batched_kernelILi32ELi24EPK16rocblas_bfloat16PKfKPS0_EviiT2_lPKT1_lilSA_lilS7_lPT3_lili,comdat
.Lfunc_end584:
	.size	_ZL34rocblas_gemvn_sm_mn_batched_kernelILi32ELi24EPK16rocblas_bfloat16PKfKPS0_EviiT2_lPKT1_lilSA_lilS7_lPT3_lili, .Lfunc_end584-_ZL34rocblas_gemvn_sm_mn_batched_kernelILi32ELi24EPK16rocblas_bfloat16PKfKPS0_EviiT2_lPKT1_lilSA_lilS7_lPT3_lili
                                        ; -- End function
	.set _ZL34rocblas_gemvn_sm_mn_batched_kernelILi32ELi24EPK16rocblas_bfloat16PKfKPS0_EviiT2_lPKT1_lilSA_lilS7_lPT3_lili.num_vgpr, 0
	.set _ZL34rocblas_gemvn_sm_mn_batched_kernelILi32ELi24EPK16rocblas_bfloat16PKfKPS0_EviiT2_lPKT1_lilSA_lilS7_lPT3_lili.num_agpr, 0
	.set _ZL34rocblas_gemvn_sm_mn_batched_kernelILi32ELi24EPK16rocblas_bfloat16PKfKPS0_EviiT2_lPKT1_lilSA_lilS7_lPT3_lili.numbered_sgpr, 0
	.set _ZL34rocblas_gemvn_sm_mn_batched_kernelILi32ELi24EPK16rocblas_bfloat16PKfKPS0_EviiT2_lPKT1_lilSA_lilS7_lPT3_lili.num_named_barrier, 0
	.set _ZL34rocblas_gemvn_sm_mn_batched_kernelILi32ELi24EPK16rocblas_bfloat16PKfKPS0_EviiT2_lPKT1_lilSA_lilS7_lPT3_lili.private_seg_size, 0
	.set _ZL34rocblas_gemvn_sm_mn_batched_kernelILi32ELi24EPK16rocblas_bfloat16PKfKPS0_EviiT2_lPKT1_lilSA_lilS7_lPT3_lili.uses_vcc, 0
	.set _ZL34rocblas_gemvn_sm_mn_batched_kernelILi32ELi24EPK16rocblas_bfloat16PKfKPS0_EviiT2_lPKT1_lilSA_lilS7_lPT3_lili.uses_flat_scratch, 0
	.set _ZL34rocblas_gemvn_sm_mn_batched_kernelILi32ELi24EPK16rocblas_bfloat16PKfKPS0_EviiT2_lPKT1_lilSA_lilS7_lPT3_lili.has_dyn_sized_stack, 0
	.set _ZL34rocblas_gemvn_sm_mn_batched_kernelILi32ELi24EPK16rocblas_bfloat16PKfKPS0_EviiT2_lPKT1_lilSA_lilS7_lPT3_lili.has_recursion, 0
	.set _ZL34rocblas_gemvn_sm_mn_batched_kernelILi32ELi24EPK16rocblas_bfloat16PKfKPS0_EviiT2_lPKT1_lilSA_lilS7_lPT3_lili.has_indirect_call, 0
	.section	.AMDGPU.csdata,"",@progbits
; Kernel info:
; codeLenInByte = 4
; TotalNumSgprs: 0
; NumVgprs: 0
; ScratchSize: 0
; MemoryBound: 0
; FloatMode: 240
; IeeeMode: 1
; LDSByteSize: 0 bytes/workgroup (compile time only)
; SGPRBlocks: 0
; VGPRBlocks: 0
; NumSGPRsForWavesPerEU: 1
; NumVGPRsForWavesPerEU: 1
; Occupancy: 16
; WaveLimiterHint : 0
; COMPUTE_PGM_RSRC2:SCRATCH_EN: 0
; COMPUTE_PGM_RSRC2:USER_SGPR: 2
; COMPUTE_PGM_RSRC2:TRAP_HANDLER: 0
; COMPUTE_PGM_RSRC2:TGID_X_EN: 1
; COMPUTE_PGM_RSRC2:TGID_Y_EN: 0
; COMPUTE_PGM_RSRC2:TGID_Z_EN: 0
; COMPUTE_PGM_RSRC2:TIDIG_COMP_CNT: 0
	.section	.text._ZL34rocblas_gemvn_sm_mn_batched_kernelILi32ELi24EPK16rocblas_bfloat16fKPS0_EviiT2_lPKT1_lilS8_lilS5_lPT3_lili,"axG",@progbits,_ZL34rocblas_gemvn_sm_mn_batched_kernelILi32ELi24EPK16rocblas_bfloat16fKPS0_EviiT2_lPKT1_lilS8_lilS5_lPT3_lili,comdat
	.globl	_ZL34rocblas_gemvn_sm_mn_batched_kernelILi32ELi24EPK16rocblas_bfloat16fKPS0_EviiT2_lPKT1_lilS8_lilS5_lPT3_lili ; -- Begin function _ZL34rocblas_gemvn_sm_mn_batched_kernelILi32ELi24EPK16rocblas_bfloat16fKPS0_EviiT2_lPKT1_lilS8_lilS5_lPT3_lili
	.p2align	8
	.type	_ZL34rocblas_gemvn_sm_mn_batched_kernelILi32ELi24EPK16rocblas_bfloat16fKPS0_EviiT2_lPKT1_lilS8_lilS5_lPT3_lili,@function
_ZL34rocblas_gemvn_sm_mn_batched_kernelILi32ELi24EPK16rocblas_bfloat16fKPS0_EviiT2_lPKT1_lilS8_lilS5_lPT3_lili: ; @_ZL34rocblas_gemvn_sm_mn_batched_kernelILi32ELi24EPK16rocblas_bfloat16fKPS0_EviiT2_lPKT1_lilS8_lilS5_lPT3_lili
; %bb.0:
	s_endpgm
	.section	.rodata,"a",@progbits
	.p2align	6, 0x0
	.amdhsa_kernel _ZL34rocblas_gemvn_sm_mn_batched_kernelILi32ELi24EPK16rocblas_bfloat16fKPS0_EviiT2_lPKT1_lilS8_lilS5_lPT3_lili
		.amdhsa_group_segment_fixed_size 0
		.amdhsa_private_segment_fixed_size 0
		.amdhsa_kernarg_size 140
		.amdhsa_user_sgpr_count 2
		.amdhsa_user_sgpr_dispatch_ptr 0
		.amdhsa_user_sgpr_queue_ptr 0
		.amdhsa_user_sgpr_kernarg_segment_ptr 1
		.amdhsa_user_sgpr_dispatch_id 0
		.amdhsa_user_sgpr_private_segment_size 0
		.amdhsa_wavefront_size32 1
		.amdhsa_uses_dynamic_stack 0
		.amdhsa_enable_private_segment 0
		.amdhsa_system_sgpr_workgroup_id_x 1
		.amdhsa_system_sgpr_workgroup_id_y 0
		.amdhsa_system_sgpr_workgroup_id_z 0
		.amdhsa_system_sgpr_workgroup_info 0
		.amdhsa_system_vgpr_workitem_id 0
		.amdhsa_next_free_vgpr 1
		.amdhsa_next_free_sgpr 1
		.amdhsa_reserve_vcc 0
		.amdhsa_float_round_mode_32 0
		.amdhsa_float_round_mode_16_64 0
		.amdhsa_float_denorm_mode_32 3
		.amdhsa_float_denorm_mode_16_64 3
		.amdhsa_fp16_overflow 0
		.amdhsa_workgroup_processor_mode 1
		.amdhsa_memory_ordered 1
		.amdhsa_forward_progress 1
		.amdhsa_inst_pref_size 1
		.amdhsa_round_robin_scheduling 0
		.amdhsa_exception_fp_ieee_invalid_op 0
		.amdhsa_exception_fp_denorm_src 0
		.amdhsa_exception_fp_ieee_div_zero 0
		.amdhsa_exception_fp_ieee_overflow 0
		.amdhsa_exception_fp_ieee_underflow 0
		.amdhsa_exception_fp_ieee_inexact 0
		.amdhsa_exception_int_div_zero 0
	.end_amdhsa_kernel
	.section	.text._ZL34rocblas_gemvn_sm_mn_batched_kernelILi32ELi24EPK16rocblas_bfloat16fKPS0_EviiT2_lPKT1_lilS8_lilS5_lPT3_lili,"axG",@progbits,_ZL34rocblas_gemvn_sm_mn_batched_kernelILi32ELi24EPK16rocblas_bfloat16fKPS0_EviiT2_lPKT1_lilS8_lilS5_lPT3_lili,comdat
.Lfunc_end585:
	.size	_ZL34rocblas_gemvn_sm_mn_batched_kernelILi32ELi24EPK16rocblas_bfloat16fKPS0_EviiT2_lPKT1_lilS8_lilS5_lPT3_lili, .Lfunc_end585-_ZL34rocblas_gemvn_sm_mn_batched_kernelILi32ELi24EPK16rocblas_bfloat16fKPS0_EviiT2_lPKT1_lilS8_lilS5_lPT3_lili
                                        ; -- End function
	.set _ZL34rocblas_gemvn_sm_mn_batched_kernelILi32ELi24EPK16rocblas_bfloat16fKPS0_EviiT2_lPKT1_lilS8_lilS5_lPT3_lili.num_vgpr, 0
	.set _ZL34rocblas_gemvn_sm_mn_batched_kernelILi32ELi24EPK16rocblas_bfloat16fKPS0_EviiT2_lPKT1_lilS8_lilS5_lPT3_lili.num_agpr, 0
	.set _ZL34rocblas_gemvn_sm_mn_batched_kernelILi32ELi24EPK16rocblas_bfloat16fKPS0_EviiT2_lPKT1_lilS8_lilS5_lPT3_lili.numbered_sgpr, 0
	.set _ZL34rocblas_gemvn_sm_mn_batched_kernelILi32ELi24EPK16rocblas_bfloat16fKPS0_EviiT2_lPKT1_lilS8_lilS5_lPT3_lili.num_named_barrier, 0
	.set _ZL34rocblas_gemvn_sm_mn_batched_kernelILi32ELi24EPK16rocblas_bfloat16fKPS0_EviiT2_lPKT1_lilS8_lilS5_lPT3_lili.private_seg_size, 0
	.set _ZL34rocblas_gemvn_sm_mn_batched_kernelILi32ELi24EPK16rocblas_bfloat16fKPS0_EviiT2_lPKT1_lilS8_lilS5_lPT3_lili.uses_vcc, 0
	.set _ZL34rocblas_gemvn_sm_mn_batched_kernelILi32ELi24EPK16rocblas_bfloat16fKPS0_EviiT2_lPKT1_lilS8_lilS5_lPT3_lili.uses_flat_scratch, 0
	.set _ZL34rocblas_gemvn_sm_mn_batched_kernelILi32ELi24EPK16rocblas_bfloat16fKPS0_EviiT2_lPKT1_lilS8_lilS5_lPT3_lili.has_dyn_sized_stack, 0
	.set _ZL34rocblas_gemvn_sm_mn_batched_kernelILi32ELi24EPK16rocblas_bfloat16fKPS0_EviiT2_lPKT1_lilS8_lilS5_lPT3_lili.has_recursion, 0
	.set _ZL34rocblas_gemvn_sm_mn_batched_kernelILi32ELi24EPK16rocblas_bfloat16fKPS0_EviiT2_lPKT1_lilS8_lilS5_lPT3_lili.has_indirect_call, 0
	.section	.AMDGPU.csdata,"",@progbits
; Kernel info:
; codeLenInByte = 4
; TotalNumSgprs: 0
; NumVgprs: 0
; ScratchSize: 0
; MemoryBound: 0
; FloatMode: 240
; IeeeMode: 1
; LDSByteSize: 0 bytes/workgroup (compile time only)
; SGPRBlocks: 0
; VGPRBlocks: 0
; NumSGPRsForWavesPerEU: 1
; NumVGPRsForWavesPerEU: 1
; Occupancy: 16
; WaveLimiterHint : 0
; COMPUTE_PGM_RSRC2:SCRATCH_EN: 0
; COMPUTE_PGM_RSRC2:USER_SGPR: 2
; COMPUTE_PGM_RSRC2:TRAP_HANDLER: 0
; COMPUTE_PGM_RSRC2:TGID_X_EN: 1
; COMPUTE_PGM_RSRC2:TGID_Y_EN: 0
; COMPUTE_PGM_RSRC2:TGID_Z_EN: 0
; COMPUTE_PGM_RSRC2:TIDIG_COMP_CNT: 0
	.section	.text._ZL20rocblas_gemvn_kernelILi64ELi4EiPK16rocblas_bfloat16PKfKPS0_EviiT3_lPKT2_lT1_lSA_lSB_lS7_lPT4_lSB_li,"axG",@progbits,_ZL20rocblas_gemvn_kernelILi64ELi4EiPK16rocblas_bfloat16PKfKPS0_EviiT3_lPKT2_lT1_lSA_lSB_lS7_lPT4_lSB_li,comdat
	.globl	_ZL20rocblas_gemvn_kernelILi64ELi4EiPK16rocblas_bfloat16PKfKPS0_EviiT3_lPKT2_lT1_lSA_lSB_lS7_lPT4_lSB_li ; -- Begin function _ZL20rocblas_gemvn_kernelILi64ELi4EiPK16rocblas_bfloat16PKfKPS0_EviiT3_lPKT2_lT1_lSA_lSB_lS7_lPT4_lSB_li
	.p2align	8
	.type	_ZL20rocblas_gemvn_kernelILi64ELi4EiPK16rocblas_bfloat16PKfKPS0_EviiT3_lPKT2_lT1_lSA_lSB_lS7_lPT4_lSB_li,@function
_ZL20rocblas_gemvn_kernelILi64ELi4EiPK16rocblas_bfloat16PKfKPS0_EviiT3_lPKT2_lT1_lSA_lSB_lS7_lPT4_lSB_li: ; @_ZL20rocblas_gemvn_kernelILi64ELi4EiPK16rocblas_bfloat16PKfKPS0_EviiT3_lPKT2_lT1_lSA_lSB_lS7_lPT4_lSB_li
; %bb.0:
	s_clause 0x1
	s_load_b64 s[2:3], s[0:1], 0x9c
	s_load_b32 s33, s[0:1], 0x88
	s_lshr_b32 s10, ttmp7, 16
	s_wait_kmcnt 0x0
	s_lshr_b32 s4, s2, 16
	s_and_b32 s2, s2, 0xffff
	s_and_b32 s3, s3, 0xffff
	s_mul_i32 s2, s4, s2
	s_delay_alu instid0(SALU_CYCLE_1) | instskip(NEXT) | instid1(SALU_CYCLE_1)
	s_mul_i32 s2, s2, s3
	s_cmp_lg_u32 s2, 0x100
	s_cselect_b32 s2, -1, 0
	s_cmp_ge_u32 s10, s33
	s_cselect_b32 s3, -1, 0
	s_delay_alu instid0(SALU_CYCLE_1) | instskip(NEXT) | instid1(SALU_CYCLE_1)
	s_or_b32 s2, s2, s3
	s_and_b32 vcc_lo, exec_lo, s2
	s_cbranch_vccnz .LBB586_73
; %bb.1:
	s_clause 0x2
	s_load_b32 s6, s[0:1], 0x78
	s_load_b64 s[8:9], s[0:1], 0x0
	s_load_b256 s[12:19], s[0:1], 0x8
	v_and_b32_e32 v9, 0x3ff, v0
	v_bfe_u32 v8, v0, 10, 10
	s_clause 0x3
	s_load_b32 s35, s[0:1], 0x28
	s_load_b128 s[28:31], s[0:1], 0x38
	s_load_b32 s34, s[0:1], 0x48
	s_load_b256 s[20:27], s[0:1], 0x58
	s_lshl_b32 s36, ttmp9, 8
	v_mov_b32_e32 v1, 0
	v_or_b32_e32 v23, s36, v9
	v_lshl_add_u32 v5, v8, 6, v9
	v_lshlrev_b32_e32 v24, 2, v8
	v_lshlrev_b32_e32 v6, 2, v9
	s_mov_b32 s11, 0
	v_add_nc_u32_e32 v7, 0x80, v23
	v_add_nc_u32_e32 v0, s36, v5
	;; [unrolled: 1-line block ×3, first 2 shown]
	v_or_b32_e32 v11, s36, v5
	v_add_nc_u32_e32 v10, 0xc0, v23
	v_or_b32_e32 v12, 3, v24
	v_lshl_add_u32 v25, v8, 8, v6
	s_wait_kmcnt 0x0
	v_mad_co_u64_u32 v[2:3], null, s6, v0, 0
	s_ashr_i32 s3, s6, 31
	v_cmp_gt_i32_e64 s2, s8, v7
	v_mul_lo_u32 v7, s35, v24
	s_ashr_i32 s7, s9, 31
	v_cmp_gt_i32_e64 s1, s8, v4
	s_wait_alu 0xfffe
	s_lshr_b32 s7, s7, 28
	v_mad_co_u64_u32 v[3:4], null, s3, v0, v[3:4]
	v_mul_lo_u32 v4, s6, v11
	v_cmp_gt_i32_e64 s6, s8, v11
	v_mul_lo_u32 v11, v8, s35
	v_cmp_gt_i32_e64 s3, s8, v10
	v_or_b32_e32 v10, 2, v24
	s_wait_alu 0xfffe
	s_add_co_i32 s7, s9, s7
	v_mul_lo_u32 v13, v8, s34
	s_ashr_i32 s5, s8, 31
	s_mov_b32 s4, s8
	s_wait_alu 0xfffe
	s_and_b32 s37, s7, -16
	v_cmp_gt_i64_e32 vcc_lo, s[4:5], v[0:1]
	v_lshl_add_u32 v0, v8, 10, v6
	v_add3_u32 v26, v7, s35, v9
	v_mad_co_u64_u32 v[6:7], null, s35, v10, v[9:10]
	s_wait_alu 0xfffe
	s_sub_co_i32 s5, s9, s37
	v_mad_co_u64_u32 v[7:8], null, s35, v12, v[9:10]
	v_lshl_add_u32 v27, v11, 2, v9
	v_mad_co_u64_u32 v[8:9], null, s34, v24, s[34:35]
	v_mul_lo_u32 v28, s34, v10
	v_mul_lo_u32 v29, s34, v12
	s_wait_alu 0xfffe
	s_cmp_gt_i32 s5, 0
	v_cmp_gt_u32_e64 s5, 0x100, v5
	v_lshlrev_b64_e32 v[9:10], 1, v[2:3]
	v_cmp_gt_i32_e64 s0, s8, v23
	v_cmp_gt_i32_e64 s4, s37, v24
	v_ashrrev_i32_e32 v5, 31, v4
	v_lshlrev_b32_e32 v30, 2, v13
	s_cselect_b32 s38, -1, 0
	s_and_b32 s39, s5, vcc_lo
	s_lshl_b32 s40, s35, 4
	s_lshl_b32 s41, s34, 4
	s_lshl_b64 s[18:19], s[18:19], 1
	s_lshl_b64 s[30:31], s[30:31], 1
	s_lshl_b64 s[26:27], s[26:27], 1
	s_branch .LBB586_4
.LBB586_2:                              ;   in Loop: Header=BB586_4 Depth=1
	s_wait_alu 0xfffe
	s_or_b32 exec_lo, exec_lo, s7
.LBB586_3:                              ;   in Loop: Header=BB586_4 Depth=1
	s_add_co_i32 s10, s10, 0x10000
	s_delay_alu instid0(SALU_CYCLE_1)
	s_cmp_lt_u32 s10, s33
	s_cbranch_scc0 .LBB586_73
.LBB586_4:                              ; =>This Loop Header: Depth=1
                                        ;     Child Loop BB586_25 Depth 2
	s_mul_u64 s[42:43], s[14:15], s[10:11]
	s_mul_u64 s[44:45], s[22:23], s[10:11]
	s_wait_alu 0xfffe
	s_lshl_b64 s[42:43], s[42:43], 2
	s_lshl_b64 s[44:45], s[44:45], 2
	s_wait_alu 0xfffe
	s_add_nc_u64 s[42:43], s[12:13], s[42:43]
	s_add_nc_u64 s[44:45], s[20:21], s[44:45]
	s_clause 0x1
	global_load_b32 v33, v1, s[42:43]
	global_load_b32 v11, v1, s[44:45]
	s_wait_loadcnt 0x1
	v_cmp_eq_f32_e64 s7, 0, v33
	s_wait_loadcnt 0x0
	v_cmp_eq_f32_e32 vcc_lo, 1.0, v11
	v_readfirstlane_b32 s42, v11
	s_and_b32 s8, s7, vcc_lo
	s_wait_alu 0xfffe
	s_and_b32 vcc_lo, exec_lo, s8
	s_wait_alu 0xfffe
	s_cbranch_vccnz .LBB586_3
; %bb.5:                                ;   in Loop: Header=BB586_4 Depth=1
	v_mov_b32_e32 v13, 0
	v_dual_mov_b32 v14, 0 :: v_dual_mov_b32 v11, 0
	v_cmp_neq_f32_e64 s8, 0, v33
	v_mov_b32_e32 v12, 0
	s_and_b32 vcc_lo, exec_lo, s7
	s_wait_alu 0xfffe
	s_cbranch_vccnz .LBB586_7
; %bb.6:                                ;   in Loop: Header=BB586_4 Depth=1
	s_lshl_b64 s[44:45], s[10:11], 3
	s_wait_alu 0xfffe
	s_add_nc_u64 s[44:45], s[16:17], s[44:45]
	global_load_b64 v[11:12], v1, s[44:45]
	s_wait_loadcnt 0x0
	v_add_co_u32 v11, vcc_lo, v11, s18
	s_wait_alu 0xfffd
	v_add_co_ci_u32_e64 v12, null, s19, v12, vcc_lo
.LBB586_7:                              ;   in Loop: Header=BB586_4 Depth=1
	s_and_not1_b32 vcc_lo, exec_lo, s8
	s_wait_alu 0xfffe
	s_cbranch_vccnz .LBB586_9
; %bb.8:                                ;   in Loop: Header=BB586_4 Depth=1
	s_lshl_b64 s[44:45], s[10:11], 3
	s_wait_alu 0xfffe
	s_add_nc_u64 s[44:45], s[28:29], s[44:45]
	global_load_b64 v[13:14], v1, s[44:45]
	s_wait_loadcnt 0x0
	v_add_co_u32 v13, vcc_lo, v13, s30
	s_wait_alu 0xfffd
	v_add_co_ci_u32_e64 v14, null, s31, v14, vcc_lo
.LBB586_9:                              ;   in Loop: Header=BB586_4 Depth=1
	s_lshl_b64 s[44:45], s[10:11], 3
	s_wait_alu 0xfffe
	s_add_nc_u64 s[44:45], s[24:25], s[44:45]
	global_load_b64 v[15:16], v1, s[44:45]
	s_wait_loadcnt 0x0
	v_add_co_u32 v31, vcc_lo, v15, s26
	s_wait_alu 0xfffd
	v_add_co_ci_u32_e64 v32, null, s27, v16, vcc_lo
	s_and_not1_b32 vcc_lo, exec_lo, s7
	s_wait_alu 0xfffe
	s_cbranch_vccnz .LBB586_17
; %bb.10:                               ;   in Loop: Header=BB586_4 Depth=1
	s_mov_b32 s7, 0
	s_mov_b32 s8, 0
                                        ; implicit-def: $vgpr15
	s_and_saveexec_b32 s43, s39
	s_cbranch_execz .LBB586_18
; %bb.11:                               ;   in Loop: Header=BB586_4 Depth=1
	s_cmp_eq_f32 s42, 0
	s_cbranch_scc1 .LBB586_57
; %bb.12:                               ;   in Loop: Header=BB586_4 Depth=1
	v_add_co_u32 v15, vcc_lo, v31, v9
	s_wait_alu 0xfffd
	v_add_co_ci_u32_e64 v16, null, v32, v10, vcc_lo
	flat_load_u16 v15, v[15:16]
	s_wait_loadcnt_dscnt 0x0
	v_lshlrev_b32_e32 v15, 16, v15
	s_delay_alu instid0(VALU_DEP_1) | instskip(NEXT) | instid1(VALU_DEP_1)
	v_mul_f32_e32 v15, s42, v15
	v_and_b32_e32 v16, 0x7f800000, v15
	s_delay_alu instid0(VALU_DEP_1)
	v_cmp_ne_u32_e32 vcc_lo, 0x7f800000, v16
                                        ; implicit-def: $vgpr16
	s_and_saveexec_b32 s8, vcc_lo
	s_wait_alu 0xfffe
	s_xor_b32 s8, exec_lo, s8
; %bb.13:                               ;   in Loop: Header=BB586_4 Depth=1
	v_bfe_u32 v16, v15, 16, 1
	s_delay_alu instid0(VALU_DEP_1)
	v_add3_u32 v16, v15, v16, 0x7fff
                                        ; implicit-def: $vgpr15
; %bb.14:                               ;   in Loop: Header=BB586_4 Depth=1
	s_wait_alu 0xfffe
	s_and_not1_saveexec_b32 s8, s8
; %bb.15:                               ;   in Loop: Header=BB586_4 Depth=1
	v_and_b32_e32 v16, 0xffff, v15
	v_or_b32_e32 v17, 0x10000, v15
	s_delay_alu instid0(VALU_DEP_2) | instskip(SKIP_1) | instid1(VALU_DEP_2)
	v_cmp_eq_u32_e32 vcc_lo, 0, v16
	s_wait_alu 0xfffd
	v_cndmask_b32_e32 v16, v17, v15, vcc_lo
; %bb.16:                               ;   in Loop: Header=BB586_4 Depth=1
	s_wait_alu 0xfffe
	s_or_b32 exec_lo, exec_lo, s8
	s_delay_alu instid0(VALU_DEP_1) | instskip(SKIP_2) | instid1(SALU_CYCLE_1)
	v_lshrrev_b32_e32 v15, 16, v16
	s_mov_b32 s8, exec_lo
	s_or_b32 exec_lo, exec_lo, s43
	s_and_b32 vcc_lo, exec_lo, s7
	s_wait_alu 0xfffe
	s_cbranch_vccnz .LBB586_19
	s_branch .LBB586_58
.LBB586_17:                             ;   in Loop: Header=BB586_4 Depth=1
	s_mov_b32 s8, 0
                                        ; implicit-def: $vgpr15
	s_cbranch_execnz .LBB586_19
	s_branch .LBB586_58
.LBB586_18:                             ;   in Loop: Header=BB586_4 Depth=1
	s_wait_alu 0xfffe
	s_or_b32 exec_lo, exec_lo, s43
	s_delay_alu instid0(SALU_CYCLE_1)
	s_and_b32 vcc_lo, exec_lo, s7
	s_wait_alu 0xfffe
	s_cbranch_vccz .LBB586_58
.LBB586_19:                             ;   in Loop: Header=BB586_4 Depth=1
	v_dual_mov_b32 v34, 0 :: v_dual_mov_b32 v35, 0
	v_dual_mov_b32 v38, v24 :: v_dual_mov_b32 v37, 0
	v_mov_b32_e32 v36, 0
	s_and_saveexec_b32 s7, s4
	s_cbranch_execz .LBB586_31
; %bb.20:                               ;   in Loop: Header=BB586_4 Depth=1
	v_dual_mov_b32 v34, 0 :: v_dual_mov_b32 v39, v27
	v_dual_mov_b32 v40, v7 :: v_dual_mov_b32 v41, v6
	;; [unrolled: 1-line block ×4, first 2 shown]
	v_mov_b32_e32 v36, 0
	s_mov_b32 s43, 0
	s_mov_b32 s44, 0
	s_branch .LBB586_25
.LBB586_21:                             ;   in Loop: Header=BB586_25 Depth=2
	s_or_b32 exec_lo, exec_lo, s48
	s_wait_loadcnt_dscnt 0x202
	v_lshlrev_b32_e32 v16, 16, v57
	v_lshlrev_b32_e32 v15, 16, v58
	s_wait_loadcnt_dscnt 0x101
	s_delay_alu instid0(VALU_DEP_1) | instskip(NEXT) | instid1(VALU_DEP_1)
	v_dual_fmac_f32 v36, v50, v15 :: v_dual_lshlrev_b32 v15, 16, v56
	v_fmac_f32_e32 v36, v46, v16
	s_delay_alu instid0(VALU_DEP_1) | instskip(SKIP_2) | instid1(VALU_DEP_1)
	v_fmac_f32_e32 v36, v48, v15
	s_wait_loadcnt_dscnt 0x0
	v_lshlrev_b32_e32 v15, 16, v55
	v_fmac_f32_e32 v36, v44, v15
.LBB586_22:                             ;   in Loop: Header=BB586_25 Depth=2
	s_or_b32 exec_lo, exec_lo, s47
	s_wait_loadcnt_dscnt 0x303
	v_lshlrev_b32_e32 v15, 16, v54
	s_wait_loadcnt_dscnt 0x202
	s_delay_alu instid0(VALU_DEP_1) | instskip(SKIP_2) | instid1(VALU_DEP_2)
	v_dual_fmac_f32 v35, v50, v15 :: v_dual_lshlrev_b32 v16, 16, v53
	s_wait_loadcnt_dscnt 0x101
	v_lshlrev_b32_e32 v15, 16, v52
	v_fmac_f32_e32 v35, v46, v16
	s_delay_alu instid0(VALU_DEP_1) | instskip(SKIP_2) | instid1(VALU_DEP_1)
	v_fmac_f32_e32 v35, v48, v15
	s_wait_loadcnt_dscnt 0x0
	v_lshlrev_b32_e32 v15, 16, v51
	v_fmac_f32_e32 v35, v44, v15
.LBB586_23:                             ;   in Loop: Header=BB586_25 Depth=2
	s_or_b32 exec_lo, exec_lo, s46
	s_wait_loadcnt_dscnt 0x202
	v_lshlrev_b32_e32 v16, 16, v47
	v_lshlrev_b32_e32 v15, 16, v49
	s_wait_loadcnt_dscnt 0x101
	s_delay_alu instid0(VALU_DEP_1) | instskip(NEXT) | instid1(VALU_DEP_1)
	v_dual_fmac_f32 v34, v50, v15 :: v_dual_lshlrev_b32 v15, 16, v45
	v_fmac_f32_e32 v34, v46, v16
	s_delay_alu instid0(VALU_DEP_1) | instskip(SKIP_2) | instid1(VALU_DEP_1)
	v_fmac_f32_e32 v34, v48, v15
	s_wait_loadcnt_dscnt 0x0
	v_lshlrev_b32_e32 v15, 16, v43
	v_fmac_f32_e32 v34, v44, v15
.LBB586_24:                             ;   in Loop: Header=BB586_25 Depth=2
	s_wait_alu 0xfffe
	s_or_b32 exec_lo, exec_lo, s45
	v_add_nc_u32_e32 v38, 16, v38
	v_add_nc_u32_e32 v42, s40, v42
	;; [unrolled: 1-line block ×5, first 2 shown]
	v_cmp_le_i32_e32 vcc_lo, s37, v38
	s_add_co_i32 s44, s44, s41
	s_or_b32 s43, vcc_lo, s43
	s_wait_alu 0xfffe
	s_and_not1_b32 exec_lo, exec_lo, s43
	s_cbranch_execz .LBB586_30
.LBB586_25:                             ;   Parent Loop BB586_4 Depth=1
                                        ; =>  This Inner Loop Header: Depth=2
	s_and_saveexec_b32 s45, s0
	s_cbranch_execz .LBB586_24
; %bb.26:                               ;   in Loop: Header=BB586_25 Depth=2
	s_wait_alu 0xfffe
	v_add_nc_u32_e32 v15, s44, v30
	v_add_nc_u32_e32 v17, s44, v8
	;; [unrolled: 1-line block ×5, first 2 shown]
	v_ashrrev_i32_e32 v16, 31, v15
	v_ashrrev_i32_e32 v18, 31, v17
	;; [unrolled: 1-line block ×5, first 2 shown]
	v_lshlrev_b64_e32 v[15:16], 1, v[15:16]
	v_lshlrev_b64_e32 v[17:18], 1, v[17:18]
	;; [unrolled: 1-line block ×4, first 2 shown]
	v_add_nc_u32_e32 v45, s36, v42
	v_add_nc_u32_e32 v47, s36, v41
	v_add_co_u32 v15, vcc_lo, v13, v15
	s_wait_alu 0xfffd
	v_add_co_ci_u32_e64 v16, null, v14, v16, vcc_lo
	v_add_co_u32 v17, vcc_lo, v13, v17
	s_wait_alu 0xfffd
	v_add_co_ci_u32_e64 v18, null, v14, v18, vcc_lo
	;; [unrolled: 3-line block ×4, first 2 shown]
	v_lshlrev_b64_e32 v[43:44], 1, v[43:44]
	s_clause 0x3
	flat_load_u16 v50, v[15:16]
	flat_load_u16 v51, v[17:18]
	;; [unrolled: 1-line block ×4, first 2 shown]
	v_add_nc_u32_e32 v19, s36, v40
	v_ashrrev_i32_e32 v46, 31, v45
	v_ashrrev_i32_e32 v48, 31, v47
	v_add_co_u32 v15, vcc_lo, v11, v43
	s_delay_alu instid0(VALU_DEP_4) | instskip(NEXT) | instid1(VALU_DEP_4)
	v_ashrrev_i32_e32 v20, 31, v19
	v_lshlrev_b64_e32 v[17:18], 1, v[45:46]
	s_wait_alu 0xfffd
	v_add_co_ci_u32_e64 v16, null, v12, v44, vcc_lo
	v_lshlrev_b64_e32 v[43:44], 1, v[47:48]
	v_lshlrev_b64_e32 v[19:20], 1, v[19:20]
	s_delay_alu instid0(VALU_DEP_4) | instskip(SKIP_2) | instid1(VALU_DEP_4)
	v_add_co_u32 v21, vcc_lo, v11, v17
	s_wait_alu 0xfffd
	v_add_co_ci_u32_e64 v22, null, v12, v18, vcc_lo
	v_add_co_u32 v17, vcc_lo, v11, v43
	s_wait_alu 0xfffd
	v_add_co_ci_u32_e64 v18, null, v12, v44, vcc_lo
	;; [unrolled: 3-line block ×3, first 2 shown]
	s_clause 0x3
	flat_load_u16 v49, v[15:16]
	flat_load_u16 v47, v[21:22]
	;; [unrolled: 1-line block ×4, first 2 shown]
	s_wait_loadcnt_dscnt 0x707
	v_lshlrev_b32_e32 v50, 16, v50
	s_wait_loadcnt_dscnt 0x606
	v_lshlrev_b32_e32 v46, 16, v51
	;; [unrolled: 2-line block ×4, first 2 shown]
	s_and_saveexec_b32 s46, s1
	s_cbranch_execz .LBB586_23
; %bb.27:                               ;   in Loop: Header=BB586_25 Depth=2
	s_clause 0x3
	flat_load_u16 v54, v[15:16] offset:128
	flat_load_u16 v53, v[21:22] offset:128
	flat_load_u16 v52, v[17:18] offset:128
	flat_load_u16 v51, v[19:20] offset:128
	s_and_saveexec_b32 s47, s2
	s_cbranch_execz .LBB586_22
; %bb.28:                               ;   in Loop: Header=BB586_25 Depth=2
	s_clause 0x3
	flat_load_u16 v58, v[15:16] offset:256
	flat_load_u16 v57, v[21:22] offset:256
	flat_load_u16 v56, v[17:18] offset:256
	flat_load_u16 v55, v[19:20] offset:256
	;; [unrolled: 8-line block ×3, first 2 shown]
	s_wait_loadcnt_dscnt 0x303
	v_lshlrev_b32_e32 v15, 16, v15
	s_wait_loadcnt_dscnt 0x202
	s_delay_alu instid0(VALU_DEP_1) | instskip(SKIP_3) | instid1(VALU_DEP_2)
	v_dual_fmac_f32 v37, v50, v15 :: v_dual_lshlrev_b32 v16, 16, v16
	s_wait_loadcnt_dscnt 0x101
	v_lshlrev_b32_e32 v15, 16, v17
	s_wait_loadcnt_dscnt 0x0
	v_dual_fmac_f32 v37, v46, v16 :: v_dual_lshlrev_b32 v16, 16, v18
	s_delay_alu instid0(VALU_DEP_1) | instskip(NEXT) | instid1(VALU_DEP_1)
	v_fmac_f32_e32 v37, v48, v15
	v_fmac_f32_e32 v37, v44, v16
	s_branch .LBB586_21
.LBB586_30:                             ;   in Loop: Header=BB586_4 Depth=1
	s_or_b32 exec_lo, exec_lo, s43
.LBB586_31:                             ;   in Loop: Header=BB586_4 Depth=1
	s_wait_alu 0xfffe
	s_or_b32 exec_lo, exec_lo, s7
	s_delay_alu instid0(SALU_CYCLE_1)
	s_and_not1_b32 vcc_lo, exec_lo, s38
	s_wait_alu 0xfffe
	s_cbranch_vccnz .LBB586_49
; %bb.32:                               ;   in Loop: Header=BB586_4 Depth=1
	v_cmp_gt_i32_e32 vcc_lo, s9, v38
	v_dual_mov_b32 v20, 0 :: v_dual_mov_b32 v19, 0
	v_or_b32_e32 v15, 1, v38
	v_dual_mov_b32 v22, 0 :: v_dual_mov_b32 v21, 0
	s_and_saveexec_b32 s43, vcc_lo
	s_cbranch_execz .LBB586_40
; %bb.33:                               ;   in Loop: Header=BB586_4 Depth=1
	v_mul_lo_u32 v16, v38, s34
	v_dual_mov_b32 v21, 0 :: v_dual_mov_b32 v20, 0
	v_mov_b32_e32 v19, 0
	s_mov_b32 s44, exec_lo
	s_delay_alu instid0(VALU_DEP_3) | instskip(NEXT) | instid1(VALU_DEP_1)
	v_ashrrev_i32_e32 v17, 31, v16
	v_lshlrev_b64_e32 v[16:17], 1, v[16:17]
	s_delay_alu instid0(VALU_DEP_1) | instskip(SKIP_1) | instid1(VALU_DEP_2)
	v_add_co_u32 v16, s7, v13, v16
	s_wait_alu 0xf1ff
	v_add_co_ci_u32_e64 v17, null, v14, v17, s7
	flat_load_u16 v16, v[16:17]
	v_cmpx_gt_i32_e64 s9, v15
	s_cbranch_execz .LBB586_39
; %bb.34:                               ;   in Loop: Header=BB586_4 Depth=1
	v_mul_lo_u32 v17, v15, s34
	v_dual_mov_b32 v19, 0 :: v_dual_mov_b32 v20, 0
	s_mov_b32 s45, exec_lo
	s_delay_alu instid0(VALU_DEP_2) | instskip(NEXT) | instid1(VALU_DEP_1)
	v_ashrrev_i32_e32 v18, 31, v17
	v_lshlrev_b64_e32 v[17:18], 1, v[17:18]
	s_delay_alu instid0(VALU_DEP_1) | instskip(SKIP_1) | instid1(VALU_DEP_2)
	v_add_co_u32 v17, s7, v13, v17
	s_wait_alu 0xf1ff
	v_add_co_ci_u32_e64 v18, null, v14, v18, s7
	flat_load_u16 v17, v[17:18]
	v_or_b32_e32 v18, 2, v38
	s_delay_alu instid0(VALU_DEP_1)
	v_cmpx_gt_i32_e64 s9, v18
	s_cbranch_execz .LBB586_38
; %bb.35:                               ;   in Loop: Header=BB586_4 Depth=1
	v_mul_lo_u32 v18, v18, s34
	v_or_b32_e32 v20, 3, v38
	s_mov_b32 s46, exec_lo
	s_delay_alu instid0(VALU_DEP_2) | instskip(NEXT) | instid1(VALU_DEP_1)
	v_ashrrev_i32_e32 v19, 31, v18
	v_lshlrev_b64_e32 v[18:19], 1, v[18:19]
	s_delay_alu instid0(VALU_DEP_1) | instskip(SKIP_1) | instid1(VALU_DEP_2)
	v_add_co_u32 v18, s7, v13, v18
	s_wait_alu 0xf1ff
	v_add_co_ci_u32_e64 v19, null, v14, v19, s7
	flat_load_u16 v18, v[18:19]
	v_mov_b32_e32 v19, 0
	v_cmpx_gt_i32_e64 s9, v20
	s_cbranch_execz .LBB586_37
; %bb.36:                               ;   in Loop: Header=BB586_4 Depth=1
	v_mul_lo_u32 v19, v20, s34
	s_delay_alu instid0(VALU_DEP_1) | instskip(NEXT) | instid1(VALU_DEP_1)
	v_ashrrev_i32_e32 v20, 31, v19
	v_lshlrev_b64_e32 v[19:20], 1, v[19:20]
	s_delay_alu instid0(VALU_DEP_1) | instskip(SKIP_1) | instid1(VALU_DEP_2)
	v_add_co_u32 v13, s7, v13, v19
	s_wait_alu 0xf1ff
	v_add_co_ci_u32_e64 v14, null, v14, v20, s7
	flat_load_u16 v13, v[13:14]
	s_wait_loadcnt_dscnt 0x0
	v_lshlrev_b32_e32 v19, 16, v13
.LBB586_37:                             ;   in Loop: Header=BB586_4 Depth=1
	s_or_b32 exec_lo, exec_lo, s46
	s_wait_loadcnt_dscnt 0x0
	v_lshlrev_b32_e32 v20, 16, v18
.LBB586_38:                             ;   in Loop: Header=BB586_4 Depth=1
	s_wait_alu 0xfffe
	s_or_b32 exec_lo, exec_lo, s45
	s_wait_loadcnt_dscnt 0x0
	v_lshlrev_b32_e32 v21, 16, v17
.LBB586_39:                             ;   in Loop: Header=BB586_4 Depth=1
	s_wait_alu 0xfffe
	s_or_b32 exec_lo, exec_lo, s44
	s_wait_loadcnt_dscnt 0x0
	v_lshlrev_b32_e32 v22, 16, v16
.LBB586_40:                             ;   in Loop: Header=BB586_4 Depth=1
	s_wait_alu 0xfffe
	s_or_b32 exec_lo, exec_lo, s43
	s_and_saveexec_b32 s7, s0
	s_cbranch_execz .LBB586_48
; %bb.41:                               ;   in Loop: Header=BB586_4 Depth=1
	v_mul_lo_u32 v14, v38, s35
	v_or_b32_e32 v13, 2, v38
	v_mul_lo_u32 v17, v15, s35
	v_or_b32_e32 v16, 3, v38
	s_delay_alu instid0(VALU_DEP_3) | instskip(NEXT) | instid1(VALU_DEP_2)
	v_mul_lo_u32 v18, v13, s35
	v_mul_lo_u32 v38, v16, s35
	v_cndmask_b32_e32 v14, 0, v14, vcc_lo
	v_cmp_gt_i32_e32 vcc_lo, s9, v15
	s_wait_alu 0xfffd
	v_cndmask_b32_e32 v15, 0, v17, vcc_lo
	v_cmp_gt_i32_e32 vcc_lo, s9, v13
	v_add_nc_u32_e32 v13, v14, v23
	s_delay_alu instid0(VALU_DEP_3)
	v_add_nc_u32_e32 v15, v15, v23
	s_wait_alu 0xfffd
	v_cndmask_b32_e32 v17, 0, v18, vcc_lo
	v_cmp_gt_i32_e32 vcc_lo, s9, v16
	v_ashrrev_i32_e32 v14, 31, v13
	s_wait_alu 0xfffd
	v_cndmask_b32_e32 v16, 0, v38, vcc_lo
	s_delay_alu instid0(VALU_DEP_2) | instskip(NEXT) | instid1(VALU_DEP_2)
	v_lshlrev_b64_e32 v[13:14], 1, v[13:14]
	v_add_nc_u32_e32 v38, v16, v23
	v_add_nc_u32_e32 v17, v17, v23
	v_ashrrev_i32_e32 v16, 31, v15
	s_delay_alu instid0(VALU_DEP_3) | instskip(NEXT) | instid1(VALU_DEP_3)
	v_ashrrev_i32_e32 v39, 31, v38
	v_ashrrev_i32_e32 v18, 31, v17
	s_delay_alu instid0(VALU_DEP_3) | instskip(SKIP_1) | instid1(VALU_DEP_4)
	v_lshlrev_b64_e32 v[40:41], 1, v[15:16]
	v_add_co_u32 v15, vcc_lo, v11, v13
	v_lshlrev_b64_e32 v[38:39], 1, v[38:39]
	s_delay_alu instid0(VALU_DEP_4)
	v_lshlrev_b64_e32 v[42:43], 1, v[17:18]
	s_wait_alu 0xfffd
	v_add_co_ci_u32_e64 v16, null, v12, v14, vcc_lo
	v_add_co_u32 v17, vcc_lo, v11, v40
	s_wait_alu 0xfffd
	v_add_co_ci_u32_e64 v18, null, v12, v41, vcc_lo
	v_add_co_u32 v13, vcc_lo, v11, v42
	;; [unrolled: 3-line block ×3, first 2 shown]
	s_wait_alu 0xfffd
	v_add_co_ci_u32_e64 v12, null, v12, v39, vcc_lo
	s_clause 0x3
	flat_load_u16 v41, v[15:16]
	flat_load_u16 v40, v[17:18]
	;; [unrolled: 1-line block ×4, first 2 shown]
	s_and_saveexec_b32 s43, s1
	s_cbranch_execz .LBB586_47
; %bb.42:                               ;   in Loop: Header=BB586_4 Depth=1
	s_clause 0x3
	flat_load_u16 v45, v[15:16] offset:128
	flat_load_u16 v44, v[17:18] offset:128
	flat_load_u16 v43, v[13:14] offset:128
	flat_load_u16 v42, v[11:12] offset:128
	s_and_saveexec_b32 s44, s2
	s_cbranch_execz .LBB586_46
; %bb.43:                               ;   in Loop: Header=BB586_4 Depth=1
	s_clause 0x3
	flat_load_u16 v49, v[15:16] offset:256
	flat_load_u16 v48, v[17:18] offset:256
	flat_load_u16 v47, v[13:14] offset:256
	flat_load_u16 v46, v[11:12] offset:256
	;; [unrolled: 8-line block ×3, first 2 shown]
	s_wait_loadcnt_dscnt 0x0
	v_lshlrev_b32_e32 v11, 16, v11
	v_lshlrev_b32_e32 v14, 16, v16
	;; [unrolled: 1-line block ×3, first 2 shown]
	s_delay_alu instid0(VALU_DEP_1) | instskip(NEXT) | instid1(VALU_DEP_1)
	v_dual_fmac_f32 v37, v22, v12 :: v_dual_lshlrev_b32 v12, 16, v13
	v_fmac_f32_e32 v37, v21, v14
	s_delay_alu instid0(VALU_DEP_1) | instskip(NEXT) | instid1(VALU_DEP_1)
	v_fmac_f32_e32 v37, v20, v12
	v_fmac_f32_e32 v37, v19, v11
.LBB586_45:                             ;   in Loop: Header=BB586_4 Depth=1
	s_wait_alu 0xfffe
	s_or_b32 exec_lo, exec_lo, s45
	s_wait_loadcnt_dscnt 0x202
	v_lshlrev_b32_e32 v12, 16, v48
	v_lshlrev_b32_e32 v11, 16, v49
	s_delay_alu instid0(VALU_DEP_1) | instskip(SKIP_1) | instid1(VALU_DEP_1)
	v_fmac_f32_e32 v36, v22, v11
	s_wait_loadcnt_dscnt 0x101
	v_dual_fmac_f32 v36, v21, v12 :: v_dual_lshlrev_b32 v11, 16, v47
	s_wait_loadcnt_dscnt 0x0
	s_delay_alu instid0(VALU_DEP_1) | instskip(NEXT) | instid1(VALU_DEP_1)
	v_dual_fmac_f32 v36, v20, v11 :: v_dual_lshlrev_b32 v11, 16, v46
	v_fmac_f32_e32 v36, v19, v11
.LBB586_46:                             ;   in Loop: Header=BB586_4 Depth=1
	s_wait_alu 0xfffe
	s_or_b32 exec_lo, exec_lo, s44
	s_wait_loadcnt_dscnt 0x303
	v_lshlrev_b32_e32 v11, 16, v45
	s_wait_loadcnt_dscnt 0x202
	s_delay_alu instid0(VALU_DEP_1) | instskip(SKIP_2) | instid1(VALU_DEP_2)
	v_dual_fmac_f32 v35, v22, v11 :: v_dual_lshlrev_b32 v12, 16, v44
	s_wait_loadcnt_dscnt 0x101
	v_lshlrev_b32_e32 v11, 16, v43
	v_fmac_f32_e32 v35, v21, v12
	s_delay_alu instid0(VALU_DEP_1) | instskip(SKIP_2) | instid1(VALU_DEP_1)
	v_fmac_f32_e32 v35, v20, v11
	s_wait_loadcnt_dscnt 0x0
	v_lshlrev_b32_e32 v11, 16, v42
	v_fmac_f32_e32 v35, v19, v11
.LBB586_47:                             ;   in Loop: Header=BB586_4 Depth=1
	s_wait_alu 0xfffe
	s_or_b32 exec_lo, exec_lo, s43
	s_wait_loadcnt_dscnt 0x202
	v_lshlrev_b32_e32 v12, 16, v40
	v_lshlrev_b32_e32 v11, 16, v41
	s_delay_alu instid0(VALU_DEP_1) | instskip(SKIP_1) | instid1(VALU_DEP_1)
	v_fmac_f32_e32 v34, v22, v11
	s_wait_loadcnt_dscnt 0x101
	v_dual_fmac_f32 v34, v21, v12 :: v_dual_lshlrev_b32 v11, 16, v39
	s_wait_loadcnt_dscnt 0x0
	s_delay_alu instid0(VALU_DEP_1) | instskip(NEXT) | instid1(VALU_DEP_1)
	v_dual_fmac_f32 v34, v20, v11 :: v_dual_lshlrev_b32 v11, 16, v38
	v_fmac_f32_e32 v34, v19, v11
.LBB586_48:                             ;   in Loop: Header=BB586_4 Depth=1
	s_wait_alu 0xfffe
	s_or_b32 exec_lo, exec_lo, s7
.LBB586_49:                             ;   in Loop: Header=BB586_4 Depth=1
	ds_store_2addr_stride64_b32 v0, v34, v35 offset1:1
	ds_store_2addr_stride64_b32 v0, v36, v37 offset0:2 offset1:3
	s_wait_dscnt 0x0
	s_barrier_signal -1
	s_barrier_wait -1
	global_inv scope:SCOPE_SE
                                        ; implicit-def: $vgpr15
	s_and_saveexec_b32 s7, s5
	s_cbranch_execz .LBB586_71
; %bb.50:                               ;   in Loop: Header=BB586_4 Depth=1
	ds_load_2addr_stride64_b32 v[11:12], v25 offset1:4
	ds_load_2addr_stride64_b32 v[13:14], v25 offset0:8 offset1:12
	s_mov_b32 s44, s8
                                        ; implicit-def: $vgpr15
	s_wait_dscnt 0x1
	v_add_f32_e32 v11, v11, v12
	s_wait_dscnt 0x0
	s_delay_alu instid0(VALU_DEP_1) | instskip(NEXT) | instid1(VALU_DEP_1)
	v_add_f32_e32 v11, v13, v11
	v_add_f32_e32 v11, v14, v11
	ds_store_b32 v25, v11
	s_and_saveexec_b32 s43, s6
	s_cbranch_execz .LBB586_70
; %bb.51:                               ;   in Loop: Header=BB586_4 Depth=1
	v_mul_f32_e32 v11, v33, v11
	s_cmp_eq_f32 s42, 0
	s_cbranch_scc0 .LBB586_59
; %bb.52:                               ;   in Loop: Header=BB586_4 Depth=1
	s_delay_alu instid0(VALU_DEP_1) | instskip(NEXT) | instid1(VALU_DEP_1)
	v_and_b32_e32 v12, 0x7f800000, v11
	v_cmp_ne_u32_e32 vcc_lo, 0x7f800000, v12
                                        ; implicit-def: $vgpr12
	s_and_saveexec_b32 s44, vcc_lo
	s_wait_alu 0xfffe
	s_xor_b32 s44, exec_lo, s44
; %bb.53:                               ;   in Loop: Header=BB586_4 Depth=1
	v_bfe_u32 v12, v11, 16, 1
	s_delay_alu instid0(VALU_DEP_1)
	v_add3_u32 v12, v11, v12, 0x7fff
; %bb.54:                               ;   in Loop: Header=BB586_4 Depth=1
	s_wait_alu 0xfffe
	s_and_not1_saveexec_b32 s44, s44
; %bb.55:                               ;   in Loop: Header=BB586_4 Depth=1
	v_and_b32_e32 v12, 0xffff, v11
	v_or_b32_e32 v13, 0x10000, v11
	s_delay_alu instid0(VALU_DEP_2) | instskip(SKIP_1) | instid1(VALU_DEP_2)
	v_cmp_eq_u32_e32 vcc_lo, 0, v12
	s_wait_alu 0xfffd
	v_cndmask_b32_e32 v12, v13, v11, vcc_lo
; %bb.56:                               ;   in Loop: Header=BB586_4 Depth=1
	s_wait_alu 0xfffe
	s_or_b32 exec_lo, exec_lo, s44
	s_cbranch_execz .LBB586_60
	s_branch .LBB586_69
.LBB586_57:                             ;   in Loop: Header=BB586_4 Depth=1
	v_mov_b32_e32 v15, 0
	s_mov_b32 s8, exec_lo
	s_wait_alu 0xfffe
	s_or_b32 exec_lo, exec_lo, s43
	s_delay_alu instid0(SALU_CYCLE_1)
	s_and_b32 vcc_lo, exec_lo, s7
	s_wait_alu 0xfffe
	s_cbranch_vccnz .LBB586_19
.LBB586_58:                             ;   in Loop: Header=BB586_4 Depth=1
	v_dual_mov_b32 v12, v3 :: v_dual_mov_b32 v11, v2
	s_wait_alu 0xfffe
	s_and_saveexec_b32 s7, s8
	s_cbranch_execz .LBB586_2
	s_branch .LBB586_72
.LBB586_59:                             ;   in Loop: Header=BB586_4 Depth=1
                                        ; implicit-def: $vgpr12
.LBB586_60:                             ;   in Loop: Header=BB586_4 Depth=1
	v_lshlrev_b64_e32 v[12:13], 1, v[4:5]
	s_delay_alu instid0(VALU_DEP_1) | instskip(SKIP_1) | instid1(VALU_DEP_2)
	v_add_co_u32 v12, vcc_lo, v31, v12
	s_wait_alu 0xfffd
	v_add_co_ci_u32_e64 v13, null, v32, v13, vcc_lo
	flat_load_u16 v12, v[12:13]
	s_wait_loadcnt_dscnt 0x0
	v_lshlrev_b32_e32 v12, 16, v12
	s_delay_alu instid0(VALU_DEP_1) | instskip(NEXT) | instid1(VALU_DEP_1)
	v_mul_f32_e32 v12, s42, v12
	v_and_b32_e32 v13, 0x7f800000, v12
	s_delay_alu instid0(VALU_DEP_1)
	v_cmp_ne_u32_e32 vcc_lo, 0x7f800000, v13
                                        ; implicit-def: $vgpr13
	s_and_saveexec_b32 s42, vcc_lo
	s_wait_alu 0xfffe
	s_xor_b32 s42, exec_lo, s42
; %bb.61:                               ;   in Loop: Header=BB586_4 Depth=1
	v_bfe_u32 v13, v12, 16, 1
	s_delay_alu instid0(VALU_DEP_1)
	v_add3_u32 v13, v12, v13, 0x7fff
                                        ; implicit-def: $vgpr12
; %bb.62:                               ;   in Loop: Header=BB586_4 Depth=1
	s_wait_alu 0xfffe
	s_and_not1_saveexec_b32 s42, s42
; %bb.63:                               ;   in Loop: Header=BB586_4 Depth=1
	v_and_b32_e32 v13, 0xffff, v12
	v_or_b32_e32 v14, 0x10000, v12
	s_delay_alu instid0(VALU_DEP_2) | instskip(SKIP_1) | instid1(VALU_DEP_2)
	v_cmp_eq_u32_e32 vcc_lo, 0, v13
	s_wait_alu 0xfffd
	v_cndmask_b32_e32 v13, v14, v12, vcc_lo
; %bb.64:                               ;   in Loop: Header=BB586_4 Depth=1
	s_wait_alu 0xfffe
	s_or_b32 exec_lo, exec_lo, s42
	s_delay_alu instid0(VALU_DEP_1) | instskip(NEXT) | instid1(VALU_DEP_1)
	v_and_b32_e32 v12, 0xffff0000, v13
	v_add_f32_e32 v11, v11, v12
	s_delay_alu instid0(VALU_DEP_1) | instskip(NEXT) | instid1(VALU_DEP_1)
	v_and_b32_e32 v12, 0x7f800000, v11
	v_cmp_ne_u32_e32 vcc_lo, 0x7f800000, v12
                                        ; implicit-def: $vgpr12
	s_and_saveexec_b32 s42, vcc_lo
	s_wait_alu 0xfffe
	s_xor_b32 s42, exec_lo, s42
; %bb.65:                               ;   in Loop: Header=BB586_4 Depth=1
	v_bfe_u32 v12, v11, 16, 1
	s_delay_alu instid0(VALU_DEP_1)
	v_add3_u32 v12, v11, v12, 0x7fff
                                        ; implicit-def: $vgpr11
; %bb.66:                               ;   in Loop: Header=BB586_4 Depth=1
	s_wait_alu 0xfffe
	s_and_not1_saveexec_b32 s42, s42
; %bb.67:                               ;   in Loop: Header=BB586_4 Depth=1
	v_and_b32_e32 v12, 0xffff, v11
	v_or_b32_e32 v13, 0x10000, v11
	s_delay_alu instid0(VALU_DEP_2) | instskip(SKIP_1) | instid1(VALU_DEP_2)
	v_cmp_eq_u32_e32 vcc_lo, 0, v12
	s_wait_alu 0xfffd
	v_cndmask_b32_e32 v12, v13, v11, vcc_lo
; %bb.68:                               ;   in Loop: Header=BB586_4 Depth=1
	s_wait_alu 0xfffe
	s_or_b32 exec_lo, exec_lo, s42
.LBB586_69:                             ;   in Loop: Header=BB586_4 Depth=1
	s_delay_alu instid0(VALU_DEP_1)
	v_lshrrev_b32_e32 v15, 16, v12
	s_or_b32 s44, s8, exec_lo
.LBB586_70:                             ;   in Loop: Header=BB586_4 Depth=1
	s_wait_alu 0xfffe
	s_or_b32 exec_lo, exec_lo, s43
	s_delay_alu instid0(SALU_CYCLE_1)
	s_and_not1_b32 s8, s8, exec_lo
	s_and_b32 s42, s44, exec_lo
	s_wait_alu 0xfffe
	s_or_b32 s8, s8, s42
.LBB586_71:                             ;   in Loop: Header=BB586_4 Depth=1
	s_wait_alu 0xfffe
	s_or_b32 exec_lo, exec_lo, s7
	v_dual_mov_b32 v12, v5 :: v_dual_mov_b32 v11, v4
	s_and_saveexec_b32 s7, s8
	s_cbranch_execz .LBB586_2
.LBB586_72:                             ;   in Loop: Header=BB586_4 Depth=1
	s_delay_alu instid0(VALU_DEP_1) | instskip(NEXT) | instid1(VALU_DEP_1)
	v_lshlrev_b64_e32 v[11:12], 1, v[11:12]
	v_add_co_u32 v11, vcc_lo, v31, v11
	s_wait_alu 0xfffd
	s_delay_alu instid0(VALU_DEP_2)
	v_add_co_ci_u32_e64 v12, null, v32, v12, vcc_lo
	flat_store_b16 v[11:12], v15
	s_branch .LBB586_2
.LBB586_73:
	s_endpgm
	.section	.rodata,"a",@progbits
	.p2align	6, 0x0
	.amdhsa_kernel _ZL20rocblas_gemvn_kernelILi64ELi4EiPK16rocblas_bfloat16PKfKPS0_EviiT3_lPKT2_lT1_lSA_lSB_lS7_lPT4_lSB_li
		.amdhsa_group_segment_fixed_size 4096
		.amdhsa_private_segment_fixed_size 0
		.amdhsa_kernarg_size 400
		.amdhsa_user_sgpr_count 2
		.amdhsa_user_sgpr_dispatch_ptr 0
		.amdhsa_user_sgpr_queue_ptr 0
		.amdhsa_user_sgpr_kernarg_segment_ptr 1
		.amdhsa_user_sgpr_dispatch_id 0
		.amdhsa_user_sgpr_private_segment_size 0
		.amdhsa_wavefront_size32 1
		.amdhsa_uses_dynamic_stack 0
		.amdhsa_enable_private_segment 0
		.amdhsa_system_sgpr_workgroup_id_x 1
		.amdhsa_system_sgpr_workgroup_id_y 0
		.amdhsa_system_sgpr_workgroup_id_z 1
		.amdhsa_system_sgpr_workgroup_info 0
		.amdhsa_system_vgpr_workitem_id 1
		.amdhsa_next_free_vgpr 59
		.amdhsa_next_free_sgpr 49
		.amdhsa_reserve_vcc 1
		.amdhsa_float_round_mode_32 0
		.amdhsa_float_round_mode_16_64 0
		.amdhsa_float_denorm_mode_32 3
		.amdhsa_float_denorm_mode_16_64 3
		.amdhsa_fp16_overflow 0
		.amdhsa_workgroup_processor_mode 1
		.amdhsa_memory_ordered 1
		.amdhsa_forward_progress 1
		.amdhsa_inst_pref_size 31
		.amdhsa_round_robin_scheduling 0
		.amdhsa_exception_fp_ieee_invalid_op 0
		.amdhsa_exception_fp_denorm_src 0
		.amdhsa_exception_fp_ieee_div_zero 0
		.amdhsa_exception_fp_ieee_overflow 0
		.amdhsa_exception_fp_ieee_underflow 0
		.amdhsa_exception_fp_ieee_inexact 0
		.amdhsa_exception_int_div_zero 0
	.end_amdhsa_kernel
	.section	.text._ZL20rocblas_gemvn_kernelILi64ELi4EiPK16rocblas_bfloat16PKfKPS0_EviiT3_lPKT2_lT1_lSA_lSB_lS7_lPT4_lSB_li,"axG",@progbits,_ZL20rocblas_gemvn_kernelILi64ELi4EiPK16rocblas_bfloat16PKfKPS0_EviiT3_lPKT2_lT1_lSA_lSB_lS7_lPT4_lSB_li,comdat
.Lfunc_end586:
	.size	_ZL20rocblas_gemvn_kernelILi64ELi4EiPK16rocblas_bfloat16PKfKPS0_EviiT3_lPKT2_lT1_lSA_lSB_lS7_lPT4_lSB_li, .Lfunc_end586-_ZL20rocblas_gemvn_kernelILi64ELi4EiPK16rocblas_bfloat16PKfKPS0_EviiT3_lPKT2_lT1_lSA_lSB_lS7_lPT4_lSB_li
                                        ; -- End function
	.set _ZL20rocblas_gemvn_kernelILi64ELi4EiPK16rocblas_bfloat16PKfKPS0_EviiT3_lPKT2_lT1_lSA_lSB_lS7_lPT4_lSB_li.num_vgpr, 59
	.set _ZL20rocblas_gemvn_kernelILi64ELi4EiPK16rocblas_bfloat16PKfKPS0_EviiT3_lPKT2_lT1_lSA_lSB_lS7_lPT4_lSB_li.num_agpr, 0
	.set _ZL20rocblas_gemvn_kernelILi64ELi4EiPK16rocblas_bfloat16PKfKPS0_EviiT3_lPKT2_lT1_lSA_lSB_lS7_lPT4_lSB_li.numbered_sgpr, 49
	.set _ZL20rocblas_gemvn_kernelILi64ELi4EiPK16rocblas_bfloat16PKfKPS0_EviiT3_lPKT2_lT1_lSA_lSB_lS7_lPT4_lSB_li.num_named_barrier, 0
	.set _ZL20rocblas_gemvn_kernelILi64ELi4EiPK16rocblas_bfloat16PKfKPS0_EviiT3_lPKT2_lT1_lSA_lSB_lS7_lPT4_lSB_li.private_seg_size, 0
	.set _ZL20rocblas_gemvn_kernelILi64ELi4EiPK16rocblas_bfloat16PKfKPS0_EviiT3_lPKT2_lT1_lSA_lSB_lS7_lPT4_lSB_li.uses_vcc, 1
	.set _ZL20rocblas_gemvn_kernelILi64ELi4EiPK16rocblas_bfloat16PKfKPS0_EviiT3_lPKT2_lT1_lSA_lSB_lS7_lPT4_lSB_li.uses_flat_scratch, 1
	.set _ZL20rocblas_gemvn_kernelILi64ELi4EiPK16rocblas_bfloat16PKfKPS0_EviiT3_lPKT2_lT1_lSA_lSB_lS7_lPT4_lSB_li.has_dyn_sized_stack, 0
	.set _ZL20rocblas_gemvn_kernelILi64ELi4EiPK16rocblas_bfloat16PKfKPS0_EviiT3_lPKT2_lT1_lSA_lSB_lS7_lPT4_lSB_li.has_recursion, 0
	.set _ZL20rocblas_gemvn_kernelILi64ELi4EiPK16rocblas_bfloat16PKfKPS0_EviiT3_lPKT2_lT1_lSA_lSB_lS7_lPT4_lSB_li.has_indirect_call, 0
	.section	.AMDGPU.csdata,"",@progbits
; Kernel info:
; codeLenInByte = 3884
; TotalNumSgprs: 51
; NumVgprs: 59
; ScratchSize: 0
; MemoryBound: 0
; FloatMode: 240
; IeeeMode: 1
; LDSByteSize: 4096 bytes/workgroup (compile time only)
; SGPRBlocks: 0
; VGPRBlocks: 7
; NumSGPRsForWavesPerEU: 51
; NumVGPRsForWavesPerEU: 59
; Occupancy: 16
; WaveLimiterHint : 1
; COMPUTE_PGM_RSRC2:SCRATCH_EN: 0
; COMPUTE_PGM_RSRC2:USER_SGPR: 2
; COMPUTE_PGM_RSRC2:TRAP_HANDLER: 0
; COMPUTE_PGM_RSRC2:TGID_X_EN: 1
; COMPUTE_PGM_RSRC2:TGID_Y_EN: 0
; COMPUTE_PGM_RSRC2:TGID_Z_EN: 1
; COMPUTE_PGM_RSRC2:TIDIG_COMP_CNT: 1
	.section	.text._ZL20rocblas_gemvn_kernelILi64ELi4ElPK16rocblas_bfloat16PKfKPS0_EviiT3_lPKT2_lT1_lSA_lSB_lS7_lPT4_lSB_li,"axG",@progbits,_ZL20rocblas_gemvn_kernelILi64ELi4ElPK16rocblas_bfloat16PKfKPS0_EviiT3_lPKT2_lT1_lSA_lSB_lS7_lPT4_lSB_li,comdat
	.globl	_ZL20rocblas_gemvn_kernelILi64ELi4ElPK16rocblas_bfloat16PKfKPS0_EviiT3_lPKT2_lT1_lSA_lSB_lS7_lPT4_lSB_li ; -- Begin function _ZL20rocblas_gemvn_kernelILi64ELi4ElPK16rocblas_bfloat16PKfKPS0_EviiT3_lPKT2_lT1_lSA_lSB_lS7_lPT4_lSB_li
	.p2align	8
	.type	_ZL20rocblas_gemvn_kernelILi64ELi4ElPK16rocblas_bfloat16PKfKPS0_EviiT3_lPKT2_lT1_lSA_lSB_lS7_lPT4_lSB_li,@function
_ZL20rocblas_gemvn_kernelILi64ELi4ElPK16rocblas_bfloat16PKfKPS0_EviiT3_lPKT2_lT1_lSA_lSB_lS7_lPT4_lSB_li: ; @_ZL20rocblas_gemvn_kernelILi64ELi4ElPK16rocblas_bfloat16PKfKPS0_EviiT3_lPKT2_lT1_lSA_lSB_lS7_lPT4_lSB_li
; %bb.0:
	s_clause 0x1
	s_load_b64 s[2:3], s[0:1], 0x9c
	s_load_b32 s33, s[0:1], 0x88
	s_lshr_b32 s10, ttmp7, 16
	s_wait_kmcnt 0x0
	s_lshr_b32 s4, s2, 16
	s_and_b32 s2, s2, 0xffff
	s_and_b32 s3, s3, 0xffff
	s_mul_i32 s2, s4, s2
	s_delay_alu instid0(SALU_CYCLE_1) | instskip(NEXT) | instid1(SALU_CYCLE_1)
	s_mul_i32 s2, s2, s3
	s_cmp_lg_u32 s2, 0x100
	s_cselect_b32 s2, -1, 0
	s_cmp_ge_u32 s10, s33
	s_cselect_b32 s3, -1, 0
	s_delay_alu instid0(SALU_CYCLE_1) | instskip(NEXT) | instid1(SALU_CYCLE_1)
	s_or_b32 s2, s2, s3
	s_and_b32 vcc_lo, exec_lo, s2
	s_cbranch_vccnz .LBB587_73
; %bb.1:
	s_clause 0x6
	s_load_b64 s[38:39], s[0:1], 0x78
	s_load_b64 s[8:9], s[0:1], 0x0
	s_load_b256 s[12:19], s[0:1], 0x8
	s_load_b64 s[34:35], s[0:1], 0x28
	s_load_b128 s[28:31], s[0:1], 0x38
	s_load_b64 s[36:37], s[0:1], 0x48
	s_load_b256 s[20:27], s[0:1], 0x58
	v_dual_mov_b32 v1, 0 :: v_dual_and_b32 v2, 0x3ff, v0
	s_lshl_b32 s6, ttmp9, 8
	v_bfe_u32 v26, v0, 10, 10
	s_mov_b32 s11, 0
	s_delay_alu instid0(VALU_DEP_2) | instskip(SKIP_1) | instid1(VALU_DEP_3)
	v_or_b32_e32 v8, s6, v2
	v_lshlrev_b32_e32 v16, 2, v2
	v_lshl_add_u32 v5, v26, 6, v2
	s_delay_alu instid0(VALU_DEP_3) | instskip(SKIP_2) | instid1(VALU_DEP_4)
	v_add_nc_u32_e32 v6, 0x80, v8
	v_add_nc_u32_e32 v7, 0xc0, v8
	;; [unrolled: 1-line block ×3, first 2 shown]
	v_or_b32_e32 v17, s6, v5
	v_lshl_add_u32 v41, v26, 8, v16
	v_ashrrev_i32_e32 v9, 31, v8
	s_wait_kmcnt 0x0
	s_ashr_i32 s3, s9, 31
	v_cmp_gt_i32_e64 s2, s8, v6
	s_lshr_b32 s3, s3, 28
	s_ashr_i32 s5, s8, 31
	s_add_co_i32 s7, s9, s3
	v_cmp_gt_i32_e64 s3, s8, v7
	v_mad_co_u64_u32 v[6:7], null, s36, v26, 0
	s_mov_b32 s4, s8
	s_wait_alu 0xfffe
	s_and_b32 s42, s7, -16
	v_cmp_gt_i32_e64 s1, s8, v4
	v_mul_lo_u32 v18, s39, v17
	v_cmp_gt_i32_e64 s0, s8, v8
	v_mad_co_u64_u32 v[14:15], null, s37, v26, v[7:8]
	v_lshlrev_b32_e32 v40, 2, v26
	v_lshlrev_b64_e32 v[8:9], 1, v[8:9]
	s_delay_alu instid0(VALU_DEP_3) | instskip(NEXT) | instid1(VALU_DEP_3)
	v_mov_b32_e32 v7, v14
	v_or_b32_e32 v19, 3, v40
	v_or_b32_e32 v29, 2, v40
	v_mad_co_u64_u32 v[22:23], null, s36, v40, s[36:37]
	v_mad_co_u64_u32 v[24:25], null, s34, v40, s[34:35]
	s_delay_alu instid0(VALU_DEP_4) | instskip(SKIP_3) | instid1(VALU_DEP_3)
	v_mad_co_u64_u32 v[10:11], null, s34, v19, 0
	v_mad_co_u64_u32 v[12:13], null, s36, v19, 0
	;; [unrolled: 1-line block ×3, first 2 shown]
	v_lshlrev_b64_e32 v[6:7], 3, v[6:7]
	v_mad_co_u64_u32 v[14:15], null, s35, v19, v[11:12]
	s_delay_alu instid0(VALU_DEP_1) | instskip(NEXT) | instid1(VALU_DEP_1)
	v_dual_mov_b32 v11, v14 :: v_dual_add_nc_u32 v0, s6, v5
	v_mad_co_u64_u32 v[2:3], null, s38, v0, 0
	v_cmp_gt_i64_e32 vcc_lo, s[4:5], v[0:1]
	s_sub_co_i32 s5, s9, s42
	s_delay_alu instid0(VALU_DEP_3)
	v_lshlrev_b64_e32 v[10:11], 1, v[10:11]
	s_wait_alu 0xfffe
	s_cmp_gt_i32 s5, 0
	v_cmp_gt_u32_e64 s5, 0x100, v5
	s_cselect_b32 s43, -1, 0
	v_mad_co_u64_u32 v[3:4], null, s39, v0, v[3:4]
	v_mad_co_u64_u32 v[4:5], null, s38, v17, 0
	s_ashr_i32 s7, s6, 31
	v_lshl_add_u32 v0, v26, 10, v16
	s_wait_alu 0xfffe
	s_mul_i32 s7, s38, s7
	v_mad_co_u64_u32 v[15:16], null, s37, v19, v[13:14]
	v_cmp_gt_i32_e64 s6, s8, v17
	s_wait_alu 0xfffe
	v_add3_u32 v5, v5, s7, v18
	v_mad_co_u64_u32 v[16:17], null, s34, v26, 0
	v_mad_co_u64_u32 v[18:19], null, s34, v29, 0
	v_mov_b32_e32 v13, v15
	v_cmp_gt_i32_e64 s4, s42, v40
	s_and_b32 s44, s5, vcc_lo
	s_lshl_b64 s[38:39], s[36:37], 5
	v_dual_mov_b32 v14, v17 :: v_dual_mov_b32 v17, v25
	v_mov_b32_e32 v15, v19
	v_lshlrev_b64_e32 v[12:13], 1, v[12:13]
	s_lshl_b64 s[40:41], s[34:35], 5
	s_lshl_b64 s[18:19], s[18:19], 1
	;; [unrolled: 1-line block ×3, first 2 shown]
	v_mad_co_u64_u32 v[26:27], null, s35, v26, v[14:15]
	v_mov_b32_e32 v14, v21
	v_mad_co_u64_u32 v[27:28], null, s35, v29, v[15:16]
	v_mov_b32_e32 v15, v23
	s_lshl_b64 s[26:27], s[26:27], 1
	s_delay_alu instid0(VALU_DEP_1)
	v_mad_co_u64_u32 v[28:29], null, s37, v29, v[14:15]
	v_mad_co_u64_u32 v[14:15], null, s37, v40, v[15:16]
	v_mad_co_u64_u32 v[29:30], null, s35, v40, v[17:18]
	v_mov_b32_e32 v17, v26
	v_mov_b32_e32 v19, v27
	;; [unrolled: 1-line block ×4, first 2 shown]
	s_delay_alu instid0(VALU_DEP_4) | instskip(SKIP_4) | instid1(VALU_DEP_4)
	v_lshlrev_b64_e32 v[14:15], 3, v[16:17]
	v_mov_b32_e32 v25, v29
	v_lshlrev_b64_e32 v[16:17], 1, v[18:19]
	v_lshlrev_b64_e32 v[18:19], 1, v[20:21]
	;; [unrolled: 1-line block ×5, first 2 shown]
	s_branch .LBB587_4
.LBB587_2:                              ;   in Loop: Header=BB587_4 Depth=1
	s_wait_alu 0xfffe
	s_or_b32 exec_lo, exec_lo, s7
.LBB587_3:                              ;   in Loop: Header=BB587_4 Depth=1
	s_add_co_i32 s10, s10, 0x10000
	s_delay_alu instid0(SALU_CYCLE_1)
	s_cmp_lt_u32 s10, s33
	s_cbranch_scc0 .LBB587_73
.LBB587_4:                              ; =>This Loop Header: Depth=1
                                        ;     Child Loop BB587_25 Depth 2
	s_mul_u64 s[46:47], s[14:15], s[10:11]
	s_mul_u64 s[48:49], s[22:23], s[10:11]
	s_lshl_b64 s[46:47], s[46:47], 2
	s_lshl_b64 s[48:49], s[48:49], 2
	s_add_nc_u64 s[46:47], s[12:13], s[46:47]
	s_add_nc_u64 s[48:49], s[20:21], s[48:49]
	s_clause 0x1
	global_load_b32 v44, v1, s[46:47]
	global_load_b32 v26, v1, s[48:49]
	s_wait_loadcnt 0x1
	v_cmp_eq_f32_e64 s7, 0, v44
	s_wait_loadcnt 0x0
	v_cmp_eq_f32_e32 vcc_lo, 1.0, v26
	v_readfirstlane_b32 s45, v26
	s_and_b32 s8, s7, vcc_lo
	s_wait_alu 0xfffe
	s_and_b32 vcc_lo, exec_lo, s8
	s_wait_alu 0xfffe
	s_cbranch_vccnz .LBB587_3
; %bb.5:                                ;   in Loop: Header=BB587_4 Depth=1
	v_mov_b32_e32 v28, 0
	v_dual_mov_b32 v29, 0 :: v_dual_mov_b32 v26, 0
	v_cmp_neq_f32_e64 s8, 0, v44
	v_mov_b32_e32 v27, 0
	s_and_b32 vcc_lo, exec_lo, s7
	s_wait_alu 0xfffe
	s_cbranch_vccnz .LBB587_7
; %bb.6:                                ;   in Loop: Header=BB587_4 Depth=1
	s_lshl_b64 s[46:47], s[10:11], 3
	s_delay_alu instid0(SALU_CYCLE_1)
	s_add_nc_u64 s[46:47], s[16:17], s[46:47]
	global_load_b64 v[26:27], v1, s[46:47]
	s_wait_loadcnt 0x0
	v_add_co_u32 v26, vcc_lo, v26, s18
	s_wait_alu 0xfffd
	v_add_co_ci_u32_e64 v27, null, s19, v27, vcc_lo
.LBB587_7:                              ;   in Loop: Header=BB587_4 Depth=1
	s_and_not1_b32 vcc_lo, exec_lo, s8
	s_wait_alu 0xfffe
	s_cbranch_vccnz .LBB587_9
; %bb.8:                                ;   in Loop: Header=BB587_4 Depth=1
	s_lshl_b64 s[46:47], s[10:11], 3
	s_delay_alu instid0(SALU_CYCLE_1)
	s_add_nc_u64 s[46:47], s[28:29], s[46:47]
	global_load_b64 v[28:29], v1, s[46:47]
	s_wait_loadcnt 0x0
	v_add_co_u32 v28, vcc_lo, v28, s30
	s_wait_alu 0xfffd
	v_add_co_ci_u32_e64 v29, null, s31, v29, vcc_lo
.LBB587_9:                              ;   in Loop: Header=BB587_4 Depth=1
	s_lshl_b64 s[46:47], s[10:11], 3
	s_delay_alu instid0(SALU_CYCLE_1)
	s_add_nc_u64 s[46:47], s[24:25], s[46:47]
	global_load_b64 v[30:31], v1, s[46:47]
	s_wait_loadcnt 0x0
	v_add_co_u32 v42, vcc_lo, v30, s26
	s_wait_alu 0xfffd
	v_add_co_ci_u32_e64 v43, null, s27, v31, vcc_lo
	s_and_not1_b32 vcc_lo, exec_lo, s7
	s_wait_alu 0xfffe
	s_cbranch_vccnz .LBB587_17
; %bb.10:                               ;   in Loop: Header=BB587_4 Depth=1
	s_mov_b32 s7, 0
	s_mov_b32 s8, 0
                                        ; implicit-def: $vgpr30
	s_and_saveexec_b32 s46, s44
	s_cbranch_execz .LBB587_18
; %bb.11:                               ;   in Loop: Header=BB587_4 Depth=1
	s_cmp_eq_f32 s45, 0
	s_cbranch_scc1 .LBB587_57
; %bb.12:                               ;   in Loop: Header=BB587_4 Depth=1
	v_add_co_u32 v30, vcc_lo, v42, v24
	s_wait_alu 0xfffd
	v_add_co_ci_u32_e64 v31, null, v43, v25, vcc_lo
	flat_load_u16 v30, v[30:31]
	s_wait_loadcnt_dscnt 0x0
	v_lshlrev_b32_e32 v30, 16, v30
	s_delay_alu instid0(VALU_DEP_1) | instskip(NEXT) | instid1(VALU_DEP_1)
	v_mul_f32_e32 v30, s45, v30
	v_and_b32_e32 v31, 0x7f800000, v30
	s_delay_alu instid0(VALU_DEP_1)
	v_cmp_ne_u32_e32 vcc_lo, 0x7f800000, v31
                                        ; implicit-def: $vgpr31
	s_and_saveexec_b32 s8, vcc_lo
	s_wait_alu 0xfffe
	s_xor_b32 s8, exec_lo, s8
; %bb.13:                               ;   in Loop: Header=BB587_4 Depth=1
	v_bfe_u32 v31, v30, 16, 1
	s_delay_alu instid0(VALU_DEP_1)
	v_add3_u32 v31, v30, v31, 0x7fff
                                        ; implicit-def: $vgpr30
; %bb.14:                               ;   in Loop: Header=BB587_4 Depth=1
	s_wait_alu 0xfffe
	s_and_not1_saveexec_b32 s8, s8
; %bb.15:                               ;   in Loop: Header=BB587_4 Depth=1
	v_and_b32_e32 v31, 0xffff, v30
	v_or_b32_e32 v32, 0x10000, v30
	s_delay_alu instid0(VALU_DEP_2) | instskip(SKIP_1) | instid1(VALU_DEP_2)
	v_cmp_eq_u32_e32 vcc_lo, 0, v31
	s_wait_alu 0xfffd
	v_cndmask_b32_e32 v31, v32, v30, vcc_lo
; %bb.16:                               ;   in Loop: Header=BB587_4 Depth=1
	s_wait_alu 0xfffe
	s_or_b32 exec_lo, exec_lo, s8
	s_delay_alu instid0(VALU_DEP_1) | instskip(SKIP_2) | instid1(SALU_CYCLE_1)
	v_lshrrev_b32_e32 v30, 16, v31
	s_mov_b32 s8, exec_lo
	s_or_b32 exec_lo, exec_lo, s46
	s_and_b32 vcc_lo, exec_lo, s7
	s_wait_alu 0xfffe
	s_cbranch_vccnz .LBB587_19
	s_branch .LBB587_58
.LBB587_17:                             ;   in Loop: Header=BB587_4 Depth=1
	s_mov_b32 s8, 0
                                        ; implicit-def: $vgpr30
	s_cbranch_execnz .LBB587_19
	s_branch .LBB587_58
.LBB587_18:                             ;   in Loop: Header=BB587_4 Depth=1
	s_or_b32 exec_lo, exec_lo, s46
	s_wait_alu 0xfffe
	s_and_b32 vcc_lo, exec_lo, s7
	s_wait_alu 0xfffe
	s_cbranch_vccz .LBB587_58
.LBB587_19:                             ;   in Loop: Header=BB587_4 Depth=1
	v_dual_mov_b32 v45, 0 :: v_dual_mov_b32 v46, 0
	v_dual_mov_b32 v49, v40 :: v_dual_mov_b32 v48, 0
	v_mov_b32_e32 v47, 0
	s_and_saveexec_b32 s46, s4
	s_cbranch_execz .LBB587_31
; %bb.20:                               ;   in Loop: Header=BB587_4 Depth=1
	v_add_co_u32 v50, vcc_lo, v26, v10
	s_wait_alu 0xfffd
	v_add_co_ci_u32_e64 v51, null, v27, v11, vcc_lo
	v_add_co_u32 v52, vcc_lo, v26, v14
	s_wait_alu 0xfffd
	v_add_co_ci_u32_e64 v53, null, v27, v15, vcc_lo
	;; [unrolled: 3-line block ×3, first 2 shown]
	v_add_co_u32 v56, vcc_lo, v26, v22
	v_dual_mov_b32 v31, v29 :: v_dual_mov_b32 v46, 0
	s_wait_alu 0xfffd
	v_add_co_ci_u32_e64 v57, null, v27, v23, vcc_lo
	v_dual_mov_b32 v45, 0 :: v_dual_mov_b32 v30, v28
	v_dual_mov_b32 v49, v40 :: v_dual_mov_b32 v48, 0
	v_mov_b32_e32 v47, 0
	s_mov_b32 s47, 0
	s_branch .LBB587_25
.LBB587_21:                             ;   in Loop: Header=BB587_25 Depth=2
	s_or_b32 exec_lo, exec_lo, s50
	s_wait_loadcnt_dscnt 0x303
	v_lshlrev_b32_e32 v32, 16, v73
	s_wait_loadcnt_dscnt 0x202
	v_lshlrev_b32_e32 v33, 16, v72
	s_wait_loadcnt_dscnt 0x101
	s_delay_alu instid0(VALU_DEP_2) | instskip(NEXT) | instid1(VALU_DEP_1)
	v_dual_fmac_f32 v47, v65, v32 :: v_dual_lshlrev_b32 v32, 16, v71
	v_fmac_f32_e32 v47, v61, v33
	s_wait_loadcnt_dscnt 0x0
	s_delay_alu instid0(VALU_DEP_1) | instskip(NEXT) | instid1(VALU_DEP_1)
	v_dual_fmac_f32 v47, v63, v32 :: v_dual_lshlrev_b32 v32, 16, v70
	v_fmac_f32_e32 v47, v59, v32
.LBB587_22:                             ;   in Loop: Header=BB587_25 Depth=2
	s_or_b32 exec_lo, exec_lo, s49
	s_wait_loadcnt_dscnt 0x303
	v_lshlrev_b32_e32 v32, 16, v69
	s_wait_loadcnt_dscnt 0x202
	v_lshlrev_b32_e32 v33, 16, v68
	s_delay_alu instid0(VALU_DEP_2) | instskip(SKIP_2) | instid1(VALU_DEP_2)
	v_fmac_f32_e32 v46, v65, v32
	s_wait_loadcnt_dscnt 0x101
	v_lshlrev_b32_e32 v32, 16, v67
	v_fmac_f32_e32 v46, v61, v33
	s_delay_alu instid0(VALU_DEP_1) | instskip(SKIP_2) | instid1(VALU_DEP_1)
	v_fmac_f32_e32 v46, v63, v32
	s_wait_loadcnt_dscnt 0x0
	v_lshlrev_b32_e32 v32, 16, v66
	v_fmac_f32_e32 v46, v59, v32
.LBB587_23:                             ;   in Loop: Header=BB587_25 Depth=2
	s_or_b32 exec_lo, exec_lo, s48
	s_wait_loadcnt_dscnt 0x202
	v_lshlrev_b32_e32 v33, 16, v62
	v_lshlrev_b32_e32 v32, 16, v64
	s_delay_alu instid0(VALU_DEP_1) | instskip(SKIP_1) | instid1(VALU_DEP_1)
	v_fmac_f32_e32 v45, v65, v32
	s_wait_loadcnt_dscnt 0x101
	v_dual_fmac_f32 v45, v61, v33 :: v_dual_lshlrev_b32 v32, 16, v60
	s_wait_loadcnt_dscnt 0x0
	s_delay_alu instid0(VALU_DEP_1) | instskip(NEXT) | instid1(VALU_DEP_1)
	v_dual_fmac_f32 v45, v63, v32 :: v_dual_lshlrev_b32 v32, 16, v58
	v_fmac_f32_e32 v45, v59, v32
.LBB587_24:                             ;   in Loop: Header=BB587_25 Depth=2
	s_wait_alu 0xfffe
	s_or_b32 exec_lo, exec_lo, s7
	v_add_co_u32 v30, vcc_lo, v30, s38
	s_wait_alu 0xfffd
	v_add_co_ci_u32_e64 v31, null, s39, v31, vcc_lo
	v_add_co_u32 v50, vcc_lo, v50, s40
	v_add_nc_u32_e32 v49, 16, v49
	s_wait_alu 0xfffd
	v_add_co_ci_u32_e64 v51, null, s41, v51, vcc_lo
	v_add_co_u32 v52, vcc_lo, v52, s40
	s_wait_alu 0xfffd
	v_add_co_ci_u32_e64 v53, null, s41, v53, vcc_lo
	v_add_co_u32 v54, vcc_lo, v54, s40
	s_wait_alu 0xfffd
	v_add_co_ci_u32_e64 v55, null, s41, v55, vcc_lo
	v_cmp_le_i32_e32 vcc_lo, s42, v49
	v_add_co_u32 v56, s7, v56, s40
	s_wait_alu 0xf1ff
	v_add_co_ci_u32_e64 v57, null, s41, v57, s7
	s_or_b32 s47, vcc_lo, s47
	s_delay_alu instid0(SALU_CYCLE_1)
	s_and_not1_b32 exec_lo, exec_lo, s47
	s_cbranch_execz .LBB587_30
.LBB587_25:                             ;   Parent Loop BB587_4 Depth=1
                                        ; =>  This Inner Loop Header: Depth=2
	s_and_saveexec_b32 s7, s0
	s_cbranch_execz .LBB587_24
; %bb.26:                               ;   in Loop: Header=BB587_25 Depth=2
	v_add_co_u32 v32, vcc_lo, v30, v6
	s_wait_alu 0xfffd
	v_add_co_ci_u32_e64 v33, null, v31, v7, vcc_lo
	v_add_co_u32 v34, vcc_lo, v30, v20
	s_wait_alu 0xfffd
	v_add_co_ci_u32_e64 v35, null, v31, v21, vcc_lo
	;; [unrolled: 3-line block ×4, first 2 shown]
	s_clause 0x3
	flat_load_u16 v59, v[32:33]
	flat_load_u16 v61, v[34:35]
	flat_load_u16 v63, v[36:37]
	flat_load_u16 v66, v[38:39]
	v_add_co_u32 v32, vcc_lo, v52, v8
	s_wait_alu 0xfffd
	v_add_co_ci_u32_e64 v33, null, v53, v9, vcc_lo
	v_add_co_u32 v36, vcc_lo, v56, v8
	s_wait_alu 0xfffd
	v_add_co_ci_u32_e64 v37, null, v57, v9, vcc_lo
	;; [unrolled: 3-line block ×4, first 2 shown]
	flat_load_u16 v64, v[32:33]
	flat_load_u16 v62, v[36:37]
	;; [unrolled: 1-line block ×4, first 2 shown]
	s_wait_loadcnt_dscnt 0x707
	v_lshlrev_b32_e32 v65, 16, v59
	s_wait_loadcnt_dscnt 0x606
	v_lshlrev_b32_e32 v61, 16, v61
	;; [unrolled: 2-line block ×4, first 2 shown]
	s_and_saveexec_b32 s48, s1
	s_cbranch_execz .LBB587_23
; %bb.27:                               ;   in Loop: Header=BB587_25 Depth=2
	flat_load_u16 v69, v[32:33] offset:128
	flat_load_u16 v68, v[36:37] offset:128
	flat_load_u16 v67, v[34:35] offset:128
	flat_load_u16 v66, v[38:39] offset:128
	s_and_saveexec_b32 s49, s2
	s_cbranch_execz .LBB587_22
; %bb.28:                               ;   in Loop: Header=BB587_25 Depth=2
	flat_load_u16 v73, v[32:33] offset:256
	flat_load_u16 v72, v[36:37] offset:256
	flat_load_u16 v71, v[34:35] offset:256
	flat_load_u16 v70, v[38:39] offset:256
	;; [unrolled: 7-line block ×3, first 2 shown]
	s_wait_loadcnt_dscnt 0x303
	v_lshlrev_b32_e32 v32, 16, v32
	s_wait_loadcnt_dscnt 0x202
	s_delay_alu instid0(VALU_DEP_1) | instskip(SKIP_3) | instid1(VALU_DEP_2)
	v_dual_fmac_f32 v48, v65, v32 :: v_dual_lshlrev_b32 v33, 16, v33
	s_wait_loadcnt_dscnt 0x101
	v_lshlrev_b32_e32 v32, 16, v34
	s_wait_loadcnt_dscnt 0x0
	v_dual_fmac_f32 v48, v61, v33 :: v_dual_lshlrev_b32 v33, 16, v35
	s_delay_alu instid0(VALU_DEP_1) | instskip(NEXT) | instid1(VALU_DEP_1)
	v_fmac_f32_e32 v48, v63, v32
	v_fmac_f32_e32 v48, v59, v33
	s_branch .LBB587_21
.LBB587_30:                             ;   in Loop: Header=BB587_4 Depth=1
	s_or_b32 exec_lo, exec_lo, s47
.LBB587_31:                             ;   in Loop: Header=BB587_4 Depth=1
	s_delay_alu instid0(SALU_CYCLE_1) | instskip(NEXT) | instid1(SALU_CYCLE_1)
	s_or_b32 exec_lo, exec_lo, s46
	s_and_not1_b32 vcc_lo, exec_lo, s43
	s_wait_alu 0xfffe
	s_cbranch_vccnz .LBB587_49
; %bb.32:                               ;   in Loop: Header=BB587_4 Depth=1
	v_cmp_gt_i32_e32 vcc_lo, s9, v49
	v_dual_mov_b32 v35, 0 :: v_dual_mov_b32 v34, 0
	v_or_b32_e32 v30, 1, v49
	v_dual_mov_b32 v37, 0 :: v_dual_mov_b32 v36, 0
	s_and_saveexec_b32 s46, vcc_lo
	s_cbranch_execz .LBB587_40
; %bb.33:                               ;   in Loop: Header=BB587_4 Depth=1
	v_mad_co_u64_u32 v[31:32], null, s36, v49, 0
	v_dual_mov_b32 v36, 0 :: v_dual_mov_b32 v35, 0
	v_mov_b32_e32 v34, 0
	s_mov_b32 s47, exec_lo
	s_delay_alu instid0(VALU_DEP_3) | instskip(NEXT) | instid1(VALU_DEP_1)
	v_mad_co_u64_u32 v[32:33], null, s37, v49, v[32:33]
	v_lshlrev_b64_e32 v[31:32], 1, v[31:32]
	s_delay_alu instid0(VALU_DEP_1) | instskip(SKIP_1) | instid1(VALU_DEP_2)
	v_add_co_u32 v31, s7, v28, v31
	s_wait_alu 0xf1ff
	v_add_co_ci_u32_e64 v32, null, v29, v32, s7
	flat_load_u16 v31, v[31:32]
	v_cmpx_gt_i32_e64 s9, v30
	s_cbranch_execz .LBB587_39
; %bb.34:                               ;   in Loop: Header=BB587_4 Depth=1
	v_mad_co_u64_u32 v[32:33], null, s36, v30, 0
	s_mov_b32 s48, exec_lo
	v_mov_b32_e32 v35, 0
	v_mad_co_u64_u32 v[33:34], null, s37, v30, v[33:34]
	v_mov_b32_e32 v34, 0
	s_delay_alu instid0(VALU_DEP_2) | instskip(NEXT) | instid1(VALU_DEP_1)
	v_lshlrev_b64_e32 v[32:33], 1, v[32:33]
	v_add_co_u32 v32, s7, v28, v32
	s_wait_alu 0xf1ff
	s_delay_alu instid0(VALU_DEP_2) | instskip(SKIP_2) | instid1(VALU_DEP_1)
	v_add_co_ci_u32_e64 v33, null, v29, v33, s7
	flat_load_u16 v32, v[32:33]
	v_or_b32_e32 v33, 2, v49
	v_cmpx_gt_i32_e64 s9, v33
	s_cbranch_execz .LBB587_38
; %bb.35:                               ;   in Loop: Header=BB587_4 Depth=1
	v_mad_co_u64_u32 v[34:35], null, s36, v33, 0
	s_mov_b32 s49, exec_lo
	v_mad_co_u64_u32 v[35:36], null, s37, v33, v[35:36]
	s_delay_alu instid0(VALU_DEP_1) | instskip(SKIP_1) | instid1(VALU_DEP_2)
	v_lshlrev_b64_e32 v[33:34], 1, v[34:35]
	v_or_b32_e32 v35, 3, v49
	v_add_co_u32 v33, s7, v28, v33
	s_wait_alu 0xf1ff
	s_delay_alu instid0(VALU_DEP_3)
	v_add_co_ci_u32_e64 v34, null, v29, v34, s7
	flat_load_u16 v33, v[33:34]
	v_mov_b32_e32 v34, 0
	v_cmpx_gt_i32_e64 s9, v35
	s_cbranch_execz .LBB587_37
; %bb.36:                               ;   in Loop: Header=BB587_4 Depth=1
	v_mad_co_u64_u32 v[36:37], null, s36, v35, 0
	s_delay_alu instid0(VALU_DEP_1) | instskip(NEXT) | instid1(VALU_DEP_1)
	v_mov_b32_e32 v34, v37
	v_mad_co_u64_u32 v[34:35], null, s37, v35, v[34:35]
	s_delay_alu instid0(VALU_DEP_1) | instskip(NEXT) | instid1(VALU_DEP_1)
	v_mov_b32_e32 v37, v34
	v_lshlrev_b64_e32 v[34:35], 1, v[36:37]
	s_delay_alu instid0(VALU_DEP_1) | instskip(SKIP_1) | instid1(VALU_DEP_2)
	v_add_co_u32 v28, s7, v28, v34
	s_wait_alu 0xf1ff
	v_add_co_ci_u32_e64 v29, null, v29, v35, s7
	flat_load_u16 v28, v[28:29]
	s_wait_loadcnt_dscnt 0x0
	v_lshlrev_b32_e32 v34, 16, v28
.LBB587_37:                             ;   in Loop: Header=BB587_4 Depth=1
	s_or_b32 exec_lo, exec_lo, s49
	s_wait_loadcnt_dscnt 0x0
	v_lshlrev_b32_e32 v35, 16, v33
.LBB587_38:                             ;   in Loop: Header=BB587_4 Depth=1
	s_or_b32 exec_lo, exec_lo, s48
	s_wait_loadcnt_dscnt 0x0
	v_lshlrev_b32_e32 v36, 16, v32
.LBB587_39:                             ;   in Loop: Header=BB587_4 Depth=1
	s_or_b32 exec_lo, exec_lo, s47
	s_wait_loadcnt_dscnt 0x0
	v_lshlrev_b32_e32 v37, 16, v31
.LBB587_40:                             ;   in Loop: Header=BB587_4 Depth=1
	s_or_b32 exec_lo, exec_lo, s46
	s_and_saveexec_b32 s46, s0
	s_cbranch_execz .LBB587_48
; %bb.41:                               ;   in Loop: Header=BB587_4 Depth=1
	v_mad_co_u64_u32 v[28:29], null, s34, v49, 0
	v_or_b32_e32 v52, 2, v49
	v_mad_co_u64_u32 v[31:32], null, s34, v30, 0
	v_or_b32_e32 v53, 3, v49
	v_cmp_gt_i32_e64 s7, s9, v30
	s_delay_alu instid0(VALU_DEP_4) | instskip(SKIP_3) | instid1(VALU_DEP_4)
	v_mad_co_u64_u32 v[38:39], null, s34, v52, 0
	v_mad_co_u64_u32 v[49:50], null, s35, v49, v[29:30]
	;; [unrolled: 1-line block ×4, first 2 shown]
	v_mov_b32_e32 v30, v39
	s_delay_alu instid0(VALU_DEP_4)
	v_dual_cndmask_b32 v50, 0, v28 :: v_dual_cndmask_b32 v51, 0, v49
	s_wait_alu 0xf1ff
	v_cndmask_b32_e64 v28, 0, v31, s7
	v_cndmask_b32_e64 v29, 0, v29, s7
	v_mad_co_u64_u32 v[30:31], null, s35, v52, v[30:31]
	v_mov_b32_e32 v31, v33
	v_lshlrev_b64_e32 v[49:50], 1, v[50:51]
	v_cmp_gt_i32_e32 vcc_lo, s9, v52
	v_lshlrev_b64_e32 v[51:52], 1, v[28:29]
	s_wait_alu 0xfffd
	v_cndmask_b32_e32 v39, 0, v30, vcc_lo
	s_delay_alu instid0(VALU_DEP_4)
	v_add_co_u32 v28, s7, v26, v49
	s_wait_alu 0xf1ff
	v_add_co_ci_u32_e64 v29, null, v27, v50, s7
	v_mad_co_u64_u32 v[30:31], null, s35, v53, v[31:32]
	v_cndmask_b32_e32 v38, 0, v38, vcc_lo
	v_add_co_u32 v28, vcc_lo, v28, v8
	s_wait_alu 0xfffd
	v_add_co_ci_u32_e64 v29, null, v29, v9, vcc_lo
	v_cmp_gt_i32_e32 vcc_lo, s9, v53
	v_add_co_u32 v31, s7, v26, v51
	s_wait_alu 0xf1ff
	v_add_co_ci_u32_e64 v49, null, v27, v52, s7
	s_wait_alu 0xfffd
	v_dual_cndmask_b32 v32, 0, v32 :: v_dual_cndmask_b32 v33, 0, v30
	v_lshlrev_b64_e32 v[38:39], 1, v[38:39]
	v_add_co_u32 v30, vcc_lo, v31, v8
	s_wait_alu 0xfffd
	v_add_co_ci_u32_e64 v31, null, v49, v9, vcc_lo
	v_lshlrev_b64_e32 v[32:33], 1, v[32:33]
	s_delay_alu instid0(VALU_DEP_4) | instskip(SKIP_2) | instid1(VALU_DEP_3)
	v_add_co_u32 v38, vcc_lo, v26, v38
	s_wait_alu 0xfffd
	v_add_co_ci_u32_e64 v39, null, v27, v39, vcc_lo
	v_add_co_u32 v32, vcc_lo, v26, v32
	s_wait_alu 0xfffd
	v_add_co_ci_u32_e64 v33, null, v27, v33, vcc_lo
	;; [unrolled: 3-line block ×4, first 2 shown]
	s_clause 0x3
	flat_load_u16 v50, v[28:29]
	flat_load_u16 v49, v[30:31]
	;; [unrolled: 1-line block ×4, first 2 shown]
	s_and_saveexec_b32 s7, s1
	s_cbranch_execz .LBB587_47
; %bb.42:                               ;   in Loop: Header=BB587_4 Depth=1
	s_clause 0x3
	flat_load_u16 v54, v[28:29] offset:128
	flat_load_u16 v53, v[30:31] offset:128
	flat_load_u16 v52, v[26:27] offset:128
	flat_load_u16 v51, v[32:33] offset:128
	s_and_saveexec_b32 s47, s2
	s_cbranch_execz .LBB587_46
; %bb.43:                               ;   in Loop: Header=BB587_4 Depth=1
	s_clause 0x3
	flat_load_u16 v58, v[28:29] offset:256
	flat_load_u16 v57, v[30:31] offset:256
	flat_load_u16 v56, v[26:27] offset:256
	flat_load_u16 v55, v[32:33] offset:256
	;; [unrolled: 8-line block ×3, first 2 shown]
	s_wait_loadcnt_dscnt 0x303
	v_lshlrev_b32_e32 v28, 16, v28
	s_wait_loadcnt_dscnt 0x202
	v_lshlrev_b32_e32 v29, 16, v29
	;; [unrolled: 2-line block ×3, first 2 shown]
	s_wait_loadcnt_dscnt 0x0
	v_dual_fmac_f32 v48, v37, v28 :: v_dual_lshlrev_b32 v27, 16, v27
	s_delay_alu instid0(VALU_DEP_1) | instskip(NEXT) | instid1(VALU_DEP_1)
	v_fmac_f32_e32 v48, v36, v29
	v_fmac_f32_e32 v48, v35, v26
	s_delay_alu instid0(VALU_DEP_1)
	v_fmac_f32_e32 v48, v34, v27
.LBB587_45:                             ;   in Loop: Header=BB587_4 Depth=1
	s_or_b32 exec_lo, exec_lo, s48
	s_wait_loadcnt_dscnt 0x202
	v_lshlrev_b32_e32 v27, 16, v57
	v_lshlrev_b32_e32 v26, 16, v58
	s_wait_loadcnt_dscnt 0x101
	s_delay_alu instid0(VALU_DEP_1) | instskip(NEXT) | instid1(VALU_DEP_1)
	v_dual_fmac_f32 v47, v37, v26 :: v_dual_lshlrev_b32 v26, 16, v56
	v_fmac_f32_e32 v47, v36, v27
	s_wait_loadcnt_dscnt 0x0
	s_delay_alu instid0(VALU_DEP_1) | instskip(NEXT) | instid1(VALU_DEP_1)
	v_dual_fmac_f32 v47, v35, v26 :: v_dual_lshlrev_b32 v26, 16, v55
	v_fmac_f32_e32 v47, v34, v26
.LBB587_46:                             ;   in Loop: Header=BB587_4 Depth=1
	s_or_b32 exec_lo, exec_lo, s47
	s_wait_loadcnt_dscnt 0x303
	v_lshlrev_b32_e32 v26, 16, v54
	s_wait_loadcnt_dscnt 0x202
	s_delay_alu instid0(VALU_DEP_1) | instskip(SKIP_2) | instid1(VALU_DEP_2)
	v_dual_fmac_f32 v46, v37, v26 :: v_dual_lshlrev_b32 v27, 16, v53
	s_wait_loadcnt_dscnt 0x101
	v_lshlrev_b32_e32 v26, 16, v52
	v_fmac_f32_e32 v46, v36, v27
	s_delay_alu instid0(VALU_DEP_1) | instskip(SKIP_2) | instid1(VALU_DEP_1)
	v_fmac_f32_e32 v46, v35, v26
	s_wait_loadcnt_dscnt 0x0
	v_lshlrev_b32_e32 v26, 16, v51
	v_fmac_f32_e32 v46, v34, v26
.LBB587_47:                             ;   in Loop: Header=BB587_4 Depth=1
	s_wait_alu 0xfffe
	s_or_b32 exec_lo, exec_lo, s7
	s_wait_loadcnt_dscnt 0x202
	v_lshlrev_b32_e32 v27, 16, v49
	v_lshlrev_b32_e32 v26, 16, v50
	s_wait_loadcnt_dscnt 0x101
	s_delay_alu instid0(VALU_DEP_1) | instskip(NEXT) | instid1(VALU_DEP_1)
	v_dual_fmac_f32 v45, v37, v26 :: v_dual_lshlrev_b32 v26, 16, v39
	v_fmac_f32_e32 v45, v36, v27
	s_delay_alu instid0(VALU_DEP_1) | instskip(SKIP_2) | instid1(VALU_DEP_1)
	v_fmac_f32_e32 v45, v35, v26
	s_wait_loadcnt_dscnt 0x0
	v_lshlrev_b32_e32 v26, 16, v38
	v_fmac_f32_e32 v45, v34, v26
.LBB587_48:                             ;   in Loop: Header=BB587_4 Depth=1
	s_or_b32 exec_lo, exec_lo, s46
.LBB587_49:                             ;   in Loop: Header=BB587_4 Depth=1
	ds_store_2addr_stride64_b32 v0, v45, v46 offset1:1
	ds_store_2addr_stride64_b32 v0, v47, v48 offset0:2 offset1:3
	s_wait_dscnt 0x0
	s_barrier_signal -1
	s_barrier_wait -1
	global_inv scope:SCOPE_SE
                                        ; implicit-def: $vgpr30
	s_and_saveexec_b32 s7, s5
	s_cbranch_execz .LBB587_71
; %bb.50:                               ;   in Loop: Header=BB587_4 Depth=1
	ds_load_2addr_stride64_b32 v[26:27], v41 offset1:4
	ds_load_2addr_stride64_b32 v[28:29], v41 offset0:8 offset1:12
	s_mov_b32 s47, s8
                                        ; implicit-def: $vgpr30
	s_wait_dscnt 0x1
	v_add_f32_e32 v26, v26, v27
	s_wait_dscnt 0x0
	s_delay_alu instid0(VALU_DEP_1) | instskip(NEXT) | instid1(VALU_DEP_1)
	v_add_f32_e32 v26, v28, v26
	v_add_f32_e32 v26, v29, v26
	ds_store_b32 v41, v26
	s_and_saveexec_b32 s46, s6
	s_cbranch_execz .LBB587_70
; %bb.51:                               ;   in Loop: Header=BB587_4 Depth=1
	v_mul_f32_e32 v26, v44, v26
	s_cmp_eq_f32 s45, 0
	s_cbranch_scc0 .LBB587_59
; %bb.52:                               ;   in Loop: Header=BB587_4 Depth=1
	s_delay_alu instid0(VALU_DEP_1) | instskip(NEXT) | instid1(VALU_DEP_1)
	v_and_b32_e32 v27, 0x7f800000, v26
	v_cmp_ne_u32_e32 vcc_lo, 0x7f800000, v27
                                        ; implicit-def: $vgpr27
	s_and_saveexec_b32 s47, vcc_lo
	s_delay_alu instid0(SALU_CYCLE_1)
	s_xor_b32 s47, exec_lo, s47
; %bb.53:                               ;   in Loop: Header=BB587_4 Depth=1
	v_bfe_u32 v27, v26, 16, 1
	s_delay_alu instid0(VALU_DEP_1)
	v_add3_u32 v27, v26, v27, 0x7fff
; %bb.54:                               ;   in Loop: Header=BB587_4 Depth=1
	s_and_not1_saveexec_b32 s47, s47
; %bb.55:                               ;   in Loop: Header=BB587_4 Depth=1
	v_and_b32_e32 v27, 0xffff, v26
	v_or_b32_e32 v28, 0x10000, v26
	s_delay_alu instid0(VALU_DEP_2) | instskip(SKIP_1) | instid1(VALU_DEP_2)
	v_cmp_eq_u32_e32 vcc_lo, 0, v27
	s_wait_alu 0xfffd
	v_cndmask_b32_e32 v27, v28, v26, vcc_lo
; %bb.56:                               ;   in Loop: Header=BB587_4 Depth=1
	s_or_b32 exec_lo, exec_lo, s47
	s_cbranch_execz .LBB587_60
	s_branch .LBB587_69
.LBB587_57:                             ;   in Loop: Header=BB587_4 Depth=1
	v_mov_b32_e32 v30, 0
	s_mov_b32 s8, exec_lo
	s_or_b32 exec_lo, exec_lo, s46
	s_wait_alu 0xfffe
	s_and_b32 vcc_lo, exec_lo, s7
	s_wait_alu 0xfffe
	s_cbranch_vccnz .LBB587_19
.LBB587_58:                             ;   in Loop: Header=BB587_4 Depth=1
	v_dual_mov_b32 v27, v3 :: v_dual_mov_b32 v26, v2
	s_wait_alu 0xfffe
	s_and_saveexec_b32 s7, s8
	s_cbranch_execz .LBB587_2
	s_branch .LBB587_72
.LBB587_59:                             ;   in Loop: Header=BB587_4 Depth=1
                                        ; implicit-def: $vgpr27
.LBB587_60:                             ;   in Loop: Header=BB587_4 Depth=1
	v_lshlrev_b64_e32 v[27:28], 1, v[4:5]
	s_delay_alu instid0(VALU_DEP_1) | instskip(SKIP_1) | instid1(VALU_DEP_2)
	v_add_co_u32 v27, vcc_lo, v42, v27
	s_wait_alu 0xfffd
	v_add_co_ci_u32_e64 v28, null, v43, v28, vcc_lo
	flat_load_u16 v27, v[27:28]
	s_wait_loadcnt_dscnt 0x0
	v_lshlrev_b32_e32 v27, 16, v27
	s_delay_alu instid0(VALU_DEP_1) | instskip(NEXT) | instid1(VALU_DEP_1)
	v_mul_f32_e32 v27, s45, v27
	v_and_b32_e32 v28, 0x7f800000, v27
	s_delay_alu instid0(VALU_DEP_1)
	v_cmp_ne_u32_e32 vcc_lo, 0x7f800000, v28
                                        ; implicit-def: $vgpr28
	s_and_saveexec_b32 s45, vcc_lo
	s_wait_alu 0xfffe
	s_xor_b32 s45, exec_lo, s45
; %bb.61:                               ;   in Loop: Header=BB587_4 Depth=1
	v_bfe_u32 v28, v27, 16, 1
	s_delay_alu instid0(VALU_DEP_1)
	v_add3_u32 v28, v27, v28, 0x7fff
                                        ; implicit-def: $vgpr27
; %bb.62:                               ;   in Loop: Header=BB587_4 Depth=1
	s_wait_alu 0xfffe
	s_and_not1_saveexec_b32 s45, s45
; %bb.63:                               ;   in Loop: Header=BB587_4 Depth=1
	v_and_b32_e32 v28, 0xffff, v27
	v_or_b32_e32 v29, 0x10000, v27
	s_delay_alu instid0(VALU_DEP_2) | instskip(SKIP_1) | instid1(VALU_DEP_2)
	v_cmp_eq_u32_e32 vcc_lo, 0, v28
	s_wait_alu 0xfffd
	v_cndmask_b32_e32 v28, v29, v27, vcc_lo
; %bb.64:                               ;   in Loop: Header=BB587_4 Depth=1
	s_wait_alu 0xfffe
	s_or_b32 exec_lo, exec_lo, s45
	s_delay_alu instid0(VALU_DEP_1) | instskip(NEXT) | instid1(VALU_DEP_1)
	v_and_b32_e32 v27, 0xffff0000, v28
	v_add_f32_e32 v26, v26, v27
	s_delay_alu instid0(VALU_DEP_1) | instskip(NEXT) | instid1(VALU_DEP_1)
	v_and_b32_e32 v27, 0x7f800000, v26
	v_cmp_ne_u32_e32 vcc_lo, 0x7f800000, v27
                                        ; implicit-def: $vgpr27
	s_and_saveexec_b32 s45, vcc_lo
	s_wait_alu 0xfffe
	s_xor_b32 s45, exec_lo, s45
; %bb.65:                               ;   in Loop: Header=BB587_4 Depth=1
	v_bfe_u32 v27, v26, 16, 1
	s_delay_alu instid0(VALU_DEP_1)
	v_add3_u32 v27, v26, v27, 0x7fff
                                        ; implicit-def: $vgpr26
; %bb.66:                               ;   in Loop: Header=BB587_4 Depth=1
	s_wait_alu 0xfffe
	s_and_not1_saveexec_b32 s45, s45
; %bb.67:                               ;   in Loop: Header=BB587_4 Depth=1
	v_and_b32_e32 v27, 0xffff, v26
	v_or_b32_e32 v28, 0x10000, v26
	s_delay_alu instid0(VALU_DEP_2) | instskip(SKIP_1) | instid1(VALU_DEP_2)
	v_cmp_eq_u32_e32 vcc_lo, 0, v27
	s_wait_alu 0xfffd
	v_cndmask_b32_e32 v27, v28, v26, vcc_lo
; %bb.68:                               ;   in Loop: Header=BB587_4 Depth=1
	s_wait_alu 0xfffe
	s_or_b32 exec_lo, exec_lo, s45
.LBB587_69:                             ;   in Loop: Header=BB587_4 Depth=1
	s_delay_alu instid0(VALU_DEP_1)
	v_lshrrev_b32_e32 v30, 16, v27
	s_or_b32 s47, s8, exec_lo
.LBB587_70:                             ;   in Loop: Header=BB587_4 Depth=1
	s_or_b32 exec_lo, exec_lo, s46
	s_delay_alu instid0(SALU_CYCLE_1)
	s_and_not1_b32 s8, s8, exec_lo
	s_and_b32 s45, s47, exec_lo
	s_wait_alu 0xfffe
	s_or_b32 s8, s8, s45
.LBB587_71:                             ;   in Loop: Header=BB587_4 Depth=1
	s_wait_alu 0xfffe
	s_or_b32 exec_lo, exec_lo, s7
	v_dual_mov_b32 v27, v5 :: v_dual_mov_b32 v26, v4
	s_and_saveexec_b32 s7, s8
	s_cbranch_execz .LBB587_2
.LBB587_72:                             ;   in Loop: Header=BB587_4 Depth=1
	s_delay_alu instid0(VALU_DEP_1) | instskip(NEXT) | instid1(VALU_DEP_1)
	v_lshlrev_b64_e32 v[26:27], 1, v[26:27]
	v_add_co_u32 v26, vcc_lo, v42, v26
	s_wait_alu 0xfffd
	s_delay_alu instid0(VALU_DEP_2)
	v_add_co_ci_u32_e64 v27, null, v43, v27, vcc_lo
	flat_store_b16 v[26:27], v30
	s_branch .LBB587_2
.LBB587_73:
	s_endpgm
	.section	.rodata,"a",@progbits
	.p2align	6, 0x0
	.amdhsa_kernel _ZL20rocblas_gemvn_kernelILi64ELi4ElPK16rocblas_bfloat16PKfKPS0_EviiT3_lPKT2_lT1_lSA_lSB_lS7_lPT4_lSB_li
		.amdhsa_group_segment_fixed_size 4096
		.amdhsa_private_segment_fixed_size 0
		.amdhsa_kernarg_size 400
		.amdhsa_user_sgpr_count 2
		.amdhsa_user_sgpr_dispatch_ptr 0
		.amdhsa_user_sgpr_queue_ptr 0
		.amdhsa_user_sgpr_kernarg_segment_ptr 1
		.amdhsa_user_sgpr_dispatch_id 0
		.amdhsa_user_sgpr_private_segment_size 0
		.amdhsa_wavefront_size32 1
		.amdhsa_uses_dynamic_stack 0
		.amdhsa_enable_private_segment 0
		.amdhsa_system_sgpr_workgroup_id_x 1
		.amdhsa_system_sgpr_workgroup_id_y 0
		.amdhsa_system_sgpr_workgroup_id_z 1
		.amdhsa_system_sgpr_workgroup_info 0
		.amdhsa_system_vgpr_workitem_id 1
		.amdhsa_next_free_vgpr 74
		.amdhsa_next_free_sgpr 51
		.amdhsa_reserve_vcc 1
		.amdhsa_float_round_mode_32 0
		.amdhsa_float_round_mode_16_64 0
		.amdhsa_float_denorm_mode_32 3
		.amdhsa_float_denorm_mode_16_64 3
		.amdhsa_fp16_overflow 0
		.amdhsa_workgroup_processor_mode 1
		.amdhsa_memory_ordered 1
		.amdhsa_forward_progress 1
		.amdhsa_inst_pref_size 33
		.amdhsa_round_robin_scheduling 0
		.amdhsa_exception_fp_ieee_invalid_op 0
		.amdhsa_exception_fp_denorm_src 0
		.amdhsa_exception_fp_ieee_div_zero 0
		.amdhsa_exception_fp_ieee_overflow 0
		.amdhsa_exception_fp_ieee_underflow 0
		.amdhsa_exception_fp_ieee_inexact 0
		.amdhsa_exception_int_div_zero 0
	.end_amdhsa_kernel
	.section	.text._ZL20rocblas_gemvn_kernelILi64ELi4ElPK16rocblas_bfloat16PKfKPS0_EviiT3_lPKT2_lT1_lSA_lSB_lS7_lPT4_lSB_li,"axG",@progbits,_ZL20rocblas_gemvn_kernelILi64ELi4ElPK16rocblas_bfloat16PKfKPS0_EviiT3_lPKT2_lT1_lSA_lSB_lS7_lPT4_lSB_li,comdat
.Lfunc_end587:
	.size	_ZL20rocblas_gemvn_kernelILi64ELi4ElPK16rocblas_bfloat16PKfKPS0_EviiT3_lPKT2_lT1_lSA_lSB_lS7_lPT4_lSB_li, .Lfunc_end587-_ZL20rocblas_gemvn_kernelILi64ELi4ElPK16rocblas_bfloat16PKfKPS0_EviiT3_lPKT2_lT1_lSA_lSB_lS7_lPT4_lSB_li
                                        ; -- End function
	.set _ZL20rocblas_gemvn_kernelILi64ELi4ElPK16rocblas_bfloat16PKfKPS0_EviiT3_lPKT2_lT1_lSA_lSB_lS7_lPT4_lSB_li.num_vgpr, 74
	.set _ZL20rocblas_gemvn_kernelILi64ELi4ElPK16rocblas_bfloat16PKfKPS0_EviiT3_lPKT2_lT1_lSA_lSB_lS7_lPT4_lSB_li.num_agpr, 0
	.set _ZL20rocblas_gemvn_kernelILi64ELi4ElPK16rocblas_bfloat16PKfKPS0_EviiT3_lPKT2_lT1_lSA_lSB_lS7_lPT4_lSB_li.numbered_sgpr, 51
	.set _ZL20rocblas_gemvn_kernelILi64ELi4ElPK16rocblas_bfloat16PKfKPS0_EviiT3_lPKT2_lT1_lSA_lSB_lS7_lPT4_lSB_li.num_named_barrier, 0
	.set _ZL20rocblas_gemvn_kernelILi64ELi4ElPK16rocblas_bfloat16PKfKPS0_EviiT3_lPKT2_lT1_lSA_lSB_lS7_lPT4_lSB_li.private_seg_size, 0
	.set _ZL20rocblas_gemvn_kernelILi64ELi4ElPK16rocblas_bfloat16PKfKPS0_EviiT3_lPKT2_lT1_lSA_lSB_lS7_lPT4_lSB_li.uses_vcc, 1
	.set _ZL20rocblas_gemvn_kernelILi64ELi4ElPK16rocblas_bfloat16PKfKPS0_EviiT3_lPKT2_lT1_lSA_lSB_lS7_lPT4_lSB_li.uses_flat_scratch, 1
	.set _ZL20rocblas_gemvn_kernelILi64ELi4ElPK16rocblas_bfloat16PKfKPS0_EviiT3_lPKT2_lT1_lSA_lSB_lS7_lPT4_lSB_li.has_dyn_sized_stack, 0
	.set _ZL20rocblas_gemvn_kernelILi64ELi4ElPK16rocblas_bfloat16PKfKPS0_EviiT3_lPKT2_lT1_lSA_lSB_lS7_lPT4_lSB_li.has_recursion, 0
	.set _ZL20rocblas_gemvn_kernelILi64ELi4ElPK16rocblas_bfloat16PKfKPS0_EviiT3_lPKT2_lT1_lSA_lSB_lS7_lPT4_lSB_li.has_indirect_call, 0
	.section	.AMDGPU.csdata,"",@progbits
; Kernel info:
; codeLenInByte = 4176
; TotalNumSgprs: 53
; NumVgprs: 74
; ScratchSize: 0
; MemoryBound: 0
; FloatMode: 240
; IeeeMode: 1
; LDSByteSize: 4096 bytes/workgroup (compile time only)
; SGPRBlocks: 0
; VGPRBlocks: 9
; NumSGPRsForWavesPerEU: 53
; NumVGPRsForWavesPerEU: 74
; Occupancy: 16
; WaveLimiterHint : 1
; COMPUTE_PGM_RSRC2:SCRATCH_EN: 0
; COMPUTE_PGM_RSRC2:USER_SGPR: 2
; COMPUTE_PGM_RSRC2:TRAP_HANDLER: 0
; COMPUTE_PGM_RSRC2:TGID_X_EN: 1
; COMPUTE_PGM_RSRC2:TGID_Y_EN: 0
; COMPUTE_PGM_RSRC2:TGID_Z_EN: 1
; COMPUTE_PGM_RSRC2:TIDIG_COMP_CNT: 1
	.section	.text._ZL20rocblas_gemvn_kernelILi64ELi4EiPK16rocblas_bfloat16fKPS0_EviiT3_lPKT2_lT1_lS8_lS9_lS5_lPT4_lS9_li,"axG",@progbits,_ZL20rocblas_gemvn_kernelILi64ELi4EiPK16rocblas_bfloat16fKPS0_EviiT3_lPKT2_lT1_lS8_lS9_lS5_lPT4_lS9_li,comdat
	.globl	_ZL20rocblas_gemvn_kernelILi64ELi4EiPK16rocblas_bfloat16fKPS0_EviiT3_lPKT2_lT1_lS8_lS9_lS5_lPT4_lS9_li ; -- Begin function _ZL20rocblas_gemvn_kernelILi64ELi4EiPK16rocblas_bfloat16fKPS0_EviiT3_lPKT2_lT1_lS8_lS9_lS5_lPT4_lS9_li
	.p2align	8
	.type	_ZL20rocblas_gemvn_kernelILi64ELi4EiPK16rocblas_bfloat16fKPS0_EviiT3_lPKT2_lT1_lS8_lS9_lS5_lPT4_lS9_li,@function
_ZL20rocblas_gemvn_kernelILi64ELi4EiPK16rocblas_bfloat16fKPS0_EviiT3_lPKT2_lT1_lS8_lS9_lS5_lPT4_lS9_li: ; @_ZL20rocblas_gemvn_kernelILi64ELi4EiPK16rocblas_bfloat16fKPS0_EviiT3_lPKT2_lT1_lS8_lS9_lS5_lPT4_lS9_li
; %bb.0:
	s_clause 0x1
	s_load_b64 s[2:3], s[0:1], 0x9c
	s_load_b32 s23, s[0:1], 0x88
	s_lshr_b32 s24, ttmp7, 16
	s_wait_kmcnt 0x0
	s_lshr_b32 s4, s2, 16
	s_and_b32 s2, s2, 0xffff
	s_and_b32 s3, s3, 0xffff
	s_mul_i32 s2, s4, s2
	s_delay_alu instid0(SALU_CYCLE_1) | instskip(NEXT) | instid1(SALU_CYCLE_1)
	s_mul_i32 s2, s2, s3
	s_cmp_lg_u32 s2, 0x100
	s_cselect_b32 s2, -1, 0
	s_cmp_ge_u32 s24, s23
	s_cselect_b32 s3, -1, 0
	s_delay_alu instid0(SALU_CYCLE_1) | instskip(NEXT) | instid1(SALU_CYCLE_1)
	s_or_b32 s2, s2, s3
	s_and_b32 vcc_lo, exec_lo, s2
	s_cbranch_vccnz .LBB588_76
; %bb.1:
	s_clause 0x7
	s_load_b32 s4, s[0:1], 0x78
	s_load_b96 s[20:22], s[0:1], 0x0
	s_load_b32 s27, s[0:1], 0x58
	s_load_b32 s28, s[0:1], 0x28
	s_load_b128 s[8:11], s[0:1], 0x38
	s_load_b32 s26, s[0:1], 0x48
	s_load_b128 s[12:15], s[0:1], 0x68
	s_load_b128 s[16:19], s[0:1], 0x18
	v_and_b32_e32 v9, 0x3ff, v0
	v_bfe_u32 v8, v0, 10, 10
	v_mov_b32_e32 v1, 0
	s_mov_b32 s25, 0
	s_delay_alu instid0(VALU_DEP_3) | instskip(NEXT) | instid1(VALU_DEP_3)
	v_lshlrev_b32_e32 v0, 2, v9
	v_lshl_add_u32 v2, v8, 6, v9
	v_lshlrev_b32_e32 v23, 2, v8
	s_delay_alu instid0(VALU_DEP_3)
	v_lshl_add_u32 v24, v8, 10, v0
	v_lshl_add_u32 v25, v8, 8, v0
	s_wait_kmcnt 0x0
	s_ashr_i32 s5, s4, 31
	s_cmp_eq_f32 s22, 0
	s_mov_b32 s2, s20
	v_cmp_gt_u32_e64 s0, 0x100, v2
	v_mul_lo_u32 v7, s28, v23
	s_cselect_b32 s29, -1, 0
	s_cmp_neq_f32 s27, 1.0
	v_or_b32_e32 v12, 3, v23
	v_mul_lo_u32 v13, v8, s26
	s_cselect_b32 s1, -1, 0
	s_cmp_neq_f32 s22, 0
	s_delay_alu instid0(VALU_DEP_2)
	v_mul_lo_u32 v30, s26, v12
	s_cselect_b32 s6, -1, 0
	s_lshl_b32 s30, ttmp9, 8
	s_ashr_i32 s3, s20, 31
	v_add_nc_u32_e32 v0, s30, v2
	v_or_b32_e32 v4, s30, v2
	s_or_b32 s31, s6, s1
	s_cmp_neq_f32 s27, 0
	v_or_b32_e32 v27, s30, v9
	v_cmp_gt_i64_e32 vcc_lo, s[2:3], v[0:1]
	v_mad_co_u64_u32 v[2:3], null, s4, v0, 0
	v_cmp_gt_i32_e64 s2, s20, v4
	v_mul_lo_u32 v4, s4, v4
	s_cselect_b32 s33, -1, 0
	s_cmp_eq_f32 s27, 0
	v_add_nc_u32_e32 v5, 64, v27
	v_add_nc_u32_e32 v11, 0xc0, v27
	;; [unrolled: 1-line block ×3, first 2 shown]
	s_cselect_b32 s34, -1, 0
	s_ashr_i32 s3, s21, 31
	v_cndmask_b32_e64 v26, 0, 1, s6
	s_wait_alu 0xfffe
	s_lshr_b32 s4, s3, 28
	v_cmp_gt_i32_e64 s3, s20, v5
	v_mad_co_u64_u32 v[5:6], null, s5, v0, v[3:4]
	s_wait_alu 0xfffe
	s_add_co_i32 s4, s21, s4
	v_cmp_gt_i32_e64 s5, s20, v11
	v_mul_lo_u32 v11, v8, s28
	s_wait_alu 0xfffe
	s_and_b32 s35, s4, -16
	v_cmp_gt_i32_e64 s4, s20, v10
	v_or_b32_e32 v10, 2, v23
	v_mov_b32_e32 v3, v5
	v_add3_u32 v0, v7, s28, v9
	s_sub_co_i32 s6, s21, s35
	v_cmp_gt_i32_e64 s1, s20, v27
	v_mad_co_u64_u32 v[6:7], null, s28, v10, v[9:10]
	v_mad_co_u64_u32 v[7:8], null, s28, v12, v[9:10]
	v_lshl_add_u32 v28, v11, 2, v9
	v_mad_co_u64_u32 v[8:9], null, s26, v23, s[26:27]
	v_mul_lo_u32 v29, s26, v10
	v_lshlrev_b64_e32 v[9:10], 1, v[2:3]
	s_wait_alu 0xfffe
	s_cmp_gt_i32 s6, 0
	v_cmp_gt_i32_e64 s6, s35, v23
	v_ashrrev_i32_e32 v5, 31, v4
	v_lshlrev_b32_e32 v31, 2, v13
	s_cselect_b32 s20, -1, 0
	s_and_b32 s36, s0, vcc_lo
	s_lshl_b32 s37, s28, 4
	s_lshl_b32 s38, s26, 4
	s_lshl_b64 s[18:19], s[18:19], 1
	s_lshl_b64 s[10:11], s[10:11], 1
	;; [unrolled: 1-line block ×3, first 2 shown]
	s_branch .LBB588_4
.LBB588_2:                              ;   in Loop: Header=BB588_4 Depth=1
	s_wait_alu 0xfffe
	s_or_b32 exec_lo, exec_lo, s7
.LBB588_3:                              ;   in Loop: Header=BB588_4 Depth=1
	s_add_co_i32 s24, s24, 0x10000
	s_delay_alu instid0(SALU_CYCLE_1)
	s_cmp_lt_u32 s24, s23
	s_cbranch_scc0 .LBB588_76
.LBB588_4:                              ; =>This Loop Header: Depth=1
                                        ;     Child Loop BB588_28 Depth 2
	s_and_not1_b32 vcc_lo, exec_lo, s31
	s_wait_alu 0xfffe
	s_cbranch_vccnz .LBB588_3
; %bb.5:                                ;   in Loop: Header=BB588_4 Depth=1
	s_and_not1_b32 vcc_lo, exec_lo, s29
	s_wait_alu 0xfffe
	s_cbranch_vccnz .LBB588_7
; %bb.6:                                ;   in Loop: Header=BB588_4 Depth=1
	s_mov_b32 s7, 0
	s_branch .LBB588_8
.LBB588_7:                              ;   in Loop: Header=BB588_4 Depth=1
	s_mov_b32 s7, -1
.LBB588_8:                              ;   in Loop: Header=BB588_4 Depth=1
	v_mov_b32_e32 v13, 0
	v_dual_mov_b32 v14, 0 :: v_dual_mov_b32 v11, 0
	v_mov_b32_e32 v12, 0
	s_wait_alu 0xfffe
	s_and_not1_b32 vcc_lo, exec_lo, s7
	s_wait_alu 0xfffe
	s_cbranch_vccnz .LBB588_10
; %bb.9:                                ;   in Loop: Header=BB588_4 Depth=1
	s_lshl_b64 s[40:41], s[24:25], 3
	s_wait_alu 0xfffe
	s_add_nc_u64 s[40:41], s[16:17], s[40:41]
	global_load_b64 v[11:12], v1, s[40:41]
	s_wait_loadcnt 0x0
	v_add_co_u32 v11, vcc_lo, v11, s18
	s_wait_alu 0xfffd
	v_add_co_ci_u32_e64 v12, null, s19, v12, vcc_lo
.LBB588_10:                             ;   in Loop: Header=BB588_4 Depth=1
	v_cmp_ne_u32_e32 vcc_lo, 1, v26
	s_cbranch_vccnz .LBB588_12
; %bb.11:                               ;   in Loop: Header=BB588_4 Depth=1
	s_lshl_b64 s[40:41], s[24:25], 3
	s_wait_alu 0xfffe
	s_add_nc_u64 s[40:41], s[8:9], s[40:41]
	global_load_b64 v[13:14], v1, s[40:41]
	s_wait_loadcnt 0x0
	v_add_co_u32 v13, vcc_lo, v13, s10
	s_wait_alu 0xfffd
	v_add_co_ci_u32_e64 v14, null, s11, v14, vcc_lo
.LBB588_12:                             ;   in Loop: Header=BB588_4 Depth=1
	s_lshl_b64 s[40:41], s[24:25], 3
	s_wait_alu 0xfffe
	s_add_nc_u64 s[40:41], s[12:13], s[40:41]
	global_load_b64 v[15:16], v1, s[40:41]
	s_wait_loadcnt 0x0
	v_add_co_u32 v32, vcc_lo, v15, s14
	s_wait_alu 0xfffd
	v_add_co_ci_u32_e64 v33, null, s15, v16, vcc_lo
	s_and_not1_b32 vcc_lo, exec_lo, s29
	s_wait_alu 0xfffe
	s_cbranch_vccnz .LBB588_20
; %bb.13:                               ;   in Loop: Header=BB588_4 Depth=1
	s_mov_b32 s7, 0
	s_mov_b32 s39, 0
                                        ; implicit-def: $vgpr15
	s_and_saveexec_b32 s40, s36
	s_cbranch_execz .LBB588_21
; %bb.14:                               ;   in Loop: Header=BB588_4 Depth=1
	s_and_not1_b32 vcc_lo, exec_lo, s33
	s_wait_alu 0xfffe
	s_cbranch_vccnz .LBB588_73
; %bb.15:                               ;   in Loop: Header=BB588_4 Depth=1
	v_add_co_u32 v15, vcc_lo, v32, v9
	s_wait_alu 0xfffd
	v_add_co_ci_u32_e64 v16, null, v33, v10, vcc_lo
	flat_load_u16 v15, v[15:16]
	s_wait_loadcnt_dscnt 0x0
	v_lshlrev_b32_e32 v15, 16, v15
	s_delay_alu instid0(VALU_DEP_1) | instskip(NEXT) | instid1(VALU_DEP_1)
	v_mul_f32_e32 v15, s27, v15
	v_and_b32_e32 v16, 0x7f800000, v15
	s_delay_alu instid0(VALU_DEP_1) | instskip(SKIP_1) | instid1(SALU_CYCLE_1)
	v_cmp_ne_u32_e32 vcc_lo, 0x7f800000, v16
                                        ; implicit-def: $vgpr16
	s_and_saveexec_b32 s39, vcc_lo
	s_xor_b32 s39, exec_lo, s39
; %bb.16:                               ;   in Loop: Header=BB588_4 Depth=1
	v_bfe_u32 v16, v15, 16, 1
	s_delay_alu instid0(VALU_DEP_1)
	v_add3_u32 v16, v15, v16, 0x7fff
                                        ; implicit-def: $vgpr15
; %bb.17:                               ;   in Loop: Header=BB588_4 Depth=1
	s_and_not1_saveexec_b32 s39, s39
; %bb.18:                               ;   in Loop: Header=BB588_4 Depth=1
	v_and_b32_e32 v16, 0xffff, v15
	v_or_b32_e32 v17, 0x10000, v15
	s_delay_alu instid0(VALU_DEP_2) | instskip(SKIP_1) | instid1(VALU_DEP_2)
	v_cmp_eq_u32_e32 vcc_lo, 0, v16
	s_wait_alu 0xfffd
	v_cndmask_b32_e32 v16, v17, v15, vcc_lo
; %bb.19:                               ;   in Loop: Header=BB588_4 Depth=1
	s_or_b32 exec_lo, exec_lo, s39
	s_delay_alu instid0(VALU_DEP_1) | instskip(SKIP_2) | instid1(SALU_CYCLE_1)
	v_lshrrev_b32_e32 v15, 16, v16
	s_mov_b32 s39, exec_lo
	s_or_b32 exec_lo, exec_lo, s40
	s_and_b32 vcc_lo, exec_lo, s7
	s_wait_alu 0xfffe
	s_cbranch_vccnz .LBB588_22
	s_branch .LBB588_74
.LBB588_20:                             ;   in Loop: Header=BB588_4 Depth=1
	s_mov_b32 s39, 0
                                        ; implicit-def: $vgpr15
	s_cbranch_execnz .LBB588_22
	s_branch .LBB588_74
.LBB588_21:                             ;   in Loop: Header=BB588_4 Depth=1
	s_wait_alu 0xfffe
	s_or_b32 exec_lo, exec_lo, s40
	s_delay_alu instid0(SALU_CYCLE_1)
	s_and_b32 vcc_lo, exec_lo, s7
	s_wait_alu 0xfffe
	s_cbranch_vccz .LBB588_74
.LBB588_22:                             ;   in Loop: Header=BB588_4 Depth=1
	v_dual_mov_b32 v34, 0 :: v_dual_mov_b32 v35, 0
	v_dual_mov_b32 v38, v23 :: v_dual_mov_b32 v37, 0
	v_mov_b32_e32 v36, 0
	s_and_saveexec_b32 s7, s6
	s_cbranch_execz .LBB588_34
; %bb.23:                               ;   in Loop: Header=BB588_4 Depth=1
	v_dual_mov_b32 v34, 0 :: v_dual_mov_b32 v39, v28
	v_dual_mov_b32 v40, v7 :: v_dual_mov_b32 v41, v6
	;; [unrolled: 1-line block ×4, first 2 shown]
	v_mov_b32_e32 v36, 0
	s_mov_b32 s40, 0
	s_mov_b32 s41, 0
	s_branch .LBB588_28
.LBB588_24:                             ;   in Loop: Header=BB588_28 Depth=2
	s_or_b32 exec_lo, exec_lo, s45
	s_wait_loadcnt_dscnt 0x202
	v_lshlrev_b32_e32 v16, 16, v57
	v_lshlrev_b32_e32 v15, 16, v58
	s_wait_loadcnt_dscnt 0x101
	s_delay_alu instid0(VALU_DEP_1) | instskip(NEXT) | instid1(VALU_DEP_1)
	v_dual_fmac_f32 v36, v50, v15 :: v_dual_lshlrev_b32 v15, 16, v56
	v_fmac_f32_e32 v36, v46, v16
	s_delay_alu instid0(VALU_DEP_1) | instskip(SKIP_2) | instid1(VALU_DEP_1)
	v_fmac_f32_e32 v36, v48, v15
	s_wait_loadcnt_dscnt 0x0
	v_lshlrev_b32_e32 v15, 16, v55
	v_fmac_f32_e32 v36, v44, v15
.LBB588_25:                             ;   in Loop: Header=BB588_28 Depth=2
	s_or_b32 exec_lo, exec_lo, s44
	s_wait_loadcnt_dscnt 0x303
	v_lshlrev_b32_e32 v15, 16, v54
	s_wait_loadcnt_dscnt 0x202
	s_delay_alu instid0(VALU_DEP_1) | instskip(SKIP_2) | instid1(VALU_DEP_2)
	v_dual_fmac_f32 v35, v50, v15 :: v_dual_lshlrev_b32 v16, 16, v53
	s_wait_loadcnt_dscnt 0x101
	v_lshlrev_b32_e32 v15, 16, v52
	v_fmac_f32_e32 v35, v46, v16
	s_delay_alu instid0(VALU_DEP_1) | instskip(SKIP_2) | instid1(VALU_DEP_1)
	v_fmac_f32_e32 v35, v48, v15
	s_wait_loadcnt_dscnt 0x0
	v_lshlrev_b32_e32 v15, 16, v51
	v_fmac_f32_e32 v35, v44, v15
.LBB588_26:                             ;   in Loop: Header=BB588_28 Depth=2
	s_or_b32 exec_lo, exec_lo, s43
	s_wait_loadcnt_dscnt 0x202
	v_lshlrev_b32_e32 v16, 16, v47
	v_lshlrev_b32_e32 v15, 16, v49
	s_wait_loadcnt_dscnt 0x101
	s_delay_alu instid0(VALU_DEP_1) | instskip(NEXT) | instid1(VALU_DEP_1)
	v_dual_fmac_f32 v34, v50, v15 :: v_dual_lshlrev_b32 v15, 16, v45
	v_fmac_f32_e32 v34, v46, v16
	s_delay_alu instid0(VALU_DEP_1) | instskip(SKIP_2) | instid1(VALU_DEP_1)
	v_fmac_f32_e32 v34, v48, v15
	s_wait_loadcnt_dscnt 0x0
	v_lshlrev_b32_e32 v15, 16, v43
	v_fmac_f32_e32 v34, v44, v15
.LBB588_27:                             ;   in Loop: Header=BB588_28 Depth=2
	s_or_b32 exec_lo, exec_lo, s42
	v_add_nc_u32_e32 v38, 16, v38
	v_add_nc_u32_e32 v42, s37, v42
	;; [unrolled: 1-line block ×5, first 2 shown]
	v_cmp_le_i32_e32 vcc_lo, s35, v38
	s_wait_alu 0xfffe
	s_add_co_i32 s41, s41, s38
	s_or_b32 s40, vcc_lo, s40
	s_wait_alu 0xfffe
	s_and_not1_b32 exec_lo, exec_lo, s40
	s_cbranch_execz .LBB588_33
.LBB588_28:                             ;   Parent Loop BB588_4 Depth=1
                                        ; =>  This Inner Loop Header: Depth=2
	s_and_saveexec_b32 s42, s1
	s_cbranch_execz .LBB588_27
; %bb.29:                               ;   in Loop: Header=BB588_28 Depth=2
	s_wait_alu 0xfffe
	v_add_nc_u32_e32 v15, s41, v31
	v_add_nc_u32_e32 v17, s41, v8
	;; [unrolled: 1-line block ×5, first 2 shown]
	v_ashrrev_i32_e32 v16, 31, v15
	v_ashrrev_i32_e32 v18, 31, v17
	;; [unrolled: 1-line block ×5, first 2 shown]
	v_lshlrev_b64_e32 v[15:16], 1, v[15:16]
	v_lshlrev_b64_e32 v[17:18], 1, v[17:18]
	v_lshlrev_b64_e32 v[19:20], 1, v[19:20]
	v_lshlrev_b64_e32 v[21:22], 1, v[21:22]
	v_add_nc_u32_e32 v45, s30, v42
	v_add_nc_u32_e32 v47, s30, v41
	v_add_co_u32 v15, vcc_lo, v13, v15
	s_wait_alu 0xfffd
	v_add_co_ci_u32_e64 v16, null, v14, v16, vcc_lo
	v_add_co_u32 v17, vcc_lo, v13, v17
	s_wait_alu 0xfffd
	v_add_co_ci_u32_e64 v18, null, v14, v18, vcc_lo
	;; [unrolled: 3-line block ×4, first 2 shown]
	v_lshlrev_b64_e32 v[43:44], 1, v[43:44]
	s_clause 0x3
	flat_load_u16 v50, v[15:16]
	flat_load_u16 v51, v[17:18]
	;; [unrolled: 1-line block ×4, first 2 shown]
	v_add_nc_u32_e32 v19, s30, v40
	v_ashrrev_i32_e32 v46, 31, v45
	v_ashrrev_i32_e32 v48, 31, v47
	v_add_co_u32 v15, vcc_lo, v11, v43
	s_delay_alu instid0(VALU_DEP_4) | instskip(NEXT) | instid1(VALU_DEP_4)
	v_ashrrev_i32_e32 v20, 31, v19
	v_lshlrev_b64_e32 v[17:18], 1, v[45:46]
	s_wait_alu 0xfffd
	v_add_co_ci_u32_e64 v16, null, v12, v44, vcc_lo
	v_lshlrev_b64_e32 v[43:44], 1, v[47:48]
	v_lshlrev_b64_e32 v[19:20], 1, v[19:20]
	s_delay_alu instid0(VALU_DEP_4) | instskip(SKIP_2) | instid1(VALU_DEP_4)
	v_add_co_u32 v21, vcc_lo, v11, v17
	s_wait_alu 0xfffd
	v_add_co_ci_u32_e64 v22, null, v12, v18, vcc_lo
	v_add_co_u32 v17, vcc_lo, v11, v43
	s_wait_alu 0xfffd
	v_add_co_ci_u32_e64 v18, null, v12, v44, vcc_lo
	;; [unrolled: 3-line block ×3, first 2 shown]
	s_clause 0x3
	flat_load_u16 v49, v[15:16]
	flat_load_u16 v47, v[21:22]
	;; [unrolled: 1-line block ×4, first 2 shown]
	s_wait_loadcnt_dscnt 0x707
	v_lshlrev_b32_e32 v50, 16, v50
	s_wait_loadcnt_dscnt 0x606
	v_lshlrev_b32_e32 v46, 16, v51
	s_wait_loadcnt_dscnt 0x505
	v_lshlrev_b32_e32 v48, 16, v52
	s_wait_loadcnt_dscnt 0x404
	v_lshlrev_b32_e32 v44, 16, v53
	s_and_saveexec_b32 s43, s3
	s_cbranch_execz .LBB588_26
; %bb.30:                               ;   in Loop: Header=BB588_28 Depth=2
	s_clause 0x3
	flat_load_u16 v54, v[15:16] offset:128
	flat_load_u16 v53, v[21:22] offset:128
	flat_load_u16 v52, v[17:18] offset:128
	flat_load_u16 v51, v[19:20] offset:128
	s_and_saveexec_b32 s44, s4
	s_cbranch_execz .LBB588_25
; %bb.31:                               ;   in Loop: Header=BB588_28 Depth=2
	s_clause 0x3
	flat_load_u16 v58, v[15:16] offset:256
	flat_load_u16 v57, v[21:22] offset:256
	flat_load_u16 v56, v[17:18] offset:256
	flat_load_u16 v55, v[19:20] offset:256
	;; [unrolled: 8-line block ×3, first 2 shown]
	s_wait_loadcnt_dscnt 0x303
	v_lshlrev_b32_e32 v15, 16, v15
	s_wait_loadcnt_dscnt 0x202
	s_delay_alu instid0(VALU_DEP_1) | instskip(SKIP_3) | instid1(VALU_DEP_2)
	v_dual_fmac_f32 v37, v50, v15 :: v_dual_lshlrev_b32 v16, 16, v16
	s_wait_loadcnt_dscnt 0x101
	v_lshlrev_b32_e32 v15, 16, v17
	s_wait_loadcnt_dscnt 0x0
	v_dual_fmac_f32 v37, v46, v16 :: v_dual_lshlrev_b32 v16, 16, v18
	s_delay_alu instid0(VALU_DEP_1) | instskip(NEXT) | instid1(VALU_DEP_1)
	v_fmac_f32_e32 v37, v48, v15
	v_fmac_f32_e32 v37, v44, v16
	s_branch .LBB588_24
.LBB588_33:                             ;   in Loop: Header=BB588_4 Depth=1
	s_or_b32 exec_lo, exec_lo, s40
.LBB588_34:                             ;   in Loop: Header=BB588_4 Depth=1
	s_wait_alu 0xfffe
	s_or_b32 exec_lo, exec_lo, s7
	s_delay_alu instid0(SALU_CYCLE_1)
	s_and_not1_b32 vcc_lo, exec_lo, s20
	s_wait_alu 0xfffe
	s_cbranch_vccnz .LBB588_52
; %bb.35:                               ;   in Loop: Header=BB588_4 Depth=1
	v_cmp_gt_i32_e32 vcc_lo, s21, v38
	v_dual_mov_b32 v20, 0 :: v_dual_mov_b32 v19, 0
	v_or_b32_e32 v15, 1, v38
	v_dual_mov_b32 v22, 0 :: v_dual_mov_b32 v21, 0
	s_and_saveexec_b32 s40, vcc_lo
	s_cbranch_execz .LBB588_43
; %bb.36:                               ;   in Loop: Header=BB588_4 Depth=1
	v_mul_lo_u32 v16, v38, s26
	v_dual_mov_b32 v21, 0 :: v_dual_mov_b32 v20, 0
	v_mov_b32_e32 v19, 0
	s_mov_b32 s41, exec_lo
	s_delay_alu instid0(VALU_DEP_3) | instskip(NEXT) | instid1(VALU_DEP_1)
	v_ashrrev_i32_e32 v17, 31, v16
	v_lshlrev_b64_e32 v[16:17], 1, v[16:17]
	s_delay_alu instid0(VALU_DEP_1) | instskip(SKIP_1) | instid1(VALU_DEP_2)
	v_add_co_u32 v16, s7, v13, v16
	s_wait_alu 0xf1ff
	v_add_co_ci_u32_e64 v17, null, v14, v17, s7
	flat_load_u16 v16, v[16:17]
	v_cmpx_gt_i32_e64 s21, v15
	s_cbranch_execz .LBB588_42
; %bb.37:                               ;   in Loop: Header=BB588_4 Depth=1
	v_mul_lo_u32 v17, v15, s26
	v_dual_mov_b32 v19, 0 :: v_dual_mov_b32 v20, 0
	s_mov_b32 s42, exec_lo
	s_delay_alu instid0(VALU_DEP_2) | instskip(NEXT) | instid1(VALU_DEP_1)
	v_ashrrev_i32_e32 v18, 31, v17
	v_lshlrev_b64_e32 v[17:18], 1, v[17:18]
	s_delay_alu instid0(VALU_DEP_1) | instskip(SKIP_1) | instid1(VALU_DEP_2)
	v_add_co_u32 v17, s7, v13, v17
	s_wait_alu 0xf1ff
	v_add_co_ci_u32_e64 v18, null, v14, v18, s7
	flat_load_u16 v17, v[17:18]
	v_or_b32_e32 v18, 2, v38
	s_delay_alu instid0(VALU_DEP_1)
	v_cmpx_gt_i32_e64 s21, v18
	s_cbranch_execz .LBB588_41
; %bb.38:                               ;   in Loop: Header=BB588_4 Depth=1
	v_mul_lo_u32 v18, v18, s26
	v_or_b32_e32 v20, 3, v38
	s_mov_b32 s43, exec_lo
	s_delay_alu instid0(VALU_DEP_2) | instskip(NEXT) | instid1(VALU_DEP_1)
	v_ashrrev_i32_e32 v19, 31, v18
	v_lshlrev_b64_e32 v[18:19], 1, v[18:19]
	s_delay_alu instid0(VALU_DEP_1) | instskip(SKIP_1) | instid1(VALU_DEP_2)
	v_add_co_u32 v18, s7, v13, v18
	s_wait_alu 0xf1ff
	v_add_co_ci_u32_e64 v19, null, v14, v19, s7
	flat_load_u16 v18, v[18:19]
	v_mov_b32_e32 v19, 0
	v_cmpx_gt_i32_e64 s21, v20
	s_cbranch_execz .LBB588_40
; %bb.39:                               ;   in Loop: Header=BB588_4 Depth=1
	v_mul_lo_u32 v19, v20, s26
	s_delay_alu instid0(VALU_DEP_1) | instskip(NEXT) | instid1(VALU_DEP_1)
	v_ashrrev_i32_e32 v20, 31, v19
	v_lshlrev_b64_e32 v[19:20], 1, v[19:20]
	s_delay_alu instid0(VALU_DEP_1) | instskip(SKIP_1) | instid1(VALU_DEP_2)
	v_add_co_u32 v13, s7, v13, v19
	s_wait_alu 0xf1ff
	v_add_co_ci_u32_e64 v14, null, v14, v20, s7
	flat_load_u16 v13, v[13:14]
	s_wait_loadcnt_dscnt 0x0
	v_lshlrev_b32_e32 v19, 16, v13
.LBB588_40:                             ;   in Loop: Header=BB588_4 Depth=1
	s_or_b32 exec_lo, exec_lo, s43
	s_wait_loadcnt_dscnt 0x0
	v_lshlrev_b32_e32 v20, 16, v18
.LBB588_41:                             ;   in Loop: Header=BB588_4 Depth=1
	s_or_b32 exec_lo, exec_lo, s42
	s_wait_loadcnt_dscnt 0x0
	v_lshlrev_b32_e32 v21, 16, v17
.LBB588_42:                             ;   in Loop: Header=BB588_4 Depth=1
	s_wait_alu 0xfffe
	s_or_b32 exec_lo, exec_lo, s41
	s_wait_loadcnt_dscnt 0x0
	v_lshlrev_b32_e32 v22, 16, v16
.LBB588_43:                             ;   in Loop: Header=BB588_4 Depth=1
	s_wait_alu 0xfffe
	s_or_b32 exec_lo, exec_lo, s40
	s_and_saveexec_b32 s7, s1
	s_cbranch_execz .LBB588_51
; %bb.44:                               ;   in Loop: Header=BB588_4 Depth=1
	v_mul_lo_u32 v14, v38, s28
	v_or_b32_e32 v13, 2, v38
	v_mul_lo_u32 v17, v15, s28
	v_or_b32_e32 v16, 3, v38
	s_delay_alu instid0(VALU_DEP_3) | instskip(NEXT) | instid1(VALU_DEP_2)
	v_mul_lo_u32 v18, v13, s28
	v_mul_lo_u32 v38, v16, s28
	v_cndmask_b32_e32 v14, 0, v14, vcc_lo
	v_cmp_gt_i32_e32 vcc_lo, s21, v15
	s_wait_alu 0xfffd
	v_cndmask_b32_e32 v15, 0, v17, vcc_lo
	v_cmp_gt_i32_e32 vcc_lo, s21, v13
	v_add_nc_u32_e32 v13, v14, v27
	s_delay_alu instid0(VALU_DEP_3)
	v_add_nc_u32_e32 v15, v15, v27
	s_wait_alu 0xfffd
	v_cndmask_b32_e32 v17, 0, v18, vcc_lo
	v_cmp_gt_i32_e32 vcc_lo, s21, v16
	v_ashrrev_i32_e32 v14, 31, v13
	s_wait_alu 0xfffd
	v_cndmask_b32_e32 v16, 0, v38, vcc_lo
	s_delay_alu instid0(VALU_DEP_2) | instskip(NEXT) | instid1(VALU_DEP_2)
	v_lshlrev_b64_e32 v[13:14], 1, v[13:14]
	v_add_nc_u32_e32 v38, v16, v27
	v_add_nc_u32_e32 v17, v17, v27
	v_ashrrev_i32_e32 v16, 31, v15
	s_delay_alu instid0(VALU_DEP_3) | instskip(NEXT) | instid1(VALU_DEP_3)
	v_ashrrev_i32_e32 v39, 31, v38
	v_ashrrev_i32_e32 v18, 31, v17
	s_delay_alu instid0(VALU_DEP_3) | instskip(SKIP_1) | instid1(VALU_DEP_4)
	v_lshlrev_b64_e32 v[40:41], 1, v[15:16]
	v_add_co_u32 v15, vcc_lo, v11, v13
	v_lshlrev_b64_e32 v[38:39], 1, v[38:39]
	s_delay_alu instid0(VALU_DEP_4)
	v_lshlrev_b64_e32 v[42:43], 1, v[17:18]
	s_wait_alu 0xfffd
	v_add_co_ci_u32_e64 v16, null, v12, v14, vcc_lo
	v_add_co_u32 v17, vcc_lo, v11, v40
	s_wait_alu 0xfffd
	v_add_co_ci_u32_e64 v18, null, v12, v41, vcc_lo
	v_add_co_u32 v13, vcc_lo, v11, v42
	;; [unrolled: 3-line block ×3, first 2 shown]
	s_wait_alu 0xfffd
	v_add_co_ci_u32_e64 v12, null, v12, v39, vcc_lo
	s_clause 0x3
	flat_load_u16 v41, v[15:16]
	flat_load_u16 v40, v[17:18]
	;; [unrolled: 1-line block ×4, first 2 shown]
	s_and_saveexec_b32 s40, s3
	s_cbranch_execz .LBB588_50
; %bb.45:                               ;   in Loop: Header=BB588_4 Depth=1
	s_clause 0x3
	flat_load_u16 v45, v[15:16] offset:128
	flat_load_u16 v44, v[17:18] offset:128
	flat_load_u16 v43, v[13:14] offset:128
	flat_load_u16 v42, v[11:12] offset:128
	s_and_saveexec_b32 s41, s4
	s_cbranch_execz .LBB588_49
; %bb.46:                               ;   in Loop: Header=BB588_4 Depth=1
	s_clause 0x3
	flat_load_u16 v49, v[15:16] offset:256
	flat_load_u16 v48, v[17:18] offset:256
	flat_load_u16 v47, v[13:14] offset:256
	flat_load_u16 v46, v[11:12] offset:256
	;; [unrolled: 8-line block ×3, first 2 shown]
	s_wait_loadcnt_dscnt 0x0
	v_lshlrev_b32_e32 v11, 16, v11
	v_lshlrev_b32_e32 v14, 16, v16
	;; [unrolled: 1-line block ×3, first 2 shown]
	s_delay_alu instid0(VALU_DEP_1) | instskip(NEXT) | instid1(VALU_DEP_1)
	v_dual_fmac_f32 v37, v22, v12 :: v_dual_lshlrev_b32 v12, 16, v13
	v_fmac_f32_e32 v37, v21, v14
	s_delay_alu instid0(VALU_DEP_1) | instskip(NEXT) | instid1(VALU_DEP_1)
	v_fmac_f32_e32 v37, v20, v12
	v_fmac_f32_e32 v37, v19, v11
.LBB588_48:                             ;   in Loop: Header=BB588_4 Depth=1
	s_or_b32 exec_lo, exec_lo, s42
	s_wait_loadcnt_dscnt 0x202
	v_lshlrev_b32_e32 v12, 16, v48
	v_lshlrev_b32_e32 v11, 16, v49
	s_delay_alu instid0(VALU_DEP_1) | instskip(SKIP_1) | instid1(VALU_DEP_1)
	v_fmac_f32_e32 v36, v22, v11
	s_wait_loadcnt_dscnt 0x101
	v_dual_fmac_f32 v36, v21, v12 :: v_dual_lshlrev_b32 v11, 16, v47
	s_wait_loadcnt_dscnt 0x0
	s_delay_alu instid0(VALU_DEP_1) | instskip(NEXT) | instid1(VALU_DEP_1)
	v_dual_fmac_f32 v36, v20, v11 :: v_dual_lshlrev_b32 v11, 16, v46
	v_fmac_f32_e32 v36, v19, v11
.LBB588_49:                             ;   in Loop: Header=BB588_4 Depth=1
	s_wait_alu 0xfffe
	s_or_b32 exec_lo, exec_lo, s41
	s_wait_loadcnt_dscnt 0x303
	v_lshlrev_b32_e32 v11, 16, v45
	s_wait_loadcnt_dscnt 0x202
	s_delay_alu instid0(VALU_DEP_1) | instskip(SKIP_2) | instid1(VALU_DEP_2)
	v_dual_fmac_f32 v35, v22, v11 :: v_dual_lshlrev_b32 v12, 16, v44
	s_wait_loadcnt_dscnt 0x101
	v_lshlrev_b32_e32 v11, 16, v43
	v_fmac_f32_e32 v35, v21, v12
	s_delay_alu instid0(VALU_DEP_1) | instskip(SKIP_2) | instid1(VALU_DEP_1)
	v_fmac_f32_e32 v35, v20, v11
	s_wait_loadcnt_dscnt 0x0
	v_lshlrev_b32_e32 v11, 16, v42
	v_fmac_f32_e32 v35, v19, v11
.LBB588_50:                             ;   in Loop: Header=BB588_4 Depth=1
	s_wait_alu 0xfffe
	s_or_b32 exec_lo, exec_lo, s40
	s_wait_loadcnt_dscnt 0x202
	v_lshlrev_b32_e32 v12, 16, v40
	v_lshlrev_b32_e32 v11, 16, v41
	s_delay_alu instid0(VALU_DEP_1) | instskip(SKIP_1) | instid1(VALU_DEP_1)
	v_fmac_f32_e32 v34, v22, v11
	s_wait_loadcnt_dscnt 0x101
	v_dual_fmac_f32 v34, v21, v12 :: v_dual_lshlrev_b32 v11, 16, v39
	s_wait_loadcnt_dscnt 0x0
	s_delay_alu instid0(VALU_DEP_1) | instskip(NEXT) | instid1(VALU_DEP_1)
	v_dual_fmac_f32 v34, v20, v11 :: v_dual_lshlrev_b32 v11, 16, v38
	v_fmac_f32_e32 v34, v19, v11
.LBB588_51:                             ;   in Loop: Header=BB588_4 Depth=1
	s_wait_alu 0xfffe
	s_or_b32 exec_lo, exec_lo, s7
.LBB588_52:                             ;   in Loop: Header=BB588_4 Depth=1
	ds_store_2addr_stride64_b32 v24, v34, v35 offset1:1
	ds_store_2addr_stride64_b32 v24, v36, v37 offset0:2 offset1:3
	s_wait_dscnt 0x0
	s_barrier_signal -1
	s_barrier_wait -1
	global_inv scope:SCOPE_SE
                                        ; implicit-def: $vgpr15
	s_and_saveexec_b32 s7, s0
	s_cbranch_execz .LBB588_72
; %bb.53:                               ;   in Loop: Header=BB588_4 Depth=1
	ds_load_2addr_stride64_b32 v[11:12], v25 offset1:4
	ds_load_2addr_stride64_b32 v[13:14], v25 offset0:8 offset1:12
	s_mov_b32 s41, s39
                                        ; implicit-def: $vgpr15
	s_wait_dscnt 0x1
	v_add_f32_e32 v11, v11, v12
	s_wait_dscnt 0x0
	s_delay_alu instid0(VALU_DEP_1) | instskip(NEXT) | instid1(VALU_DEP_1)
	v_add_f32_e32 v11, v13, v11
	v_add_f32_e32 v11, v14, v11
	ds_store_b32 v25, v11
	s_and_saveexec_b32 s40, s2
	s_cbranch_execz .LBB588_71
; %bb.54:                               ;   in Loop: Header=BB588_4 Depth=1
	v_mul_f32_e32 v11, s22, v11
	s_and_b32 vcc_lo, exec_lo, s34
	s_mov_b32 s41, -1
                                        ; implicit-def: $vgpr12
	s_wait_alu 0xfffe
	s_cbranch_vccz .LBB588_60
; %bb.55:                               ;   in Loop: Header=BB588_4 Depth=1
	v_and_b32_e32 v12, 0x7f800000, v11
	s_delay_alu instid0(VALU_DEP_1)
	v_cmp_ne_u32_e32 vcc_lo, 0x7f800000, v12
                                        ; implicit-def: $vgpr12
	s_and_saveexec_b32 s41, vcc_lo
	s_wait_alu 0xfffe
	s_xor_b32 s41, exec_lo, s41
; %bb.56:                               ;   in Loop: Header=BB588_4 Depth=1
	v_bfe_u32 v12, v11, 16, 1
	s_delay_alu instid0(VALU_DEP_1)
	v_add3_u32 v12, v11, v12, 0x7fff
; %bb.57:                               ;   in Loop: Header=BB588_4 Depth=1
	s_wait_alu 0xfffe
	s_and_not1_saveexec_b32 s41, s41
; %bb.58:                               ;   in Loop: Header=BB588_4 Depth=1
	v_and_b32_e32 v12, 0xffff, v11
	v_or_b32_e32 v13, 0x10000, v11
	s_delay_alu instid0(VALU_DEP_2) | instskip(SKIP_1) | instid1(VALU_DEP_2)
	v_cmp_eq_u32_e32 vcc_lo, 0, v12
	s_wait_alu 0xfffd
	v_cndmask_b32_e32 v12, v13, v11, vcc_lo
; %bb.59:                               ;   in Loop: Header=BB588_4 Depth=1
	s_wait_alu 0xfffe
	s_or_b32 exec_lo, exec_lo, s41
	s_mov_b32 s41, 0
.LBB588_60:                             ;   in Loop: Header=BB588_4 Depth=1
	s_wait_alu 0xfffe
	s_and_not1_b32 vcc_lo, exec_lo, s41
	s_wait_alu 0xfffe
	s_cbranch_vccnz .LBB588_70
; %bb.61:                               ;   in Loop: Header=BB588_4 Depth=1
	v_lshlrev_b64_e32 v[12:13], 1, v[4:5]
	s_delay_alu instid0(VALU_DEP_1) | instskip(SKIP_1) | instid1(VALU_DEP_2)
	v_add_co_u32 v12, vcc_lo, v32, v12
	s_wait_alu 0xfffd
	v_add_co_ci_u32_e64 v13, null, v33, v13, vcc_lo
	flat_load_u16 v12, v[12:13]
	s_wait_loadcnt_dscnt 0x0
	v_lshlrev_b32_e32 v12, 16, v12
	s_delay_alu instid0(VALU_DEP_1) | instskip(NEXT) | instid1(VALU_DEP_1)
	v_mul_f32_e32 v12, s27, v12
	v_and_b32_e32 v13, 0x7f800000, v12
	s_delay_alu instid0(VALU_DEP_1)
	v_cmp_ne_u32_e32 vcc_lo, 0x7f800000, v13
                                        ; implicit-def: $vgpr13
	s_and_saveexec_b32 s41, vcc_lo
	s_wait_alu 0xfffe
	s_xor_b32 s41, exec_lo, s41
; %bb.62:                               ;   in Loop: Header=BB588_4 Depth=1
	v_bfe_u32 v13, v12, 16, 1
	s_delay_alu instid0(VALU_DEP_1)
	v_add3_u32 v13, v12, v13, 0x7fff
                                        ; implicit-def: $vgpr12
; %bb.63:                               ;   in Loop: Header=BB588_4 Depth=1
	s_wait_alu 0xfffe
	s_and_not1_saveexec_b32 s41, s41
; %bb.64:                               ;   in Loop: Header=BB588_4 Depth=1
	v_and_b32_e32 v13, 0xffff, v12
	v_or_b32_e32 v14, 0x10000, v12
	s_delay_alu instid0(VALU_DEP_2) | instskip(SKIP_1) | instid1(VALU_DEP_2)
	v_cmp_eq_u32_e32 vcc_lo, 0, v13
	s_wait_alu 0xfffd
	v_cndmask_b32_e32 v13, v14, v12, vcc_lo
; %bb.65:                               ;   in Loop: Header=BB588_4 Depth=1
	s_wait_alu 0xfffe
	s_or_b32 exec_lo, exec_lo, s41
	s_delay_alu instid0(VALU_DEP_1) | instskip(NEXT) | instid1(VALU_DEP_1)
	v_and_b32_e32 v12, 0xffff0000, v13
	v_add_f32_e32 v11, v11, v12
	s_delay_alu instid0(VALU_DEP_1) | instskip(NEXT) | instid1(VALU_DEP_1)
	v_and_b32_e32 v12, 0x7f800000, v11
	v_cmp_ne_u32_e32 vcc_lo, 0x7f800000, v12
                                        ; implicit-def: $vgpr12
	s_and_saveexec_b32 s41, vcc_lo
	s_wait_alu 0xfffe
	s_xor_b32 s41, exec_lo, s41
; %bb.66:                               ;   in Loop: Header=BB588_4 Depth=1
	v_bfe_u32 v12, v11, 16, 1
	s_delay_alu instid0(VALU_DEP_1)
	v_add3_u32 v12, v11, v12, 0x7fff
                                        ; implicit-def: $vgpr11
; %bb.67:                               ;   in Loop: Header=BB588_4 Depth=1
	s_wait_alu 0xfffe
	s_and_not1_saveexec_b32 s41, s41
; %bb.68:                               ;   in Loop: Header=BB588_4 Depth=1
	v_and_b32_e32 v12, 0xffff, v11
	v_or_b32_e32 v13, 0x10000, v11
	s_delay_alu instid0(VALU_DEP_2) | instskip(SKIP_1) | instid1(VALU_DEP_2)
	v_cmp_eq_u32_e32 vcc_lo, 0, v12
	s_wait_alu 0xfffd
	v_cndmask_b32_e32 v12, v13, v11, vcc_lo
; %bb.69:                               ;   in Loop: Header=BB588_4 Depth=1
	s_wait_alu 0xfffe
	s_or_b32 exec_lo, exec_lo, s41
.LBB588_70:                             ;   in Loop: Header=BB588_4 Depth=1
	s_delay_alu instid0(VALU_DEP_1)
	v_lshrrev_b32_e32 v15, 16, v12
	s_or_b32 s41, s39, exec_lo
.LBB588_71:                             ;   in Loop: Header=BB588_4 Depth=1
	s_wait_alu 0xfffe
	s_or_b32 exec_lo, exec_lo, s40
	s_delay_alu instid0(SALU_CYCLE_1)
	s_and_not1_b32 s39, s39, exec_lo
	s_and_b32 s40, s41, exec_lo
	s_wait_alu 0xfffe
	s_or_b32 s39, s39, s40
.LBB588_72:                             ;   in Loop: Header=BB588_4 Depth=1
	s_wait_alu 0xfffe
	s_or_b32 exec_lo, exec_lo, s7
	v_dual_mov_b32 v12, v5 :: v_dual_mov_b32 v11, v4
	s_and_saveexec_b32 s7, s39
	s_cbranch_execz .LBB588_2
	s_branch .LBB588_75
.LBB588_73:                             ;   in Loop: Header=BB588_4 Depth=1
	v_mov_b32_e32 v15, 0
	s_mov_b32 s39, exec_lo
	s_or_b32 exec_lo, exec_lo, s40
	s_delay_alu instid0(SALU_CYCLE_1)
	s_and_b32 vcc_lo, exec_lo, s7
	s_wait_alu 0xfffe
	s_cbranch_vccnz .LBB588_22
.LBB588_74:                             ;   in Loop: Header=BB588_4 Depth=1
	v_dual_mov_b32 v12, v3 :: v_dual_mov_b32 v11, v2
	s_and_saveexec_b32 s7, s39
	s_cbranch_execz .LBB588_2
.LBB588_75:                             ;   in Loop: Header=BB588_4 Depth=1
	s_delay_alu instid0(VALU_DEP_1) | instskip(NEXT) | instid1(VALU_DEP_1)
	v_lshlrev_b64_e32 v[11:12], 1, v[11:12]
	v_add_co_u32 v11, vcc_lo, v32, v11
	s_wait_alu 0xfffd
	s_delay_alu instid0(VALU_DEP_2)
	v_add_co_ci_u32_e64 v12, null, v33, v12, vcc_lo
	flat_store_b16 v[11:12], v15
	s_branch .LBB588_2
.LBB588_76:
	s_endpgm
	.section	.rodata,"a",@progbits
	.p2align	6, 0x0
	.amdhsa_kernel _ZL20rocblas_gemvn_kernelILi64ELi4EiPK16rocblas_bfloat16fKPS0_EviiT3_lPKT2_lT1_lS8_lS9_lS5_lPT4_lS9_li
		.amdhsa_group_segment_fixed_size 4096
		.amdhsa_private_segment_fixed_size 0
		.amdhsa_kernarg_size 400
		.amdhsa_user_sgpr_count 2
		.amdhsa_user_sgpr_dispatch_ptr 0
		.amdhsa_user_sgpr_queue_ptr 0
		.amdhsa_user_sgpr_kernarg_segment_ptr 1
		.amdhsa_user_sgpr_dispatch_id 0
		.amdhsa_user_sgpr_private_segment_size 0
		.amdhsa_wavefront_size32 1
		.amdhsa_uses_dynamic_stack 0
		.amdhsa_enable_private_segment 0
		.amdhsa_system_sgpr_workgroup_id_x 1
		.amdhsa_system_sgpr_workgroup_id_y 0
		.amdhsa_system_sgpr_workgroup_id_z 1
		.amdhsa_system_sgpr_workgroup_info 0
		.amdhsa_system_vgpr_workitem_id 1
		.amdhsa_next_free_vgpr 59
		.amdhsa_next_free_sgpr 46
		.amdhsa_reserve_vcc 1
		.amdhsa_float_round_mode_32 0
		.amdhsa_float_round_mode_16_64 0
		.amdhsa_float_denorm_mode_32 3
		.amdhsa_float_denorm_mode_16_64 3
		.amdhsa_fp16_overflow 0
		.amdhsa_workgroup_processor_mode 1
		.amdhsa_memory_ordered 1
		.amdhsa_forward_progress 1
		.amdhsa_inst_pref_size 31
		.amdhsa_round_robin_scheduling 0
		.amdhsa_exception_fp_ieee_invalid_op 0
		.amdhsa_exception_fp_denorm_src 0
		.amdhsa_exception_fp_ieee_div_zero 0
		.amdhsa_exception_fp_ieee_overflow 0
		.amdhsa_exception_fp_ieee_underflow 0
		.amdhsa_exception_fp_ieee_inexact 0
		.amdhsa_exception_int_div_zero 0
	.end_amdhsa_kernel
	.section	.text._ZL20rocblas_gemvn_kernelILi64ELi4EiPK16rocblas_bfloat16fKPS0_EviiT3_lPKT2_lT1_lS8_lS9_lS5_lPT4_lS9_li,"axG",@progbits,_ZL20rocblas_gemvn_kernelILi64ELi4EiPK16rocblas_bfloat16fKPS0_EviiT3_lPKT2_lT1_lS8_lS9_lS5_lPT4_lS9_li,comdat
.Lfunc_end588:
	.size	_ZL20rocblas_gemvn_kernelILi64ELi4EiPK16rocblas_bfloat16fKPS0_EviiT3_lPKT2_lT1_lS8_lS9_lS5_lPT4_lS9_li, .Lfunc_end588-_ZL20rocblas_gemvn_kernelILi64ELi4EiPK16rocblas_bfloat16fKPS0_EviiT3_lPKT2_lT1_lS8_lS9_lS5_lPT4_lS9_li
                                        ; -- End function
	.set _ZL20rocblas_gemvn_kernelILi64ELi4EiPK16rocblas_bfloat16fKPS0_EviiT3_lPKT2_lT1_lS8_lS9_lS5_lPT4_lS9_li.num_vgpr, 59
	.set _ZL20rocblas_gemvn_kernelILi64ELi4EiPK16rocblas_bfloat16fKPS0_EviiT3_lPKT2_lT1_lS8_lS9_lS5_lPT4_lS9_li.num_agpr, 0
	.set _ZL20rocblas_gemvn_kernelILi64ELi4EiPK16rocblas_bfloat16fKPS0_EviiT3_lPKT2_lT1_lS8_lS9_lS5_lPT4_lS9_li.numbered_sgpr, 46
	.set _ZL20rocblas_gemvn_kernelILi64ELi4EiPK16rocblas_bfloat16fKPS0_EviiT3_lPKT2_lT1_lS8_lS9_lS5_lPT4_lS9_li.num_named_barrier, 0
	.set _ZL20rocblas_gemvn_kernelILi64ELi4EiPK16rocblas_bfloat16fKPS0_EviiT3_lPKT2_lT1_lS8_lS9_lS5_lPT4_lS9_li.private_seg_size, 0
	.set _ZL20rocblas_gemvn_kernelILi64ELi4EiPK16rocblas_bfloat16fKPS0_EviiT3_lPKT2_lT1_lS8_lS9_lS5_lPT4_lS9_li.uses_vcc, 1
	.set _ZL20rocblas_gemvn_kernelILi64ELi4EiPK16rocblas_bfloat16fKPS0_EviiT3_lPKT2_lT1_lS8_lS9_lS5_lPT4_lS9_li.uses_flat_scratch, 1
	.set _ZL20rocblas_gemvn_kernelILi64ELi4EiPK16rocblas_bfloat16fKPS0_EviiT3_lPKT2_lT1_lS8_lS9_lS5_lPT4_lS9_li.has_dyn_sized_stack, 0
	.set _ZL20rocblas_gemvn_kernelILi64ELi4EiPK16rocblas_bfloat16fKPS0_EviiT3_lPKT2_lT1_lS8_lS9_lS5_lPT4_lS9_li.has_recursion, 0
	.set _ZL20rocblas_gemvn_kernelILi64ELi4EiPK16rocblas_bfloat16fKPS0_EviiT3_lPKT2_lT1_lS8_lS9_lS5_lPT4_lS9_li.has_indirect_call, 0
	.section	.AMDGPU.csdata,"",@progbits
; Kernel info:
; codeLenInByte = 3872
; TotalNumSgprs: 48
; NumVgprs: 59
; ScratchSize: 0
; MemoryBound: 0
; FloatMode: 240
; IeeeMode: 1
; LDSByteSize: 4096 bytes/workgroup (compile time only)
; SGPRBlocks: 0
; VGPRBlocks: 7
; NumSGPRsForWavesPerEU: 48
; NumVGPRsForWavesPerEU: 59
; Occupancy: 16
; WaveLimiterHint : 1
; COMPUTE_PGM_RSRC2:SCRATCH_EN: 0
; COMPUTE_PGM_RSRC2:USER_SGPR: 2
; COMPUTE_PGM_RSRC2:TRAP_HANDLER: 0
; COMPUTE_PGM_RSRC2:TGID_X_EN: 1
; COMPUTE_PGM_RSRC2:TGID_Y_EN: 0
; COMPUTE_PGM_RSRC2:TGID_Z_EN: 1
; COMPUTE_PGM_RSRC2:TIDIG_COMP_CNT: 1
	.section	.text._ZL20rocblas_gemvn_kernelILi64ELi4ElPK16rocblas_bfloat16fKPS0_EviiT3_lPKT2_lT1_lS8_lS9_lS5_lPT4_lS9_li,"axG",@progbits,_ZL20rocblas_gemvn_kernelILi64ELi4ElPK16rocblas_bfloat16fKPS0_EviiT3_lPKT2_lT1_lS8_lS9_lS5_lPT4_lS9_li,comdat
	.globl	_ZL20rocblas_gemvn_kernelILi64ELi4ElPK16rocblas_bfloat16fKPS0_EviiT3_lPKT2_lT1_lS8_lS9_lS5_lPT4_lS9_li ; -- Begin function _ZL20rocblas_gemvn_kernelILi64ELi4ElPK16rocblas_bfloat16fKPS0_EviiT3_lPKT2_lT1_lS8_lS9_lS5_lPT4_lS9_li
	.p2align	8
	.type	_ZL20rocblas_gemvn_kernelILi64ELi4ElPK16rocblas_bfloat16fKPS0_EviiT3_lPKT2_lT1_lS8_lS9_lS5_lPT4_lS9_li,@function
_ZL20rocblas_gemvn_kernelILi64ELi4ElPK16rocblas_bfloat16fKPS0_EviiT3_lPKT2_lT1_lS8_lS9_lS5_lPT4_lS9_li: ; @_ZL20rocblas_gemvn_kernelILi64ELi4ElPK16rocblas_bfloat16fKPS0_EviiT3_lPKT2_lT1_lS8_lS9_lS5_lPT4_lS9_li
; %bb.0:
	s_clause 0x1
	s_load_b64 s[2:3], s[0:1], 0x9c
	s_load_b32 s23, s[0:1], 0x88
	s_lshr_b32 s24, ttmp7, 16
	s_wait_kmcnt 0x0
	s_lshr_b32 s4, s2, 16
	s_and_b32 s2, s2, 0xffff
	s_and_b32 s3, s3, 0xffff
	s_mul_i32 s2, s4, s2
	s_delay_alu instid0(SALU_CYCLE_1) | instskip(NEXT) | instid1(SALU_CYCLE_1)
	s_mul_i32 s2, s2, s3
	s_cmp_lg_u32 s2, 0x100
	s_cselect_b32 s2, -1, 0
	s_cmp_ge_u32 s24, s23
	s_cselect_b32 s3, -1, 0
	s_delay_alu instid0(SALU_CYCLE_1) | instskip(NEXT) | instid1(SALU_CYCLE_1)
	s_or_b32 s2, s2, s3
	s_and_b32 vcc_lo, exec_lo, s2
	s_cbranch_vccnz .LBB589_76
; %bb.1:
	s_clause 0x7
	s_load_b96 s[20:22], s[0:1], 0x0
	s_load_b32 s33, s[0:1], 0x58
	s_load_b64 s[26:27], s[0:1], 0x48
	s_load_b128 s[8:11], s[0:1], 0x18
	s_load_b64 s[28:29], s[0:1], 0x28
	s_load_b128 s[12:15], s[0:1], 0x38
	;; [unrolled: 2-line block ×3, first 2 shown]
	v_dual_mov_b32 v1, 0 :: v_dual_and_b32 v2, 0x3ff, v0
	v_bfe_u32 v26, v0, 10, 10
	s_mov_b32 s25, 0
	s_delay_alu instid0(VALU_DEP_2) | instskip(NEXT) | instid1(VALU_DEP_2)
	v_lshlrev_b32_e32 v16, 2, v2
	v_lshl_add_u32 v3, v26, 6, v2
	v_lshlrev_b32_e32 v40, 2, v26
	s_delay_alu instid0(VALU_DEP_2)
	v_cmp_gt_u32_e64 s0, 0x100, v3
	s_wait_kmcnt 0x0
	s_cmp_eq_f32 s22, 0
	v_mad_co_u64_u32 v[6:7], null, s26, v26, 0
	s_mov_b32 s2, s20
	s_cselect_b32 s36, -1, 0
	s_cmp_neq_f32 s33, 1.0
	v_or_b32_e32 v19, 3, v40
	s_cselect_b32 s1, -1, 0
	s_cmp_neq_f32 s22, 0
	s_delay_alu instid0(VALU_DEP_1)
	v_mad_co_u64_u32 v[12:13], null, s26, v19, 0
	s_cselect_b32 s4, -1, 0
	s_lshl_b32 s30, ttmp9, 8
	s_ashr_i32 s3, s20, 31
	v_add_nc_u32_e32 v0, s30, v3
	s_or_b32 s37, s4, s1
	s_cmp_neq_f32 s33, 0
	v_or_b32_e32 v8, s30, v2
	v_or_b32_e32 v17, s30, v3
	v_mad_co_u64_u32 v[2:3], null, s6, v0, 0
	s_cselect_b32 s38, -1, 0
	s_cmp_eq_f32 s33, 0
	v_add_nc_u32_e32 v4, 64, v8
	v_cmp_gt_i64_e32 vcc_lo, s[2:3], v[0:1]
	v_add_nc_u32_e32 v5, 0x80, v8
	s_cselect_b32 s39, -1, 0
	s_ashr_i32 s2, s21, 31
	v_add_nc_u32_e32 v10, 0xc0, v8
	s_wait_alu 0xfffe
	s_lshr_b32 s2, s2, 28
	v_cndmask_b32_e64 v42, 0, 1, s4
	s_wait_alu 0xfffe
	s_add_co_i32 s3, s21, s2
	v_cmp_gt_i32_e64 s2, s20, v4
	v_mad_co_u64_u32 v[3:4], null, s7, v0, v[3:4]
	v_mov_b32_e32 v0, v7
	v_cmp_gt_i32_e64 s4, s20, v10
	v_mad_co_u64_u32 v[10:11], null, s28, v19, 0
	s_wait_alu 0xfffe
	s_and_b32 s40, s3, -16
	v_mad_co_u64_u32 v[14:15], null, s27, v26, v[0:1]
	v_cmp_gt_i32_e64 s3, s20, v5
	s_sub_co_i32 s5, s21, s40
	v_mul_lo_u32 v18, s7, v17
	v_mad_co_u64_u32 v[4:5], null, s6, v17, 0
	s_wait_alu 0xfffe
	s_cmp_gt_i32 s5, 0
	v_mov_b32_e32 v7, v14
	v_mad_co_u64_u32 v[14:15], null, s29, v19, v[11:12]
	s_cselect_b32 s41, -1, 0
	s_ashr_i32 s30, s30, 31
	v_lshl_add_u32 v41, v26, 10, v16
	s_wait_alu 0xfffe
	s_mul_i32 s7, s6, s30
	v_lshl_add_u32 v0, v26, 8, v16
	v_cmp_gt_i32_e64 s6, s20, v17
	v_mov_b32_e32 v11, v14
	v_or_b32_e32 v29, 2, v40
	v_mad_co_u64_u32 v[15:16], null, s27, v19, v[13:14]
	s_wait_alu 0xfffe
	v_add3_u32 v5, v5, s7, v18
	v_mad_co_u64_u32 v[16:17], null, s28, v26, 0
	v_mad_co_u64_u32 v[18:19], null, s28, v29, 0
	;; [unrolled: 1-line block ×5, first 2 shown]
	v_dual_mov_b32 v13, v15 :: v_dual_mov_b32 v14, v17
	s_delay_alu instid0(VALU_DEP_4)
	v_mov_b32_e32 v17, v25
	v_mov_b32_e32 v15, v19
	v_ashrrev_i32_e32 v9, 31, v8
	v_cmp_gt_i32_e64 s1, s20, v8
	v_lshlrev_b64_e32 v[6:7], 3, v[6:7]
	v_lshlrev_b64_e32 v[10:11], 1, v[10:11]
	v_mad_co_u64_u32 v[26:27], null, s29, v26, v[14:15]
	v_mov_b32_e32 v14, v21
	v_mad_co_u64_u32 v[27:28], null, s29, v29, v[15:16]
	v_mov_b32_e32 v15, v23
	v_lshlrev_b64_e32 v[8:9], 1, v[8:9]
	v_lshlrev_b64_e32 v[12:13], 1, v[12:13]
	v_cmp_gt_i32_e64 s5, s40, v40
	s_and_b32 s20, s0, vcc_lo
	v_mad_co_u64_u32 v[28:29], null, s27, v29, v[14:15]
	v_mad_co_u64_u32 v[14:15], null, s27, v40, v[15:16]
	;; [unrolled: 1-line block ×3, first 2 shown]
	v_mov_b32_e32 v17, v26
	v_mov_b32_e32 v19, v27
	;; [unrolled: 1-line block ×3, first 2 shown]
	s_lshl_b64 s[30:31], s[26:27], 5
	v_mov_b32_e32 v23, v14
	v_lshlrev_b64_e32 v[14:15], 3, v[16:17]
	v_mov_b32_e32 v25, v29
	v_lshlrev_b64_e32 v[16:17], 1, v[18:19]
	v_lshlrev_b64_e32 v[18:19], 1, v[20:21]
	;; [unrolled: 1-line block ×3, first 2 shown]
	s_lshl_b64 s[34:35], s[28:29], 5
	v_lshlrev_b64_e32 v[22:23], 1, v[24:25]
	v_lshlrev_b64_e32 v[24:25], 1, v[2:3]
	s_lshl_b64 s[10:11], s[10:11], 1
	s_lshl_b64 s[14:15], s[14:15], 1
	;; [unrolled: 1-line block ×3, first 2 shown]
	s_branch .LBB589_4
.LBB589_2:                              ;   in Loop: Header=BB589_4 Depth=1
	s_wait_alu 0xfffe
	s_or_b32 exec_lo, exec_lo, s7
.LBB589_3:                              ;   in Loop: Header=BB589_4 Depth=1
	s_add_co_i32 s24, s24, 0x10000
	s_delay_alu instid0(SALU_CYCLE_1)
	s_cmp_lt_u32 s24, s23
	s_cbranch_scc0 .LBB589_76
.LBB589_4:                              ; =>This Loop Header: Depth=1
                                        ;     Child Loop BB589_28 Depth 2
	s_and_not1_b32 vcc_lo, exec_lo, s37
	s_wait_alu 0xfffe
	s_cbranch_vccnz .LBB589_3
; %bb.5:                                ;   in Loop: Header=BB589_4 Depth=1
	s_and_not1_b32 vcc_lo, exec_lo, s36
	s_wait_alu 0xfffe
	s_cbranch_vccnz .LBB589_7
; %bb.6:                                ;   in Loop: Header=BB589_4 Depth=1
	s_mov_b32 s7, 0
	s_branch .LBB589_8
.LBB589_7:                              ;   in Loop: Header=BB589_4 Depth=1
	s_mov_b32 s7, -1
.LBB589_8:                              ;   in Loop: Header=BB589_4 Depth=1
	v_mov_b32_e32 v28, 0
	v_dual_mov_b32 v29, 0 :: v_dual_mov_b32 v26, 0
	v_mov_b32_e32 v27, 0
	s_wait_alu 0xfffe
	s_and_not1_b32 vcc_lo, exec_lo, s7
	s_wait_alu 0xfffe
	s_cbranch_vccnz .LBB589_10
; %bb.9:                                ;   in Loop: Header=BB589_4 Depth=1
	s_lshl_b64 s[42:43], s[24:25], 3
	s_delay_alu instid0(SALU_CYCLE_1)
	s_add_nc_u64 s[42:43], s[8:9], s[42:43]
	global_load_b64 v[26:27], v1, s[42:43]
	s_wait_loadcnt 0x0
	v_add_co_u32 v26, vcc_lo, v26, s10
	s_wait_alu 0xfffd
	v_add_co_ci_u32_e64 v27, null, s11, v27, vcc_lo
.LBB589_10:                             ;   in Loop: Header=BB589_4 Depth=1
	v_cmp_ne_u32_e32 vcc_lo, 1, v42
	s_cbranch_vccnz .LBB589_12
; %bb.11:                               ;   in Loop: Header=BB589_4 Depth=1
	s_lshl_b64 s[42:43], s[24:25], 3
	s_delay_alu instid0(SALU_CYCLE_1)
	s_add_nc_u64 s[42:43], s[12:13], s[42:43]
	global_load_b64 v[28:29], v1, s[42:43]
	s_wait_loadcnt 0x0
	v_add_co_u32 v28, vcc_lo, v28, s14
	s_wait_alu 0xfffd
	v_add_co_ci_u32_e64 v29, null, s15, v29, vcc_lo
.LBB589_12:                             ;   in Loop: Header=BB589_4 Depth=1
	s_lshl_b64 s[42:43], s[24:25], 3
	s_delay_alu instid0(SALU_CYCLE_1)
	s_add_nc_u64 s[42:43], s[16:17], s[42:43]
	global_load_b64 v[30:31], v1, s[42:43]
	s_wait_loadcnt 0x0
	v_add_co_u32 v43, vcc_lo, v30, s18
	s_wait_alu 0xfffd
	v_add_co_ci_u32_e64 v44, null, s19, v31, vcc_lo
	s_and_not1_b32 vcc_lo, exec_lo, s36
	s_wait_alu 0xfffe
	s_cbranch_vccnz .LBB589_20
; %bb.13:                               ;   in Loop: Header=BB589_4 Depth=1
	s_mov_b32 s7, 0
	s_mov_b32 s42, 0
                                        ; implicit-def: $vgpr30
	s_and_saveexec_b32 s43, s20
	s_cbranch_execz .LBB589_21
; %bb.14:                               ;   in Loop: Header=BB589_4 Depth=1
	s_and_not1_b32 vcc_lo, exec_lo, s38
	s_wait_alu 0xfffe
	s_cbranch_vccnz .LBB589_73
; %bb.15:                               ;   in Loop: Header=BB589_4 Depth=1
	v_add_co_u32 v30, vcc_lo, v43, v24
	s_wait_alu 0xfffd
	v_add_co_ci_u32_e64 v31, null, v44, v25, vcc_lo
	flat_load_u16 v30, v[30:31]
	s_wait_loadcnt_dscnt 0x0
	v_lshlrev_b32_e32 v30, 16, v30
	s_delay_alu instid0(VALU_DEP_1) | instskip(NEXT) | instid1(VALU_DEP_1)
	v_mul_f32_e32 v30, s33, v30
	v_and_b32_e32 v31, 0x7f800000, v30
	s_delay_alu instid0(VALU_DEP_1) | instskip(SKIP_1) | instid1(SALU_CYCLE_1)
	v_cmp_ne_u32_e32 vcc_lo, 0x7f800000, v31
                                        ; implicit-def: $vgpr31
	s_and_saveexec_b32 s42, vcc_lo
	s_xor_b32 s42, exec_lo, s42
; %bb.16:                               ;   in Loop: Header=BB589_4 Depth=1
	v_bfe_u32 v31, v30, 16, 1
	s_delay_alu instid0(VALU_DEP_1)
	v_add3_u32 v31, v30, v31, 0x7fff
                                        ; implicit-def: $vgpr30
; %bb.17:                               ;   in Loop: Header=BB589_4 Depth=1
	s_and_not1_saveexec_b32 s42, s42
; %bb.18:                               ;   in Loop: Header=BB589_4 Depth=1
	v_and_b32_e32 v31, 0xffff, v30
	v_or_b32_e32 v32, 0x10000, v30
	s_delay_alu instid0(VALU_DEP_2) | instskip(SKIP_1) | instid1(VALU_DEP_2)
	v_cmp_eq_u32_e32 vcc_lo, 0, v31
	s_wait_alu 0xfffd
	v_cndmask_b32_e32 v31, v32, v30, vcc_lo
; %bb.19:                               ;   in Loop: Header=BB589_4 Depth=1
	s_or_b32 exec_lo, exec_lo, s42
	s_delay_alu instid0(VALU_DEP_1) | instskip(SKIP_2) | instid1(SALU_CYCLE_1)
	v_lshrrev_b32_e32 v30, 16, v31
	s_mov_b32 s42, exec_lo
	s_or_b32 exec_lo, exec_lo, s43
	s_and_b32 vcc_lo, exec_lo, s7
	s_wait_alu 0xfffe
	s_cbranch_vccnz .LBB589_22
	s_branch .LBB589_74
.LBB589_20:                             ;   in Loop: Header=BB589_4 Depth=1
	s_mov_b32 s42, 0
                                        ; implicit-def: $vgpr30
	s_cbranch_execnz .LBB589_22
	s_branch .LBB589_74
.LBB589_21:                             ;   in Loop: Header=BB589_4 Depth=1
	s_or_b32 exec_lo, exec_lo, s43
	s_wait_alu 0xfffe
	s_and_b32 vcc_lo, exec_lo, s7
	s_wait_alu 0xfffe
	s_cbranch_vccz .LBB589_74
.LBB589_22:                             ;   in Loop: Header=BB589_4 Depth=1
	v_dual_mov_b32 v45, 0 :: v_dual_mov_b32 v46, 0
	v_dual_mov_b32 v49, v40 :: v_dual_mov_b32 v48, 0
	v_mov_b32_e32 v47, 0
	s_and_saveexec_b32 s43, s5
	s_cbranch_execz .LBB589_34
; %bb.23:                               ;   in Loop: Header=BB589_4 Depth=1
	v_add_co_u32 v50, vcc_lo, v26, v10
	s_wait_alu 0xfffd
	v_add_co_ci_u32_e64 v51, null, v27, v11, vcc_lo
	v_add_co_u32 v52, vcc_lo, v26, v14
	s_wait_alu 0xfffd
	v_add_co_ci_u32_e64 v53, null, v27, v15, vcc_lo
	;; [unrolled: 3-line block ×3, first 2 shown]
	v_add_co_u32 v56, vcc_lo, v26, v22
	v_dual_mov_b32 v31, v29 :: v_dual_mov_b32 v46, 0
	s_wait_alu 0xfffd
	v_add_co_ci_u32_e64 v57, null, v27, v23, vcc_lo
	v_dual_mov_b32 v45, 0 :: v_dual_mov_b32 v30, v28
	v_dual_mov_b32 v49, v40 :: v_dual_mov_b32 v48, 0
	v_mov_b32_e32 v47, 0
	s_mov_b32 s44, 0
	s_branch .LBB589_28
.LBB589_24:                             ;   in Loop: Header=BB589_28 Depth=2
	s_or_b32 exec_lo, exec_lo, s47
	s_wait_loadcnt_dscnt 0x303
	v_lshlrev_b32_e32 v32, 16, v73
	s_wait_loadcnt_dscnt 0x202
	v_lshlrev_b32_e32 v33, 16, v72
	s_wait_loadcnt_dscnt 0x101
	s_delay_alu instid0(VALU_DEP_2) | instskip(NEXT) | instid1(VALU_DEP_1)
	v_dual_fmac_f32 v47, v65, v32 :: v_dual_lshlrev_b32 v32, 16, v71
	v_fmac_f32_e32 v47, v61, v33
	s_wait_loadcnt_dscnt 0x0
	s_delay_alu instid0(VALU_DEP_1) | instskip(NEXT) | instid1(VALU_DEP_1)
	v_dual_fmac_f32 v47, v63, v32 :: v_dual_lshlrev_b32 v32, 16, v70
	v_fmac_f32_e32 v47, v59, v32
.LBB589_25:                             ;   in Loop: Header=BB589_28 Depth=2
	s_or_b32 exec_lo, exec_lo, s46
	s_wait_loadcnt_dscnt 0x303
	v_lshlrev_b32_e32 v32, 16, v69
	s_wait_loadcnt_dscnt 0x202
	v_lshlrev_b32_e32 v33, 16, v68
	s_delay_alu instid0(VALU_DEP_2) | instskip(SKIP_2) | instid1(VALU_DEP_2)
	v_fmac_f32_e32 v46, v65, v32
	s_wait_loadcnt_dscnt 0x101
	v_lshlrev_b32_e32 v32, 16, v67
	v_fmac_f32_e32 v46, v61, v33
	s_delay_alu instid0(VALU_DEP_1) | instskip(SKIP_2) | instid1(VALU_DEP_1)
	v_fmac_f32_e32 v46, v63, v32
	s_wait_loadcnt_dscnt 0x0
	v_lshlrev_b32_e32 v32, 16, v66
	v_fmac_f32_e32 v46, v59, v32
.LBB589_26:                             ;   in Loop: Header=BB589_28 Depth=2
	s_or_b32 exec_lo, exec_lo, s45
	s_wait_loadcnt_dscnt 0x202
	v_lshlrev_b32_e32 v33, 16, v62
	v_lshlrev_b32_e32 v32, 16, v64
	s_delay_alu instid0(VALU_DEP_1) | instskip(SKIP_1) | instid1(VALU_DEP_1)
	v_fmac_f32_e32 v45, v65, v32
	s_wait_loadcnt_dscnt 0x101
	v_dual_fmac_f32 v45, v61, v33 :: v_dual_lshlrev_b32 v32, 16, v60
	s_wait_loadcnt_dscnt 0x0
	s_delay_alu instid0(VALU_DEP_1) | instskip(NEXT) | instid1(VALU_DEP_1)
	v_dual_fmac_f32 v45, v63, v32 :: v_dual_lshlrev_b32 v32, 16, v58
	v_fmac_f32_e32 v45, v59, v32
.LBB589_27:                             ;   in Loop: Header=BB589_28 Depth=2
	s_wait_alu 0xfffe
	s_or_b32 exec_lo, exec_lo, s7
	v_add_co_u32 v30, vcc_lo, v30, s30
	s_wait_alu 0xfffd
	v_add_co_ci_u32_e64 v31, null, s31, v31, vcc_lo
	v_add_co_u32 v50, vcc_lo, v50, s34
	v_add_nc_u32_e32 v49, 16, v49
	s_wait_alu 0xfffd
	v_add_co_ci_u32_e64 v51, null, s35, v51, vcc_lo
	v_add_co_u32 v52, vcc_lo, v52, s34
	s_wait_alu 0xfffd
	v_add_co_ci_u32_e64 v53, null, s35, v53, vcc_lo
	v_add_co_u32 v54, vcc_lo, v54, s34
	s_wait_alu 0xfffd
	v_add_co_ci_u32_e64 v55, null, s35, v55, vcc_lo
	v_cmp_le_i32_e32 vcc_lo, s40, v49
	v_add_co_u32 v56, s7, v56, s34
	s_wait_alu 0xf1ff
	v_add_co_ci_u32_e64 v57, null, s35, v57, s7
	s_or_b32 s44, vcc_lo, s44
	s_delay_alu instid0(SALU_CYCLE_1)
	s_and_not1_b32 exec_lo, exec_lo, s44
	s_cbranch_execz .LBB589_33
.LBB589_28:                             ;   Parent Loop BB589_4 Depth=1
                                        ; =>  This Inner Loop Header: Depth=2
	s_and_saveexec_b32 s7, s1
	s_cbranch_execz .LBB589_27
; %bb.29:                               ;   in Loop: Header=BB589_28 Depth=2
	v_add_co_u32 v32, vcc_lo, v30, v6
	s_wait_alu 0xfffd
	v_add_co_ci_u32_e64 v33, null, v31, v7, vcc_lo
	v_add_co_u32 v34, vcc_lo, v30, v20
	s_wait_alu 0xfffd
	v_add_co_ci_u32_e64 v35, null, v31, v21, vcc_lo
	;; [unrolled: 3-line block ×4, first 2 shown]
	s_clause 0x3
	flat_load_u16 v59, v[32:33]
	flat_load_u16 v61, v[34:35]
	;; [unrolled: 1-line block ×4, first 2 shown]
	v_add_co_u32 v32, vcc_lo, v52, v8
	s_wait_alu 0xfffd
	v_add_co_ci_u32_e64 v33, null, v53, v9, vcc_lo
	v_add_co_u32 v36, vcc_lo, v56, v8
	s_wait_alu 0xfffd
	v_add_co_ci_u32_e64 v37, null, v57, v9, vcc_lo
	;; [unrolled: 3-line block ×4, first 2 shown]
	flat_load_u16 v64, v[32:33]
	flat_load_u16 v62, v[36:37]
	;; [unrolled: 1-line block ×4, first 2 shown]
	s_wait_loadcnt_dscnt 0x707
	v_lshlrev_b32_e32 v65, 16, v59
	s_wait_loadcnt_dscnt 0x606
	v_lshlrev_b32_e32 v61, 16, v61
	;; [unrolled: 2-line block ×4, first 2 shown]
	s_and_saveexec_b32 s45, s2
	s_cbranch_execz .LBB589_26
; %bb.30:                               ;   in Loop: Header=BB589_28 Depth=2
	flat_load_u16 v69, v[32:33] offset:128
	flat_load_u16 v68, v[36:37] offset:128
	flat_load_u16 v67, v[34:35] offset:128
	flat_load_u16 v66, v[38:39] offset:128
	s_and_saveexec_b32 s46, s3
	s_cbranch_execz .LBB589_25
; %bb.31:                               ;   in Loop: Header=BB589_28 Depth=2
	flat_load_u16 v73, v[32:33] offset:256
	flat_load_u16 v72, v[36:37] offset:256
	flat_load_u16 v71, v[34:35] offset:256
	flat_load_u16 v70, v[38:39] offset:256
	;; [unrolled: 7-line block ×3, first 2 shown]
	s_wait_loadcnt_dscnt 0x303
	v_lshlrev_b32_e32 v32, 16, v32
	s_wait_loadcnt_dscnt 0x202
	s_delay_alu instid0(VALU_DEP_1) | instskip(SKIP_3) | instid1(VALU_DEP_2)
	v_dual_fmac_f32 v48, v65, v32 :: v_dual_lshlrev_b32 v33, 16, v33
	s_wait_loadcnt_dscnt 0x101
	v_lshlrev_b32_e32 v32, 16, v34
	s_wait_loadcnt_dscnt 0x0
	v_dual_fmac_f32 v48, v61, v33 :: v_dual_lshlrev_b32 v33, 16, v35
	s_delay_alu instid0(VALU_DEP_1) | instskip(NEXT) | instid1(VALU_DEP_1)
	v_fmac_f32_e32 v48, v63, v32
	v_fmac_f32_e32 v48, v59, v33
	s_branch .LBB589_24
.LBB589_33:                             ;   in Loop: Header=BB589_4 Depth=1
	s_or_b32 exec_lo, exec_lo, s44
.LBB589_34:                             ;   in Loop: Header=BB589_4 Depth=1
	s_delay_alu instid0(SALU_CYCLE_1) | instskip(NEXT) | instid1(SALU_CYCLE_1)
	s_or_b32 exec_lo, exec_lo, s43
	s_and_not1_b32 vcc_lo, exec_lo, s41
	s_wait_alu 0xfffe
	s_cbranch_vccnz .LBB589_52
; %bb.35:                               ;   in Loop: Header=BB589_4 Depth=1
	v_cmp_gt_i32_e32 vcc_lo, s21, v49
	v_dual_mov_b32 v35, 0 :: v_dual_mov_b32 v34, 0
	v_or_b32_e32 v30, 1, v49
	v_dual_mov_b32 v37, 0 :: v_dual_mov_b32 v36, 0
	s_and_saveexec_b32 s43, vcc_lo
	s_cbranch_execz .LBB589_43
; %bb.36:                               ;   in Loop: Header=BB589_4 Depth=1
	v_mad_co_u64_u32 v[31:32], null, s26, v49, 0
	v_dual_mov_b32 v36, 0 :: v_dual_mov_b32 v35, 0
	v_mov_b32_e32 v34, 0
	s_mov_b32 s44, exec_lo
	s_delay_alu instid0(VALU_DEP_3) | instskip(NEXT) | instid1(VALU_DEP_1)
	v_mad_co_u64_u32 v[32:33], null, s27, v49, v[32:33]
	v_lshlrev_b64_e32 v[31:32], 1, v[31:32]
	s_delay_alu instid0(VALU_DEP_1) | instskip(SKIP_1) | instid1(VALU_DEP_2)
	v_add_co_u32 v31, s7, v28, v31
	s_wait_alu 0xf1ff
	v_add_co_ci_u32_e64 v32, null, v29, v32, s7
	flat_load_u16 v31, v[31:32]
	v_cmpx_gt_i32_e64 s21, v30
	s_cbranch_execz .LBB589_42
; %bb.37:                               ;   in Loop: Header=BB589_4 Depth=1
	v_mad_co_u64_u32 v[32:33], null, s26, v30, 0
	s_mov_b32 s45, exec_lo
	v_mov_b32_e32 v35, 0
	v_mad_co_u64_u32 v[33:34], null, s27, v30, v[33:34]
	v_mov_b32_e32 v34, 0
	s_delay_alu instid0(VALU_DEP_2) | instskip(NEXT) | instid1(VALU_DEP_1)
	v_lshlrev_b64_e32 v[32:33], 1, v[32:33]
	v_add_co_u32 v32, s7, v28, v32
	s_wait_alu 0xf1ff
	s_delay_alu instid0(VALU_DEP_2) | instskip(SKIP_2) | instid1(VALU_DEP_1)
	v_add_co_ci_u32_e64 v33, null, v29, v33, s7
	flat_load_u16 v32, v[32:33]
	v_or_b32_e32 v33, 2, v49
	v_cmpx_gt_i32_e64 s21, v33
	s_cbranch_execz .LBB589_41
; %bb.38:                               ;   in Loop: Header=BB589_4 Depth=1
	v_mad_co_u64_u32 v[34:35], null, s26, v33, 0
	s_mov_b32 s46, exec_lo
	v_mad_co_u64_u32 v[35:36], null, s27, v33, v[35:36]
	s_delay_alu instid0(VALU_DEP_1) | instskip(SKIP_1) | instid1(VALU_DEP_2)
	v_lshlrev_b64_e32 v[33:34], 1, v[34:35]
	v_or_b32_e32 v35, 3, v49
	v_add_co_u32 v33, s7, v28, v33
	s_wait_alu 0xf1ff
	s_delay_alu instid0(VALU_DEP_3)
	v_add_co_ci_u32_e64 v34, null, v29, v34, s7
	flat_load_u16 v33, v[33:34]
	v_mov_b32_e32 v34, 0
	v_cmpx_gt_i32_e64 s21, v35
	s_cbranch_execz .LBB589_40
; %bb.39:                               ;   in Loop: Header=BB589_4 Depth=1
	v_mad_co_u64_u32 v[36:37], null, s26, v35, 0
	s_delay_alu instid0(VALU_DEP_1) | instskip(NEXT) | instid1(VALU_DEP_1)
	v_mov_b32_e32 v34, v37
	v_mad_co_u64_u32 v[34:35], null, s27, v35, v[34:35]
	s_delay_alu instid0(VALU_DEP_1) | instskip(NEXT) | instid1(VALU_DEP_1)
	v_mov_b32_e32 v37, v34
	v_lshlrev_b64_e32 v[34:35], 1, v[36:37]
	s_delay_alu instid0(VALU_DEP_1) | instskip(SKIP_1) | instid1(VALU_DEP_2)
	v_add_co_u32 v28, s7, v28, v34
	s_wait_alu 0xf1ff
	v_add_co_ci_u32_e64 v29, null, v29, v35, s7
	flat_load_u16 v28, v[28:29]
	s_wait_loadcnt_dscnt 0x0
	v_lshlrev_b32_e32 v34, 16, v28
.LBB589_40:                             ;   in Loop: Header=BB589_4 Depth=1
	s_or_b32 exec_lo, exec_lo, s46
	s_wait_loadcnt_dscnt 0x0
	v_lshlrev_b32_e32 v35, 16, v33
.LBB589_41:                             ;   in Loop: Header=BB589_4 Depth=1
	s_or_b32 exec_lo, exec_lo, s45
	s_wait_loadcnt_dscnt 0x0
	v_lshlrev_b32_e32 v36, 16, v32
.LBB589_42:                             ;   in Loop: Header=BB589_4 Depth=1
	s_or_b32 exec_lo, exec_lo, s44
	s_wait_loadcnt_dscnt 0x0
	v_lshlrev_b32_e32 v37, 16, v31
.LBB589_43:                             ;   in Loop: Header=BB589_4 Depth=1
	s_or_b32 exec_lo, exec_lo, s43
	s_and_saveexec_b32 s43, s1
	s_cbranch_execz .LBB589_51
; %bb.44:                               ;   in Loop: Header=BB589_4 Depth=1
	v_mad_co_u64_u32 v[28:29], null, s28, v49, 0
	v_or_b32_e32 v52, 2, v49
	v_mad_co_u64_u32 v[31:32], null, s28, v30, 0
	v_or_b32_e32 v53, 3, v49
	v_cmp_gt_i32_e64 s7, s21, v30
	s_delay_alu instid0(VALU_DEP_4) | instskip(SKIP_3) | instid1(VALU_DEP_4)
	v_mad_co_u64_u32 v[38:39], null, s28, v52, 0
	v_mad_co_u64_u32 v[49:50], null, s29, v49, v[29:30]
	;; [unrolled: 1-line block ×4, first 2 shown]
	v_mov_b32_e32 v30, v39
	s_delay_alu instid0(VALU_DEP_4)
	v_dual_cndmask_b32 v50, 0, v28 :: v_dual_cndmask_b32 v51, 0, v49
	s_wait_alu 0xf1ff
	v_cndmask_b32_e64 v28, 0, v31, s7
	v_cndmask_b32_e64 v29, 0, v29, s7
	v_mad_co_u64_u32 v[30:31], null, s29, v52, v[30:31]
	v_mov_b32_e32 v31, v33
	v_lshlrev_b64_e32 v[49:50], 1, v[50:51]
	v_cmp_gt_i32_e32 vcc_lo, s21, v52
	v_lshlrev_b64_e32 v[51:52], 1, v[28:29]
	s_wait_alu 0xfffd
	v_cndmask_b32_e32 v39, 0, v30, vcc_lo
	s_delay_alu instid0(VALU_DEP_4)
	v_add_co_u32 v28, s7, v26, v49
	s_wait_alu 0xf1ff
	v_add_co_ci_u32_e64 v29, null, v27, v50, s7
	v_mad_co_u64_u32 v[30:31], null, s29, v53, v[31:32]
	v_cndmask_b32_e32 v38, 0, v38, vcc_lo
	v_add_co_u32 v28, vcc_lo, v28, v8
	s_wait_alu 0xfffd
	v_add_co_ci_u32_e64 v29, null, v29, v9, vcc_lo
	v_cmp_gt_i32_e32 vcc_lo, s21, v53
	v_add_co_u32 v31, s7, v26, v51
	s_wait_alu 0xf1ff
	v_add_co_ci_u32_e64 v49, null, v27, v52, s7
	s_wait_alu 0xfffd
	v_dual_cndmask_b32 v32, 0, v32 :: v_dual_cndmask_b32 v33, 0, v30
	v_lshlrev_b64_e32 v[38:39], 1, v[38:39]
	v_add_co_u32 v30, vcc_lo, v31, v8
	s_wait_alu 0xfffd
	v_add_co_ci_u32_e64 v31, null, v49, v9, vcc_lo
	v_lshlrev_b64_e32 v[32:33], 1, v[32:33]
	s_delay_alu instid0(VALU_DEP_4) | instskip(SKIP_2) | instid1(VALU_DEP_3)
	v_add_co_u32 v38, vcc_lo, v26, v38
	s_wait_alu 0xfffd
	v_add_co_ci_u32_e64 v39, null, v27, v39, vcc_lo
	v_add_co_u32 v32, vcc_lo, v26, v32
	s_wait_alu 0xfffd
	v_add_co_ci_u32_e64 v33, null, v27, v33, vcc_lo
	v_add_co_u32 v26, vcc_lo, v38, v8
	s_wait_alu 0xfffd
	v_add_co_ci_u32_e64 v27, null, v39, v9, vcc_lo
	v_add_co_u32 v32, vcc_lo, v32, v8
	s_wait_alu 0xfffd
	v_add_co_ci_u32_e64 v33, null, v33, v9, vcc_lo
	s_clause 0x3
	flat_load_u16 v50, v[28:29]
	flat_load_u16 v49, v[30:31]
	;; [unrolled: 1-line block ×4, first 2 shown]
	s_and_saveexec_b32 s7, s2
	s_cbranch_execz .LBB589_50
; %bb.45:                               ;   in Loop: Header=BB589_4 Depth=1
	s_clause 0x3
	flat_load_u16 v54, v[28:29] offset:128
	flat_load_u16 v53, v[30:31] offset:128
	flat_load_u16 v52, v[26:27] offset:128
	flat_load_u16 v51, v[32:33] offset:128
	s_and_saveexec_b32 s44, s3
	s_cbranch_execz .LBB589_49
; %bb.46:                               ;   in Loop: Header=BB589_4 Depth=1
	s_clause 0x3
	flat_load_u16 v58, v[28:29] offset:256
	flat_load_u16 v57, v[30:31] offset:256
	flat_load_u16 v56, v[26:27] offset:256
	flat_load_u16 v55, v[32:33] offset:256
	;; [unrolled: 8-line block ×3, first 2 shown]
	s_wait_loadcnt_dscnt 0x303
	v_lshlrev_b32_e32 v28, 16, v28
	s_wait_loadcnt_dscnt 0x202
	v_lshlrev_b32_e32 v29, 16, v29
	s_wait_loadcnt_dscnt 0x101
	v_lshlrev_b32_e32 v26, 16, v26
	s_wait_loadcnt_dscnt 0x0
	v_dual_fmac_f32 v48, v37, v28 :: v_dual_lshlrev_b32 v27, 16, v27
	s_delay_alu instid0(VALU_DEP_1) | instskip(NEXT) | instid1(VALU_DEP_1)
	v_fmac_f32_e32 v48, v36, v29
	v_fmac_f32_e32 v48, v35, v26
	s_delay_alu instid0(VALU_DEP_1)
	v_fmac_f32_e32 v48, v34, v27
.LBB589_48:                             ;   in Loop: Header=BB589_4 Depth=1
	s_or_b32 exec_lo, exec_lo, s45
	s_wait_loadcnt_dscnt 0x202
	v_lshlrev_b32_e32 v27, 16, v57
	v_lshlrev_b32_e32 v26, 16, v58
	s_wait_loadcnt_dscnt 0x101
	s_delay_alu instid0(VALU_DEP_1) | instskip(NEXT) | instid1(VALU_DEP_1)
	v_dual_fmac_f32 v47, v37, v26 :: v_dual_lshlrev_b32 v26, 16, v56
	v_fmac_f32_e32 v47, v36, v27
	s_wait_loadcnt_dscnt 0x0
	s_delay_alu instid0(VALU_DEP_1) | instskip(NEXT) | instid1(VALU_DEP_1)
	v_dual_fmac_f32 v47, v35, v26 :: v_dual_lshlrev_b32 v26, 16, v55
	v_fmac_f32_e32 v47, v34, v26
.LBB589_49:                             ;   in Loop: Header=BB589_4 Depth=1
	s_or_b32 exec_lo, exec_lo, s44
	s_wait_loadcnt_dscnt 0x303
	v_lshlrev_b32_e32 v26, 16, v54
	s_wait_loadcnt_dscnt 0x202
	s_delay_alu instid0(VALU_DEP_1) | instskip(SKIP_2) | instid1(VALU_DEP_2)
	v_dual_fmac_f32 v46, v37, v26 :: v_dual_lshlrev_b32 v27, 16, v53
	s_wait_loadcnt_dscnt 0x101
	v_lshlrev_b32_e32 v26, 16, v52
	v_fmac_f32_e32 v46, v36, v27
	s_delay_alu instid0(VALU_DEP_1) | instskip(SKIP_2) | instid1(VALU_DEP_1)
	v_fmac_f32_e32 v46, v35, v26
	s_wait_loadcnt_dscnt 0x0
	v_lshlrev_b32_e32 v26, 16, v51
	v_fmac_f32_e32 v46, v34, v26
.LBB589_50:                             ;   in Loop: Header=BB589_4 Depth=1
	s_wait_alu 0xfffe
	s_or_b32 exec_lo, exec_lo, s7
	s_wait_loadcnt_dscnt 0x202
	v_lshlrev_b32_e32 v27, 16, v49
	v_lshlrev_b32_e32 v26, 16, v50
	s_wait_loadcnt_dscnt 0x101
	s_delay_alu instid0(VALU_DEP_1) | instskip(NEXT) | instid1(VALU_DEP_1)
	v_dual_fmac_f32 v45, v37, v26 :: v_dual_lshlrev_b32 v26, 16, v39
	v_fmac_f32_e32 v45, v36, v27
	s_delay_alu instid0(VALU_DEP_1) | instskip(SKIP_2) | instid1(VALU_DEP_1)
	v_fmac_f32_e32 v45, v35, v26
	s_wait_loadcnt_dscnt 0x0
	v_lshlrev_b32_e32 v26, 16, v38
	v_fmac_f32_e32 v45, v34, v26
.LBB589_51:                             ;   in Loop: Header=BB589_4 Depth=1
	s_or_b32 exec_lo, exec_lo, s43
.LBB589_52:                             ;   in Loop: Header=BB589_4 Depth=1
	ds_store_2addr_stride64_b32 v41, v45, v46 offset1:1
	ds_store_2addr_stride64_b32 v41, v47, v48 offset0:2 offset1:3
	s_wait_dscnt 0x0
	s_barrier_signal -1
	s_barrier_wait -1
	global_inv scope:SCOPE_SE
                                        ; implicit-def: $vgpr30
	s_and_saveexec_b32 s7, s0
	s_cbranch_execz .LBB589_72
; %bb.53:                               ;   in Loop: Header=BB589_4 Depth=1
	ds_load_2addr_stride64_b32 v[26:27], v0 offset1:4
	ds_load_2addr_stride64_b32 v[28:29], v0 offset0:8 offset1:12
	s_mov_b32 s44, s42
                                        ; implicit-def: $vgpr30
	s_wait_dscnt 0x1
	v_add_f32_e32 v26, v26, v27
	s_wait_dscnt 0x0
	s_delay_alu instid0(VALU_DEP_1) | instskip(NEXT) | instid1(VALU_DEP_1)
	v_add_f32_e32 v26, v28, v26
	v_add_f32_e32 v26, v29, v26
	ds_store_b32 v0, v26
	s_and_saveexec_b32 s43, s6
	s_cbranch_execz .LBB589_71
; %bb.54:                               ;   in Loop: Header=BB589_4 Depth=1
	v_mul_f32_e32 v26, s22, v26
	s_and_b32 vcc_lo, exec_lo, s39
	s_mov_b32 s44, -1
                                        ; implicit-def: $vgpr27
	s_wait_alu 0xfffe
	s_cbranch_vccz .LBB589_60
; %bb.55:                               ;   in Loop: Header=BB589_4 Depth=1
	v_and_b32_e32 v27, 0x7f800000, v26
	s_delay_alu instid0(VALU_DEP_1) | instskip(SKIP_1) | instid1(SALU_CYCLE_1)
	v_cmp_ne_u32_e32 vcc_lo, 0x7f800000, v27
                                        ; implicit-def: $vgpr27
	s_and_saveexec_b32 s44, vcc_lo
	s_xor_b32 s44, exec_lo, s44
; %bb.56:                               ;   in Loop: Header=BB589_4 Depth=1
	v_bfe_u32 v27, v26, 16, 1
	s_delay_alu instid0(VALU_DEP_1)
	v_add3_u32 v27, v26, v27, 0x7fff
; %bb.57:                               ;   in Loop: Header=BB589_4 Depth=1
	s_and_not1_saveexec_b32 s44, s44
; %bb.58:                               ;   in Loop: Header=BB589_4 Depth=1
	v_and_b32_e32 v27, 0xffff, v26
	v_or_b32_e32 v28, 0x10000, v26
	s_delay_alu instid0(VALU_DEP_2) | instskip(SKIP_1) | instid1(VALU_DEP_2)
	v_cmp_eq_u32_e32 vcc_lo, 0, v27
	s_wait_alu 0xfffd
	v_cndmask_b32_e32 v27, v28, v26, vcc_lo
; %bb.59:                               ;   in Loop: Header=BB589_4 Depth=1
	s_or_b32 exec_lo, exec_lo, s44
	s_mov_b32 s44, 0
.LBB589_60:                             ;   in Loop: Header=BB589_4 Depth=1
	s_delay_alu instid0(SALU_CYCLE_1)
	s_and_not1_b32 vcc_lo, exec_lo, s44
	s_wait_alu 0xfffe
	s_cbranch_vccnz .LBB589_70
; %bb.61:                               ;   in Loop: Header=BB589_4 Depth=1
	v_lshlrev_b64_e32 v[27:28], 1, v[4:5]
	s_delay_alu instid0(VALU_DEP_1) | instskip(SKIP_1) | instid1(VALU_DEP_2)
	v_add_co_u32 v27, vcc_lo, v43, v27
	s_wait_alu 0xfffd
	v_add_co_ci_u32_e64 v28, null, v44, v28, vcc_lo
	flat_load_u16 v27, v[27:28]
	s_wait_loadcnt_dscnt 0x0
	v_lshlrev_b32_e32 v27, 16, v27
	s_delay_alu instid0(VALU_DEP_1) | instskip(NEXT) | instid1(VALU_DEP_1)
	v_mul_f32_e32 v27, s33, v27
	v_and_b32_e32 v28, 0x7f800000, v27
	s_delay_alu instid0(VALU_DEP_1) | instskip(SKIP_1) | instid1(SALU_CYCLE_1)
	v_cmp_ne_u32_e32 vcc_lo, 0x7f800000, v28
                                        ; implicit-def: $vgpr28
	s_and_saveexec_b32 s44, vcc_lo
	s_xor_b32 s44, exec_lo, s44
; %bb.62:                               ;   in Loop: Header=BB589_4 Depth=1
	v_bfe_u32 v28, v27, 16, 1
	s_delay_alu instid0(VALU_DEP_1)
	v_add3_u32 v28, v27, v28, 0x7fff
                                        ; implicit-def: $vgpr27
; %bb.63:                               ;   in Loop: Header=BB589_4 Depth=1
	s_and_not1_saveexec_b32 s44, s44
; %bb.64:                               ;   in Loop: Header=BB589_4 Depth=1
	v_and_b32_e32 v28, 0xffff, v27
	v_or_b32_e32 v29, 0x10000, v27
	s_delay_alu instid0(VALU_DEP_2) | instskip(SKIP_1) | instid1(VALU_DEP_2)
	v_cmp_eq_u32_e32 vcc_lo, 0, v28
	s_wait_alu 0xfffd
	v_cndmask_b32_e32 v28, v29, v27, vcc_lo
; %bb.65:                               ;   in Loop: Header=BB589_4 Depth=1
	s_or_b32 exec_lo, exec_lo, s44
	s_delay_alu instid0(VALU_DEP_1) | instskip(NEXT) | instid1(VALU_DEP_1)
	v_and_b32_e32 v27, 0xffff0000, v28
	v_add_f32_e32 v26, v26, v27
	s_delay_alu instid0(VALU_DEP_1) | instskip(NEXT) | instid1(VALU_DEP_1)
	v_and_b32_e32 v27, 0x7f800000, v26
	v_cmp_ne_u32_e32 vcc_lo, 0x7f800000, v27
                                        ; implicit-def: $vgpr27
	s_and_saveexec_b32 s44, vcc_lo
	s_delay_alu instid0(SALU_CYCLE_1)
	s_xor_b32 s44, exec_lo, s44
; %bb.66:                               ;   in Loop: Header=BB589_4 Depth=1
	v_bfe_u32 v27, v26, 16, 1
	s_delay_alu instid0(VALU_DEP_1)
	v_add3_u32 v27, v26, v27, 0x7fff
                                        ; implicit-def: $vgpr26
; %bb.67:                               ;   in Loop: Header=BB589_4 Depth=1
	s_and_not1_saveexec_b32 s44, s44
; %bb.68:                               ;   in Loop: Header=BB589_4 Depth=1
	v_and_b32_e32 v27, 0xffff, v26
	v_or_b32_e32 v28, 0x10000, v26
	s_delay_alu instid0(VALU_DEP_2) | instskip(SKIP_1) | instid1(VALU_DEP_2)
	v_cmp_eq_u32_e32 vcc_lo, 0, v27
	s_wait_alu 0xfffd
	v_cndmask_b32_e32 v27, v28, v26, vcc_lo
; %bb.69:                               ;   in Loop: Header=BB589_4 Depth=1
	s_or_b32 exec_lo, exec_lo, s44
.LBB589_70:                             ;   in Loop: Header=BB589_4 Depth=1
	s_delay_alu instid0(VALU_DEP_1)
	v_lshrrev_b32_e32 v30, 16, v27
	s_or_b32 s44, s42, exec_lo
.LBB589_71:                             ;   in Loop: Header=BB589_4 Depth=1
	s_or_b32 exec_lo, exec_lo, s43
	s_delay_alu instid0(SALU_CYCLE_1) | instskip(SKIP_1) | instid1(SALU_CYCLE_1)
	s_and_not1_b32 s42, s42, exec_lo
	s_and_b32 s43, s44, exec_lo
	s_or_b32 s42, s42, s43
.LBB589_72:                             ;   in Loop: Header=BB589_4 Depth=1
	s_wait_alu 0xfffe
	s_or_b32 exec_lo, exec_lo, s7
	v_dual_mov_b32 v27, v5 :: v_dual_mov_b32 v26, v4
	s_and_saveexec_b32 s7, s42
	s_cbranch_execz .LBB589_2
	s_branch .LBB589_75
.LBB589_73:                             ;   in Loop: Header=BB589_4 Depth=1
	v_mov_b32_e32 v30, 0
	s_mov_b32 s42, exec_lo
	s_or_b32 exec_lo, exec_lo, s43
	s_delay_alu instid0(SALU_CYCLE_1)
	s_and_b32 vcc_lo, exec_lo, s7
	s_wait_alu 0xfffe
	s_cbranch_vccnz .LBB589_22
.LBB589_74:                             ;   in Loop: Header=BB589_4 Depth=1
	v_dual_mov_b32 v27, v3 :: v_dual_mov_b32 v26, v2
	s_and_saveexec_b32 s7, s42
	s_cbranch_execz .LBB589_2
.LBB589_75:                             ;   in Loop: Header=BB589_4 Depth=1
	s_delay_alu instid0(VALU_DEP_1) | instskip(NEXT) | instid1(VALU_DEP_1)
	v_lshlrev_b64_e32 v[26:27], 1, v[26:27]
	v_add_co_u32 v26, vcc_lo, v43, v26
	s_wait_alu 0xfffd
	s_delay_alu instid0(VALU_DEP_2)
	v_add_co_ci_u32_e64 v27, null, v44, v27, vcc_lo
	flat_store_b16 v[26:27], v30
	s_branch .LBB589_2
.LBB589_76:
	s_endpgm
	.section	.rodata,"a",@progbits
	.p2align	6, 0x0
	.amdhsa_kernel _ZL20rocblas_gemvn_kernelILi64ELi4ElPK16rocblas_bfloat16fKPS0_EviiT3_lPKT2_lT1_lS8_lS9_lS5_lPT4_lS9_li
		.amdhsa_group_segment_fixed_size 4096
		.amdhsa_private_segment_fixed_size 0
		.amdhsa_kernarg_size 400
		.amdhsa_user_sgpr_count 2
		.amdhsa_user_sgpr_dispatch_ptr 0
		.amdhsa_user_sgpr_queue_ptr 0
		.amdhsa_user_sgpr_kernarg_segment_ptr 1
		.amdhsa_user_sgpr_dispatch_id 0
		.amdhsa_user_sgpr_private_segment_size 0
		.amdhsa_wavefront_size32 1
		.amdhsa_uses_dynamic_stack 0
		.amdhsa_enable_private_segment 0
		.amdhsa_system_sgpr_workgroup_id_x 1
		.amdhsa_system_sgpr_workgroup_id_y 0
		.amdhsa_system_sgpr_workgroup_id_z 1
		.amdhsa_system_sgpr_workgroup_info 0
		.amdhsa_system_vgpr_workitem_id 1
		.amdhsa_next_free_vgpr 74
		.amdhsa_next_free_sgpr 48
		.amdhsa_reserve_vcc 1
		.amdhsa_float_round_mode_32 0
		.amdhsa_float_round_mode_16_64 0
		.amdhsa_float_denorm_mode_32 3
		.amdhsa_float_denorm_mode_16_64 3
		.amdhsa_fp16_overflow 0
		.amdhsa_workgroup_processor_mode 1
		.amdhsa_memory_ordered 1
		.amdhsa_forward_progress 1
		.amdhsa_inst_pref_size 33
		.amdhsa_round_robin_scheduling 0
		.amdhsa_exception_fp_ieee_invalid_op 0
		.amdhsa_exception_fp_denorm_src 0
		.amdhsa_exception_fp_ieee_div_zero 0
		.amdhsa_exception_fp_ieee_overflow 0
		.amdhsa_exception_fp_ieee_underflow 0
		.amdhsa_exception_fp_ieee_inexact 0
		.amdhsa_exception_int_div_zero 0
	.end_amdhsa_kernel
	.section	.text._ZL20rocblas_gemvn_kernelILi64ELi4ElPK16rocblas_bfloat16fKPS0_EviiT3_lPKT2_lT1_lS8_lS9_lS5_lPT4_lS9_li,"axG",@progbits,_ZL20rocblas_gemvn_kernelILi64ELi4ElPK16rocblas_bfloat16fKPS0_EviiT3_lPKT2_lT1_lS8_lS9_lS5_lPT4_lS9_li,comdat
.Lfunc_end589:
	.size	_ZL20rocblas_gemvn_kernelILi64ELi4ElPK16rocblas_bfloat16fKPS0_EviiT3_lPKT2_lT1_lS8_lS9_lS5_lPT4_lS9_li, .Lfunc_end589-_ZL20rocblas_gemvn_kernelILi64ELi4ElPK16rocblas_bfloat16fKPS0_EviiT3_lPKT2_lT1_lS8_lS9_lS5_lPT4_lS9_li
                                        ; -- End function
	.set _ZL20rocblas_gemvn_kernelILi64ELi4ElPK16rocblas_bfloat16fKPS0_EviiT3_lPKT2_lT1_lS8_lS9_lS5_lPT4_lS9_li.num_vgpr, 74
	.set _ZL20rocblas_gemvn_kernelILi64ELi4ElPK16rocblas_bfloat16fKPS0_EviiT3_lPKT2_lT1_lS8_lS9_lS5_lPT4_lS9_li.num_agpr, 0
	.set _ZL20rocblas_gemvn_kernelILi64ELi4ElPK16rocblas_bfloat16fKPS0_EviiT3_lPKT2_lT1_lS8_lS9_lS5_lPT4_lS9_li.numbered_sgpr, 48
	.set _ZL20rocblas_gemvn_kernelILi64ELi4ElPK16rocblas_bfloat16fKPS0_EviiT3_lPKT2_lT1_lS8_lS9_lS5_lPT4_lS9_li.num_named_barrier, 0
	.set _ZL20rocblas_gemvn_kernelILi64ELi4ElPK16rocblas_bfloat16fKPS0_EviiT3_lPKT2_lT1_lS8_lS9_lS5_lPT4_lS9_li.private_seg_size, 0
	.set _ZL20rocblas_gemvn_kernelILi64ELi4ElPK16rocblas_bfloat16fKPS0_EviiT3_lPKT2_lT1_lS8_lS9_lS5_lPT4_lS9_li.uses_vcc, 1
	.set _ZL20rocblas_gemvn_kernelILi64ELi4ElPK16rocblas_bfloat16fKPS0_EviiT3_lPKT2_lT1_lS8_lS9_lS5_lPT4_lS9_li.uses_flat_scratch, 1
	.set _ZL20rocblas_gemvn_kernelILi64ELi4ElPK16rocblas_bfloat16fKPS0_EviiT3_lPKT2_lT1_lS8_lS9_lS5_lPT4_lS9_li.has_dyn_sized_stack, 0
	.set _ZL20rocblas_gemvn_kernelILi64ELi4ElPK16rocblas_bfloat16fKPS0_EviiT3_lPKT2_lT1_lS8_lS9_lS5_lPT4_lS9_li.has_recursion, 0
	.set _ZL20rocblas_gemvn_kernelILi64ELi4ElPK16rocblas_bfloat16fKPS0_EviiT3_lPKT2_lT1_lS8_lS9_lS5_lPT4_lS9_li.has_indirect_call, 0
	.section	.AMDGPU.csdata,"",@progbits
; Kernel info:
; codeLenInByte = 4144
; TotalNumSgprs: 50
; NumVgprs: 74
; ScratchSize: 0
; MemoryBound: 0
; FloatMode: 240
; IeeeMode: 1
; LDSByteSize: 4096 bytes/workgroup (compile time only)
; SGPRBlocks: 0
; VGPRBlocks: 9
; NumSGPRsForWavesPerEU: 50
; NumVGPRsForWavesPerEU: 74
; Occupancy: 16
; WaveLimiterHint : 1
; COMPUTE_PGM_RSRC2:SCRATCH_EN: 0
; COMPUTE_PGM_RSRC2:USER_SGPR: 2
; COMPUTE_PGM_RSRC2:TRAP_HANDLER: 0
; COMPUTE_PGM_RSRC2:TGID_X_EN: 1
; COMPUTE_PGM_RSRC2:TGID_Y_EN: 0
; COMPUTE_PGM_RSRC2:TGID_Z_EN: 1
; COMPUTE_PGM_RSRC2:TIDIG_COMP_CNT: 1
	.section	.text._ZL20rocblas_gemvn_kernelILi32ELi16EiPK16rocblas_bfloat16PKfKPS0_EviiT3_lPKT2_lT1_lSA_lSB_lS7_lPT4_lSB_li,"axG",@progbits,_ZL20rocblas_gemvn_kernelILi32ELi16EiPK16rocblas_bfloat16PKfKPS0_EviiT3_lPKT2_lT1_lSA_lSB_lS7_lPT4_lSB_li,comdat
	.globl	_ZL20rocblas_gemvn_kernelILi32ELi16EiPK16rocblas_bfloat16PKfKPS0_EviiT3_lPKT2_lT1_lSA_lSB_lS7_lPT4_lSB_li ; -- Begin function _ZL20rocblas_gemvn_kernelILi32ELi16EiPK16rocblas_bfloat16PKfKPS0_EviiT3_lPKT2_lT1_lSA_lSB_lS7_lPT4_lSB_li
	.p2align	8
	.type	_ZL20rocblas_gemvn_kernelILi32ELi16EiPK16rocblas_bfloat16PKfKPS0_EviiT3_lPKT2_lT1_lSA_lSB_lS7_lPT4_lSB_li,@function
_ZL20rocblas_gemvn_kernelILi32ELi16EiPK16rocblas_bfloat16PKfKPS0_EviiT3_lPKT2_lT1_lSA_lSB_lS7_lPT4_lSB_li: ; @_ZL20rocblas_gemvn_kernelILi32ELi16EiPK16rocblas_bfloat16PKfKPS0_EviiT3_lPKT2_lT1_lSA_lSB_lS7_lPT4_lSB_li
; %bb.0:
	s_clause 0x1
	s_load_b64 s[2:3], s[0:1], 0x9c
	s_load_b32 s33, s[0:1], 0x88
	s_lshr_b32 s10, ttmp7, 16
	s_wait_kmcnt 0x0
	s_lshr_b32 s4, s2, 16
	s_and_b32 s2, s2, 0xffff
	s_and_b32 s3, s3, 0xffff
	s_mul_i32 s2, s4, s2
	s_delay_alu instid0(SALU_CYCLE_1) | instskip(NEXT) | instid1(SALU_CYCLE_1)
	s_mul_i32 s2, s2, s3
	s_cmp_lg_u32 s2, 0x200
	s_cselect_b32 s2, -1, 0
	s_cmp_ge_u32 s10, s33
	s_cselect_b32 s3, -1, 0
	s_delay_alu instid0(SALU_CYCLE_1) | instskip(NEXT) | instid1(SALU_CYCLE_1)
	s_or_b32 s2, s2, s3
	s_and_b32 vcc_lo, exec_lo, s2
	s_cbranch_vccnz .LBB590_73
; %bb.1:
	s_clause 0x2
	s_load_b32 s6, s[0:1], 0x78
	s_load_b64 s[8:9], s[0:1], 0x0
	s_load_b256 s[12:19], s[0:1], 0x8
	v_and_b32_e32 v9, 0x3ff, v0
	v_bfe_u32 v8, v0, 10, 10
	s_clause 0x3
	s_load_b32 s35, s[0:1], 0x28
	s_load_b128 s[28:31], s[0:1], 0x38
	s_load_b32 s34, s[0:1], 0x48
	s_load_b256 s[20:27], s[0:1], 0x58
	s_lshl_b32 s36, ttmp9, 7
	v_mov_b32_e32 v1, 0
	v_add_nc_u32_e32 v25, s36, v9
	v_lshl_add_u32 v5, v8, 5, v9
	v_lshlrev_b32_e32 v26, 2, v8
	v_lshlrev_b32_e32 v6, 2, v9
	s_mov_b32 s11, 0
	v_add_nc_u32_e32 v4, 32, v25
	v_add_nc_u32_e32 v0, s36, v5
	v_or_b32_e32 v11, s36, v5
	v_add_nc_u32_e32 v7, 64, v25
	v_add_nc_u32_e32 v10, 0x60, v25
	v_or_b32_e32 v12, 3, v26
	v_lshl_add_u32 v27, v8, 7, v6
	s_wait_kmcnt 0x0
	v_mad_co_u64_u32 v[2:3], null, s6, v0, 0
	s_ashr_i32 s3, s6, 31
	s_ashr_i32 s7, s9, 31
	v_cmp_gt_i32_e64 s1, s8, v4
	s_wait_alu 0xfffe
	s_lshr_b32 s7, s7, 26
	v_cmp_gt_i32_e64 s2, s8, v7
	v_mul_lo_u32 v7, s35, v26
	v_mad_co_u64_u32 v[3:4], null, s3, v0, v[3:4]
	v_mul_lo_u32 v4, s6, v11
	s_wait_alu 0xfffe
	s_add_co_i32 s37, s9, s7
	v_cmp_gt_i32_e64 s6, s8, v11
	v_mul_lo_u32 v11, v8, s35
	s_ashr_i32 s5, s8, 31
	s_mov_b32 s4, s8
	v_cmp_gt_i32_e64 s3, s8, v10
	s_wait_alu 0xfffe
	s_and_not1_b32 s37, s37, 63
	v_or_b32_e32 v10, 2, v26
	v_cmp_gt_i64_e32 vcc_lo, s[4:5], v[0:1]
	s_wait_alu 0xfffe
	s_sub_co_i32 s5, s9, s37
	v_mul_lo_u32 v13, v8, s34
	s_wait_alu 0xfffe
	s_cmp_gt_i32 s5, 0
	v_cmp_gt_u32_e64 s5, 0x80, v5
	v_ashrrev_i32_e32 v5, 31, v4
	v_lshl_add_u32 v0, v8, 9, v6
	v_add3_u32 v28, v7, s35, v9
	v_mad_co_u64_u32 v[6:7], null, s35, v10, v[9:10]
	v_mad_co_u64_u32 v[7:8], null, s35, v12, v[9:10]
	v_lshl_add_u32 v29, v11, 2, v9
	v_mad_co_u64_u32 v[8:9], null, s34, v26, s[34:35]
	v_mul_lo_u32 v30, s34, v10
	v_mul_lo_u32 v31, s34, v12
	v_lshlrev_b64_e32 v[9:10], 1, v[2:3]
	v_lshlrev_b64_e32 v[11:12], 1, v[4:5]
	v_cmp_gt_i32_e64 s0, s8, v25
	v_cmp_gt_i32_e64 s4, s37, v26
	v_lshlrev_b32_e32 v32, 2, v13
	s_cselect_b32 s38, -1, 0
	s_and_b32 s39, s5, vcc_lo
	s_lshl_b32 s40, s35, 6
	s_lshl_b32 s41, s34, 6
	s_lshl_b64 s[18:19], s[18:19], 1
	s_lshl_b64 s[30:31], s[30:31], 1
	;; [unrolled: 1-line block ×3, first 2 shown]
	s_branch .LBB590_4
.LBB590_2:                              ;   in Loop: Header=BB590_4 Depth=1
	s_wait_alu 0xfffe
	s_or_b32 exec_lo, exec_lo, s7
.LBB590_3:                              ;   in Loop: Header=BB590_4 Depth=1
	s_add_co_i32 s10, s10, 0x10000
	s_delay_alu instid0(SALU_CYCLE_1)
	s_cmp_lt_u32 s10, s33
	s_cbranch_scc0 .LBB590_73
.LBB590_4:                              ; =>This Loop Header: Depth=1
                                        ;     Child Loop BB590_25 Depth 2
	s_mul_u64 s[42:43], s[14:15], s[10:11]
	s_mul_u64 s[44:45], s[22:23], s[10:11]
	s_wait_alu 0xfffe
	s_lshl_b64 s[42:43], s[42:43], 2
	s_lshl_b64 s[44:45], s[44:45], 2
	s_wait_alu 0xfffe
	s_add_nc_u64 s[42:43], s[12:13], s[42:43]
	s_add_nc_u64 s[44:45], s[20:21], s[44:45]
	s_clause 0x1
	global_load_b32 v35, v1, s[42:43]
	global_load_b32 v13, v1, s[44:45]
	s_wait_loadcnt 0x1
	v_cmp_eq_f32_e64 s7, 0, v35
	s_wait_loadcnt 0x0
	v_cmp_eq_f32_e32 vcc_lo, 1.0, v13
	v_readfirstlane_b32 s42, v13
	s_and_b32 s8, s7, vcc_lo
	s_wait_alu 0xfffe
	s_and_b32 vcc_lo, exec_lo, s8
	s_wait_alu 0xfffe
	s_cbranch_vccnz .LBB590_3
; %bb.5:                                ;   in Loop: Header=BB590_4 Depth=1
	v_mov_b32_e32 v15, 0
	v_dual_mov_b32 v16, 0 :: v_dual_mov_b32 v13, 0
	v_cmp_neq_f32_e64 s8, 0, v35
	v_mov_b32_e32 v14, 0
	s_and_b32 vcc_lo, exec_lo, s7
	s_wait_alu 0xfffe
	s_cbranch_vccnz .LBB590_7
; %bb.6:                                ;   in Loop: Header=BB590_4 Depth=1
	s_lshl_b64 s[44:45], s[10:11], 3
	s_wait_alu 0xfffe
	s_add_nc_u64 s[44:45], s[16:17], s[44:45]
	global_load_b64 v[13:14], v1, s[44:45]
	s_wait_loadcnt 0x0
	v_add_co_u32 v13, vcc_lo, v13, s18
	s_wait_alu 0xfffd
	v_add_co_ci_u32_e64 v14, null, s19, v14, vcc_lo
.LBB590_7:                              ;   in Loop: Header=BB590_4 Depth=1
	s_and_not1_b32 vcc_lo, exec_lo, s8
	s_wait_alu 0xfffe
	s_cbranch_vccnz .LBB590_9
; %bb.8:                                ;   in Loop: Header=BB590_4 Depth=1
	s_lshl_b64 s[44:45], s[10:11], 3
	s_wait_alu 0xfffe
	s_add_nc_u64 s[44:45], s[28:29], s[44:45]
	global_load_b64 v[15:16], v1, s[44:45]
	s_wait_loadcnt 0x0
	v_add_co_u32 v15, vcc_lo, v15, s30
	s_wait_alu 0xfffd
	v_add_co_ci_u32_e64 v16, null, s31, v16, vcc_lo
.LBB590_9:                              ;   in Loop: Header=BB590_4 Depth=1
	s_lshl_b64 s[44:45], s[10:11], 3
	s_wait_alu 0xfffe
	s_add_nc_u64 s[44:45], s[24:25], s[44:45]
	global_load_b64 v[17:18], v1, s[44:45]
	s_wait_loadcnt 0x0
	v_add_co_u32 v33, vcc_lo, v17, s26
	s_wait_alu 0xfffd
	v_add_co_ci_u32_e64 v34, null, s27, v18, vcc_lo
	s_and_not1_b32 vcc_lo, exec_lo, s7
	s_wait_alu 0xfffe
	s_cbranch_vccnz .LBB590_17
; %bb.10:                               ;   in Loop: Header=BB590_4 Depth=1
	s_mov_b32 s7, 0
	s_mov_b32 s8, 0
                                        ; implicit-def: $vgpr17
	s_and_saveexec_b32 s43, s39
	s_cbranch_execz .LBB590_18
; %bb.11:                               ;   in Loop: Header=BB590_4 Depth=1
	s_cmp_eq_f32 s42, 0
	s_cbranch_scc1 .LBB590_57
; %bb.12:                               ;   in Loop: Header=BB590_4 Depth=1
	v_add_co_u32 v17, vcc_lo, v33, v9
	s_wait_alu 0xfffd
	v_add_co_ci_u32_e64 v18, null, v34, v10, vcc_lo
	flat_load_u16 v17, v[17:18]
	s_wait_loadcnt_dscnt 0x0
	v_lshlrev_b32_e32 v17, 16, v17
	s_delay_alu instid0(VALU_DEP_1) | instskip(NEXT) | instid1(VALU_DEP_1)
	v_mul_f32_e32 v17, s42, v17
	v_and_b32_e32 v18, 0x7f800000, v17
	s_delay_alu instid0(VALU_DEP_1)
	v_cmp_ne_u32_e32 vcc_lo, 0x7f800000, v18
                                        ; implicit-def: $vgpr18
	s_and_saveexec_b32 s8, vcc_lo
	s_wait_alu 0xfffe
	s_xor_b32 s8, exec_lo, s8
; %bb.13:                               ;   in Loop: Header=BB590_4 Depth=1
	v_bfe_u32 v18, v17, 16, 1
	s_delay_alu instid0(VALU_DEP_1)
	v_add3_u32 v18, v17, v18, 0x7fff
                                        ; implicit-def: $vgpr17
; %bb.14:                               ;   in Loop: Header=BB590_4 Depth=1
	s_wait_alu 0xfffe
	s_and_not1_saveexec_b32 s8, s8
; %bb.15:                               ;   in Loop: Header=BB590_4 Depth=1
	v_and_b32_e32 v18, 0xffff, v17
	v_or_b32_e32 v19, 0x10000, v17
	s_delay_alu instid0(VALU_DEP_2) | instskip(SKIP_1) | instid1(VALU_DEP_2)
	v_cmp_eq_u32_e32 vcc_lo, 0, v18
	s_wait_alu 0xfffd
	v_cndmask_b32_e32 v18, v19, v17, vcc_lo
; %bb.16:                               ;   in Loop: Header=BB590_4 Depth=1
	s_wait_alu 0xfffe
	s_or_b32 exec_lo, exec_lo, s8
	s_delay_alu instid0(VALU_DEP_1) | instskip(SKIP_2) | instid1(SALU_CYCLE_1)
	v_lshrrev_b32_e32 v17, 16, v18
	s_mov_b32 s8, exec_lo
	s_or_b32 exec_lo, exec_lo, s43
	s_and_b32 vcc_lo, exec_lo, s7
	s_wait_alu 0xfffe
	s_cbranch_vccnz .LBB590_19
	s_branch .LBB590_58
.LBB590_17:                             ;   in Loop: Header=BB590_4 Depth=1
	s_mov_b32 s8, 0
                                        ; implicit-def: $vgpr17
	s_cbranch_execnz .LBB590_19
	s_branch .LBB590_58
.LBB590_18:                             ;   in Loop: Header=BB590_4 Depth=1
	s_wait_alu 0xfffe
	s_or_b32 exec_lo, exec_lo, s43
	s_delay_alu instid0(SALU_CYCLE_1)
	s_and_b32 vcc_lo, exec_lo, s7
	s_wait_alu 0xfffe
	s_cbranch_vccz .LBB590_58
.LBB590_19:                             ;   in Loop: Header=BB590_4 Depth=1
	v_dual_mov_b32 v36, 0 :: v_dual_mov_b32 v37, 0
	v_dual_mov_b32 v40, v26 :: v_dual_mov_b32 v39, 0
	v_mov_b32_e32 v38, 0
	s_and_saveexec_b32 s7, s4
	s_cbranch_execz .LBB590_31
; %bb.20:                               ;   in Loop: Header=BB590_4 Depth=1
	v_dual_mov_b32 v36, 0 :: v_dual_mov_b32 v41, v29
	v_dual_mov_b32 v42, v7 :: v_dual_mov_b32 v43, v6
	;; [unrolled: 1-line block ×4, first 2 shown]
	v_mov_b32_e32 v38, 0
	s_mov_b32 s43, 0
	s_mov_b32 s44, 0
	s_branch .LBB590_25
.LBB590_21:                             ;   in Loop: Header=BB590_25 Depth=2
	s_or_b32 exec_lo, exec_lo, s48
	s_wait_loadcnt_dscnt 0x202
	v_lshlrev_b32_e32 v18, 16, v59
	v_lshlrev_b32_e32 v17, 16, v60
	s_wait_loadcnt_dscnt 0x101
	s_delay_alu instid0(VALU_DEP_1) | instskip(NEXT) | instid1(VALU_DEP_1)
	v_dual_fmac_f32 v38, v52, v17 :: v_dual_lshlrev_b32 v17, 16, v58
	v_fmac_f32_e32 v38, v48, v18
	s_delay_alu instid0(VALU_DEP_1) | instskip(SKIP_2) | instid1(VALU_DEP_1)
	v_fmac_f32_e32 v38, v50, v17
	s_wait_loadcnt_dscnt 0x0
	v_lshlrev_b32_e32 v17, 16, v57
	v_fmac_f32_e32 v38, v46, v17
.LBB590_22:                             ;   in Loop: Header=BB590_25 Depth=2
	s_or_b32 exec_lo, exec_lo, s47
	s_wait_loadcnt_dscnt 0x303
	v_lshlrev_b32_e32 v17, 16, v56
	s_wait_loadcnt_dscnt 0x202
	s_delay_alu instid0(VALU_DEP_1) | instskip(SKIP_2) | instid1(VALU_DEP_2)
	v_dual_fmac_f32 v37, v52, v17 :: v_dual_lshlrev_b32 v18, 16, v55
	s_wait_loadcnt_dscnt 0x101
	v_lshlrev_b32_e32 v17, 16, v54
	v_fmac_f32_e32 v37, v48, v18
	s_delay_alu instid0(VALU_DEP_1) | instskip(SKIP_2) | instid1(VALU_DEP_1)
	v_fmac_f32_e32 v37, v50, v17
	s_wait_loadcnt_dscnt 0x0
	v_lshlrev_b32_e32 v17, 16, v53
	v_fmac_f32_e32 v37, v46, v17
.LBB590_23:                             ;   in Loop: Header=BB590_25 Depth=2
	s_or_b32 exec_lo, exec_lo, s46
	s_wait_loadcnt_dscnt 0x202
	v_lshlrev_b32_e32 v18, 16, v49
	v_lshlrev_b32_e32 v17, 16, v51
	s_wait_loadcnt_dscnt 0x101
	s_delay_alu instid0(VALU_DEP_1) | instskip(NEXT) | instid1(VALU_DEP_1)
	v_dual_fmac_f32 v36, v52, v17 :: v_dual_lshlrev_b32 v17, 16, v47
	v_fmac_f32_e32 v36, v48, v18
	s_delay_alu instid0(VALU_DEP_1) | instskip(SKIP_2) | instid1(VALU_DEP_1)
	v_fmac_f32_e32 v36, v50, v17
	s_wait_loadcnt_dscnt 0x0
	v_lshlrev_b32_e32 v17, 16, v45
	v_fmac_f32_e32 v36, v46, v17
.LBB590_24:                             ;   in Loop: Header=BB590_25 Depth=2
	s_wait_alu 0xfffe
	s_or_b32 exec_lo, exec_lo, s45
	v_add_nc_u32_e32 v40, 64, v40
	v_add_nc_u32_e32 v44, s40, v44
	;; [unrolled: 1-line block ×5, first 2 shown]
	v_cmp_le_i32_e32 vcc_lo, s37, v40
	s_add_co_i32 s44, s44, s41
	s_or_b32 s43, vcc_lo, s43
	s_wait_alu 0xfffe
	s_and_not1_b32 exec_lo, exec_lo, s43
	s_cbranch_execz .LBB590_30
.LBB590_25:                             ;   Parent Loop BB590_4 Depth=1
                                        ; =>  This Inner Loop Header: Depth=2
	s_and_saveexec_b32 s45, s0
	s_cbranch_execz .LBB590_24
; %bb.26:                               ;   in Loop: Header=BB590_25 Depth=2
	s_wait_alu 0xfffe
	v_add_nc_u32_e32 v17, s44, v32
	v_add_nc_u32_e32 v19, s44, v8
	v_add_nc_u32_e32 v21, s44, v30
	v_add_nc_u32_e32 v23, s44, v31
	v_add_nc_u32_e32 v45, s36, v41
	v_ashrrev_i32_e32 v18, 31, v17
	v_ashrrev_i32_e32 v20, 31, v19
	;; [unrolled: 1-line block ×5, first 2 shown]
	v_lshlrev_b64_e32 v[17:18], 1, v[17:18]
	v_lshlrev_b64_e32 v[19:20], 1, v[19:20]
	v_lshlrev_b64_e32 v[21:22], 1, v[21:22]
	v_lshlrev_b64_e32 v[23:24], 1, v[23:24]
	v_add_nc_u32_e32 v47, s36, v44
	v_add_nc_u32_e32 v49, s36, v43
	v_add_co_u32 v17, vcc_lo, v15, v17
	s_wait_alu 0xfffd
	v_add_co_ci_u32_e64 v18, null, v16, v18, vcc_lo
	v_add_co_u32 v19, vcc_lo, v15, v19
	s_wait_alu 0xfffd
	v_add_co_ci_u32_e64 v20, null, v16, v20, vcc_lo
	;; [unrolled: 3-line block ×4, first 2 shown]
	v_lshlrev_b64_e32 v[45:46], 1, v[45:46]
	s_clause 0x3
	flat_load_u16 v52, v[17:18]
	flat_load_u16 v53, v[19:20]
	;; [unrolled: 1-line block ×4, first 2 shown]
	v_add_nc_u32_e32 v21, s36, v42
	v_ashrrev_i32_e32 v48, 31, v47
	v_ashrrev_i32_e32 v50, 31, v49
	v_add_co_u32 v17, vcc_lo, v13, v45
	s_delay_alu instid0(VALU_DEP_4) | instskip(NEXT) | instid1(VALU_DEP_4)
	v_ashrrev_i32_e32 v22, 31, v21
	v_lshlrev_b64_e32 v[19:20], 1, v[47:48]
	s_wait_alu 0xfffd
	v_add_co_ci_u32_e64 v18, null, v14, v46, vcc_lo
	v_lshlrev_b64_e32 v[45:46], 1, v[49:50]
	v_lshlrev_b64_e32 v[21:22], 1, v[21:22]
	s_delay_alu instid0(VALU_DEP_4) | instskip(SKIP_2) | instid1(VALU_DEP_4)
	v_add_co_u32 v23, vcc_lo, v13, v19
	s_wait_alu 0xfffd
	v_add_co_ci_u32_e64 v24, null, v14, v20, vcc_lo
	v_add_co_u32 v19, vcc_lo, v13, v45
	s_wait_alu 0xfffd
	v_add_co_ci_u32_e64 v20, null, v14, v46, vcc_lo
	;; [unrolled: 3-line block ×3, first 2 shown]
	s_clause 0x3
	flat_load_u16 v51, v[17:18]
	flat_load_u16 v49, v[23:24]
	flat_load_u16 v47, v[19:20]
	flat_load_u16 v45, v[21:22]
	s_wait_loadcnt_dscnt 0x707
	v_lshlrev_b32_e32 v52, 16, v52
	s_wait_loadcnt_dscnt 0x606
	v_lshlrev_b32_e32 v48, 16, v53
	;; [unrolled: 2-line block ×4, first 2 shown]
	s_and_saveexec_b32 s46, s1
	s_cbranch_execz .LBB590_23
; %bb.27:                               ;   in Loop: Header=BB590_25 Depth=2
	s_clause 0x3
	flat_load_u16 v56, v[17:18] offset:64
	flat_load_u16 v55, v[23:24] offset:64
	flat_load_u16 v54, v[19:20] offset:64
	flat_load_u16 v53, v[21:22] offset:64
	s_and_saveexec_b32 s47, s2
	s_cbranch_execz .LBB590_22
; %bb.28:                               ;   in Loop: Header=BB590_25 Depth=2
	s_clause 0x3
	flat_load_u16 v60, v[17:18] offset:128
	flat_load_u16 v59, v[23:24] offset:128
	flat_load_u16 v58, v[19:20] offset:128
	flat_load_u16 v57, v[21:22] offset:128
	;; [unrolled: 8-line block ×3, first 2 shown]
	s_wait_loadcnt_dscnt 0x303
	v_lshlrev_b32_e32 v17, 16, v17
	s_wait_loadcnt_dscnt 0x202
	s_delay_alu instid0(VALU_DEP_1) | instskip(SKIP_3) | instid1(VALU_DEP_2)
	v_dual_fmac_f32 v39, v52, v17 :: v_dual_lshlrev_b32 v18, 16, v18
	s_wait_loadcnt_dscnt 0x101
	v_lshlrev_b32_e32 v17, 16, v19
	s_wait_loadcnt_dscnt 0x0
	v_dual_fmac_f32 v39, v48, v18 :: v_dual_lshlrev_b32 v18, 16, v20
	s_delay_alu instid0(VALU_DEP_1) | instskip(NEXT) | instid1(VALU_DEP_1)
	v_fmac_f32_e32 v39, v50, v17
	v_fmac_f32_e32 v39, v46, v18
	s_branch .LBB590_21
.LBB590_30:                             ;   in Loop: Header=BB590_4 Depth=1
	s_or_b32 exec_lo, exec_lo, s43
.LBB590_31:                             ;   in Loop: Header=BB590_4 Depth=1
	s_wait_alu 0xfffe
	s_or_b32 exec_lo, exec_lo, s7
	s_delay_alu instid0(SALU_CYCLE_1)
	s_and_not1_b32 vcc_lo, exec_lo, s38
	s_wait_alu 0xfffe
	s_cbranch_vccnz .LBB590_49
; %bb.32:                               ;   in Loop: Header=BB590_4 Depth=1
	v_cmp_gt_i32_e32 vcc_lo, s9, v40
	v_dual_mov_b32 v22, 0 :: v_dual_mov_b32 v21, 0
	v_or_b32_e32 v17, 1, v40
	v_dual_mov_b32 v24, 0 :: v_dual_mov_b32 v23, 0
	s_and_saveexec_b32 s43, vcc_lo
	s_cbranch_execz .LBB590_40
; %bb.33:                               ;   in Loop: Header=BB590_4 Depth=1
	v_mul_lo_u32 v18, v40, s34
	v_dual_mov_b32 v23, 0 :: v_dual_mov_b32 v22, 0
	v_mov_b32_e32 v21, 0
	s_mov_b32 s44, exec_lo
	s_delay_alu instid0(VALU_DEP_3) | instskip(NEXT) | instid1(VALU_DEP_1)
	v_ashrrev_i32_e32 v19, 31, v18
	v_lshlrev_b64_e32 v[18:19], 1, v[18:19]
	s_delay_alu instid0(VALU_DEP_1) | instskip(SKIP_1) | instid1(VALU_DEP_2)
	v_add_co_u32 v18, s7, v15, v18
	s_wait_alu 0xf1ff
	v_add_co_ci_u32_e64 v19, null, v16, v19, s7
	flat_load_u16 v18, v[18:19]
	v_cmpx_gt_i32_e64 s9, v17
	s_cbranch_execz .LBB590_39
; %bb.34:                               ;   in Loop: Header=BB590_4 Depth=1
	v_mul_lo_u32 v19, v17, s34
	v_dual_mov_b32 v21, 0 :: v_dual_mov_b32 v22, 0
	s_mov_b32 s45, exec_lo
	s_delay_alu instid0(VALU_DEP_2) | instskip(NEXT) | instid1(VALU_DEP_1)
	v_ashrrev_i32_e32 v20, 31, v19
	v_lshlrev_b64_e32 v[19:20], 1, v[19:20]
	s_delay_alu instid0(VALU_DEP_1) | instskip(SKIP_1) | instid1(VALU_DEP_2)
	v_add_co_u32 v19, s7, v15, v19
	s_wait_alu 0xf1ff
	v_add_co_ci_u32_e64 v20, null, v16, v20, s7
	flat_load_u16 v19, v[19:20]
	v_or_b32_e32 v20, 2, v40
	s_delay_alu instid0(VALU_DEP_1)
	v_cmpx_gt_i32_e64 s9, v20
	s_cbranch_execz .LBB590_38
; %bb.35:                               ;   in Loop: Header=BB590_4 Depth=1
	v_mul_lo_u32 v20, v20, s34
	v_or_b32_e32 v22, 3, v40
	s_mov_b32 s46, exec_lo
	s_delay_alu instid0(VALU_DEP_2) | instskip(NEXT) | instid1(VALU_DEP_1)
	v_ashrrev_i32_e32 v21, 31, v20
	v_lshlrev_b64_e32 v[20:21], 1, v[20:21]
	s_delay_alu instid0(VALU_DEP_1) | instskip(SKIP_1) | instid1(VALU_DEP_2)
	v_add_co_u32 v20, s7, v15, v20
	s_wait_alu 0xf1ff
	v_add_co_ci_u32_e64 v21, null, v16, v21, s7
	flat_load_u16 v20, v[20:21]
	v_mov_b32_e32 v21, 0
	v_cmpx_gt_i32_e64 s9, v22
	s_cbranch_execz .LBB590_37
; %bb.36:                               ;   in Loop: Header=BB590_4 Depth=1
	v_mul_lo_u32 v21, v22, s34
	s_delay_alu instid0(VALU_DEP_1) | instskip(NEXT) | instid1(VALU_DEP_1)
	v_ashrrev_i32_e32 v22, 31, v21
	v_lshlrev_b64_e32 v[21:22], 1, v[21:22]
	s_delay_alu instid0(VALU_DEP_1) | instskip(SKIP_1) | instid1(VALU_DEP_2)
	v_add_co_u32 v15, s7, v15, v21
	s_wait_alu 0xf1ff
	v_add_co_ci_u32_e64 v16, null, v16, v22, s7
	flat_load_u16 v15, v[15:16]
	s_wait_loadcnt_dscnt 0x0
	v_lshlrev_b32_e32 v21, 16, v15
.LBB590_37:                             ;   in Loop: Header=BB590_4 Depth=1
	s_or_b32 exec_lo, exec_lo, s46
	s_wait_loadcnt_dscnt 0x0
	v_lshlrev_b32_e32 v22, 16, v20
.LBB590_38:                             ;   in Loop: Header=BB590_4 Depth=1
	s_wait_alu 0xfffe
	s_or_b32 exec_lo, exec_lo, s45
	s_wait_loadcnt_dscnt 0x0
	v_lshlrev_b32_e32 v23, 16, v19
.LBB590_39:                             ;   in Loop: Header=BB590_4 Depth=1
	s_wait_alu 0xfffe
	s_or_b32 exec_lo, exec_lo, s44
	s_wait_loadcnt_dscnt 0x0
	v_lshlrev_b32_e32 v24, 16, v18
.LBB590_40:                             ;   in Loop: Header=BB590_4 Depth=1
	s_wait_alu 0xfffe
	s_or_b32 exec_lo, exec_lo, s43
	s_and_saveexec_b32 s7, s0
	s_cbranch_execz .LBB590_48
; %bb.41:                               ;   in Loop: Header=BB590_4 Depth=1
	v_mul_lo_u32 v16, v40, s35
	v_or_b32_e32 v15, 2, v40
	v_mul_lo_u32 v19, v17, s35
	v_or_b32_e32 v18, 3, v40
	s_delay_alu instid0(VALU_DEP_3) | instskip(NEXT) | instid1(VALU_DEP_2)
	v_mul_lo_u32 v20, v15, s35
	v_mul_lo_u32 v40, v18, s35
	v_cndmask_b32_e32 v16, 0, v16, vcc_lo
	v_cmp_gt_i32_e32 vcc_lo, s9, v17
	s_wait_alu 0xfffd
	v_cndmask_b32_e32 v17, 0, v19, vcc_lo
	v_cmp_gt_i32_e32 vcc_lo, s9, v15
	v_add_nc_u32_e32 v15, v16, v25
	s_delay_alu instid0(VALU_DEP_3)
	v_add_nc_u32_e32 v17, v17, v25
	s_wait_alu 0xfffd
	v_cndmask_b32_e32 v19, 0, v20, vcc_lo
	v_cmp_gt_i32_e32 vcc_lo, s9, v18
	v_ashrrev_i32_e32 v16, 31, v15
	s_wait_alu 0xfffd
	v_cndmask_b32_e32 v18, 0, v40, vcc_lo
	s_delay_alu instid0(VALU_DEP_2) | instskip(NEXT) | instid1(VALU_DEP_2)
	v_lshlrev_b64_e32 v[15:16], 1, v[15:16]
	v_add_nc_u32_e32 v40, v18, v25
	v_add_nc_u32_e32 v19, v19, v25
	v_ashrrev_i32_e32 v18, 31, v17
	s_delay_alu instid0(VALU_DEP_3) | instskip(NEXT) | instid1(VALU_DEP_3)
	v_ashrrev_i32_e32 v41, 31, v40
	v_ashrrev_i32_e32 v20, 31, v19
	s_delay_alu instid0(VALU_DEP_3) | instskip(SKIP_1) | instid1(VALU_DEP_4)
	v_lshlrev_b64_e32 v[42:43], 1, v[17:18]
	v_add_co_u32 v17, vcc_lo, v13, v15
	v_lshlrev_b64_e32 v[40:41], 1, v[40:41]
	s_delay_alu instid0(VALU_DEP_4)
	v_lshlrev_b64_e32 v[44:45], 1, v[19:20]
	s_wait_alu 0xfffd
	v_add_co_ci_u32_e64 v18, null, v14, v16, vcc_lo
	v_add_co_u32 v19, vcc_lo, v13, v42
	s_wait_alu 0xfffd
	v_add_co_ci_u32_e64 v20, null, v14, v43, vcc_lo
	v_add_co_u32 v15, vcc_lo, v13, v44
	;; [unrolled: 3-line block ×3, first 2 shown]
	s_wait_alu 0xfffd
	v_add_co_ci_u32_e64 v14, null, v14, v41, vcc_lo
	s_clause 0x3
	flat_load_u16 v43, v[17:18]
	flat_load_u16 v42, v[19:20]
	;; [unrolled: 1-line block ×4, first 2 shown]
	s_and_saveexec_b32 s43, s1
	s_cbranch_execz .LBB590_47
; %bb.42:                               ;   in Loop: Header=BB590_4 Depth=1
	s_clause 0x3
	flat_load_u16 v47, v[17:18] offset:64
	flat_load_u16 v46, v[19:20] offset:64
	flat_load_u16 v45, v[15:16] offset:64
	flat_load_u16 v44, v[13:14] offset:64
	s_and_saveexec_b32 s44, s2
	s_cbranch_execz .LBB590_46
; %bb.43:                               ;   in Loop: Header=BB590_4 Depth=1
	s_clause 0x3
	flat_load_u16 v51, v[17:18] offset:128
	flat_load_u16 v50, v[19:20] offset:128
	flat_load_u16 v49, v[15:16] offset:128
	flat_load_u16 v48, v[13:14] offset:128
	;; [unrolled: 8-line block ×3, first 2 shown]
	s_wait_loadcnt_dscnt 0x0
	v_lshlrev_b32_e32 v13, 16, v13
	v_lshlrev_b32_e32 v16, 16, v18
	;; [unrolled: 1-line block ×3, first 2 shown]
	s_delay_alu instid0(VALU_DEP_1) | instskip(NEXT) | instid1(VALU_DEP_1)
	v_dual_fmac_f32 v39, v24, v14 :: v_dual_lshlrev_b32 v14, 16, v15
	v_fmac_f32_e32 v39, v23, v16
	s_delay_alu instid0(VALU_DEP_1) | instskip(NEXT) | instid1(VALU_DEP_1)
	v_fmac_f32_e32 v39, v22, v14
	v_fmac_f32_e32 v39, v21, v13
.LBB590_45:                             ;   in Loop: Header=BB590_4 Depth=1
	s_wait_alu 0xfffe
	s_or_b32 exec_lo, exec_lo, s45
	s_wait_loadcnt_dscnt 0x202
	v_lshlrev_b32_e32 v14, 16, v50
	v_lshlrev_b32_e32 v13, 16, v51
	s_delay_alu instid0(VALU_DEP_1) | instskip(SKIP_1) | instid1(VALU_DEP_1)
	v_fmac_f32_e32 v38, v24, v13
	s_wait_loadcnt_dscnt 0x101
	v_dual_fmac_f32 v38, v23, v14 :: v_dual_lshlrev_b32 v13, 16, v49
	s_wait_loadcnt_dscnt 0x0
	s_delay_alu instid0(VALU_DEP_1) | instskip(NEXT) | instid1(VALU_DEP_1)
	v_dual_fmac_f32 v38, v22, v13 :: v_dual_lshlrev_b32 v13, 16, v48
	v_fmac_f32_e32 v38, v21, v13
.LBB590_46:                             ;   in Loop: Header=BB590_4 Depth=1
	s_wait_alu 0xfffe
	s_or_b32 exec_lo, exec_lo, s44
	s_wait_loadcnt_dscnt 0x303
	v_lshlrev_b32_e32 v13, 16, v47
	s_wait_loadcnt_dscnt 0x202
	s_delay_alu instid0(VALU_DEP_1) | instskip(SKIP_2) | instid1(VALU_DEP_2)
	v_dual_fmac_f32 v37, v24, v13 :: v_dual_lshlrev_b32 v14, 16, v46
	s_wait_loadcnt_dscnt 0x101
	v_lshlrev_b32_e32 v13, 16, v45
	v_fmac_f32_e32 v37, v23, v14
	s_delay_alu instid0(VALU_DEP_1) | instskip(SKIP_2) | instid1(VALU_DEP_1)
	v_fmac_f32_e32 v37, v22, v13
	s_wait_loadcnt_dscnt 0x0
	v_lshlrev_b32_e32 v13, 16, v44
	v_fmac_f32_e32 v37, v21, v13
.LBB590_47:                             ;   in Loop: Header=BB590_4 Depth=1
	s_wait_alu 0xfffe
	s_or_b32 exec_lo, exec_lo, s43
	s_wait_loadcnt_dscnt 0x202
	v_lshlrev_b32_e32 v14, 16, v42
	v_lshlrev_b32_e32 v13, 16, v43
	s_delay_alu instid0(VALU_DEP_1) | instskip(SKIP_1) | instid1(VALU_DEP_1)
	v_fmac_f32_e32 v36, v24, v13
	s_wait_loadcnt_dscnt 0x101
	v_dual_fmac_f32 v36, v23, v14 :: v_dual_lshlrev_b32 v13, 16, v41
	s_wait_loadcnt_dscnt 0x0
	s_delay_alu instid0(VALU_DEP_1) | instskip(NEXT) | instid1(VALU_DEP_1)
	v_dual_fmac_f32 v36, v22, v13 :: v_dual_lshlrev_b32 v13, 16, v40
	v_fmac_f32_e32 v36, v21, v13
.LBB590_48:                             ;   in Loop: Header=BB590_4 Depth=1
	s_wait_alu 0xfffe
	s_or_b32 exec_lo, exec_lo, s7
.LBB590_49:                             ;   in Loop: Header=BB590_4 Depth=1
	ds_store_2addr_b32 v0, v36, v37 offset1:32
	ds_store_2addr_b32 v0, v38, v39 offset0:64 offset1:96
	s_wait_dscnt 0x0
	s_barrier_signal -1
	s_barrier_wait -1
	global_inv scope:SCOPE_SE
                                        ; implicit-def: $vgpr17
	s_and_saveexec_b32 s7, s5
	s_cbranch_execz .LBB590_71
; %bb.50:                               ;   in Loop: Header=BB590_4 Depth=1
	ds_load_2addr_stride64_b32 v[13:14], v27 offset1:2
	ds_load_2addr_stride64_b32 v[15:16], v27 offset0:4 offset1:6
	ds_load_2addr_stride64_b32 v[17:18], v27 offset0:8 offset1:10
	s_mov_b32 s44, s8
	s_wait_dscnt 0x2
	v_add_f32_e32 v19, v13, v14
	ds_load_2addr_stride64_b32 v[13:14], v27 offset0:12 offset1:14
	s_wait_dscnt 0x2
	v_add_f32_e32 v15, v15, v19
	s_delay_alu instid0(VALU_DEP_1) | instskip(SKIP_3) | instid1(VALU_DEP_1)
	v_add_f32_e32 v19, v16, v15
	ds_load_2addr_stride64_b32 v[15:16], v27 offset0:16 offset1:18
	s_wait_dscnt 0x2
	v_add_f32_e32 v17, v17, v19
	v_add_f32_e32 v19, v18, v17
	ds_load_2addr_stride64_b32 v[17:18], v27 offset0:20 offset1:22
	s_wait_dscnt 0x2
	v_add_f32_e32 v13, v13, v19
	s_delay_alu instid0(VALU_DEP_1) | instskip(SKIP_1) | instid1(VALU_DEP_1)
	v_add_f32_e32 v13, v14, v13
	s_wait_dscnt 0x1
	v_add_f32_e32 v15, v15, v13
	ds_load_2addr_stride64_b32 v[13:14], v27 offset0:24 offset1:26
	v_add_f32_e32 v15, v16, v15
	s_wait_dscnt 0x1
	s_delay_alu instid0(VALU_DEP_1) | instskip(SKIP_3) | instid1(VALU_DEP_1)
	v_add_f32_e32 v17, v17, v15
	ds_load_2addr_stride64_b32 v[15:16], v27 offset0:28 offset1:30
	v_add_f32_e32 v17, v18, v17
	s_wait_dscnt 0x1
	v_add_f32_e32 v13, v13, v17
                                        ; implicit-def: $vgpr17
	s_delay_alu instid0(VALU_DEP_1) | instskip(SKIP_1) | instid1(VALU_DEP_1)
	v_add_f32_e32 v13, v14, v13
	s_wait_dscnt 0x0
	v_add_f32_e32 v13, v15, v13
	s_delay_alu instid0(VALU_DEP_1)
	v_add_f32_e32 v13, v16, v13
	ds_store_b32 v27, v13
	s_and_saveexec_b32 s43, s6
	s_cbranch_execz .LBB590_70
; %bb.51:                               ;   in Loop: Header=BB590_4 Depth=1
	v_mul_f32_e32 v13, v35, v13
	s_cmp_eq_f32 s42, 0
	s_cbranch_scc0 .LBB590_59
; %bb.52:                               ;   in Loop: Header=BB590_4 Depth=1
	s_delay_alu instid0(VALU_DEP_1) | instskip(NEXT) | instid1(VALU_DEP_1)
	v_and_b32_e32 v14, 0x7f800000, v13
	v_cmp_ne_u32_e32 vcc_lo, 0x7f800000, v14
                                        ; implicit-def: $vgpr14
	s_and_saveexec_b32 s44, vcc_lo
	s_wait_alu 0xfffe
	s_xor_b32 s44, exec_lo, s44
; %bb.53:                               ;   in Loop: Header=BB590_4 Depth=1
	v_bfe_u32 v14, v13, 16, 1
	s_delay_alu instid0(VALU_DEP_1)
	v_add3_u32 v14, v13, v14, 0x7fff
; %bb.54:                               ;   in Loop: Header=BB590_4 Depth=1
	s_wait_alu 0xfffe
	s_and_not1_saveexec_b32 s44, s44
; %bb.55:                               ;   in Loop: Header=BB590_4 Depth=1
	v_and_b32_e32 v14, 0xffff, v13
	v_or_b32_e32 v15, 0x10000, v13
	s_delay_alu instid0(VALU_DEP_2) | instskip(SKIP_1) | instid1(VALU_DEP_2)
	v_cmp_eq_u32_e32 vcc_lo, 0, v14
	s_wait_alu 0xfffd
	v_cndmask_b32_e32 v14, v15, v13, vcc_lo
; %bb.56:                               ;   in Loop: Header=BB590_4 Depth=1
	s_wait_alu 0xfffe
	s_or_b32 exec_lo, exec_lo, s44
	s_cbranch_execz .LBB590_60
	s_branch .LBB590_69
.LBB590_57:                             ;   in Loop: Header=BB590_4 Depth=1
	v_mov_b32_e32 v17, 0
	s_mov_b32 s8, exec_lo
	s_wait_alu 0xfffe
	s_or_b32 exec_lo, exec_lo, s43
	s_delay_alu instid0(SALU_CYCLE_1)
	s_and_b32 vcc_lo, exec_lo, s7
	s_wait_alu 0xfffe
	s_cbranch_vccnz .LBB590_19
.LBB590_58:                             ;   in Loop: Header=BB590_4 Depth=1
	v_dual_mov_b32 v14, v3 :: v_dual_mov_b32 v13, v2
	s_wait_alu 0xfffe
	s_and_saveexec_b32 s7, s8
	s_cbranch_execz .LBB590_2
	s_branch .LBB590_72
.LBB590_59:                             ;   in Loop: Header=BB590_4 Depth=1
                                        ; implicit-def: $vgpr14
.LBB590_60:                             ;   in Loop: Header=BB590_4 Depth=1
	v_add_co_u32 v14, vcc_lo, v33, v11
	s_wait_alu 0xfffd
	v_add_co_ci_u32_e64 v15, null, v34, v12, vcc_lo
	flat_load_u16 v14, v[14:15]
	s_wait_loadcnt_dscnt 0x0
	v_lshlrev_b32_e32 v14, 16, v14
	s_delay_alu instid0(VALU_DEP_1) | instskip(NEXT) | instid1(VALU_DEP_1)
	v_mul_f32_e32 v14, s42, v14
	v_and_b32_e32 v15, 0x7f800000, v14
	s_delay_alu instid0(VALU_DEP_1)
	v_cmp_ne_u32_e32 vcc_lo, 0x7f800000, v15
                                        ; implicit-def: $vgpr15
	s_and_saveexec_b32 s42, vcc_lo
	s_wait_alu 0xfffe
	s_xor_b32 s42, exec_lo, s42
; %bb.61:                               ;   in Loop: Header=BB590_4 Depth=1
	v_bfe_u32 v15, v14, 16, 1
	s_delay_alu instid0(VALU_DEP_1)
	v_add3_u32 v15, v14, v15, 0x7fff
                                        ; implicit-def: $vgpr14
; %bb.62:                               ;   in Loop: Header=BB590_4 Depth=1
	s_wait_alu 0xfffe
	s_and_not1_saveexec_b32 s42, s42
; %bb.63:                               ;   in Loop: Header=BB590_4 Depth=1
	v_and_b32_e32 v15, 0xffff, v14
	v_or_b32_e32 v16, 0x10000, v14
	s_delay_alu instid0(VALU_DEP_2) | instskip(SKIP_1) | instid1(VALU_DEP_2)
	v_cmp_eq_u32_e32 vcc_lo, 0, v15
	s_wait_alu 0xfffd
	v_cndmask_b32_e32 v15, v16, v14, vcc_lo
; %bb.64:                               ;   in Loop: Header=BB590_4 Depth=1
	s_wait_alu 0xfffe
	s_or_b32 exec_lo, exec_lo, s42
	s_delay_alu instid0(VALU_DEP_1) | instskip(NEXT) | instid1(VALU_DEP_1)
	v_and_b32_e32 v14, 0xffff0000, v15
	v_add_f32_e32 v13, v13, v14
	s_delay_alu instid0(VALU_DEP_1) | instskip(NEXT) | instid1(VALU_DEP_1)
	v_and_b32_e32 v14, 0x7f800000, v13
	v_cmp_ne_u32_e32 vcc_lo, 0x7f800000, v14
                                        ; implicit-def: $vgpr14
	s_and_saveexec_b32 s42, vcc_lo
	s_wait_alu 0xfffe
	s_xor_b32 s42, exec_lo, s42
; %bb.65:                               ;   in Loop: Header=BB590_4 Depth=1
	v_bfe_u32 v14, v13, 16, 1
	s_delay_alu instid0(VALU_DEP_1)
	v_add3_u32 v14, v13, v14, 0x7fff
                                        ; implicit-def: $vgpr13
; %bb.66:                               ;   in Loop: Header=BB590_4 Depth=1
	s_wait_alu 0xfffe
	s_and_not1_saveexec_b32 s42, s42
; %bb.67:                               ;   in Loop: Header=BB590_4 Depth=1
	v_and_b32_e32 v14, 0xffff, v13
	v_or_b32_e32 v15, 0x10000, v13
	s_delay_alu instid0(VALU_DEP_2) | instskip(SKIP_1) | instid1(VALU_DEP_2)
	v_cmp_eq_u32_e32 vcc_lo, 0, v14
	s_wait_alu 0xfffd
	v_cndmask_b32_e32 v14, v15, v13, vcc_lo
; %bb.68:                               ;   in Loop: Header=BB590_4 Depth=1
	s_wait_alu 0xfffe
	s_or_b32 exec_lo, exec_lo, s42
.LBB590_69:                             ;   in Loop: Header=BB590_4 Depth=1
	s_delay_alu instid0(VALU_DEP_1)
	v_lshrrev_b32_e32 v17, 16, v14
	s_or_b32 s44, s8, exec_lo
.LBB590_70:                             ;   in Loop: Header=BB590_4 Depth=1
	s_wait_alu 0xfffe
	s_or_b32 exec_lo, exec_lo, s43
	s_delay_alu instid0(SALU_CYCLE_1)
	s_and_not1_b32 s8, s8, exec_lo
	s_and_b32 s42, s44, exec_lo
	s_wait_alu 0xfffe
	s_or_b32 s8, s8, s42
.LBB590_71:                             ;   in Loop: Header=BB590_4 Depth=1
	s_wait_alu 0xfffe
	s_or_b32 exec_lo, exec_lo, s7
	v_dual_mov_b32 v14, v5 :: v_dual_mov_b32 v13, v4
	s_and_saveexec_b32 s7, s8
	s_cbranch_execz .LBB590_2
.LBB590_72:                             ;   in Loop: Header=BB590_4 Depth=1
	s_delay_alu instid0(VALU_DEP_1) | instskip(NEXT) | instid1(VALU_DEP_1)
	v_lshlrev_b64_e32 v[13:14], 1, v[13:14]
	v_add_co_u32 v13, vcc_lo, v33, v13
	s_wait_alu 0xfffd
	s_delay_alu instid0(VALU_DEP_2)
	v_add_co_ci_u32_e64 v14, null, v34, v14, vcc_lo
	flat_store_b16 v[13:14], v17
	s_branch .LBB590_2
.LBB590_73:
	s_endpgm
	.section	.rodata,"a",@progbits
	.p2align	6, 0x0
	.amdhsa_kernel _ZL20rocblas_gemvn_kernelILi32ELi16EiPK16rocblas_bfloat16PKfKPS0_EviiT3_lPKT2_lT1_lSA_lSB_lS7_lPT4_lSB_li
		.amdhsa_group_segment_fixed_size 8192
		.amdhsa_private_segment_fixed_size 0
		.amdhsa_kernarg_size 400
		.amdhsa_user_sgpr_count 2
		.amdhsa_user_sgpr_dispatch_ptr 0
		.amdhsa_user_sgpr_queue_ptr 0
		.amdhsa_user_sgpr_kernarg_segment_ptr 1
		.amdhsa_user_sgpr_dispatch_id 0
		.amdhsa_user_sgpr_private_segment_size 0
		.amdhsa_wavefront_size32 1
		.amdhsa_uses_dynamic_stack 0
		.amdhsa_enable_private_segment 0
		.amdhsa_system_sgpr_workgroup_id_x 1
		.amdhsa_system_sgpr_workgroup_id_y 0
		.amdhsa_system_sgpr_workgroup_id_z 1
		.amdhsa_system_sgpr_workgroup_info 0
		.amdhsa_system_vgpr_workitem_id 1
		.amdhsa_next_free_vgpr 61
		.amdhsa_next_free_sgpr 49
		.amdhsa_reserve_vcc 1
		.amdhsa_float_round_mode_32 0
		.amdhsa_float_round_mode_16_64 0
		.amdhsa_float_denorm_mode_32 3
		.amdhsa_float_denorm_mode_16_64 3
		.amdhsa_fp16_overflow 0
		.amdhsa_workgroup_processor_mode 1
		.amdhsa_memory_ordered 1
		.amdhsa_forward_progress 1
		.amdhsa_inst_pref_size 32
		.amdhsa_round_robin_scheduling 0
		.amdhsa_exception_fp_ieee_invalid_op 0
		.amdhsa_exception_fp_denorm_src 0
		.amdhsa_exception_fp_ieee_div_zero 0
		.amdhsa_exception_fp_ieee_overflow 0
		.amdhsa_exception_fp_ieee_underflow 0
		.amdhsa_exception_fp_ieee_inexact 0
		.amdhsa_exception_int_div_zero 0
	.end_amdhsa_kernel
	.section	.text._ZL20rocblas_gemvn_kernelILi32ELi16EiPK16rocblas_bfloat16PKfKPS0_EviiT3_lPKT2_lT1_lSA_lSB_lS7_lPT4_lSB_li,"axG",@progbits,_ZL20rocblas_gemvn_kernelILi32ELi16EiPK16rocblas_bfloat16PKfKPS0_EviiT3_lPKT2_lT1_lSA_lSB_lS7_lPT4_lSB_li,comdat
.Lfunc_end590:
	.size	_ZL20rocblas_gemvn_kernelILi32ELi16EiPK16rocblas_bfloat16PKfKPS0_EviiT3_lPKT2_lT1_lSA_lSB_lS7_lPT4_lSB_li, .Lfunc_end590-_ZL20rocblas_gemvn_kernelILi32ELi16EiPK16rocblas_bfloat16PKfKPS0_EviiT3_lPKT2_lT1_lSA_lSB_lS7_lPT4_lSB_li
                                        ; -- End function
	.set _ZL20rocblas_gemvn_kernelILi32ELi16EiPK16rocblas_bfloat16PKfKPS0_EviiT3_lPKT2_lT1_lSA_lSB_lS7_lPT4_lSB_li.num_vgpr, 61
	.set _ZL20rocblas_gemvn_kernelILi32ELi16EiPK16rocblas_bfloat16PKfKPS0_EviiT3_lPKT2_lT1_lSA_lSB_lS7_lPT4_lSB_li.num_agpr, 0
	.set _ZL20rocblas_gemvn_kernelILi32ELi16EiPK16rocblas_bfloat16PKfKPS0_EviiT3_lPKT2_lT1_lSA_lSB_lS7_lPT4_lSB_li.numbered_sgpr, 49
	.set _ZL20rocblas_gemvn_kernelILi32ELi16EiPK16rocblas_bfloat16PKfKPS0_EviiT3_lPKT2_lT1_lSA_lSB_lS7_lPT4_lSB_li.num_named_barrier, 0
	.set _ZL20rocblas_gemvn_kernelILi32ELi16EiPK16rocblas_bfloat16PKfKPS0_EviiT3_lPKT2_lT1_lSA_lSB_lS7_lPT4_lSB_li.private_seg_size, 0
	.set _ZL20rocblas_gemvn_kernelILi32ELi16EiPK16rocblas_bfloat16PKfKPS0_EviiT3_lPKT2_lT1_lSA_lSB_lS7_lPT4_lSB_li.uses_vcc, 1
	.set _ZL20rocblas_gemvn_kernelILi32ELi16EiPK16rocblas_bfloat16PKfKPS0_EviiT3_lPKT2_lT1_lSA_lSB_lS7_lPT4_lSB_li.uses_flat_scratch, 1
	.set _ZL20rocblas_gemvn_kernelILi32ELi16EiPK16rocblas_bfloat16PKfKPS0_EviiT3_lPKT2_lT1_lSA_lSB_lS7_lPT4_lSB_li.has_dyn_sized_stack, 0
	.set _ZL20rocblas_gemvn_kernelILi32ELi16EiPK16rocblas_bfloat16PKfKPS0_EviiT3_lPKT2_lT1_lSA_lSB_lS7_lPT4_lSB_li.has_recursion, 0
	.set _ZL20rocblas_gemvn_kernelILi32ELi16EiPK16rocblas_bfloat16PKfKPS0_EviiT3_lPKT2_lT1_lSA_lSB_lS7_lPT4_lSB_li.has_indirect_call, 0
	.section	.AMDGPU.csdata,"",@progbits
; Kernel info:
; codeLenInByte = 4012
; TotalNumSgprs: 51
; NumVgprs: 61
; ScratchSize: 0
; MemoryBound: 0
; FloatMode: 240
; IeeeMode: 1
; LDSByteSize: 8192 bytes/workgroup (compile time only)
; SGPRBlocks: 0
; VGPRBlocks: 7
; NumSGPRsForWavesPerEU: 51
; NumVGPRsForWavesPerEU: 61
; Occupancy: 16
; WaveLimiterHint : 1
; COMPUTE_PGM_RSRC2:SCRATCH_EN: 0
; COMPUTE_PGM_RSRC2:USER_SGPR: 2
; COMPUTE_PGM_RSRC2:TRAP_HANDLER: 0
; COMPUTE_PGM_RSRC2:TGID_X_EN: 1
; COMPUTE_PGM_RSRC2:TGID_Y_EN: 0
; COMPUTE_PGM_RSRC2:TGID_Z_EN: 1
; COMPUTE_PGM_RSRC2:TIDIG_COMP_CNT: 1
	.section	.text._ZL20rocblas_gemvn_kernelILi32ELi16ElPK16rocblas_bfloat16PKfKPS0_EviiT3_lPKT2_lT1_lSA_lSB_lS7_lPT4_lSB_li,"axG",@progbits,_ZL20rocblas_gemvn_kernelILi32ELi16ElPK16rocblas_bfloat16PKfKPS0_EviiT3_lPKT2_lT1_lSA_lSB_lS7_lPT4_lSB_li,comdat
	.globl	_ZL20rocblas_gemvn_kernelILi32ELi16ElPK16rocblas_bfloat16PKfKPS0_EviiT3_lPKT2_lT1_lSA_lSB_lS7_lPT4_lSB_li ; -- Begin function _ZL20rocblas_gemvn_kernelILi32ELi16ElPK16rocblas_bfloat16PKfKPS0_EviiT3_lPKT2_lT1_lSA_lSB_lS7_lPT4_lSB_li
	.p2align	8
	.type	_ZL20rocblas_gemvn_kernelILi32ELi16ElPK16rocblas_bfloat16PKfKPS0_EviiT3_lPKT2_lT1_lSA_lSB_lS7_lPT4_lSB_li,@function
_ZL20rocblas_gemvn_kernelILi32ELi16ElPK16rocblas_bfloat16PKfKPS0_EviiT3_lPKT2_lT1_lSA_lSB_lS7_lPT4_lSB_li: ; @_ZL20rocblas_gemvn_kernelILi32ELi16ElPK16rocblas_bfloat16PKfKPS0_EviiT3_lPKT2_lT1_lSA_lSB_lS7_lPT4_lSB_li
; %bb.0:
	s_clause 0x1
	s_load_b64 s[2:3], s[0:1], 0x9c
	s_load_b32 s33, s[0:1], 0x88
	s_lshr_b32 s10, ttmp7, 16
	s_wait_kmcnt 0x0
	s_lshr_b32 s4, s2, 16
	s_and_b32 s2, s2, 0xffff
	s_and_b32 s3, s3, 0xffff
	s_mul_i32 s2, s4, s2
	s_delay_alu instid0(SALU_CYCLE_1) | instskip(NEXT) | instid1(SALU_CYCLE_1)
	s_mul_i32 s2, s2, s3
	s_cmp_lg_u32 s2, 0x200
	s_cselect_b32 s2, -1, 0
	s_cmp_ge_u32 s10, s33
	s_cselect_b32 s3, -1, 0
	s_delay_alu instid0(SALU_CYCLE_1) | instskip(NEXT) | instid1(SALU_CYCLE_1)
	s_or_b32 s2, s2, s3
	s_and_b32 vcc_lo, exec_lo, s2
	s_cbranch_vccnz .LBB591_73
; %bb.1:
	s_clause 0x6
	s_load_b64 s[6:7], s[0:1], 0x78
	s_load_b64 s[8:9], s[0:1], 0x0
	s_load_b256 s[12:19], s[0:1], 0x8
	s_load_b64 s[34:35], s[0:1], 0x28
	s_load_b128 s[28:31], s[0:1], 0x38
	s_load_b64 s[36:37], s[0:1], 0x48
	s_load_b256 s[20:27], s[0:1], 0x58
	v_dual_mov_b32 v1, 0 :: v_dual_and_b32 v2, 0x3ff, v0
	s_lshl_b32 s38, ttmp9, 7
	v_bfe_u32 v26, v0, 10, 10
	s_mov_b32 s11, 0
	s_delay_alu instid0(VALU_DEP_2) | instskip(SKIP_1) | instid1(VALU_DEP_3)
	v_add_nc_u32_e32 v8, s38, v2
	v_lshlrev_b32_e32 v16, 2, v2
	v_lshlrev_b32_e32 v40, 2, v26
	v_lshl_add_u32 v5, v26, 5, v2
	s_delay_alu instid0(VALU_DEP_4)
	v_add_nc_u32_e32 v6, 64, v8
	v_add_nc_u32_e32 v7, 0x60, v8
	v_lshl_add_u32 v41, v26, 7, v16
	v_or_b32_e32 v19, 3, v40
	v_add_nc_u32_e32 v0, s38, v5
	v_or_b32_e32 v17, s38, v5
	s_wait_kmcnt 0x0
	s_ashr_i32 s2, s9, 31
	v_mad_co_u64_u32 v[10:11], null, s34, v19, 0
	s_lshr_b32 s3, s2, 26
	v_cmp_gt_i32_e64 s2, s8, v6
	s_add_co_i32 s42, s9, s3
	v_cmp_gt_i32_e64 s3, s8, v7
	v_mad_co_u64_u32 v[6:7], null, s36, v26, 0
	v_mad_co_u64_u32 v[12:13], null, s36, v19, 0
	v_mad_co_u64_u32 v[2:3], null, s6, v0, 0
	s_ashr_i32 s5, s8, 31
	s_mov_b32 s4, s8
	v_mad_co_u64_u32 v[14:15], null, s37, v26, v[7:8]
	s_and_not1_b32 s42, s42, 63
	v_cmp_gt_i64_e32 vcc_lo, s[4:5], v[0:1]
	s_sub_co_i32 s39, s9, s42
	v_cmp_gt_u32_e64 s5, 0x80, v5
	v_mul_lo_u32 v18, s7, v17
	s_wait_alu 0xfffe
	s_cmp_gt_i32 s39, 0
	v_mov_b32_e32 v7, v14
	v_mad_co_u64_u32 v[14:15], null, s35, v19, v[11:12]
	s_cselect_b32 s43, -1, 0
	s_ashr_i32 s38, s38, 31
	v_ashrrev_i32_e32 v9, 31, v8
	v_cmp_gt_i32_e64 s0, s8, v8
	v_lshlrev_b64_e32 v[6:7], 3, v[6:7]
	s_and_b32 s44, s5, vcc_lo
	v_mov_b32_e32 v11, v14
	v_mad_co_u64_u32 v[22:23], null, s36, v40, s[36:37]
	v_add_nc_u32_e32 v4, 32, v8
	v_or_b32_e32 v29, 2, v40
	v_mad_co_u64_u32 v[24:25], null, s34, v40, s[34:35]
	v_lshlrev_b64_e32 v[8:9], 1, v[8:9]
	s_delay_alu instid0(VALU_DEP_4)
	v_cmp_gt_i32_e64 s1, s8, v4
	v_mad_co_u64_u32 v[3:4], null, s7, v0, v[3:4]
	v_mad_co_u64_u32 v[4:5], null, s6, v17, 0
	s_wait_alu 0xfffe
	s_mul_i32 s7, s6, s38
	v_lshl_add_u32 v0, v26, 9, v16
	v_mad_co_u64_u32 v[15:16], null, s37, v19, v[13:14]
	v_cmp_gt_i32_e64 s6, s8, v17
	v_mad_co_u64_u32 v[16:17], null, s34, v26, 0
	s_wait_alu 0xfffe
	v_add3_u32 v5, v5, s7, v18
	v_mad_co_u64_u32 v[18:19], null, s34, v29, 0
	v_mad_co_u64_u32 v[20:21], null, s36, v29, 0
	s_delay_alu instid0(VALU_DEP_4) | instskip(SKIP_3) | instid1(VALU_DEP_4)
	v_dual_mov_b32 v13, v15 :: v_dual_mov_b32 v14, v17
	v_mov_b32_e32 v17, v25
	v_lshlrev_b64_e32 v[10:11], 1, v[10:11]
	v_mov_b32_e32 v15, v19
	v_lshlrev_b64_e32 v[12:13], 1, v[12:13]
	v_cmp_gt_i32_e64 s4, s42, v40
	s_lshl_b64 s[38:39], s[36:37], 7
	s_lshl_b64 s[40:41], s[34:35], 7
	v_mad_co_u64_u32 v[26:27], null, s35, v26, v[14:15]
	v_mov_b32_e32 v14, v21
	v_mad_co_u64_u32 v[27:28], null, s35, v29, v[15:16]
	v_mov_b32_e32 v15, v23
	s_lshl_b64 s[18:19], s[18:19], 1
	s_lshl_b64 s[30:31], s[30:31], 1
	;; [unrolled: 1-line block ×3, first 2 shown]
	s_delay_alu instid0(VALU_DEP_1)
	v_mad_co_u64_u32 v[28:29], null, s37, v29, v[14:15]
	v_mad_co_u64_u32 v[14:15], null, s37, v40, v[15:16]
	;; [unrolled: 1-line block ×3, first 2 shown]
	v_mov_b32_e32 v17, v26
	v_mov_b32_e32 v19, v27
	;; [unrolled: 1-line block ×4, first 2 shown]
	s_delay_alu instid0(VALU_DEP_4) | instskip(SKIP_4) | instid1(VALU_DEP_4)
	v_lshlrev_b64_e32 v[14:15], 3, v[16:17]
	v_mov_b32_e32 v25, v29
	v_lshlrev_b64_e32 v[16:17], 1, v[18:19]
	v_lshlrev_b64_e32 v[18:19], 1, v[20:21]
	;; [unrolled: 1-line block ×5, first 2 shown]
	s_branch .LBB591_4
.LBB591_2:                              ;   in Loop: Header=BB591_4 Depth=1
	s_wait_alu 0xfffe
	s_or_b32 exec_lo, exec_lo, s7
.LBB591_3:                              ;   in Loop: Header=BB591_4 Depth=1
	s_add_co_i32 s10, s10, 0x10000
	s_delay_alu instid0(SALU_CYCLE_1)
	s_cmp_lt_u32 s10, s33
	s_cbranch_scc0 .LBB591_73
.LBB591_4:                              ; =>This Loop Header: Depth=1
                                        ;     Child Loop BB591_25 Depth 2
	s_mul_u64 s[46:47], s[14:15], s[10:11]
	s_mul_u64 s[48:49], s[22:23], s[10:11]
	s_lshl_b64 s[46:47], s[46:47], 2
	s_lshl_b64 s[48:49], s[48:49], 2
	s_add_nc_u64 s[46:47], s[12:13], s[46:47]
	s_add_nc_u64 s[48:49], s[20:21], s[48:49]
	s_clause 0x1
	global_load_b32 v44, v1, s[46:47]
	global_load_b32 v26, v1, s[48:49]
	s_wait_loadcnt 0x1
	v_cmp_eq_f32_e64 s7, 0, v44
	s_wait_loadcnt 0x0
	v_cmp_eq_f32_e32 vcc_lo, 1.0, v26
	v_readfirstlane_b32 s45, v26
	s_and_b32 s8, s7, vcc_lo
	s_wait_alu 0xfffe
	s_and_b32 vcc_lo, exec_lo, s8
	s_wait_alu 0xfffe
	s_cbranch_vccnz .LBB591_3
; %bb.5:                                ;   in Loop: Header=BB591_4 Depth=1
	v_mov_b32_e32 v28, 0
	v_dual_mov_b32 v29, 0 :: v_dual_mov_b32 v26, 0
	v_cmp_neq_f32_e64 s8, 0, v44
	v_mov_b32_e32 v27, 0
	s_and_b32 vcc_lo, exec_lo, s7
	s_wait_alu 0xfffe
	s_cbranch_vccnz .LBB591_7
; %bb.6:                                ;   in Loop: Header=BB591_4 Depth=1
	s_lshl_b64 s[46:47], s[10:11], 3
	s_delay_alu instid0(SALU_CYCLE_1)
	s_add_nc_u64 s[46:47], s[16:17], s[46:47]
	global_load_b64 v[26:27], v1, s[46:47]
	s_wait_loadcnt 0x0
	v_add_co_u32 v26, vcc_lo, v26, s18
	s_wait_alu 0xfffd
	v_add_co_ci_u32_e64 v27, null, s19, v27, vcc_lo
.LBB591_7:                              ;   in Loop: Header=BB591_4 Depth=1
	s_and_not1_b32 vcc_lo, exec_lo, s8
	s_wait_alu 0xfffe
	s_cbranch_vccnz .LBB591_9
; %bb.8:                                ;   in Loop: Header=BB591_4 Depth=1
	s_lshl_b64 s[46:47], s[10:11], 3
	s_delay_alu instid0(SALU_CYCLE_1)
	s_add_nc_u64 s[46:47], s[28:29], s[46:47]
	global_load_b64 v[28:29], v1, s[46:47]
	s_wait_loadcnt 0x0
	v_add_co_u32 v28, vcc_lo, v28, s30
	s_wait_alu 0xfffd
	v_add_co_ci_u32_e64 v29, null, s31, v29, vcc_lo
.LBB591_9:                              ;   in Loop: Header=BB591_4 Depth=1
	s_lshl_b64 s[46:47], s[10:11], 3
	s_delay_alu instid0(SALU_CYCLE_1)
	s_add_nc_u64 s[46:47], s[24:25], s[46:47]
	global_load_b64 v[30:31], v1, s[46:47]
	s_wait_loadcnt 0x0
	v_add_co_u32 v42, vcc_lo, v30, s26
	s_wait_alu 0xfffd
	v_add_co_ci_u32_e64 v43, null, s27, v31, vcc_lo
	s_and_not1_b32 vcc_lo, exec_lo, s7
	s_wait_alu 0xfffe
	s_cbranch_vccnz .LBB591_17
; %bb.10:                               ;   in Loop: Header=BB591_4 Depth=1
	s_mov_b32 s7, 0
	s_mov_b32 s8, 0
                                        ; implicit-def: $vgpr30
	s_and_saveexec_b32 s46, s44
	s_cbranch_execz .LBB591_18
; %bb.11:                               ;   in Loop: Header=BB591_4 Depth=1
	s_cmp_eq_f32 s45, 0
	s_cbranch_scc1 .LBB591_57
; %bb.12:                               ;   in Loop: Header=BB591_4 Depth=1
	v_add_co_u32 v30, vcc_lo, v42, v24
	s_wait_alu 0xfffd
	v_add_co_ci_u32_e64 v31, null, v43, v25, vcc_lo
	flat_load_u16 v30, v[30:31]
	s_wait_loadcnt_dscnt 0x0
	v_lshlrev_b32_e32 v30, 16, v30
	s_delay_alu instid0(VALU_DEP_1) | instskip(NEXT) | instid1(VALU_DEP_1)
	v_mul_f32_e32 v30, s45, v30
	v_and_b32_e32 v31, 0x7f800000, v30
	s_delay_alu instid0(VALU_DEP_1)
	v_cmp_ne_u32_e32 vcc_lo, 0x7f800000, v31
                                        ; implicit-def: $vgpr31
	s_and_saveexec_b32 s8, vcc_lo
	s_wait_alu 0xfffe
	s_xor_b32 s8, exec_lo, s8
; %bb.13:                               ;   in Loop: Header=BB591_4 Depth=1
	v_bfe_u32 v31, v30, 16, 1
	s_delay_alu instid0(VALU_DEP_1)
	v_add3_u32 v31, v30, v31, 0x7fff
                                        ; implicit-def: $vgpr30
; %bb.14:                               ;   in Loop: Header=BB591_4 Depth=1
	s_wait_alu 0xfffe
	s_and_not1_saveexec_b32 s8, s8
; %bb.15:                               ;   in Loop: Header=BB591_4 Depth=1
	v_and_b32_e32 v31, 0xffff, v30
	v_or_b32_e32 v32, 0x10000, v30
	s_delay_alu instid0(VALU_DEP_2) | instskip(SKIP_1) | instid1(VALU_DEP_2)
	v_cmp_eq_u32_e32 vcc_lo, 0, v31
	s_wait_alu 0xfffd
	v_cndmask_b32_e32 v31, v32, v30, vcc_lo
; %bb.16:                               ;   in Loop: Header=BB591_4 Depth=1
	s_wait_alu 0xfffe
	s_or_b32 exec_lo, exec_lo, s8
	s_delay_alu instid0(VALU_DEP_1) | instskip(SKIP_2) | instid1(SALU_CYCLE_1)
	v_lshrrev_b32_e32 v30, 16, v31
	s_mov_b32 s8, exec_lo
	s_or_b32 exec_lo, exec_lo, s46
	s_and_b32 vcc_lo, exec_lo, s7
	s_wait_alu 0xfffe
	s_cbranch_vccnz .LBB591_19
	s_branch .LBB591_58
.LBB591_17:                             ;   in Loop: Header=BB591_4 Depth=1
	s_mov_b32 s8, 0
                                        ; implicit-def: $vgpr30
	s_cbranch_execnz .LBB591_19
	s_branch .LBB591_58
.LBB591_18:                             ;   in Loop: Header=BB591_4 Depth=1
	s_or_b32 exec_lo, exec_lo, s46
	s_wait_alu 0xfffe
	s_and_b32 vcc_lo, exec_lo, s7
	s_wait_alu 0xfffe
	s_cbranch_vccz .LBB591_58
.LBB591_19:                             ;   in Loop: Header=BB591_4 Depth=1
	v_dual_mov_b32 v45, 0 :: v_dual_mov_b32 v46, 0
	v_dual_mov_b32 v49, v40 :: v_dual_mov_b32 v48, 0
	v_mov_b32_e32 v47, 0
	s_and_saveexec_b32 s46, s4
	s_cbranch_execz .LBB591_31
; %bb.20:                               ;   in Loop: Header=BB591_4 Depth=1
	v_add_co_u32 v50, vcc_lo, v26, v10
	s_wait_alu 0xfffd
	v_add_co_ci_u32_e64 v51, null, v27, v11, vcc_lo
	v_add_co_u32 v52, vcc_lo, v26, v14
	s_wait_alu 0xfffd
	v_add_co_ci_u32_e64 v53, null, v27, v15, vcc_lo
	;; [unrolled: 3-line block ×3, first 2 shown]
	v_add_co_u32 v56, vcc_lo, v26, v22
	v_dual_mov_b32 v31, v29 :: v_dual_mov_b32 v46, 0
	s_wait_alu 0xfffd
	v_add_co_ci_u32_e64 v57, null, v27, v23, vcc_lo
	v_dual_mov_b32 v45, 0 :: v_dual_mov_b32 v30, v28
	v_dual_mov_b32 v49, v40 :: v_dual_mov_b32 v48, 0
	v_mov_b32_e32 v47, 0
	s_mov_b32 s47, 0
	s_branch .LBB591_25
.LBB591_21:                             ;   in Loop: Header=BB591_25 Depth=2
	s_or_b32 exec_lo, exec_lo, s50
	s_wait_loadcnt_dscnt 0x303
	v_lshlrev_b32_e32 v32, 16, v73
	s_wait_loadcnt_dscnt 0x202
	v_lshlrev_b32_e32 v33, 16, v72
	s_wait_loadcnt_dscnt 0x101
	s_delay_alu instid0(VALU_DEP_2) | instskip(NEXT) | instid1(VALU_DEP_1)
	v_dual_fmac_f32 v47, v65, v32 :: v_dual_lshlrev_b32 v32, 16, v71
	v_fmac_f32_e32 v47, v61, v33
	s_wait_loadcnt_dscnt 0x0
	s_delay_alu instid0(VALU_DEP_1) | instskip(NEXT) | instid1(VALU_DEP_1)
	v_dual_fmac_f32 v47, v63, v32 :: v_dual_lshlrev_b32 v32, 16, v70
	v_fmac_f32_e32 v47, v59, v32
.LBB591_22:                             ;   in Loop: Header=BB591_25 Depth=2
	s_or_b32 exec_lo, exec_lo, s49
	s_wait_loadcnt_dscnt 0x303
	v_lshlrev_b32_e32 v32, 16, v69
	s_wait_loadcnt_dscnt 0x202
	v_lshlrev_b32_e32 v33, 16, v68
	s_delay_alu instid0(VALU_DEP_2) | instskip(SKIP_2) | instid1(VALU_DEP_2)
	v_fmac_f32_e32 v46, v65, v32
	s_wait_loadcnt_dscnt 0x101
	v_lshlrev_b32_e32 v32, 16, v67
	v_fmac_f32_e32 v46, v61, v33
	s_delay_alu instid0(VALU_DEP_1) | instskip(SKIP_2) | instid1(VALU_DEP_1)
	v_fmac_f32_e32 v46, v63, v32
	s_wait_loadcnt_dscnt 0x0
	v_lshlrev_b32_e32 v32, 16, v66
	v_fmac_f32_e32 v46, v59, v32
.LBB591_23:                             ;   in Loop: Header=BB591_25 Depth=2
	s_or_b32 exec_lo, exec_lo, s48
	s_wait_loadcnt_dscnt 0x202
	v_lshlrev_b32_e32 v33, 16, v62
	v_lshlrev_b32_e32 v32, 16, v64
	s_delay_alu instid0(VALU_DEP_1) | instskip(SKIP_1) | instid1(VALU_DEP_1)
	v_fmac_f32_e32 v45, v65, v32
	s_wait_loadcnt_dscnt 0x101
	v_dual_fmac_f32 v45, v61, v33 :: v_dual_lshlrev_b32 v32, 16, v60
	s_wait_loadcnt_dscnt 0x0
	s_delay_alu instid0(VALU_DEP_1) | instskip(NEXT) | instid1(VALU_DEP_1)
	v_dual_fmac_f32 v45, v63, v32 :: v_dual_lshlrev_b32 v32, 16, v58
	v_fmac_f32_e32 v45, v59, v32
.LBB591_24:                             ;   in Loop: Header=BB591_25 Depth=2
	s_wait_alu 0xfffe
	s_or_b32 exec_lo, exec_lo, s7
	v_add_co_u32 v30, vcc_lo, v30, s38
	s_wait_alu 0xfffd
	v_add_co_ci_u32_e64 v31, null, s39, v31, vcc_lo
	v_add_co_u32 v50, vcc_lo, v50, s40
	v_add_nc_u32_e32 v49, 64, v49
	s_wait_alu 0xfffd
	v_add_co_ci_u32_e64 v51, null, s41, v51, vcc_lo
	v_add_co_u32 v52, vcc_lo, v52, s40
	s_wait_alu 0xfffd
	v_add_co_ci_u32_e64 v53, null, s41, v53, vcc_lo
	v_add_co_u32 v54, vcc_lo, v54, s40
	s_wait_alu 0xfffd
	v_add_co_ci_u32_e64 v55, null, s41, v55, vcc_lo
	v_cmp_le_i32_e32 vcc_lo, s42, v49
	v_add_co_u32 v56, s7, v56, s40
	s_wait_alu 0xf1ff
	v_add_co_ci_u32_e64 v57, null, s41, v57, s7
	s_or_b32 s47, vcc_lo, s47
	s_delay_alu instid0(SALU_CYCLE_1)
	s_and_not1_b32 exec_lo, exec_lo, s47
	s_cbranch_execz .LBB591_30
.LBB591_25:                             ;   Parent Loop BB591_4 Depth=1
                                        ; =>  This Inner Loop Header: Depth=2
	s_and_saveexec_b32 s7, s0
	s_cbranch_execz .LBB591_24
; %bb.26:                               ;   in Loop: Header=BB591_25 Depth=2
	v_add_co_u32 v32, vcc_lo, v30, v6
	s_wait_alu 0xfffd
	v_add_co_ci_u32_e64 v33, null, v31, v7, vcc_lo
	v_add_co_u32 v34, vcc_lo, v30, v20
	s_wait_alu 0xfffd
	v_add_co_ci_u32_e64 v35, null, v31, v21, vcc_lo
	v_add_co_u32 v36, vcc_lo, v30, v18
	s_wait_alu 0xfffd
	v_add_co_ci_u32_e64 v37, null, v31, v19, vcc_lo
	v_add_co_u32 v38, vcc_lo, v30, v12
	s_wait_alu 0xfffd
	v_add_co_ci_u32_e64 v39, null, v31, v13, vcc_lo
	s_clause 0x3
	flat_load_u16 v59, v[32:33]
	flat_load_u16 v61, v[34:35]
	;; [unrolled: 1-line block ×4, first 2 shown]
	v_add_co_u32 v32, vcc_lo, v52, v8
	s_wait_alu 0xfffd
	v_add_co_ci_u32_e64 v33, null, v53, v9, vcc_lo
	v_add_co_u32 v36, vcc_lo, v56, v8
	s_wait_alu 0xfffd
	v_add_co_ci_u32_e64 v37, null, v57, v9, vcc_lo
	;; [unrolled: 3-line block ×4, first 2 shown]
	flat_load_u16 v64, v[32:33]
	flat_load_u16 v62, v[36:37]
	;; [unrolled: 1-line block ×4, first 2 shown]
	s_wait_loadcnt_dscnt 0x707
	v_lshlrev_b32_e32 v65, 16, v59
	s_wait_loadcnt_dscnt 0x606
	v_lshlrev_b32_e32 v61, 16, v61
	s_wait_loadcnt_dscnt 0x505
	v_lshlrev_b32_e32 v63, 16, v63
	s_wait_loadcnt_dscnt 0x404
	v_lshlrev_b32_e32 v59, 16, v66
	s_and_saveexec_b32 s48, s1
	s_cbranch_execz .LBB591_23
; %bb.27:                               ;   in Loop: Header=BB591_25 Depth=2
	flat_load_u16 v69, v[32:33] offset:64
	flat_load_u16 v68, v[36:37] offset:64
	flat_load_u16 v67, v[34:35] offset:64
	flat_load_u16 v66, v[38:39] offset:64
	s_and_saveexec_b32 s49, s2
	s_cbranch_execz .LBB591_22
; %bb.28:                               ;   in Loop: Header=BB591_25 Depth=2
	flat_load_u16 v73, v[32:33] offset:128
	flat_load_u16 v72, v[36:37] offset:128
	flat_load_u16 v71, v[34:35] offset:128
	flat_load_u16 v70, v[38:39] offset:128
	;; [unrolled: 7-line block ×3, first 2 shown]
	s_wait_loadcnt_dscnt 0x303
	v_lshlrev_b32_e32 v32, 16, v32
	s_wait_loadcnt_dscnt 0x202
	s_delay_alu instid0(VALU_DEP_1) | instskip(SKIP_3) | instid1(VALU_DEP_2)
	v_dual_fmac_f32 v48, v65, v32 :: v_dual_lshlrev_b32 v33, 16, v33
	s_wait_loadcnt_dscnt 0x101
	v_lshlrev_b32_e32 v32, 16, v34
	s_wait_loadcnt_dscnt 0x0
	v_dual_fmac_f32 v48, v61, v33 :: v_dual_lshlrev_b32 v33, 16, v35
	s_delay_alu instid0(VALU_DEP_1) | instskip(NEXT) | instid1(VALU_DEP_1)
	v_fmac_f32_e32 v48, v63, v32
	v_fmac_f32_e32 v48, v59, v33
	s_branch .LBB591_21
.LBB591_30:                             ;   in Loop: Header=BB591_4 Depth=1
	s_or_b32 exec_lo, exec_lo, s47
.LBB591_31:                             ;   in Loop: Header=BB591_4 Depth=1
	s_delay_alu instid0(SALU_CYCLE_1) | instskip(NEXT) | instid1(SALU_CYCLE_1)
	s_or_b32 exec_lo, exec_lo, s46
	s_and_not1_b32 vcc_lo, exec_lo, s43
	s_wait_alu 0xfffe
	s_cbranch_vccnz .LBB591_49
; %bb.32:                               ;   in Loop: Header=BB591_4 Depth=1
	v_cmp_gt_i32_e32 vcc_lo, s9, v49
	v_dual_mov_b32 v35, 0 :: v_dual_mov_b32 v34, 0
	v_or_b32_e32 v30, 1, v49
	v_dual_mov_b32 v37, 0 :: v_dual_mov_b32 v36, 0
	s_and_saveexec_b32 s46, vcc_lo
	s_cbranch_execz .LBB591_40
; %bb.33:                               ;   in Loop: Header=BB591_4 Depth=1
	v_mad_co_u64_u32 v[31:32], null, s36, v49, 0
	v_dual_mov_b32 v36, 0 :: v_dual_mov_b32 v35, 0
	v_mov_b32_e32 v34, 0
	s_mov_b32 s47, exec_lo
	s_delay_alu instid0(VALU_DEP_3) | instskip(NEXT) | instid1(VALU_DEP_1)
	v_mad_co_u64_u32 v[32:33], null, s37, v49, v[32:33]
	v_lshlrev_b64_e32 v[31:32], 1, v[31:32]
	s_delay_alu instid0(VALU_DEP_1) | instskip(SKIP_1) | instid1(VALU_DEP_2)
	v_add_co_u32 v31, s7, v28, v31
	s_wait_alu 0xf1ff
	v_add_co_ci_u32_e64 v32, null, v29, v32, s7
	flat_load_u16 v31, v[31:32]
	v_cmpx_gt_i32_e64 s9, v30
	s_cbranch_execz .LBB591_39
; %bb.34:                               ;   in Loop: Header=BB591_4 Depth=1
	v_mad_co_u64_u32 v[32:33], null, s36, v30, 0
	s_mov_b32 s48, exec_lo
	v_mov_b32_e32 v35, 0
	v_mad_co_u64_u32 v[33:34], null, s37, v30, v[33:34]
	v_mov_b32_e32 v34, 0
	s_delay_alu instid0(VALU_DEP_2) | instskip(NEXT) | instid1(VALU_DEP_1)
	v_lshlrev_b64_e32 v[32:33], 1, v[32:33]
	v_add_co_u32 v32, s7, v28, v32
	s_wait_alu 0xf1ff
	s_delay_alu instid0(VALU_DEP_2) | instskip(SKIP_2) | instid1(VALU_DEP_1)
	v_add_co_ci_u32_e64 v33, null, v29, v33, s7
	flat_load_u16 v32, v[32:33]
	v_or_b32_e32 v33, 2, v49
	v_cmpx_gt_i32_e64 s9, v33
	s_cbranch_execz .LBB591_38
; %bb.35:                               ;   in Loop: Header=BB591_4 Depth=1
	v_mad_co_u64_u32 v[34:35], null, s36, v33, 0
	s_mov_b32 s49, exec_lo
	v_mad_co_u64_u32 v[35:36], null, s37, v33, v[35:36]
	s_delay_alu instid0(VALU_DEP_1) | instskip(SKIP_1) | instid1(VALU_DEP_2)
	v_lshlrev_b64_e32 v[33:34], 1, v[34:35]
	v_or_b32_e32 v35, 3, v49
	v_add_co_u32 v33, s7, v28, v33
	s_wait_alu 0xf1ff
	s_delay_alu instid0(VALU_DEP_3)
	v_add_co_ci_u32_e64 v34, null, v29, v34, s7
	flat_load_u16 v33, v[33:34]
	v_mov_b32_e32 v34, 0
	v_cmpx_gt_i32_e64 s9, v35
	s_cbranch_execz .LBB591_37
; %bb.36:                               ;   in Loop: Header=BB591_4 Depth=1
	v_mad_co_u64_u32 v[36:37], null, s36, v35, 0
	s_delay_alu instid0(VALU_DEP_1) | instskip(NEXT) | instid1(VALU_DEP_1)
	v_mov_b32_e32 v34, v37
	v_mad_co_u64_u32 v[34:35], null, s37, v35, v[34:35]
	s_delay_alu instid0(VALU_DEP_1) | instskip(NEXT) | instid1(VALU_DEP_1)
	v_mov_b32_e32 v37, v34
	v_lshlrev_b64_e32 v[34:35], 1, v[36:37]
	s_delay_alu instid0(VALU_DEP_1) | instskip(SKIP_1) | instid1(VALU_DEP_2)
	v_add_co_u32 v28, s7, v28, v34
	s_wait_alu 0xf1ff
	v_add_co_ci_u32_e64 v29, null, v29, v35, s7
	flat_load_u16 v28, v[28:29]
	s_wait_loadcnt_dscnt 0x0
	v_lshlrev_b32_e32 v34, 16, v28
.LBB591_37:                             ;   in Loop: Header=BB591_4 Depth=1
	s_or_b32 exec_lo, exec_lo, s49
	s_wait_loadcnt_dscnt 0x0
	v_lshlrev_b32_e32 v35, 16, v33
.LBB591_38:                             ;   in Loop: Header=BB591_4 Depth=1
	s_or_b32 exec_lo, exec_lo, s48
	s_wait_loadcnt_dscnt 0x0
	v_lshlrev_b32_e32 v36, 16, v32
.LBB591_39:                             ;   in Loop: Header=BB591_4 Depth=1
	s_or_b32 exec_lo, exec_lo, s47
	s_wait_loadcnt_dscnt 0x0
	v_lshlrev_b32_e32 v37, 16, v31
.LBB591_40:                             ;   in Loop: Header=BB591_4 Depth=1
	s_or_b32 exec_lo, exec_lo, s46
	s_and_saveexec_b32 s46, s0
	s_cbranch_execz .LBB591_48
; %bb.41:                               ;   in Loop: Header=BB591_4 Depth=1
	v_mad_co_u64_u32 v[28:29], null, s34, v49, 0
	v_or_b32_e32 v52, 2, v49
	v_mad_co_u64_u32 v[31:32], null, s34, v30, 0
	v_or_b32_e32 v53, 3, v49
	v_cmp_gt_i32_e64 s7, s9, v30
	s_delay_alu instid0(VALU_DEP_4) | instskip(SKIP_3) | instid1(VALU_DEP_4)
	v_mad_co_u64_u32 v[38:39], null, s34, v52, 0
	v_mad_co_u64_u32 v[49:50], null, s35, v49, v[29:30]
	;; [unrolled: 1-line block ×4, first 2 shown]
	v_mov_b32_e32 v30, v39
	s_delay_alu instid0(VALU_DEP_4)
	v_dual_cndmask_b32 v50, 0, v28 :: v_dual_cndmask_b32 v51, 0, v49
	s_wait_alu 0xf1ff
	v_cndmask_b32_e64 v28, 0, v31, s7
	v_cndmask_b32_e64 v29, 0, v29, s7
	v_mad_co_u64_u32 v[30:31], null, s35, v52, v[30:31]
	v_mov_b32_e32 v31, v33
	v_lshlrev_b64_e32 v[49:50], 1, v[50:51]
	v_cmp_gt_i32_e32 vcc_lo, s9, v52
	v_lshlrev_b64_e32 v[51:52], 1, v[28:29]
	s_wait_alu 0xfffd
	v_cndmask_b32_e32 v39, 0, v30, vcc_lo
	s_delay_alu instid0(VALU_DEP_4)
	v_add_co_u32 v28, s7, v26, v49
	s_wait_alu 0xf1ff
	v_add_co_ci_u32_e64 v29, null, v27, v50, s7
	v_mad_co_u64_u32 v[30:31], null, s35, v53, v[31:32]
	v_cndmask_b32_e32 v38, 0, v38, vcc_lo
	v_add_co_u32 v28, vcc_lo, v28, v8
	s_wait_alu 0xfffd
	v_add_co_ci_u32_e64 v29, null, v29, v9, vcc_lo
	v_cmp_gt_i32_e32 vcc_lo, s9, v53
	v_add_co_u32 v31, s7, v26, v51
	s_wait_alu 0xf1ff
	v_add_co_ci_u32_e64 v49, null, v27, v52, s7
	s_wait_alu 0xfffd
	v_dual_cndmask_b32 v32, 0, v32 :: v_dual_cndmask_b32 v33, 0, v30
	v_lshlrev_b64_e32 v[38:39], 1, v[38:39]
	v_add_co_u32 v30, vcc_lo, v31, v8
	s_wait_alu 0xfffd
	v_add_co_ci_u32_e64 v31, null, v49, v9, vcc_lo
	v_lshlrev_b64_e32 v[32:33], 1, v[32:33]
	s_delay_alu instid0(VALU_DEP_4) | instskip(SKIP_2) | instid1(VALU_DEP_3)
	v_add_co_u32 v38, vcc_lo, v26, v38
	s_wait_alu 0xfffd
	v_add_co_ci_u32_e64 v39, null, v27, v39, vcc_lo
	v_add_co_u32 v32, vcc_lo, v26, v32
	s_wait_alu 0xfffd
	v_add_co_ci_u32_e64 v33, null, v27, v33, vcc_lo
	;; [unrolled: 3-line block ×4, first 2 shown]
	s_clause 0x3
	flat_load_u16 v50, v[28:29]
	flat_load_u16 v49, v[30:31]
	;; [unrolled: 1-line block ×4, first 2 shown]
	s_and_saveexec_b32 s7, s1
	s_cbranch_execz .LBB591_47
; %bb.42:                               ;   in Loop: Header=BB591_4 Depth=1
	s_clause 0x3
	flat_load_u16 v54, v[28:29] offset:64
	flat_load_u16 v53, v[30:31] offset:64
	flat_load_u16 v52, v[26:27] offset:64
	flat_load_u16 v51, v[32:33] offset:64
	s_and_saveexec_b32 s47, s2
	s_cbranch_execz .LBB591_46
; %bb.43:                               ;   in Loop: Header=BB591_4 Depth=1
	s_clause 0x3
	flat_load_u16 v58, v[28:29] offset:128
	flat_load_u16 v57, v[30:31] offset:128
	flat_load_u16 v56, v[26:27] offset:128
	flat_load_u16 v55, v[32:33] offset:128
	;; [unrolled: 8-line block ×3, first 2 shown]
	s_wait_loadcnt_dscnt 0x303
	v_lshlrev_b32_e32 v28, 16, v28
	s_wait_loadcnt_dscnt 0x202
	v_lshlrev_b32_e32 v29, 16, v29
	;; [unrolled: 2-line block ×3, first 2 shown]
	s_wait_loadcnt_dscnt 0x0
	v_dual_fmac_f32 v48, v37, v28 :: v_dual_lshlrev_b32 v27, 16, v27
	s_delay_alu instid0(VALU_DEP_1) | instskip(NEXT) | instid1(VALU_DEP_1)
	v_fmac_f32_e32 v48, v36, v29
	v_fmac_f32_e32 v48, v35, v26
	s_delay_alu instid0(VALU_DEP_1)
	v_fmac_f32_e32 v48, v34, v27
.LBB591_45:                             ;   in Loop: Header=BB591_4 Depth=1
	s_or_b32 exec_lo, exec_lo, s48
	s_wait_loadcnt_dscnt 0x202
	v_lshlrev_b32_e32 v27, 16, v57
	v_lshlrev_b32_e32 v26, 16, v58
	s_wait_loadcnt_dscnt 0x101
	s_delay_alu instid0(VALU_DEP_1) | instskip(NEXT) | instid1(VALU_DEP_1)
	v_dual_fmac_f32 v47, v37, v26 :: v_dual_lshlrev_b32 v26, 16, v56
	v_fmac_f32_e32 v47, v36, v27
	s_wait_loadcnt_dscnt 0x0
	s_delay_alu instid0(VALU_DEP_1) | instskip(NEXT) | instid1(VALU_DEP_1)
	v_dual_fmac_f32 v47, v35, v26 :: v_dual_lshlrev_b32 v26, 16, v55
	v_fmac_f32_e32 v47, v34, v26
.LBB591_46:                             ;   in Loop: Header=BB591_4 Depth=1
	s_or_b32 exec_lo, exec_lo, s47
	s_wait_loadcnt_dscnt 0x303
	v_lshlrev_b32_e32 v26, 16, v54
	s_wait_loadcnt_dscnt 0x202
	s_delay_alu instid0(VALU_DEP_1) | instskip(SKIP_2) | instid1(VALU_DEP_2)
	v_dual_fmac_f32 v46, v37, v26 :: v_dual_lshlrev_b32 v27, 16, v53
	s_wait_loadcnt_dscnt 0x101
	v_lshlrev_b32_e32 v26, 16, v52
	v_fmac_f32_e32 v46, v36, v27
	s_delay_alu instid0(VALU_DEP_1) | instskip(SKIP_2) | instid1(VALU_DEP_1)
	v_fmac_f32_e32 v46, v35, v26
	s_wait_loadcnt_dscnt 0x0
	v_lshlrev_b32_e32 v26, 16, v51
	v_fmac_f32_e32 v46, v34, v26
.LBB591_47:                             ;   in Loop: Header=BB591_4 Depth=1
	s_wait_alu 0xfffe
	s_or_b32 exec_lo, exec_lo, s7
	s_wait_loadcnt_dscnt 0x202
	v_lshlrev_b32_e32 v27, 16, v49
	v_lshlrev_b32_e32 v26, 16, v50
	s_wait_loadcnt_dscnt 0x101
	s_delay_alu instid0(VALU_DEP_1) | instskip(NEXT) | instid1(VALU_DEP_1)
	v_dual_fmac_f32 v45, v37, v26 :: v_dual_lshlrev_b32 v26, 16, v39
	v_fmac_f32_e32 v45, v36, v27
	s_delay_alu instid0(VALU_DEP_1) | instskip(SKIP_2) | instid1(VALU_DEP_1)
	v_fmac_f32_e32 v45, v35, v26
	s_wait_loadcnt_dscnt 0x0
	v_lshlrev_b32_e32 v26, 16, v38
	v_fmac_f32_e32 v45, v34, v26
.LBB591_48:                             ;   in Loop: Header=BB591_4 Depth=1
	s_or_b32 exec_lo, exec_lo, s46
.LBB591_49:                             ;   in Loop: Header=BB591_4 Depth=1
	ds_store_2addr_b32 v0, v45, v46 offset1:32
	ds_store_2addr_b32 v0, v47, v48 offset0:64 offset1:96
	s_wait_dscnt 0x0
	s_barrier_signal -1
	s_barrier_wait -1
	global_inv scope:SCOPE_SE
                                        ; implicit-def: $vgpr30
	s_and_saveexec_b32 s7, s5
	s_cbranch_execz .LBB591_71
; %bb.50:                               ;   in Loop: Header=BB591_4 Depth=1
	ds_load_2addr_stride64_b32 v[26:27], v41 offset1:2
	ds_load_2addr_stride64_b32 v[28:29], v41 offset0:4 offset1:6
	ds_load_2addr_stride64_b32 v[30:31], v41 offset0:8 offset1:10
	s_mov_b32 s47, s8
	s_wait_dscnt 0x2
	v_add_f32_e32 v32, v26, v27
	ds_load_2addr_stride64_b32 v[26:27], v41 offset0:12 offset1:14
	s_wait_dscnt 0x2
	v_add_f32_e32 v28, v28, v32
	s_delay_alu instid0(VALU_DEP_1) | instskip(SKIP_3) | instid1(VALU_DEP_1)
	v_add_f32_e32 v32, v29, v28
	ds_load_2addr_stride64_b32 v[28:29], v41 offset0:16 offset1:18
	s_wait_dscnt 0x2
	v_add_f32_e32 v30, v30, v32
	v_add_f32_e32 v32, v31, v30
	ds_load_2addr_stride64_b32 v[30:31], v41 offset0:20 offset1:22
	s_wait_dscnt 0x2
	v_add_f32_e32 v26, v26, v32
	s_delay_alu instid0(VALU_DEP_1) | instskip(SKIP_1) | instid1(VALU_DEP_1)
	v_add_f32_e32 v26, v27, v26
	s_wait_dscnt 0x1
	v_add_f32_e32 v28, v28, v26
	ds_load_2addr_stride64_b32 v[26:27], v41 offset0:24 offset1:26
	v_add_f32_e32 v28, v29, v28
	s_wait_dscnt 0x1
	s_delay_alu instid0(VALU_DEP_1) | instskip(SKIP_3) | instid1(VALU_DEP_1)
	v_add_f32_e32 v30, v30, v28
	ds_load_2addr_stride64_b32 v[28:29], v41 offset0:28 offset1:30
	v_add_f32_e32 v30, v31, v30
	s_wait_dscnt 0x1
	v_add_f32_e32 v26, v26, v30
                                        ; implicit-def: $vgpr30
	s_delay_alu instid0(VALU_DEP_1) | instskip(SKIP_1) | instid1(VALU_DEP_1)
	v_add_f32_e32 v26, v27, v26
	s_wait_dscnt 0x0
	v_add_f32_e32 v26, v28, v26
	s_delay_alu instid0(VALU_DEP_1)
	v_add_f32_e32 v26, v29, v26
	ds_store_b32 v41, v26
	s_and_saveexec_b32 s46, s6
	s_cbranch_execz .LBB591_70
; %bb.51:                               ;   in Loop: Header=BB591_4 Depth=1
	v_mul_f32_e32 v26, v44, v26
	s_cmp_eq_f32 s45, 0
	s_cbranch_scc0 .LBB591_59
; %bb.52:                               ;   in Loop: Header=BB591_4 Depth=1
	s_delay_alu instid0(VALU_DEP_1) | instskip(NEXT) | instid1(VALU_DEP_1)
	v_and_b32_e32 v27, 0x7f800000, v26
	v_cmp_ne_u32_e32 vcc_lo, 0x7f800000, v27
                                        ; implicit-def: $vgpr27
	s_and_saveexec_b32 s47, vcc_lo
	s_delay_alu instid0(SALU_CYCLE_1)
	s_xor_b32 s47, exec_lo, s47
; %bb.53:                               ;   in Loop: Header=BB591_4 Depth=1
	v_bfe_u32 v27, v26, 16, 1
	s_delay_alu instid0(VALU_DEP_1)
	v_add3_u32 v27, v26, v27, 0x7fff
; %bb.54:                               ;   in Loop: Header=BB591_4 Depth=1
	s_and_not1_saveexec_b32 s47, s47
; %bb.55:                               ;   in Loop: Header=BB591_4 Depth=1
	v_and_b32_e32 v27, 0xffff, v26
	v_or_b32_e32 v28, 0x10000, v26
	s_delay_alu instid0(VALU_DEP_2) | instskip(SKIP_1) | instid1(VALU_DEP_2)
	v_cmp_eq_u32_e32 vcc_lo, 0, v27
	s_wait_alu 0xfffd
	v_cndmask_b32_e32 v27, v28, v26, vcc_lo
; %bb.56:                               ;   in Loop: Header=BB591_4 Depth=1
	s_or_b32 exec_lo, exec_lo, s47
	s_cbranch_execz .LBB591_60
	s_branch .LBB591_69
.LBB591_57:                             ;   in Loop: Header=BB591_4 Depth=1
	v_mov_b32_e32 v30, 0
	s_mov_b32 s8, exec_lo
	s_or_b32 exec_lo, exec_lo, s46
	s_wait_alu 0xfffe
	s_and_b32 vcc_lo, exec_lo, s7
	s_wait_alu 0xfffe
	s_cbranch_vccnz .LBB591_19
.LBB591_58:                             ;   in Loop: Header=BB591_4 Depth=1
	v_dual_mov_b32 v27, v3 :: v_dual_mov_b32 v26, v2
	s_wait_alu 0xfffe
	s_and_saveexec_b32 s7, s8
	s_cbranch_execz .LBB591_2
	s_branch .LBB591_72
.LBB591_59:                             ;   in Loop: Header=BB591_4 Depth=1
                                        ; implicit-def: $vgpr27
.LBB591_60:                             ;   in Loop: Header=BB591_4 Depth=1
	v_lshlrev_b64_e32 v[27:28], 1, v[4:5]
	s_delay_alu instid0(VALU_DEP_1) | instskip(SKIP_1) | instid1(VALU_DEP_2)
	v_add_co_u32 v27, vcc_lo, v42, v27
	s_wait_alu 0xfffd
	v_add_co_ci_u32_e64 v28, null, v43, v28, vcc_lo
	flat_load_u16 v27, v[27:28]
	s_wait_loadcnt_dscnt 0x0
	v_lshlrev_b32_e32 v27, 16, v27
	s_delay_alu instid0(VALU_DEP_1) | instskip(NEXT) | instid1(VALU_DEP_1)
	v_mul_f32_e32 v27, s45, v27
	v_and_b32_e32 v28, 0x7f800000, v27
	s_delay_alu instid0(VALU_DEP_1)
	v_cmp_ne_u32_e32 vcc_lo, 0x7f800000, v28
                                        ; implicit-def: $vgpr28
	s_and_saveexec_b32 s45, vcc_lo
	s_wait_alu 0xfffe
	s_xor_b32 s45, exec_lo, s45
; %bb.61:                               ;   in Loop: Header=BB591_4 Depth=1
	v_bfe_u32 v28, v27, 16, 1
	s_delay_alu instid0(VALU_DEP_1)
	v_add3_u32 v28, v27, v28, 0x7fff
                                        ; implicit-def: $vgpr27
; %bb.62:                               ;   in Loop: Header=BB591_4 Depth=1
	s_wait_alu 0xfffe
	s_and_not1_saveexec_b32 s45, s45
; %bb.63:                               ;   in Loop: Header=BB591_4 Depth=1
	v_and_b32_e32 v28, 0xffff, v27
	v_or_b32_e32 v29, 0x10000, v27
	s_delay_alu instid0(VALU_DEP_2) | instskip(SKIP_1) | instid1(VALU_DEP_2)
	v_cmp_eq_u32_e32 vcc_lo, 0, v28
	s_wait_alu 0xfffd
	v_cndmask_b32_e32 v28, v29, v27, vcc_lo
; %bb.64:                               ;   in Loop: Header=BB591_4 Depth=1
	s_wait_alu 0xfffe
	s_or_b32 exec_lo, exec_lo, s45
	s_delay_alu instid0(VALU_DEP_1) | instskip(NEXT) | instid1(VALU_DEP_1)
	v_and_b32_e32 v27, 0xffff0000, v28
	v_add_f32_e32 v26, v26, v27
	s_delay_alu instid0(VALU_DEP_1) | instskip(NEXT) | instid1(VALU_DEP_1)
	v_and_b32_e32 v27, 0x7f800000, v26
	v_cmp_ne_u32_e32 vcc_lo, 0x7f800000, v27
                                        ; implicit-def: $vgpr27
	s_and_saveexec_b32 s45, vcc_lo
	s_wait_alu 0xfffe
	s_xor_b32 s45, exec_lo, s45
; %bb.65:                               ;   in Loop: Header=BB591_4 Depth=1
	v_bfe_u32 v27, v26, 16, 1
	s_delay_alu instid0(VALU_DEP_1)
	v_add3_u32 v27, v26, v27, 0x7fff
                                        ; implicit-def: $vgpr26
; %bb.66:                               ;   in Loop: Header=BB591_4 Depth=1
	s_wait_alu 0xfffe
	s_and_not1_saveexec_b32 s45, s45
; %bb.67:                               ;   in Loop: Header=BB591_4 Depth=1
	v_and_b32_e32 v27, 0xffff, v26
	v_or_b32_e32 v28, 0x10000, v26
	s_delay_alu instid0(VALU_DEP_2) | instskip(SKIP_1) | instid1(VALU_DEP_2)
	v_cmp_eq_u32_e32 vcc_lo, 0, v27
	s_wait_alu 0xfffd
	v_cndmask_b32_e32 v27, v28, v26, vcc_lo
; %bb.68:                               ;   in Loop: Header=BB591_4 Depth=1
	s_wait_alu 0xfffe
	s_or_b32 exec_lo, exec_lo, s45
.LBB591_69:                             ;   in Loop: Header=BB591_4 Depth=1
	s_delay_alu instid0(VALU_DEP_1)
	v_lshrrev_b32_e32 v30, 16, v27
	s_or_b32 s47, s8, exec_lo
.LBB591_70:                             ;   in Loop: Header=BB591_4 Depth=1
	s_or_b32 exec_lo, exec_lo, s46
	s_delay_alu instid0(SALU_CYCLE_1)
	s_and_not1_b32 s8, s8, exec_lo
	s_and_b32 s45, s47, exec_lo
	s_wait_alu 0xfffe
	s_or_b32 s8, s8, s45
.LBB591_71:                             ;   in Loop: Header=BB591_4 Depth=1
	s_wait_alu 0xfffe
	s_or_b32 exec_lo, exec_lo, s7
	v_dual_mov_b32 v27, v5 :: v_dual_mov_b32 v26, v4
	s_and_saveexec_b32 s7, s8
	s_cbranch_execz .LBB591_2
.LBB591_72:                             ;   in Loop: Header=BB591_4 Depth=1
	s_delay_alu instid0(VALU_DEP_1) | instskip(NEXT) | instid1(VALU_DEP_1)
	v_lshlrev_b64_e32 v[26:27], 1, v[26:27]
	v_add_co_u32 v26, vcc_lo, v42, v26
	s_wait_alu 0xfffd
	s_delay_alu instid0(VALU_DEP_2)
	v_add_co_ci_u32_e64 v27, null, v43, v27, vcc_lo
	flat_store_b16 v[26:27], v30
	s_branch .LBB591_2
.LBB591_73:
	s_endpgm
	.section	.rodata,"a",@progbits
	.p2align	6, 0x0
	.amdhsa_kernel _ZL20rocblas_gemvn_kernelILi32ELi16ElPK16rocblas_bfloat16PKfKPS0_EviiT3_lPKT2_lT1_lSA_lSB_lS7_lPT4_lSB_li
		.amdhsa_group_segment_fixed_size 8192
		.amdhsa_private_segment_fixed_size 0
		.amdhsa_kernarg_size 400
		.amdhsa_user_sgpr_count 2
		.amdhsa_user_sgpr_dispatch_ptr 0
		.amdhsa_user_sgpr_queue_ptr 0
		.amdhsa_user_sgpr_kernarg_segment_ptr 1
		.amdhsa_user_sgpr_dispatch_id 0
		.amdhsa_user_sgpr_private_segment_size 0
		.amdhsa_wavefront_size32 1
		.amdhsa_uses_dynamic_stack 0
		.amdhsa_enable_private_segment 0
		.amdhsa_system_sgpr_workgroup_id_x 1
		.amdhsa_system_sgpr_workgroup_id_y 0
		.amdhsa_system_sgpr_workgroup_id_z 1
		.amdhsa_system_sgpr_workgroup_info 0
		.amdhsa_system_vgpr_workitem_id 1
		.amdhsa_next_free_vgpr 74
		.amdhsa_next_free_sgpr 51
		.amdhsa_reserve_vcc 1
		.amdhsa_float_round_mode_32 0
		.amdhsa_float_round_mode_16_64 0
		.amdhsa_float_denorm_mode_32 3
		.amdhsa_float_denorm_mode_16_64 3
		.amdhsa_fp16_overflow 0
		.amdhsa_workgroup_processor_mode 1
		.amdhsa_memory_ordered 1
		.amdhsa_forward_progress 1
		.amdhsa_inst_pref_size 34
		.amdhsa_round_robin_scheduling 0
		.amdhsa_exception_fp_ieee_invalid_op 0
		.amdhsa_exception_fp_denorm_src 0
		.amdhsa_exception_fp_ieee_div_zero 0
		.amdhsa_exception_fp_ieee_overflow 0
		.amdhsa_exception_fp_ieee_underflow 0
		.amdhsa_exception_fp_ieee_inexact 0
		.amdhsa_exception_int_div_zero 0
	.end_amdhsa_kernel
	.section	.text._ZL20rocblas_gemvn_kernelILi32ELi16ElPK16rocblas_bfloat16PKfKPS0_EviiT3_lPKT2_lT1_lSA_lSB_lS7_lPT4_lSB_li,"axG",@progbits,_ZL20rocblas_gemvn_kernelILi32ELi16ElPK16rocblas_bfloat16PKfKPS0_EviiT3_lPKT2_lT1_lSA_lSB_lS7_lPT4_lSB_li,comdat
.Lfunc_end591:
	.size	_ZL20rocblas_gemvn_kernelILi32ELi16ElPK16rocblas_bfloat16PKfKPS0_EviiT3_lPKT2_lT1_lSA_lSB_lS7_lPT4_lSB_li, .Lfunc_end591-_ZL20rocblas_gemvn_kernelILi32ELi16ElPK16rocblas_bfloat16PKfKPS0_EviiT3_lPKT2_lT1_lSA_lSB_lS7_lPT4_lSB_li
                                        ; -- End function
	.set _ZL20rocblas_gemvn_kernelILi32ELi16ElPK16rocblas_bfloat16PKfKPS0_EviiT3_lPKT2_lT1_lSA_lSB_lS7_lPT4_lSB_li.num_vgpr, 74
	.set _ZL20rocblas_gemvn_kernelILi32ELi16ElPK16rocblas_bfloat16PKfKPS0_EviiT3_lPKT2_lT1_lSA_lSB_lS7_lPT4_lSB_li.num_agpr, 0
	.set _ZL20rocblas_gemvn_kernelILi32ELi16ElPK16rocblas_bfloat16PKfKPS0_EviiT3_lPKT2_lT1_lSA_lSB_lS7_lPT4_lSB_li.numbered_sgpr, 51
	.set _ZL20rocblas_gemvn_kernelILi32ELi16ElPK16rocblas_bfloat16PKfKPS0_EviiT3_lPKT2_lT1_lSA_lSB_lS7_lPT4_lSB_li.num_named_barrier, 0
	.set _ZL20rocblas_gemvn_kernelILi32ELi16ElPK16rocblas_bfloat16PKfKPS0_EviiT3_lPKT2_lT1_lSA_lSB_lS7_lPT4_lSB_li.private_seg_size, 0
	.set _ZL20rocblas_gemvn_kernelILi32ELi16ElPK16rocblas_bfloat16PKfKPS0_EviiT3_lPKT2_lT1_lSA_lSB_lS7_lPT4_lSB_li.uses_vcc, 1
	.set _ZL20rocblas_gemvn_kernelILi32ELi16ElPK16rocblas_bfloat16PKfKPS0_EviiT3_lPKT2_lT1_lSA_lSB_lS7_lPT4_lSB_li.uses_flat_scratch, 1
	.set _ZL20rocblas_gemvn_kernelILi32ELi16ElPK16rocblas_bfloat16PKfKPS0_EviiT3_lPKT2_lT1_lSA_lSB_lS7_lPT4_lSB_li.has_dyn_sized_stack, 0
	.set _ZL20rocblas_gemvn_kernelILi32ELi16ElPK16rocblas_bfloat16PKfKPS0_EviiT3_lPKT2_lT1_lSA_lSB_lS7_lPT4_lSB_li.has_recursion, 0
	.set _ZL20rocblas_gemvn_kernelILi32ELi16ElPK16rocblas_bfloat16PKfKPS0_EviiT3_lPKT2_lT1_lSA_lSB_lS7_lPT4_lSB_li.has_indirect_call, 0
	.section	.AMDGPU.csdata,"",@progbits
; Kernel info:
; codeLenInByte = 4296
; TotalNumSgprs: 53
; NumVgprs: 74
; ScratchSize: 0
; MemoryBound: 0
; FloatMode: 240
; IeeeMode: 1
; LDSByteSize: 8192 bytes/workgroup (compile time only)
; SGPRBlocks: 0
; VGPRBlocks: 9
; NumSGPRsForWavesPerEU: 53
; NumVGPRsForWavesPerEU: 74
; Occupancy: 16
; WaveLimiterHint : 1
; COMPUTE_PGM_RSRC2:SCRATCH_EN: 0
; COMPUTE_PGM_RSRC2:USER_SGPR: 2
; COMPUTE_PGM_RSRC2:TRAP_HANDLER: 0
; COMPUTE_PGM_RSRC2:TGID_X_EN: 1
; COMPUTE_PGM_RSRC2:TGID_Y_EN: 0
; COMPUTE_PGM_RSRC2:TGID_Z_EN: 1
; COMPUTE_PGM_RSRC2:TIDIG_COMP_CNT: 1
	.section	.text._ZL20rocblas_gemvn_kernelILi32ELi16EiPK16rocblas_bfloat16fKPS0_EviiT3_lPKT2_lT1_lS8_lS9_lS5_lPT4_lS9_li,"axG",@progbits,_ZL20rocblas_gemvn_kernelILi32ELi16EiPK16rocblas_bfloat16fKPS0_EviiT3_lPKT2_lT1_lS8_lS9_lS5_lPT4_lS9_li,comdat
	.globl	_ZL20rocblas_gemvn_kernelILi32ELi16EiPK16rocblas_bfloat16fKPS0_EviiT3_lPKT2_lT1_lS8_lS9_lS5_lPT4_lS9_li ; -- Begin function _ZL20rocblas_gemvn_kernelILi32ELi16EiPK16rocblas_bfloat16fKPS0_EviiT3_lPKT2_lT1_lS8_lS9_lS5_lPT4_lS9_li
	.p2align	8
	.type	_ZL20rocblas_gemvn_kernelILi32ELi16EiPK16rocblas_bfloat16fKPS0_EviiT3_lPKT2_lT1_lS8_lS9_lS5_lPT4_lS9_li,@function
_ZL20rocblas_gemvn_kernelILi32ELi16EiPK16rocblas_bfloat16fKPS0_EviiT3_lPKT2_lT1_lS8_lS9_lS5_lPT4_lS9_li: ; @_ZL20rocblas_gemvn_kernelILi32ELi16EiPK16rocblas_bfloat16fKPS0_EviiT3_lPKT2_lT1_lS8_lS9_lS5_lPT4_lS9_li
; %bb.0:
	s_clause 0x1
	s_load_b64 s[2:3], s[0:1], 0x9c
	s_load_b32 s23, s[0:1], 0x88
	s_lshr_b32 s24, ttmp7, 16
	s_wait_kmcnt 0x0
	s_lshr_b32 s4, s2, 16
	s_and_b32 s2, s2, 0xffff
	s_and_b32 s3, s3, 0xffff
	s_mul_i32 s2, s4, s2
	s_delay_alu instid0(SALU_CYCLE_1) | instskip(NEXT) | instid1(SALU_CYCLE_1)
	s_mul_i32 s2, s2, s3
	s_cmp_lg_u32 s2, 0x200
	s_cselect_b32 s2, -1, 0
	s_cmp_ge_u32 s24, s23
	s_cselect_b32 s3, -1, 0
	s_delay_alu instid0(SALU_CYCLE_1) | instskip(NEXT) | instid1(SALU_CYCLE_1)
	s_or_b32 s2, s2, s3
	s_and_b32 vcc_lo, exec_lo, s2
	s_cbranch_vccnz .LBB592_76
; %bb.1:
	s_clause 0x7
	s_load_b32 s4, s[0:1], 0x78
	s_load_b96 s[20:22], s[0:1], 0x0
	s_load_b32 s27, s[0:1], 0x58
	s_load_b32 s28, s[0:1], 0x28
	s_load_b128 s[8:11], s[0:1], 0x38
	s_load_b32 s26, s[0:1], 0x48
	s_load_b128 s[12:15], s[0:1], 0x68
	s_load_b128 s[16:19], s[0:1], 0x18
	v_and_b32_e32 v9, 0x3ff, v0
	v_bfe_u32 v8, v0, 10, 10
	v_mov_b32_e32 v1, 0
	s_mov_b32 s25, 0
	s_delay_alu instid0(VALU_DEP_3) | instskip(NEXT) | instid1(VALU_DEP_3)
	v_lshlrev_b32_e32 v0, 2, v9
	v_lshl_add_u32 v2, v8, 5, v9
	v_lshlrev_b32_e32 v25, 2, v8
	s_delay_alu instid0(VALU_DEP_3)
	v_lshl_add_u32 v26, v8, 9, v0
	v_lshl_add_u32 v27, v8, 7, v0
	s_wait_kmcnt 0x0
	s_ashr_i32 s5, s4, 31
	s_cmp_eq_f32 s22, 0
	s_mov_b32 s2, s20
	v_cmp_gt_u32_e64 s0, 0x80, v2
	v_mul_lo_u32 v7, s28, v25
	s_cselect_b32 s29, -1, 0
	s_cmp_neq_f32 s27, 1.0
	v_or_b32_e32 v12, 3, v25
	v_mul_lo_u32 v13, v8, s26
	s_cselect_b32 s1, -1, 0
	s_cmp_neq_f32 s22, 0
	s_delay_alu instid0(VALU_DEP_2)
	v_mul_lo_u32 v32, s26, v12
	s_cselect_b32 s6, -1, 0
	s_lshl_b32 s30, ttmp9, 7
	s_ashr_i32 s3, s20, 31
	v_add_nc_u32_e32 v0, s30, v2
	v_or_b32_e32 v4, s30, v2
	s_or_b32 s31, s6, s1
	s_cmp_neq_f32 s27, 0
	v_add_nc_u32_e32 v29, s30, v9
	v_cmp_gt_i64_e32 vcc_lo, s[2:3], v[0:1]
	v_mad_co_u64_u32 v[2:3], null, s4, v0, 0
	v_cmp_gt_i32_e64 s2, s20, v4
	v_mul_lo_u32 v4, s4, v4
	s_cselect_b32 s33, -1, 0
	s_cmp_eq_f32 s27, 0
	v_add_nc_u32_e32 v5, 32, v29
	v_add_nc_u32_e32 v11, 0x60, v29
	;; [unrolled: 1-line block ×3, first 2 shown]
	s_cselect_b32 s34, -1, 0
	s_ashr_i32 s3, s21, 31
	v_cndmask_b32_e64 v28, 0, 1, s6
	s_wait_alu 0xfffe
	s_lshr_b32 s4, s3, 26
	v_cmp_gt_i32_e64 s3, s20, v5
	v_mad_co_u64_u32 v[5:6], null, s5, v0, v[3:4]
	v_cmp_gt_i32_e64 s5, s20, v11
	v_mul_lo_u32 v11, v8, s28
	s_wait_alu 0xfffe
	s_add_co_i32 s35, s21, s4
	v_cmp_gt_i32_e64 s4, s20, v10
	v_or_b32_e32 v10, 2, v25
	v_add3_u32 v0, v7, s28, v9
	v_mov_b32_e32 v3, v5
	v_ashrrev_i32_e32 v5, 31, v4
	s_and_not1_b32 s35, s35, 63
	v_mad_co_u64_u32 v[6:7], null, s28, v10, v[9:10]
	v_mad_co_u64_u32 v[7:8], null, s28, v12, v[9:10]
	v_lshl_add_u32 v30, v11, 2, v9
	v_mad_co_u64_u32 v[8:9], null, s26, v25, s[26:27]
	v_mul_lo_u32 v31, s26, v10
	s_sub_co_i32 s6, s21, s35
	v_lshlrev_b64_e32 v[9:10], 1, v[2:3]
	v_lshlrev_b64_e32 v[11:12], 1, v[4:5]
	v_cmp_gt_i32_e64 s1, s20, v29
	s_wait_alu 0xfffe
	s_cmp_gt_i32 s6, 0
	v_cmp_gt_i32_e64 s6, s35, v25
	v_lshlrev_b32_e32 v33, 2, v13
	s_cselect_b32 s20, -1, 0
	s_and_b32 s36, s0, vcc_lo
	s_lshl_b32 s37, s28, 6
	s_lshl_b32 s38, s26, 6
	s_lshl_b64 s[18:19], s[18:19], 1
	s_lshl_b64 s[10:11], s[10:11], 1
	;; [unrolled: 1-line block ×3, first 2 shown]
	s_branch .LBB592_4
.LBB592_2:                              ;   in Loop: Header=BB592_4 Depth=1
	s_wait_alu 0xfffe
	s_or_b32 exec_lo, exec_lo, s7
.LBB592_3:                              ;   in Loop: Header=BB592_4 Depth=1
	s_add_co_i32 s24, s24, 0x10000
	s_delay_alu instid0(SALU_CYCLE_1)
	s_cmp_lt_u32 s24, s23
	s_cbranch_scc0 .LBB592_76
.LBB592_4:                              ; =>This Loop Header: Depth=1
                                        ;     Child Loop BB592_28 Depth 2
	s_and_not1_b32 vcc_lo, exec_lo, s31
	s_wait_alu 0xfffe
	s_cbranch_vccnz .LBB592_3
; %bb.5:                                ;   in Loop: Header=BB592_4 Depth=1
	s_and_not1_b32 vcc_lo, exec_lo, s29
	s_wait_alu 0xfffe
	s_cbranch_vccnz .LBB592_7
; %bb.6:                                ;   in Loop: Header=BB592_4 Depth=1
	s_mov_b32 s7, 0
	s_branch .LBB592_8
.LBB592_7:                              ;   in Loop: Header=BB592_4 Depth=1
	s_mov_b32 s7, -1
.LBB592_8:                              ;   in Loop: Header=BB592_4 Depth=1
	v_mov_b32_e32 v15, 0
	v_dual_mov_b32 v16, 0 :: v_dual_mov_b32 v13, 0
	v_mov_b32_e32 v14, 0
	s_wait_alu 0xfffe
	s_and_not1_b32 vcc_lo, exec_lo, s7
	s_wait_alu 0xfffe
	s_cbranch_vccnz .LBB592_10
; %bb.9:                                ;   in Loop: Header=BB592_4 Depth=1
	s_lshl_b64 s[40:41], s[24:25], 3
	s_wait_alu 0xfffe
	s_add_nc_u64 s[40:41], s[16:17], s[40:41]
	global_load_b64 v[13:14], v1, s[40:41]
	s_wait_loadcnt 0x0
	v_add_co_u32 v13, vcc_lo, v13, s18
	s_wait_alu 0xfffd
	v_add_co_ci_u32_e64 v14, null, s19, v14, vcc_lo
.LBB592_10:                             ;   in Loop: Header=BB592_4 Depth=1
	v_cmp_ne_u32_e32 vcc_lo, 1, v28
	s_cbranch_vccnz .LBB592_12
; %bb.11:                               ;   in Loop: Header=BB592_4 Depth=1
	s_lshl_b64 s[40:41], s[24:25], 3
	s_wait_alu 0xfffe
	s_add_nc_u64 s[40:41], s[8:9], s[40:41]
	global_load_b64 v[15:16], v1, s[40:41]
	s_wait_loadcnt 0x0
	v_add_co_u32 v15, vcc_lo, v15, s10
	s_wait_alu 0xfffd
	v_add_co_ci_u32_e64 v16, null, s11, v16, vcc_lo
.LBB592_12:                             ;   in Loop: Header=BB592_4 Depth=1
	s_lshl_b64 s[40:41], s[24:25], 3
	s_wait_alu 0xfffe
	s_add_nc_u64 s[40:41], s[12:13], s[40:41]
	global_load_b64 v[17:18], v1, s[40:41]
	s_wait_loadcnt 0x0
	v_add_co_u32 v34, vcc_lo, v17, s14
	s_wait_alu 0xfffd
	v_add_co_ci_u32_e64 v35, null, s15, v18, vcc_lo
	s_and_not1_b32 vcc_lo, exec_lo, s29
	s_wait_alu 0xfffe
	s_cbranch_vccnz .LBB592_20
; %bb.13:                               ;   in Loop: Header=BB592_4 Depth=1
	s_mov_b32 s7, 0
	s_mov_b32 s39, 0
                                        ; implicit-def: $vgpr17
	s_and_saveexec_b32 s40, s36
	s_cbranch_execz .LBB592_21
; %bb.14:                               ;   in Loop: Header=BB592_4 Depth=1
	s_and_not1_b32 vcc_lo, exec_lo, s33
	s_wait_alu 0xfffe
	s_cbranch_vccnz .LBB592_73
; %bb.15:                               ;   in Loop: Header=BB592_4 Depth=1
	v_add_co_u32 v17, vcc_lo, v34, v9
	s_wait_alu 0xfffd
	v_add_co_ci_u32_e64 v18, null, v35, v10, vcc_lo
	flat_load_u16 v17, v[17:18]
	s_wait_loadcnt_dscnt 0x0
	v_lshlrev_b32_e32 v17, 16, v17
	s_delay_alu instid0(VALU_DEP_1) | instskip(NEXT) | instid1(VALU_DEP_1)
	v_mul_f32_e32 v17, s27, v17
	v_and_b32_e32 v18, 0x7f800000, v17
	s_delay_alu instid0(VALU_DEP_1) | instskip(SKIP_1) | instid1(SALU_CYCLE_1)
	v_cmp_ne_u32_e32 vcc_lo, 0x7f800000, v18
                                        ; implicit-def: $vgpr18
	s_and_saveexec_b32 s39, vcc_lo
	s_xor_b32 s39, exec_lo, s39
; %bb.16:                               ;   in Loop: Header=BB592_4 Depth=1
	v_bfe_u32 v18, v17, 16, 1
	s_delay_alu instid0(VALU_DEP_1)
	v_add3_u32 v18, v17, v18, 0x7fff
                                        ; implicit-def: $vgpr17
; %bb.17:                               ;   in Loop: Header=BB592_4 Depth=1
	s_and_not1_saveexec_b32 s39, s39
; %bb.18:                               ;   in Loop: Header=BB592_4 Depth=1
	v_and_b32_e32 v18, 0xffff, v17
	v_or_b32_e32 v19, 0x10000, v17
	s_delay_alu instid0(VALU_DEP_2) | instskip(SKIP_1) | instid1(VALU_DEP_2)
	v_cmp_eq_u32_e32 vcc_lo, 0, v18
	s_wait_alu 0xfffd
	v_cndmask_b32_e32 v18, v19, v17, vcc_lo
; %bb.19:                               ;   in Loop: Header=BB592_4 Depth=1
	s_or_b32 exec_lo, exec_lo, s39
	s_delay_alu instid0(VALU_DEP_1) | instskip(SKIP_2) | instid1(SALU_CYCLE_1)
	v_lshrrev_b32_e32 v17, 16, v18
	s_mov_b32 s39, exec_lo
	s_or_b32 exec_lo, exec_lo, s40
	s_and_b32 vcc_lo, exec_lo, s7
	s_wait_alu 0xfffe
	s_cbranch_vccnz .LBB592_22
	s_branch .LBB592_74
.LBB592_20:                             ;   in Loop: Header=BB592_4 Depth=1
	s_mov_b32 s39, 0
                                        ; implicit-def: $vgpr17
	s_cbranch_execnz .LBB592_22
	s_branch .LBB592_74
.LBB592_21:                             ;   in Loop: Header=BB592_4 Depth=1
	s_wait_alu 0xfffe
	s_or_b32 exec_lo, exec_lo, s40
	s_delay_alu instid0(SALU_CYCLE_1)
	s_and_b32 vcc_lo, exec_lo, s7
	s_wait_alu 0xfffe
	s_cbranch_vccz .LBB592_74
.LBB592_22:                             ;   in Loop: Header=BB592_4 Depth=1
	v_dual_mov_b32 v36, 0 :: v_dual_mov_b32 v37, 0
	v_dual_mov_b32 v40, v25 :: v_dual_mov_b32 v39, 0
	v_mov_b32_e32 v38, 0
	s_and_saveexec_b32 s7, s6
	s_cbranch_execz .LBB592_34
; %bb.23:                               ;   in Loop: Header=BB592_4 Depth=1
	v_dual_mov_b32 v36, 0 :: v_dual_mov_b32 v41, v30
	v_dual_mov_b32 v42, v7 :: v_dual_mov_b32 v43, v6
	;; [unrolled: 1-line block ×4, first 2 shown]
	v_mov_b32_e32 v38, 0
	s_mov_b32 s40, 0
	s_mov_b32 s41, 0
	s_branch .LBB592_28
.LBB592_24:                             ;   in Loop: Header=BB592_28 Depth=2
	s_or_b32 exec_lo, exec_lo, s45
	s_wait_loadcnt_dscnt 0x202
	v_lshlrev_b32_e32 v18, 16, v59
	v_lshlrev_b32_e32 v17, 16, v60
	s_wait_loadcnt_dscnt 0x101
	s_delay_alu instid0(VALU_DEP_1) | instskip(NEXT) | instid1(VALU_DEP_1)
	v_dual_fmac_f32 v38, v52, v17 :: v_dual_lshlrev_b32 v17, 16, v58
	v_fmac_f32_e32 v38, v48, v18
	s_delay_alu instid0(VALU_DEP_1) | instskip(SKIP_2) | instid1(VALU_DEP_1)
	v_fmac_f32_e32 v38, v50, v17
	s_wait_loadcnt_dscnt 0x0
	v_lshlrev_b32_e32 v17, 16, v57
	v_fmac_f32_e32 v38, v46, v17
.LBB592_25:                             ;   in Loop: Header=BB592_28 Depth=2
	s_or_b32 exec_lo, exec_lo, s44
	s_wait_loadcnt_dscnt 0x303
	v_lshlrev_b32_e32 v17, 16, v56
	s_wait_loadcnt_dscnt 0x202
	s_delay_alu instid0(VALU_DEP_1) | instskip(SKIP_2) | instid1(VALU_DEP_2)
	v_dual_fmac_f32 v37, v52, v17 :: v_dual_lshlrev_b32 v18, 16, v55
	s_wait_loadcnt_dscnt 0x101
	v_lshlrev_b32_e32 v17, 16, v54
	v_fmac_f32_e32 v37, v48, v18
	s_delay_alu instid0(VALU_DEP_1) | instskip(SKIP_2) | instid1(VALU_DEP_1)
	v_fmac_f32_e32 v37, v50, v17
	s_wait_loadcnt_dscnt 0x0
	v_lshlrev_b32_e32 v17, 16, v53
	v_fmac_f32_e32 v37, v46, v17
.LBB592_26:                             ;   in Loop: Header=BB592_28 Depth=2
	s_or_b32 exec_lo, exec_lo, s43
	s_wait_loadcnt_dscnt 0x202
	v_lshlrev_b32_e32 v18, 16, v49
	v_lshlrev_b32_e32 v17, 16, v51
	s_wait_loadcnt_dscnt 0x101
	s_delay_alu instid0(VALU_DEP_1) | instskip(NEXT) | instid1(VALU_DEP_1)
	v_dual_fmac_f32 v36, v52, v17 :: v_dual_lshlrev_b32 v17, 16, v47
	v_fmac_f32_e32 v36, v48, v18
	s_delay_alu instid0(VALU_DEP_1) | instskip(SKIP_2) | instid1(VALU_DEP_1)
	v_fmac_f32_e32 v36, v50, v17
	s_wait_loadcnt_dscnt 0x0
	v_lshlrev_b32_e32 v17, 16, v45
	v_fmac_f32_e32 v36, v46, v17
.LBB592_27:                             ;   in Loop: Header=BB592_28 Depth=2
	s_or_b32 exec_lo, exec_lo, s42
	v_add_nc_u32_e32 v40, 64, v40
	v_add_nc_u32_e32 v44, s37, v44
	v_add_nc_u32_e32 v43, s37, v43
	v_add_nc_u32_e32 v42, s37, v42
	v_add_nc_u32_e32 v41, s37, v41
	v_cmp_le_i32_e32 vcc_lo, s35, v40
	s_wait_alu 0xfffe
	s_add_co_i32 s41, s41, s38
	s_or_b32 s40, vcc_lo, s40
	s_wait_alu 0xfffe
	s_and_not1_b32 exec_lo, exec_lo, s40
	s_cbranch_execz .LBB592_33
.LBB592_28:                             ;   Parent Loop BB592_4 Depth=1
                                        ; =>  This Inner Loop Header: Depth=2
	s_and_saveexec_b32 s42, s1
	s_cbranch_execz .LBB592_27
; %bb.29:                               ;   in Loop: Header=BB592_28 Depth=2
	s_wait_alu 0xfffe
	v_add_nc_u32_e32 v17, s41, v33
	v_add_nc_u32_e32 v19, s41, v8
	;; [unrolled: 1-line block ×5, first 2 shown]
	v_ashrrev_i32_e32 v18, 31, v17
	v_ashrrev_i32_e32 v20, 31, v19
	;; [unrolled: 1-line block ×5, first 2 shown]
	v_lshlrev_b64_e32 v[17:18], 1, v[17:18]
	v_lshlrev_b64_e32 v[19:20], 1, v[19:20]
	;; [unrolled: 1-line block ×4, first 2 shown]
	v_add_nc_u32_e32 v47, s30, v44
	v_add_nc_u32_e32 v49, s30, v43
	v_add_co_u32 v17, vcc_lo, v15, v17
	s_wait_alu 0xfffd
	v_add_co_ci_u32_e64 v18, null, v16, v18, vcc_lo
	v_add_co_u32 v19, vcc_lo, v15, v19
	s_wait_alu 0xfffd
	v_add_co_ci_u32_e64 v20, null, v16, v20, vcc_lo
	;; [unrolled: 3-line block ×4, first 2 shown]
	v_lshlrev_b64_e32 v[45:46], 1, v[45:46]
	s_clause 0x3
	flat_load_u16 v52, v[17:18]
	flat_load_u16 v53, v[19:20]
	flat_load_u16 v54, v[21:22]
	flat_load_u16 v55, v[23:24]
	v_add_nc_u32_e32 v21, s30, v42
	v_ashrrev_i32_e32 v48, 31, v47
	v_ashrrev_i32_e32 v50, 31, v49
	v_add_co_u32 v17, vcc_lo, v13, v45
	s_delay_alu instid0(VALU_DEP_4) | instskip(NEXT) | instid1(VALU_DEP_4)
	v_ashrrev_i32_e32 v22, 31, v21
	v_lshlrev_b64_e32 v[19:20], 1, v[47:48]
	s_wait_alu 0xfffd
	v_add_co_ci_u32_e64 v18, null, v14, v46, vcc_lo
	v_lshlrev_b64_e32 v[45:46], 1, v[49:50]
	v_lshlrev_b64_e32 v[21:22], 1, v[21:22]
	s_delay_alu instid0(VALU_DEP_4) | instskip(SKIP_2) | instid1(VALU_DEP_4)
	v_add_co_u32 v23, vcc_lo, v13, v19
	s_wait_alu 0xfffd
	v_add_co_ci_u32_e64 v24, null, v14, v20, vcc_lo
	v_add_co_u32 v19, vcc_lo, v13, v45
	s_wait_alu 0xfffd
	v_add_co_ci_u32_e64 v20, null, v14, v46, vcc_lo
	v_add_co_u32 v21, vcc_lo, v13, v21
	s_wait_alu 0xfffd
	v_add_co_ci_u32_e64 v22, null, v14, v22, vcc_lo
	s_clause 0x3
	flat_load_u16 v51, v[17:18]
	flat_load_u16 v49, v[23:24]
	;; [unrolled: 1-line block ×4, first 2 shown]
	s_wait_loadcnt_dscnt 0x707
	v_lshlrev_b32_e32 v52, 16, v52
	s_wait_loadcnt_dscnt 0x606
	v_lshlrev_b32_e32 v48, 16, v53
	;; [unrolled: 2-line block ×4, first 2 shown]
	s_and_saveexec_b32 s43, s3
	s_cbranch_execz .LBB592_26
; %bb.30:                               ;   in Loop: Header=BB592_28 Depth=2
	s_clause 0x3
	flat_load_u16 v56, v[17:18] offset:64
	flat_load_u16 v55, v[23:24] offset:64
	flat_load_u16 v54, v[19:20] offset:64
	flat_load_u16 v53, v[21:22] offset:64
	s_and_saveexec_b32 s44, s4
	s_cbranch_execz .LBB592_25
; %bb.31:                               ;   in Loop: Header=BB592_28 Depth=2
	s_clause 0x3
	flat_load_u16 v60, v[17:18] offset:128
	flat_load_u16 v59, v[23:24] offset:128
	flat_load_u16 v58, v[19:20] offset:128
	flat_load_u16 v57, v[21:22] offset:128
	;; [unrolled: 8-line block ×3, first 2 shown]
	s_wait_loadcnt_dscnt 0x303
	v_lshlrev_b32_e32 v17, 16, v17
	s_wait_loadcnt_dscnt 0x202
	s_delay_alu instid0(VALU_DEP_1) | instskip(SKIP_3) | instid1(VALU_DEP_2)
	v_dual_fmac_f32 v39, v52, v17 :: v_dual_lshlrev_b32 v18, 16, v18
	s_wait_loadcnt_dscnt 0x101
	v_lshlrev_b32_e32 v17, 16, v19
	s_wait_loadcnt_dscnt 0x0
	v_dual_fmac_f32 v39, v48, v18 :: v_dual_lshlrev_b32 v18, 16, v20
	s_delay_alu instid0(VALU_DEP_1) | instskip(NEXT) | instid1(VALU_DEP_1)
	v_fmac_f32_e32 v39, v50, v17
	v_fmac_f32_e32 v39, v46, v18
	s_branch .LBB592_24
.LBB592_33:                             ;   in Loop: Header=BB592_4 Depth=1
	s_or_b32 exec_lo, exec_lo, s40
.LBB592_34:                             ;   in Loop: Header=BB592_4 Depth=1
	s_wait_alu 0xfffe
	s_or_b32 exec_lo, exec_lo, s7
	s_delay_alu instid0(SALU_CYCLE_1)
	s_and_not1_b32 vcc_lo, exec_lo, s20
	s_wait_alu 0xfffe
	s_cbranch_vccnz .LBB592_52
; %bb.35:                               ;   in Loop: Header=BB592_4 Depth=1
	v_cmp_gt_i32_e32 vcc_lo, s21, v40
	v_dual_mov_b32 v22, 0 :: v_dual_mov_b32 v21, 0
	v_or_b32_e32 v17, 1, v40
	v_dual_mov_b32 v24, 0 :: v_dual_mov_b32 v23, 0
	s_and_saveexec_b32 s40, vcc_lo
	s_cbranch_execz .LBB592_43
; %bb.36:                               ;   in Loop: Header=BB592_4 Depth=1
	v_mul_lo_u32 v18, v40, s26
	v_dual_mov_b32 v23, 0 :: v_dual_mov_b32 v22, 0
	v_mov_b32_e32 v21, 0
	s_mov_b32 s41, exec_lo
	s_delay_alu instid0(VALU_DEP_3) | instskip(NEXT) | instid1(VALU_DEP_1)
	v_ashrrev_i32_e32 v19, 31, v18
	v_lshlrev_b64_e32 v[18:19], 1, v[18:19]
	s_delay_alu instid0(VALU_DEP_1) | instskip(SKIP_1) | instid1(VALU_DEP_2)
	v_add_co_u32 v18, s7, v15, v18
	s_wait_alu 0xf1ff
	v_add_co_ci_u32_e64 v19, null, v16, v19, s7
	flat_load_u16 v18, v[18:19]
	v_cmpx_gt_i32_e64 s21, v17
	s_cbranch_execz .LBB592_42
; %bb.37:                               ;   in Loop: Header=BB592_4 Depth=1
	v_mul_lo_u32 v19, v17, s26
	v_dual_mov_b32 v21, 0 :: v_dual_mov_b32 v22, 0
	s_mov_b32 s42, exec_lo
	s_delay_alu instid0(VALU_DEP_2) | instskip(NEXT) | instid1(VALU_DEP_1)
	v_ashrrev_i32_e32 v20, 31, v19
	v_lshlrev_b64_e32 v[19:20], 1, v[19:20]
	s_delay_alu instid0(VALU_DEP_1) | instskip(SKIP_1) | instid1(VALU_DEP_2)
	v_add_co_u32 v19, s7, v15, v19
	s_wait_alu 0xf1ff
	v_add_co_ci_u32_e64 v20, null, v16, v20, s7
	flat_load_u16 v19, v[19:20]
	v_or_b32_e32 v20, 2, v40
	s_delay_alu instid0(VALU_DEP_1)
	v_cmpx_gt_i32_e64 s21, v20
	s_cbranch_execz .LBB592_41
; %bb.38:                               ;   in Loop: Header=BB592_4 Depth=1
	v_mul_lo_u32 v20, v20, s26
	v_or_b32_e32 v22, 3, v40
	s_mov_b32 s43, exec_lo
	s_delay_alu instid0(VALU_DEP_2) | instskip(NEXT) | instid1(VALU_DEP_1)
	v_ashrrev_i32_e32 v21, 31, v20
	v_lshlrev_b64_e32 v[20:21], 1, v[20:21]
	s_delay_alu instid0(VALU_DEP_1) | instskip(SKIP_1) | instid1(VALU_DEP_2)
	v_add_co_u32 v20, s7, v15, v20
	s_wait_alu 0xf1ff
	v_add_co_ci_u32_e64 v21, null, v16, v21, s7
	flat_load_u16 v20, v[20:21]
	v_mov_b32_e32 v21, 0
	v_cmpx_gt_i32_e64 s21, v22
	s_cbranch_execz .LBB592_40
; %bb.39:                               ;   in Loop: Header=BB592_4 Depth=1
	v_mul_lo_u32 v21, v22, s26
	s_delay_alu instid0(VALU_DEP_1) | instskip(NEXT) | instid1(VALU_DEP_1)
	v_ashrrev_i32_e32 v22, 31, v21
	v_lshlrev_b64_e32 v[21:22], 1, v[21:22]
	s_delay_alu instid0(VALU_DEP_1) | instskip(SKIP_1) | instid1(VALU_DEP_2)
	v_add_co_u32 v15, s7, v15, v21
	s_wait_alu 0xf1ff
	v_add_co_ci_u32_e64 v16, null, v16, v22, s7
	flat_load_u16 v15, v[15:16]
	s_wait_loadcnt_dscnt 0x0
	v_lshlrev_b32_e32 v21, 16, v15
.LBB592_40:                             ;   in Loop: Header=BB592_4 Depth=1
	s_or_b32 exec_lo, exec_lo, s43
	s_wait_loadcnt_dscnt 0x0
	v_lshlrev_b32_e32 v22, 16, v20
.LBB592_41:                             ;   in Loop: Header=BB592_4 Depth=1
	s_or_b32 exec_lo, exec_lo, s42
	s_wait_loadcnt_dscnt 0x0
	v_lshlrev_b32_e32 v23, 16, v19
.LBB592_42:                             ;   in Loop: Header=BB592_4 Depth=1
	s_wait_alu 0xfffe
	s_or_b32 exec_lo, exec_lo, s41
	s_wait_loadcnt_dscnt 0x0
	v_lshlrev_b32_e32 v24, 16, v18
.LBB592_43:                             ;   in Loop: Header=BB592_4 Depth=1
	s_wait_alu 0xfffe
	s_or_b32 exec_lo, exec_lo, s40
	s_and_saveexec_b32 s7, s1
	s_cbranch_execz .LBB592_51
; %bb.44:                               ;   in Loop: Header=BB592_4 Depth=1
	v_mul_lo_u32 v16, v40, s28
	v_or_b32_e32 v15, 2, v40
	v_mul_lo_u32 v19, v17, s28
	v_or_b32_e32 v18, 3, v40
	s_delay_alu instid0(VALU_DEP_3) | instskip(NEXT) | instid1(VALU_DEP_2)
	v_mul_lo_u32 v20, v15, s28
	v_mul_lo_u32 v40, v18, s28
	v_cndmask_b32_e32 v16, 0, v16, vcc_lo
	v_cmp_gt_i32_e32 vcc_lo, s21, v17
	s_wait_alu 0xfffd
	v_cndmask_b32_e32 v17, 0, v19, vcc_lo
	v_cmp_gt_i32_e32 vcc_lo, s21, v15
	v_add_nc_u32_e32 v15, v16, v29
	s_delay_alu instid0(VALU_DEP_3)
	v_add_nc_u32_e32 v17, v17, v29
	s_wait_alu 0xfffd
	v_cndmask_b32_e32 v19, 0, v20, vcc_lo
	v_cmp_gt_i32_e32 vcc_lo, s21, v18
	v_ashrrev_i32_e32 v16, 31, v15
	s_wait_alu 0xfffd
	v_cndmask_b32_e32 v18, 0, v40, vcc_lo
	s_delay_alu instid0(VALU_DEP_2) | instskip(NEXT) | instid1(VALU_DEP_2)
	v_lshlrev_b64_e32 v[15:16], 1, v[15:16]
	v_add_nc_u32_e32 v40, v18, v29
	v_add_nc_u32_e32 v19, v19, v29
	v_ashrrev_i32_e32 v18, 31, v17
	s_delay_alu instid0(VALU_DEP_3) | instskip(NEXT) | instid1(VALU_DEP_3)
	v_ashrrev_i32_e32 v41, 31, v40
	v_ashrrev_i32_e32 v20, 31, v19
	s_delay_alu instid0(VALU_DEP_3) | instskip(SKIP_1) | instid1(VALU_DEP_4)
	v_lshlrev_b64_e32 v[42:43], 1, v[17:18]
	v_add_co_u32 v17, vcc_lo, v13, v15
	v_lshlrev_b64_e32 v[40:41], 1, v[40:41]
	s_delay_alu instid0(VALU_DEP_4)
	v_lshlrev_b64_e32 v[44:45], 1, v[19:20]
	s_wait_alu 0xfffd
	v_add_co_ci_u32_e64 v18, null, v14, v16, vcc_lo
	v_add_co_u32 v19, vcc_lo, v13, v42
	s_wait_alu 0xfffd
	v_add_co_ci_u32_e64 v20, null, v14, v43, vcc_lo
	v_add_co_u32 v15, vcc_lo, v13, v44
	;; [unrolled: 3-line block ×3, first 2 shown]
	s_wait_alu 0xfffd
	v_add_co_ci_u32_e64 v14, null, v14, v41, vcc_lo
	s_clause 0x3
	flat_load_u16 v43, v[17:18]
	flat_load_u16 v42, v[19:20]
	;; [unrolled: 1-line block ×4, first 2 shown]
	s_and_saveexec_b32 s40, s3
	s_cbranch_execz .LBB592_50
; %bb.45:                               ;   in Loop: Header=BB592_4 Depth=1
	s_clause 0x3
	flat_load_u16 v47, v[17:18] offset:64
	flat_load_u16 v46, v[19:20] offset:64
	flat_load_u16 v45, v[15:16] offset:64
	flat_load_u16 v44, v[13:14] offset:64
	s_and_saveexec_b32 s41, s4
	s_cbranch_execz .LBB592_49
; %bb.46:                               ;   in Loop: Header=BB592_4 Depth=1
	s_clause 0x3
	flat_load_u16 v51, v[17:18] offset:128
	flat_load_u16 v50, v[19:20] offset:128
	flat_load_u16 v49, v[15:16] offset:128
	flat_load_u16 v48, v[13:14] offset:128
	;; [unrolled: 8-line block ×3, first 2 shown]
	s_wait_loadcnt_dscnt 0x0
	v_lshlrev_b32_e32 v13, 16, v13
	v_lshlrev_b32_e32 v16, 16, v18
	;; [unrolled: 1-line block ×3, first 2 shown]
	s_delay_alu instid0(VALU_DEP_1) | instskip(NEXT) | instid1(VALU_DEP_1)
	v_dual_fmac_f32 v39, v24, v14 :: v_dual_lshlrev_b32 v14, 16, v15
	v_fmac_f32_e32 v39, v23, v16
	s_delay_alu instid0(VALU_DEP_1) | instskip(NEXT) | instid1(VALU_DEP_1)
	v_fmac_f32_e32 v39, v22, v14
	v_fmac_f32_e32 v39, v21, v13
.LBB592_48:                             ;   in Loop: Header=BB592_4 Depth=1
	s_or_b32 exec_lo, exec_lo, s42
	s_wait_loadcnt_dscnt 0x202
	v_lshlrev_b32_e32 v14, 16, v50
	v_lshlrev_b32_e32 v13, 16, v51
	s_delay_alu instid0(VALU_DEP_1) | instskip(SKIP_1) | instid1(VALU_DEP_1)
	v_fmac_f32_e32 v38, v24, v13
	s_wait_loadcnt_dscnt 0x101
	v_dual_fmac_f32 v38, v23, v14 :: v_dual_lshlrev_b32 v13, 16, v49
	s_wait_loadcnt_dscnt 0x0
	s_delay_alu instid0(VALU_DEP_1) | instskip(NEXT) | instid1(VALU_DEP_1)
	v_dual_fmac_f32 v38, v22, v13 :: v_dual_lshlrev_b32 v13, 16, v48
	v_fmac_f32_e32 v38, v21, v13
.LBB592_49:                             ;   in Loop: Header=BB592_4 Depth=1
	s_wait_alu 0xfffe
	s_or_b32 exec_lo, exec_lo, s41
	s_wait_loadcnt_dscnt 0x303
	v_lshlrev_b32_e32 v13, 16, v47
	s_wait_loadcnt_dscnt 0x202
	s_delay_alu instid0(VALU_DEP_1) | instskip(SKIP_2) | instid1(VALU_DEP_2)
	v_dual_fmac_f32 v37, v24, v13 :: v_dual_lshlrev_b32 v14, 16, v46
	s_wait_loadcnt_dscnt 0x101
	v_lshlrev_b32_e32 v13, 16, v45
	v_fmac_f32_e32 v37, v23, v14
	s_delay_alu instid0(VALU_DEP_1) | instskip(SKIP_2) | instid1(VALU_DEP_1)
	v_fmac_f32_e32 v37, v22, v13
	s_wait_loadcnt_dscnt 0x0
	v_lshlrev_b32_e32 v13, 16, v44
	v_fmac_f32_e32 v37, v21, v13
.LBB592_50:                             ;   in Loop: Header=BB592_4 Depth=1
	s_wait_alu 0xfffe
	s_or_b32 exec_lo, exec_lo, s40
	s_wait_loadcnt_dscnt 0x202
	v_lshlrev_b32_e32 v14, 16, v42
	v_lshlrev_b32_e32 v13, 16, v43
	s_delay_alu instid0(VALU_DEP_1) | instskip(SKIP_1) | instid1(VALU_DEP_1)
	v_fmac_f32_e32 v36, v24, v13
	s_wait_loadcnt_dscnt 0x101
	v_dual_fmac_f32 v36, v23, v14 :: v_dual_lshlrev_b32 v13, 16, v41
	s_wait_loadcnt_dscnt 0x0
	s_delay_alu instid0(VALU_DEP_1) | instskip(NEXT) | instid1(VALU_DEP_1)
	v_dual_fmac_f32 v36, v22, v13 :: v_dual_lshlrev_b32 v13, 16, v40
	v_fmac_f32_e32 v36, v21, v13
.LBB592_51:                             ;   in Loop: Header=BB592_4 Depth=1
	s_wait_alu 0xfffe
	s_or_b32 exec_lo, exec_lo, s7
.LBB592_52:                             ;   in Loop: Header=BB592_4 Depth=1
	ds_store_2addr_b32 v26, v36, v37 offset1:32
	ds_store_2addr_b32 v26, v38, v39 offset0:64 offset1:96
	s_wait_dscnt 0x0
	s_barrier_signal -1
	s_barrier_wait -1
	global_inv scope:SCOPE_SE
                                        ; implicit-def: $vgpr17
	s_and_saveexec_b32 s7, s0
	s_cbranch_execz .LBB592_72
; %bb.53:                               ;   in Loop: Header=BB592_4 Depth=1
	ds_load_2addr_stride64_b32 v[13:14], v27 offset1:2
	ds_load_2addr_stride64_b32 v[15:16], v27 offset0:4 offset1:6
	ds_load_2addr_stride64_b32 v[17:18], v27 offset0:8 offset1:10
	s_mov_b32 s41, s39
	s_wait_dscnt 0x2
	v_add_f32_e32 v19, v13, v14
	ds_load_2addr_stride64_b32 v[13:14], v27 offset0:12 offset1:14
	s_wait_dscnt 0x2
	v_add_f32_e32 v15, v15, v19
	s_delay_alu instid0(VALU_DEP_1) | instskip(SKIP_3) | instid1(VALU_DEP_1)
	v_add_f32_e32 v19, v16, v15
	ds_load_2addr_stride64_b32 v[15:16], v27 offset0:16 offset1:18
	s_wait_dscnt 0x2
	v_add_f32_e32 v17, v17, v19
	v_add_f32_e32 v19, v18, v17
	ds_load_2addr_stride64_b32 v[17:18], v27 offset0:20 offset1:22
	s_wait_dscnt 0x2
	v_add_f32_e32 v13, v13, v19
	s_delay_alu instid0(VALU_DEP_1) | instskip(SKIP_1) | instid1(VALU_DEP_1)
	v_add_f32_e32 v13, v14, v13
	s_wait_dscnt 0x1
	v_add_f32_e32 v15, v15, v13
	ds_load_2addr_stride64_b32 v[13:14], v27 offset0:24 offset1:26
	v_add_f32_e32 v15, v16, v15
	s_wait_dscnt 0x1
	s_delay_alu instid0(VALU_DEP_1) | instskip(SKIP_3) | instid1(VALU_DEP_1)
	v_add_f32_e32 v17, v17, v15
	ds_load_2addr_stride64_b32 v[15:16], v27 offset0:28 offset1:30
	v_add_f32_e32 v17, v18, v17
	s_wait_dscnt 0x1
	v_add_f32_e32 v13, v13, v17
                                        ; implicit-def: $vgpr17
	s_delay_alu instid0(VALU_DEP_1) | instskip(SKIP_1) | instid1(VALU_DEP_1)
	v_add_f32_e32 v13, v14, v13
	s_wait_dscnt 0x0
	v_add_f32_e32 v13, v15, v13
	s_delay_alu instid0(VALU_DEP_1)
	v_add_f32_e32 v13, v16, v13
	ds_store_b32 v27, v13
	s_and_saveexec_b32 s40, s2
	s_cbranch_execz .LBB592_71
; %bb.54:                               ;   in Loop: Header=BB592_4 Depth=1
	v_mul_f32_e32 v13, s22, v13
	s_and_b32 vcc_lo, exec_lo, s34
	s_mov_b32 s41, -1
                                        ; implicit-def: $vgpr14
	s_wait_alu 0xfffe
	s_cbranch_vccz .LBB592_60
; %bb.55:                               ;   in Loop: Header=BB592_4 Depth=1
	v_and_b32_e32 v14, 0x7f800000, v13
	s_delay_alu instid0(VALU_DEP_1)
	v_cmp_ne_u32_e32 vcc_lo, 0x7f800000, v14
                                        ; implicit-def: $vgpr14
	s_and_saveexec_b32 s41, vcc_lo
	s_wait_alu 0xfffe
	s_xor_b32 s41, exec_lo, s41
; %bb.56:                               ;   in Loop: Header=BB592_4 Depth=1
	v_bfe_u32 v14, v13, 16, 1
	s_delay_alu instid0(VALU_DEP_1)
	v_add3_u32 v14, v13, v14, 0x7fff
; %bb.57:                               ;   in Loop: Header=BB592_4 Depth=1
	s_wait_alu 0xfffe
	s_and_not1_saveexec_b32 s41, s41
; %bb.58:                               ;   in Loop: Header=BB592_4 Depth=1
	v_and_b32_e32 v14, 0xffff, v13
	v_or_b32_e32 v15, 0x10000, v13
	s_delay_alu instid0(VALU_DEP_2) | instskip(SKIP_1) | instid1(VALU_DEP_2)
	v_cmp_eq_u32_e32 vcc_lo, 0, v14
	s_wait_alu 0xfffd
	v_cndmask_b32_e32 v14, v15, v13, vcc_lo
; %bb.59:                               ;   in Loop: Header=BB592_4 Depth=1
	s_wait_alu 0xfffe
	s_or_b32 exec_lo, exec_lo, s41
	s_mov_b32 s41, 0
.LBB592_60:                             ;   in Loop: Header=BB592_4 Depth=1
	s_wait_alu 0xfffe
	s_and_not1_b32 vcc_lo, exec_lo, s41
	s_wait_alu 0xfffe
	s_cbranch_vccnz .LBB592_70
; %bb.61:                               ;   in Loop: Header=BB592_4 Depth=1
	v_add_co_u32 v14, vcc_lo, v34, v11
	s_wait_alu 0xfffd
	v_add_co_ci_u32_e64 v15, null, v35, v12, vcc_lo
	flat_load_u16 v14, v[14:15]
	s_wait_loadcnt_dscnt 0x0
	v_lshlrev_b32_e32 v14, 16, v14
	s_delay_alu instid0(VALU_DEP_1) | instskip(NEXT) | instid1(VALU_DEP_1)
	v_mul_f32_e32 v14, s27, v14
	v_and_b32_e32 v15, 0x7f800000, v14
	s_delay_alu instid0(VALU_DEP_1)
	v_cmp_ne_u32_e32 vcc_lo, 0x7f800000, v15
                                        ; implicit-def: $vgpr15
	s_and_saveexec_b32 s41, vcc_lo
	s_wait_alu 0xfffe
	s_xor_b32 s41, exec_lo, s41
; %bb.62:                               ;   in Loop: Header=BB592_4 Depth=1
	v_bfe_u32 v15, v14, 16, 1
	s_delay_alu instid0(VALU_DEP_1)
	v_add3_u32 v15, v14, v15, 0x7fff
                                        ; implicit-def: $vgpr14
; %bb.63:                               ;   in Loop: Header=BB592_4 Depth=1
	s_wait_alu 0xfffe
	s_and_not1_saveexec_b32 s41, s41
; %bb.64:                               ;   in Loop: Header=BB592_4 Depth=1
	v_and_b32_e32 v15, 0xffff, v14
	v_or_b32_e32 v16, 0x10000, v14
	s_delay_alu instid0(VALU_DEP_2) | instskip(SKIP_1) | instid1(VALU_DEP_2)
	v_cmp_eq_u32_e32 vcc_lo, 0, v15
	s_wait_alu 0xfffd
	v_cndmask_b32_e32 v15, v16, v14, vcc_lo
; %bb.65:                               ;   in Loop: Header=BB592_4 Depth=1
	s_wait_alu 0xfffe
	s_or_b32 exec_lo, exec_lo, s41
	s_delay_alu instid0(VALU_DEP_1) | instskip(NEXT) | instid1(VALU_DEP_1)
	v_and_b32_e32 v14, 0xffff0000, v15
	v_add_f32_e32 v13, v13, v14
	s_delay_alu instid0(VALU_DEP_1) | instskip(NEXT) | instid1(VALU_DEP_1)
	v_and_b32_e32 v14, 0x7f800000, v13
	v_cmp_ne_u32_e32 vcc_lo, 0x7f800000, v14
                                        ; implicit-def: $vgpr14
	s_and_saveexec_b32 s41, vcc_lo
	s_wait_alu 0xfffe
	s_xor_b32 s41, exec_lo, s41
; %bb.66:                               ;   in Loop: Header=BB592_4 Depth=1
	v_bfe_u32 v14, v13, 16, 1
	s_delay_alu instid0(VALU_DEP_1)
	v_add3_u32 v14, v13, v14, 0x7fff
                                        ; implicit-def: $vgpr13
; %bb.67:                               ;   in Loop: Header=BB592_4 Depth=1
	s_wait_alu 0xfffe
	s_and_not1_saveexec_b32 s41, s41
; %bb.68:                               ;   in Loop: Header=BB592_4 Depth=1
	v_and_b32_e32 v14, 0xffff, v13
	v_or_b32_e32 v15, 0x10000, v13
	s_delay_alu instid0(VALU_DEP_2) | instskip(SKIP_1) | instid1(VALU_DEP_2)
	v_cmp_eq_u32_e32 vcc_lo, 0, v14
	s_wait_alu 0xfffd
	v_cndmask_b32_e32 v14, v15, v13, vcc_lo
; %bb.69:                               ;   in Loop: Header=BB592_4 Depth=1
	s_wait_alu 0xfffe
	s_or_b32 exec_lo, exec_lo, s41
.LBB592_70:                             ;   in Loop: Header=BB592_4 Depth=1
	s_delay_alu instid0(VALU_DEP_1)
	v_lshrrev_b32_e32 v17, 16, v14
	s_or_b32 s41, s39, exec_lo
.LBB592_71:                             ;   in Loop: Header=BB592_4 Depth=1
	s_wait_alu 0xfffe
	s_or_b32 exec_lo, exec_lo, s40
	s_delay_alu instid0(SALU_CYCLE_1)
	s_and_not1_b32 s39, s39, exec_lo
	s_and_b32 s40, s41, exec_lo
	s_wait_alu 0xfffe
	s_or_b32 s39, s39, s40
.LBB592_72:                             ;   in Loop: Header=BB592_4 Depth=1
	s_wait_alu 0xfffe
	s_or_b32 exec_lo, exec_lo, s7
	v_dual_mov_b32 v14, v5 :: v_dual_mov_b32 v13, v4
	s_and_saveexec_b32 s7, s39
	s_cbranch_execz .LBB592_2
	s_branch .LBB592_75
.LBB592_73:                             ;   in Loop: Header=BB592_4 Depth=1
	v_mov_b32_e32 v17, 0
	s_mov_b32 s39, exec_lo
	s_or_b32 exec_lo, exec_lo, s40
	s_delay_alu instid0(SALU_CYCLE_1)
	s_and_b32 vcc_lo, exec_lo, s7
	s_wait_alu 0xfffe
	s_cbranch_vccnz .LBB592_22
.LBB592_74:                             ;   in Loop: Header=BB592_4 Depth=1
	v_dual_mov_b32 v14, v3 :: v_dual_mov_b32 v13, v2
	s_and_saveexec_b32 s7, s39
	s_cbranch_execz .LBB592_2
.LBB592_75:                             ;   in Loop: Header=BB592_4 Depth=1
	s_delay_alu instid0(VALU_DEP_1) | instskip(NEXT) | instid1(VALU_DEP_1)
	v_lshlrev_b64_e32 v[13:14], 1, v[13:14]
	v_add_co_u32 v13, vcc_lo, v34, v13
	s_wait_alu 0xfffd
	s_delay_alu instid0(VALU_DEP_2)
	v_add_co_ci_u32_e64 v14, null, v35, v14, vcc_lo
	flat_store_b16 v[13:14], v17
	s_branch .LBB592_2
.LBB592_76:
	s_endpgm
	.section	.rodata,"a",@progbits
	.p2align	6, 0x0
	.amdhsa_kernel _ZL20rocblas_gemvn_kernelILi32ELi16EiPK16rocblas_bfloat16fKPS0_EviiT3_lPKT2_lT1_lS8_lS9_lS5_lPT4_lS9_li
		.amdhsa_group_segment_fixed_size 8192
		.amdhsa_private_segment_fixed_size 0
		.amdhsa_kernarg_size 400
		.amdhsa_user_sgpr_count 2
		.amdhsa_user_sgpr_dispatch_ptr 0
		.amdhsa_user_sgpr_queue_ptr 0
		.amdhsa_user_sgpr_kernarg_segment_ptr 1
		.amdhsa_user_sgpr_dispatch_id 0
		.amdhsa_user_sgpr_private_segment_size 0
		.amdhsa_wavefront_size32 1
		.amdhsa_uses_dynamic_stack 0
		.amdhsa_enable_private_segment 0
		.amdhsa_system_sgpr_workgroup_id_x 1
		.amdhsa_system_sgpr_workgroup_id_y 0
		.amdhsa_system_sgpr_workgroup_id_z 1
		.amdhsa_system_sgpr_workgroup_info 0
		.amdhsa_system_vgpr_workitem_id 1
		.amdhsa_next_free_vgpr 61
		.amdhsa_next_free_sgpr 46
		.amdhsa_reserve_vcc 1
		.amdhsa_float_round_mode_32 0
		.amdhsa_float_round_mode_16_64 0
		.amdhsa_float_denorm_mode_32 3
		.amdhsa_float_denorm_mode_16_64 3
		.amdhsa_fp16_overflow 0
		.amdhsa_workgroup_processor_mode 1
		.amdhsa_memory_ordered 1
		.amdhsa_forward_progress 1
		.amdhsa_inst_pref_size 32
		.amdhsa_round_robin_scheduling 0
		.amdhsa_exception_fp_ieee_invalid_op 0
		.amdhsa_exception_fp_denorm_src 0
		.amdhsa_exception_fp_ieee_div_zero 0
		.amdhsa_exception_fp_ieee_overflow 0
		.amdhsa_exception_fp_ieee_underflow 0
		.amdhsa_exception_fp_ieee_inexact 0
		.amdhsa_exception_int_div_zero 0
	.end_amdhsa_kernel
	.section	.text._ZL20rocblas_gemvn_kernelILi32ELi16EiPK16rocblas_bfloat16fKPS0_EviiT3_lPKT2_lT1_lS8_lS9_lS5_lPT4_lS9_li,"axG",@progbits,_ZL20rocblas_gemvn_kernelILi32ELi16EiPK16rocblas_bfloat16fKPS0_EviiT3_lPKT2_lT1_lS8_lS9_lS5_lPT4_lS9_li,comdat
.Lfunc_end592:
	.size	_ZL20rocblas_gemvn_kernelILi32ELi16EiPK16rocblas_bfloat16fKPS0_EviiT3_lPKT2_lT1_lS8_lS9_lS5_lPT4_lS9_li, .Lfunc_end592-_ZL20rocblas_gemvn_kernelILi32ELi16EiPK16rocblas_bfloat16fKPS0_EviiT3_lPKT2_lT1_lS8_lS9_lS5_lPT4_lS9_li
                                        ; -- End function
	.set _ZL20rocblas_gemvn_kernelILi32ELi16EiPK16rocblas_bfloat16fKPS0_EviiT3_lPKT2_lT1_lS8_lS9_lS5_lPT4_lS9_li.num_vgpr, 61
	.set _ZL20rocblas_gemvn_kernelILi32ELi16EiPK16rocblas_bfloat16fKPS0_EviiT3_lPKT2_lT1_lS8_lS9_lS5_lPT4_lS9_li.num_agpr, 0
	.set _ZL20rocblas_gemvn_kernelILi32ELi16EiPK16rocblas_bfloat16fKPS0_EviiT3_lPKT2_lT1_lS8_lS9_lS5_lPT4_lS9_li.numbered_sgpr, 46
	.set _ZL20rocblas_gemvn_kernelILi32ELi16EiPK16rocblas_bfloat16fKPS0_EviiT3_lPKT2_lT1_lS8_lS9_lS5_lPT4_lS9_li.num_named_barrier, 0
	.set _ZL20rocblas_gemvn_kernelILi32ELi16EiPK16rocblas_bfloat16fKPS0_EviiT3_lPKT2_lT1_lS8_lS9_lS5_lPT4_lS9_li.private_seg_size, 0
	.set _ZL20rocblas_gemvn_kernelILi32ELi16EiPK16rocblas_bfloat16fKPS0_EviiT3_lPKT2_lT1_lS8_lS9_lS5_lPT4_lS9_li.uses_vcc, 1
	.set _ZL20rocblas_gemvn_kernelILi32ELi16EiPK16rocblas_bfloat16fKPS0_EviiT3_lPKT2_lT1_lS8_lS9_lS5_lPT4_lS9_li.uses_flat_scratch, 1
	.set _ZL20rocblas_gemvn_kernelILi32ELi16EiPK16rocblas_bfloat16fKPS0_EviiT3_lPKT2_lT1_lS8_lS9_lS5_lPT4_lS9_li.has_dyn_sized_stack, 0
	.set _ZL20rocblas_gemvn_kernelILi32ELi16EiPK16rocblas_bfloat16fKPS0_EviiT3_lPKT2_lT1_lS8_lS9_lS5_lPT4_lS9_li.has_recursion, 0
	.set _ZL20rocblas_gemvn_kernelILi32ELi16EiPK16rocblas_bfloat16fKPS0_EviiT3_lPKT2_lT1_lS8_lS9_lS5_lPT4_lS9_li.has_indirect_call, 0
	.section	.AMDGPU.csdata,"",@progbits
; Kernel info:
; codeLenInByte = 3996
; TotalNumSgprs: 48
; NumVgprs: 61
; ScratchSize: 0
; MemoryBound: 0
; FloatMode: 240
; IeeeMode: 1
; LDSByteSize: 8192 bytes/workgroup (compile time only)
; SGPRBlocks: 0
; VGPRBlocks: 7
; NumSGPRsForWavesPerEU: 48
; NumVGPRsForWavesPerEU: 61
; Occupancy: 16
; WaveLimiterHint : 1
; COMPUTE_PGM_RSRC2:SCRATCH_EN: 0
; COMPUTE_PGM_RSRC2:USER_SGPR: 2
; COMPUTE_PGM_RSRC2:TRAP_HANDLER: 0
; COMPUTE_PGM_RSRC2:TGID_X_EN: 1
; COMPUTE_PGM_RSRC2:TGID_Y_EN: 0
; COMPUTE_PGM_RSRC2:TGID_Z_EN: 1
; COMPUTE_PGM_RSRC2:TIDIG_COMP_CNT: 1
	.section	.text._ZL20rocblas_gemvn_kernelILi32ELi16ElPK16rocblas_bfloat16fKPS0_EviiT3_lPKT2_lT1_lS8_lS9_lS5_lPT4_lS9_li,"axG",@progbits,_ZL20rocblas_gemvn_kernelILi32ELi16ElPK16rocblas_bfloat16fKPS0_EviiT3_lPKT2_lT1_lS8_lS9_lS5_lPT4_lS9_li,comdat
	.globl	_ZL20rocblas_gemvn_kernelILi32ELi16ElPK16rocblas_bfloat16fKPS0_EviiT3_lPKT2_lT1_lS8_lS9_lS5_lPT4_lS9_li ; -- Begin function _ZL20rocblas_gemvn_kernelILi32ELi16ElPK16rocblas_bfloat16fKPS0_EviiT3_lPKT2_lT1_lS8_lS9_lS5_lPT4_lS9_li
	.p2align	8
	.type	_ZL20rocblas_gemvn_kernelILi32ELi16ElPK16rocblas_bfloat16fKPS0_EviiT3_lPKT2_lT1_lS8_lS9_lS5_lPT4_lS9_li,@function
_ZL20rocblas_gemvn_kernelILi32ELi16ElPK16rocblas_bfloat16fKPS0_EviiT3_lPKT2_lT1_lS8_lS9_lS5_lPT4_lS9_li: ; @_ZL20rocblas_gemvn_kernelILi32ELi16ElPK16rocblas_bfloat16fKPS0_EviiT3_lPKT2_lT1_lS8_lS9_lS5_lPT4_lS9_li
; %bb.0:
	s_clause 0x1
	s_load_b64 s[2:3], s[0:1], 0x9c
	s_load_b32 s23, s[0:1], 0x88
	s_lshr_b32 s24, ttmp7, 16
	s_wait_kmcnt 0x0
	s_lshr_b32 s4, s2, 16
	s_and_b32 s2, s2, 0xffff
	s_and_b32 s3, s3, 0xffff
	s_mul_i32 s2, s4, s2
	s_delay_alu instid0(SALU_CYCLE_1) | instskip(NEXT) | instid1(SALU_CYCLE_1)
	s_mul_i32 s2, s2, s3
	s_cmp_lg_u32 s2, 0x200
	s_cselect_b32 s2, -1, 0
	s_cmp_ge_u32 s24, s23
	s_cselect_b32 s3, -1, 0
	s_delay_alu instid0(SALU_CYCLE_1) | instskip(NEXT) | instid1(SALU_CYCLE_1)
	s_or_b32 s2, s2, s3
	s_and_b32 vcc_lo, exec_lo, s2
	s_cbranch_vccnz .LBB593_76
; %bb.1:
	s_clause 0x7
	s_load_b96 s[20:22], s[0:1], 0x0
	s_load_b32 s33, s[0:1], 0x58
	s_load_b64 s[26:27], s[0:1], 0x48
	s_load_b128 s[8:11], s[0:1], 0x18
	s_load_b64 s[28:29], s[0:1], 0x28
	s_load_b128 s[12:15], s[0:1], 0x38
	;; [unrolled: 2-line block ×3, first 2 shown]
	v_dual_mov_b32 v1, 0 :: v_dual_and_b32 v2, 0x3ff, v0
	v_bfe_u32 v26, v0, 10, 10
	s_mov_b32 s25, 0
	s_delay_alu instid0(VALU_DEP_2) | instskip(NEXT) | instid1(VALU_DEP_2)
	v_lshlrev_b32_e32 v16, 2, v2
	v_lshl_add_u32 v3, v26, 5, v2
	v_lshlrev_b32_e32 v40, 2, v26
	s_delay_alu instid0(VALU_DEP_2)
	v_cmp_gt_u32_e64 s0, 0x80, v3
	s_wait_kmcnt 0x0
	s_cmp_eq_f32 s22, 0
	v_mad_co_u64_u32 v[6:7], null, s26, v26, 0
	s_mov_b32 s2, s20
	s_cselect_b32 s36, -1, 0
	s_cmp_neq_f32 s33, 1.0
	v_or_b32_e32 v19, 3, v40
	s_cselect_b32 s1, -1, 0
	s_cmp_neq_f32 s22, 0
	s_delay_alu instid0(VALU_DEP_1)
	v_mad_co_u64_u32 v[12:13], null, s26, v19, 0
	s_cselect_b32 s4, -1, 0
	s_lshl_b32 s30, ttmp9, 7
	s_ashr_i32 s3, s20, 31
	v_add_nc_u32_e32 v0, s30, v3
	s_or_b32 s37, s4, s1
	s_cmp_neq_f32 s33, 0
	v_add_nc_u32_e32 v8, s30, v2
	v_or_b32_e32 v17, s30, v3
	v_mad_co_u64_u32 v[2:3], null, s6, v0, 0
	s_cselect_b32 s38, -1, 0
	s_cmp_eq_f32 s33, 0
	v_add_nc_u32_e32 v4, 32, v8
	v_cmp_gt_i64_e32 vcc_lo, s[2:3], v[0:1]
	v_add_nc_u32_e32 v5, 64, v8
	s_cselect_b32 s39, -1, 0
	s_ashr_i32 s2, s21, 31
	v_add_nc_u32_e32 v10, 0x60, v8
	s_wait_alu 0xfffe
	s_lshr_b32 s2, s2, 26
	v_cndmask_b32_e64 v42, 0, 1, s4
	s_wait_alu 0xfffe
	s_add_co_i32 s40, s21, s2
	v_cmp_gt_i32_e64 s2, s20, v4
	v_mad_co_u64_u32 v[3:4], null, s7, v0, v[3:4]
	v_mov_b32_e32 v0, v7
	v_cmp_gt_i32_e64 s4, s20, v10
	v_mad_co_u64_u32 v[10:11], null, s28, v19, 0
	s_and_not1_b32 s40, s40, 63
	v_mad_co_u64_u32 v[14:15], null, s27, v26, v[0:1]
	v_cmp_gt_i32_e64 s3, s20, v5
	s_sub_co_i32 s5, s21, s40
	v_mul_lo_u32 v18, s7, v17
	v_mad_co_u64_u32 v[4:5], null, s6, v17, 0
	s_wait_alu 0xfffe
	s_cmp_gt_i32 s5, 0
	v_mov_b32_e32 v7, v14
	v_mad_co_u64_u32 v[14:15], null, s29, v19, v[11:12]
	s_cselect_b32 s41, -1, 0
	s_ashr_i32 s30, s30, 31
	v_lshl_add_u32 v41, v26, 9, v16
	s_wait_alu 0xfffe
	s_mul_i32 s7, s6, s30
	v_lshl_add_u32 v0, v26, 7, v16
	v_cmp_gt_i32_e64 s6, s20, v17
	v_mov_b32_e32 v11, v14
	v_or_b32_e32 v29, 2, v40
	v_mad_co_u64_u32 v[15:16], null, s27, v19, v[13:14]
	s_wait_alu 0xfffe
	v_add3_u32 v5, v5, s7, v18
	v_mad_co_u64_u32 v[16:17], null, s28, v26, 0
	v_mad_co_u64_u32 v[18:19], null, s28, v29, 0
	;; [unrolled: 1-line block ×3, first 2 shown]
	v_mov_b32_e32 v13, v15
	v_mad_co_u64_u32 v[22:23], null, s26, v40, s[26:27]
	s_delay_alu instid0(VALU_DEP_4) | instskip(SKIP_3) | instid1(VALU_DEP_4)
	v_dual_mov_b32 v14, v17 :: v_dual_mov_b32 v15, v19
	v_mad_co_u64_u32 v[24:25], null, s28, v40, s[28:29]
	v_ashrrev_i32_e32 v9, 31, v8
	v_cmp_gt_i32_e64 s1, s20, v8
	v_mad_co_u64_u32 v[26:27], null, s29, v26, v[14:15]
	v_mad_co_u64_u32 v[27:28], null, s29, v29, v[15:16]
	v_dual_mov_b32 v14, v21 :: v_dual_mov_b32 v15, v23
	v_mov_b32_e32 v17, v25
	v_lshlrev_b64_e32 v[6:7], 3, v[6:7]
	v_lshlrev_b64_e32 v[8:9], 1, v[8:9]
	;; [unrolled: 1-line block ×3, first 2 shown]
	v_mov_b32_e32 v19, v27
	v_mad_co_u64_u32 v[28:29], null, s27, v29, v[14:15]
	v_mad_co_u64_u32 v[14:15], null, s27, v40, v[15:16]
	;; [unrolled: 1-line block ×3, first 2 shown]
	v_mov_b32_e32 v17, v26
	v_lshlrev_b64_e32 v[12:13], 1, v[12:13]
	v_mov_b32_e32 v21, v28
	v_cmp_gt_i32_e64 s5, s40, v40
	v_mov_b32_e32 v23, v14
	v_lshlrev_b64_e32 v[14:15], 3, v[16:17]
	v_mov_b32_e32 v25, v29
	v_lshlrev_b64_e32 v[16:17], 1, v[18:19]
	v_lshlrev_b64_e32 v[18:19], 1, v[20:21]
	;; [unrolled: 1-line block ×3, first 2 shown]
	s_and_b32 s20, s0, vcc_lo
	v_lshlrev_b64_e32 v[22:23], 1, v[24:25]
	v_lshlrev_b64_e32 v[24:25], 1, v[2:3]
	s_lshl_b64 s[30:31], s[26:27], 7
	s_lshl_b64 s[34:35], s[28:29], 7
	;; [unrolled: 1-line block ×5, first 2 shown]
	s_branch .LBB593_4
.LBB593_2:                              ;   in Loop: Header=BB593_4 Depth=1
	s_wait_alu 0xfffe
	s_or_b32 exec_lo, exec_lo, s7
.LBB593_3:                              ;   in Loop: Header=BB593_4 Depth=1
	s_add_co_i32 s24, s24, 0x10000
	s_delay_alu instid0(SALU_CYCLE_1)
	s_cmp_lt_u32 s24, s23
	s_cbranch_scc0 .LBB593_76
.LBB593_4:                              ; =>This Loop Header: Depth=1
                                        ;     Child Loop BB593_28 Depth 2
	s_and_not1_b32 vcc_lo, exec_lo, s37
	s_wait_alu 0xfffe
	s_cbranch_vccnz .LBB593_3
; %bb.5:                                ;   in Loop: Header=BB593_4 Depth=1
	s_and_not1_b32 vcc_lo, exec_lo, s36
	s_wait_alu 0xfffe
	s_cbranch_vccnz .LBB593_7
; %bb.6:                                ;   in Loop: Header=BB593_4 Depth=1
	s_mov_b32 s7, 0
	s_branch .LBB593_8
.LBB593_7:                              ;   in Loop: Header=BB593_4 Depth=1
	s_mov_b32 s7, -1
.LBB593_8:                              ;   in Loop: Header=BB593_4 Depth=1
	v_mov_b32_e32 v28, 0
	v_dual_mov_b32 v29, 0 :: v_dual_mov_b32 v26, 0
	v_mov_b32_e32 v27, 0
	s_wait_alu 0xfffe
	s_and_not1_b32 vcc_lo, exec_lo, s7
	s_wait_alu 0xfffe
	s_cbranch_vccnz .LBB593_10
; %bb.9:                                ;   in Loop: Header=BB593_4 Depth=1
	s_lshl_b64 s[42:43], s[24:25], 3
	s_delay_alu instid0(SALU_CYCLE_1)
	s_add_nc_u64 s[42:43], s[8:9], s[42:43]
	global_load_b64 v[26:27], v1, s[42:43]
	s_wait_loadcnt 0x0
	v_add_co_u32 v26, vcc_lo, v26, s10
	s_wait_alu 0xfffd
	v_add_co_ci_u32_e64 v27, null, s11, v27, vcc_lo
.LBB593_10:                             ;   in Loop: Header=BB593_4 Depth=1
	v_cmp_ne_u32_e32 vcc_lo, 1, v42
	s_cbranch_vccnz .LBB593_12
; %bb.11:                               ;   in Loop: Header=BB593_4 Depth=1
	s_lshl_b64 s[42:43], s[24:25], 3
	s_delay_alu instid0(SALU_CYCLE_1)
	s_add_nc_u64 s[42:43], s[12:13], s[42:43]
	global_load_b64 v[28:29], v1, s[42:43]
	s_wait_loadcnt 0x0
	v_add_co_u32 v28, vcc_lo, v28, s14
	s_wait_alu 0xfffd
	v_add_co_ci_u32_e64 v29, null, s15, v29, vcc_lo
.LBB593_12:                             ;   in Loop: Header=BB593_4 Depth=1
	s_lshl_b64 s[42:43], s[24:25], 3
	s_delay_alu instid0(SALU_CYCLE_1)
	s_add_nc_u64 s[42:43], s[16:17], s[42:43]
	global_load_b64 v[30:31], v1, s[42:43]
	s_wait_loadcnt 0x0
	v_add_co_u32 v43, vcc_lo, v30, s18
	s_wait_alu 0xfffd
	v_add_co_ci_u32_e64 v44, null, s19, v31, vcc_lo
	s_and_not1_b32 vcc_lo, exec_lo, s36
	s_wait_alu 0xfffe
	s_cbranch_vccnz .LBB593_20
; %bb.13:                               ;   in Loop: Header=BB593_4 Depth=1
	s_mov_b32 s7, 0
	s_mov_b32 s42, 0
                                        ; implicit-def: $vgpr30
	s_and_saveexec_b32 s43, s20
	s_cbranch_execz .LBB593_21
; %bb.14:                               ;   in Loop: Header=BB593_4 Depth=1
	s_and_not1_b32 vcc_lo, exec_lo, s38
	s_wait_alu 0xfffe
	s_cbranch_vccnz .LBB593_73
; %bb.15:                               ;   in Loop: Header=BB593_4 Depth=1
	v_add_co_u32 v30, vcc_lo, v43, v24
	s_wait_alu 0xfffd
	v_add_co_ci_u32_e64 v31, null, v44, v25, vcc_lo
	flat_load_u16 v30, v[30:31]
	s_wait_loadcnt_dscnt 0x0
	v_lshlrev_b32_e32 v30, 16, v30
	s_delay_alu instid0(VALU_DEP_1) | instskip(NEXT) | instid1(VALU_DEP_1)
	v_mul_f32_e32 v30, s33, v30
	v_and_b32_e32 v31, 0x7f800000, v30
	s_delay_alu instid0(VALU_DEP_1) | instskip(SKIP_1) | instid1(SALU_CYCLE_1)
	v_cmp_ne_u32_e32 vcc_lo, 0x7f800000, v31
                                        ; implicit-def: $vgpr31
	s_and_saveexec_b32 s42, vcc_lo
	s_xor_b32 s42, exec_lo, s42
; %bb.16:                               ;   in Loop: Header=BB593_4 Depth=1
	v_bfe_u32 v31, v30, 16, 1
	s_delay_alu instid0(VALU_DEP_1)
	v_add3_u32 v31, v30, v31, 0x7fff
                                        ; implicit-def: $vgpr30
; %bb.17:                               ;   in Loop: Header=BB593_4 Depth=1
	s_and_not1_saveexec_b32 s42, s42
; %bb.18:                               ;   in Loop: Header=BB593_4 Depth=1
	v_and_b32_e32 v31, 0xffff, v30
	v_or_b32_e32 v32, 0x10000, v30
	s_delay_alu instid0(VALU_DEP_2) | instskip(SKIP_1) | instid1(VALU_DEP_2)
	v_cmp_eq_u32_e32 vcc_lo, 0, v31
	s_wait_alu 0xfffd
	v_cndmask_b32_e32 v31, v32, v30, vcc_lo
; %bb.19:                               ;   in Loop: Header=BB593_4 Depth=1
	s_or_b32 exec_lo, exec_lo, s42
	s_delay_alu instid0(VALU_DEP_1) | instskip(SKIP_2) | instid1(SALU_CYCLE_1)
	v_lshrrev_b32_e32 v30, 16, v31
	s_mov_b32 s42, exec_lo
	s_or_b32 exec_lo, exec_lo, s43
	s_and_b32 vcc_lo, exec_lo, s7
	s_wait_alu 0xfffe
	s_cbranch_vccnz .LBB593_22
	s_branch .LBB593_74
.LBB593_20:                             ;   in Loop: Header=BB593_4 Depth=1
	s_mov_b32 s42, 0
                                        ; implicit-def: $vgpr30
	s_cbranch_execnz .LBB593_22
	s_branch .LBB593_74
.LBB593_21:                             ;   in Loop: Header=BB593_4 Depth=1
	s_or_b32 exec_lo, exec_lo, s43
	s_wait_alu 0xfffe
	s_and_b32 vcc_lo, exec_lo, s7
	s_wait_alu 0xfffe
	s_cbranch_vccz .LBB593_74
.LBB593_22:                             ;   in Loop: Header=BB593_4 Depth=1
	v_dual_mov_b32 v45, 0 :: v_dual_mov_b32 v46, 0
	v_dual_mov_b32 v49, v40 :: v_dual_mov_b32 v48, 0
	v_mov_b32_e32 v47, 0
	s_and_saveexec_b32 s43, s5
	s_cbranch_execz .LBB593_34
; %bb.23:                               ;   in Loop: Header=BB593_4 Depth=1
	v_add_co_u32 v50, vcc_lo, v26, v10
	s_wait_alu 0xfffd
	v_add_co_ci_u32_e64 v51, null, v27, v11, vcc_lo
	v_add_co_u32 v52, vcc_lo, v26, v14
	s_wait_alu 0xfffd
	v_add_co_ci_u32_e64 v53, null, v27, v15, vcc_lo
	;; [unrolled: 3-line block ×3, first 2 shown]
	v_add_co_u32 v56, vcc_lo, v26, v22
	v_dual_mov_b32 v31, v29 :: v_dual_mov_b32 v46, 0
	s_wait_alu 0xfffd
	v_add_co_ci_u32_e64 v57, null, v27, v23, vcc_lo
	v_dual_mov_b32 v45, 0 :: v_dual_mov_b32 v30, v28
	v_dual_mov_b32 v49, v40 :: v_dual_mov_b32 v48, 0
	v_mov_b32_e32 v47, 0
	s_mov_b32 s44, 0
	s_branch .LBB593_28
.LBB593_24:                             ;   in Loop: Header=BB593_28 Depth=2
	s_or_b32 exec_lo, exec_lo, s47
	s_wait_loadcnt_dscnt 0x303
	v_lshlrev_b32_e32 v32, 16, v73
	s_wait_loadcnt_dscnt 0x202
	v_lshlrev_b32_e32 v33, 16, v72
	s_wait_loadcnt_dscnt 0x101
	s_delay_alu instid0(VALU_DEP_2) | instskip(NEXT) | instid1(VALU_DEP_1)
	v_dual_fmac_f32 v47, v65, v32 :: v_dual_lshlrev_b32 v32, 16, v71
	v_fmac_f32_e32 v47, v61, v33
	s_wait_loadcnt_dscnt 0x0
	s_delay_alu instid0(VALU_DEP_1) | instskip(NEXT) | instid1(VALU_DEP_1)
	v_dual_fmac_f32 v47, v63, v32 :: v_dual_lshlrev_b32 v32, 16, v70
	v_fmac_f32_e32 v47, v59, v32
.LBB593_25:                             ;   in Loop: Header=BB593_28 Depth=2
	s_or_b32 exec_lo, exec_lo, s46
	s_wait_loadcnt_dscnt 0x303
	v_lshlrev_b32_e32 v32, 16, v69
	s_wait_loadcnt_dscnt 0x202
	v_lshlrev_b32_e32 v33, 16, v68
	s_delay_alu instid0(VALU_DEP_2) | instskip(SKIP_2) | instid1(VALU_DEP_2)
	v_fmac_f32_e32 v46, v65, v32
	s_wait_loadcnt_dscnt 0x101
	v_lshlrev_b32_e32 v32, 16, v67
	v_fmac_f32_e32 v46, v61, v33
	s_delay_alu instid0(VALU_DEP_1) | instskip(SKIP_2) | instid1(VALU_DEP_1)
	v_fmac_f32_e32 v46, v63, v32
	s_wait_loadcnt_dscnt 0x0
	v_lshlrev_b32_e32 v32, 16, v66
	v_fmac_f32_e32 v46, v59, v32
.LBB593_26:                             ;   in Loop: Header=BB593_28 Depth=2
	s_or_b32 exec_lo, exec_lo, s45
	s_wait_loadcnt_dscnt 0x202
	v_lshlrev_b32_e32 v33, 16, v62
	v_lshlrev_b32_e32 v32, 16, v64
	s_delay_alu instid0(VALU_DEP_1) | instskip(SKIP_1) | instid1(VALU_DEP_1)
	v_fmac_f32_e32 v45, v65, v32
	s_wait_loadcnt_dscnt 0x101
	v_dual_fmac_f32 v45, v61, v33 :: v_dual_lshlrev_b32 v32, 16, v60
	s_wait_loadcnt_dscnt 0x0
	s_delay_alu instid0(VALU_DEP_1) | instskip(NEXT) | instid1(VALU_DEP_1)
	v_dual_fmac_f32 v45, v63, v32 :: v_dual_lshlrev_b32 v32, 16, v58
	v_fmac_f32_e32 v45, v59, v32
.LBB593_27:                             ;   in Loop: Header=BB593_28 Depth=2
	s_wait_alu 0xfffe
	s_or_b32 exec_lo, exec_lo, s7
	v_add_co_u32 v30, vcc_lo, v30, s30
	s_wait_alu 0xfffd
	v_add_co_ci_u32_e64 v31, null, s31, v31, vcc_lo
	v_add_co_u32 v50, vcc_lo, v50, s34
	v_add_nc_u32_e32 v49, 64, v49
	s_wait_alu 0xfffd
	v_add_co_ci_u32_e64 v51, null, s35, v51, vcc_lo
	v_add_co_u32 v52, vcc_lo, v52, s34
	s_wait_alu 0xfffd
	v_add_co_ci_u32_e64 v53, null, s35, v53, vcc_lo
	v_add_co_u32 v54, vcc_lo, v54, s34
	s_wait_alu 0xfffd
	v_add_co_ci_u32_e64 v55, null, s35, v55, vcc_lo
	v_cmp_le_i32_e32 vcc_lo, s40, v49
	v_add_co_u32 v56, s7, v56, s34
	s_wait_alu 0xf1ff
	v_add_co_ci_u32_e64 v57, null, s35, v57, s7
	s_or_b32 s44, vcc_lo, s44
	s_delay_alu instid0(SALU_CYCLE_1)
	s_and_not1_b32 exec_lo, exec_lo, s44
	s_cbranch_execz .LBB593_33
.LBB593_28:                             ;   Parent Loop BB593_4 Depth=1
                                        ; =>  This Inner Loop Header: Depth=2
	s_and_saveexec_b32 s7, s1
	s_cbranch_execz .LBB593_27
; %bb.29:                               ;   in Loop: Header=BB593_28 Depth=2
	v_add_co_u32 v32, vcc_lo, v30, v6
	s_wait_alu 0xfffd
	v_add_co_ci_u32_e64 v33, null, v31, v7, vcc_lo
	v_add_co_u32 v34, vcc_lo, v30, v20
	s_wait_alu 0xfffd
	v_add_co_ci_u32_e64 v35, null, v31, v21, vcc_lo
	;; [unrolled: 3-line block ×4, first 2 shown]
	s_clause 0x3
	flat_load_u16 v59, v[32:33]
	flat_load_u16 v61, v[34:35]
	flat_load_u16 v63, v[36:37]
	flat_load_u16 v66, v[38:39]
	v_add_co_u32 v32, vcc_lo, v52, v8
	s_wait_alu 0xfffd
	v_add_co_ci_u32_e64 v33, null, v53, v9, vcc_lo
	v_add_co_u32 v36, vcc_lo, v56, v8
	s_wait_alu 0xfffd
	v_add_co_ci_u32_e64 v37, null, v57, v9, vcc_lo
	;; [unrolled: 3-line block ×4, first 2 shown]
	flat_load_u16 v64, v[32:33]
	flat_load_u16 v62, v[36:37]
	;; [unrolled: 1-line block ×4, first 2 shown]
	s_wait_loadcnt_dscnt 0x707
	v_lshlrev_b32_e32 v65, 16, v59
	s_wait_loadcnt_dscnt 0x606
	v_lshlrev_b32_e32 v61, 16, v61
	;; [unrolled: 2-line block ×4, first 2 shown]
	s_and_saveexec_b32 s45, s2
	s_cbranch_execz .LBB593_26
; %bb.30:                               ;   in Loop: Header=BB593_28 Depth=2
	flat_load_u16 v69, v[32:33] offset:64
	flat_load_u16 v68, v[36:37] offset:64
	flat_load_u16 v67, v[34:35] offset:64
	flat_load_u16 v66, v[38:39] offset:64
	s_and_saveexec_b32 s46, s3
	s_cbranch_execz .LBB593_25
; %bb.31:                               ;   in Loop: Header=BB593_28 Depth=2
	flat_load_u16 v73, v[32:33] offset:128
	flat_load_u16 v72, v[36:37] offset:128
	flat_load_u16 v71, v[34:35] offset:128
	flat_load_u16 v70, v[38:39] offset:128
	;; [unrolled: 7-line block ×3, first 2 shown]
	s_wait_loadcnt_dscnt 0x303
	v_lshlrev_b32_e32 v32, 16, v32
	s_wait_loadcnt_dscnt 0x202
	s_delay_alu instid0(VALU_DEP_1) | instskip(SKIP_3) | instid1(VALU_DEP_2)
	v_dual_fmac_f32 v48, v65, v32 :: v_dual_lshlrev_b32 v33, 16, v33
	s_wait_loadcnt_dscnt 0x101
	v_lshlrev_b32_e32 v32, 16, v34
	s_wait_loadcnt_dscnt 0x0
	v_dual_fmac_f32 v48, v61, v33 :: v_dual_lshlrev_b32 v33, 16, v35
	s_delay_alu instid0(VALU_DEP_1) | instskip(NEXT) | instid1(VALU_DEP_1)
	v_fmac_f32_e32 v48, v63, v32
	v_fmac_f32_e32 v48, v59, v33
	s_branch .LBB593_24
.LBB593_33:                             ;   in Loop: Header=BB593_4 Depth=1
	s_or_b32 exec_lo, exec_lo, s44
.LBB593_34:                             ;   in Loop: Header=BB593_4 Depth=1
	s_delay_alu instid0(SALU_CYCLE_1) | instskip(NEXT) | instid1(SALU_CYCLE_1)
	s_or_b32 exec_lo, exec_lo, s43
	s_and_not1_b32 vcc_lo, exec_lo, s41
	s_wait_alu 0xfffe
	s_cbranch_vccnz .LBB593_52
; %bb.35:                               ;   in Loop: Header=BB593_4 Depth=1
	v_cmp_gt_i32_e32 vcc_lo, s21, v49
	v_dual_mov_b32 v35, 0 :: v_dual_mov_b32 v34, 0
	v_or_b32_e32 v30, 1, v49
	v_dual_mov_b32 v37, 0 :: v_dual_mov_b32 v36, 0
	s_and_saveexec_b32 s43, vcc_lo
	s_cbranch_execz .LBB593_43
; %bb.36:                               ;   in Loop: Header=BB593_4 Depth=1
	v_mad_co_u64_u32 v[31:32], null, s26, v49, 0
	v_dual_mov_b32 v36, 0 :: v_dual_mov_b32 v35, 0
	v_mov_b32_e32 v34, 0
	s_mov_b32 s44, exec_lo
	s_delay_alu instid0(VALU_DEP_3) | instskip(NEXT) | instid1(VALU_DEP_1)
	v_mad_co_u64_u32 v[32:33], null, s27, v49, v[32:33]
	v_lshlrev_b64_e32 v[31:32], 1, v[31:32]
	s_delay_alu instid0(VALU_DEP_1) | instskip(SKIP_1) | instid1(VALU_DEP_2)
	v_add_co_u32 v31, s7, v28, v31
	s_wait_alu 0xf1ff
	v_add_co_ci_u32_e64 v32, null, v29, v32, s7
	flat_load_u16 v31, v[31:32]
	v_cmpx_gt_i32_e64 s21, v30
	s_cbranch_execz .LBB593_42
; %bb.37:                               ;   in Loop: Header=BB593_4 Depth=1
	v_mad_co_u64_u32 v[32:33], null, s26, v30, 0
	s_mov_b32 s45, exec_lo
	v_mov_b32_e32 v35, 0
	v_mad_co_u64_u32 v[33:34], null, s27, v30, v[33:34]
	v_mov_b32_e32 v34, 0
	s_delay_alu instid0(VALU_DEP_2) | instskip(NEXT) | instid1(VALU_DEP_1)
	v_lshlrev_b64_e32 v[32:33], 1, v[32:33]
	v_add_co_u32 v32, s7, v28, v32
	s_wait_alu 0xf1ff
	s_delay_alu instid0(VALU_DEP_2) | instskip(SKIP_2) | instid1(VALU_DEP_1)
	v_add_co_ci_u32_e64 v33, null, v29, v33, s7
	flat_load_u16 v32, v[32:33]
	v_or_b32_e32 v33, 2, v49
	v_cmpx_gt_i32_e64 s21, v33
	s_cbranch_execz .LBB593_41
; %bb.38:                               ;   in Loop: Header=BB593_4 Depth=1
	v_mad_co_u64_u32 v[34:35], null, s26, v33, 0
	s_mov_b32 s46, exec_lo
	v_mad_co_u64_u32 v[35:36], null, s27, v33, v[35:36]
	s_delay_alu instid0(VALU_DEP_1) | instskip(SKIP_1) | instid1(VALU_DEP_2)
	v_lshlrev_b64_e32 v[33:34], 1, v[34:35]
	v_or_b32_e32 v35, 3, v49
	v_add_co_u32 v33, s7, v28, v33
	s_wait_alu 0xf1ff
	s_delay_alu instid0(VALU_DEP_3)
	v_add_co_ci_u32_e64 v34, null, v29, v34, s7
	flat_load_u16 v33, v[33:34]
	v_mov_b32_e32 v34, 0
	v_cmpx_gt_i32_e64 s21, v35
	s_cbranch_execz .LBB593_40
; %bb.39:                               ;   in Loop: Header=BB593_4 Depth=1
	v_mad_co_u64_u32 v[36:37], null, s26, v35, 0
	s_delay_alu instid0(VALU_DEP_1) | instskip(NEXT) | instid1(VALU_DEP_1)
	v_mov_b32_e32 v34, v37
	v_mad_co_u64_u32 v[34:35], null, s27, v35, v[34:35]
	s_delay_alu instid0(VALU_DEP_1) | instskip(NEXT) | instid1(VALU_DEP_1)
	v_mov_b32_e32 v37, v34
	v_lshlrev_b64_e32 v[34:35], 1, v[36:37]
	s_delay_alu instid0(VALU_DEP_1) | instskip(SKIP_1) | instid1(VALU_DEP_2)
	v_add_co_u32 v28, s7, v28, v34
	s_wait_alu 0xf1ff
	v_add_co_ci_u32_e64 v29, null, v29, v35, s7
	flat_load_u16 v28, v[28:29]
	s_wait_loadcnt_dscnt 0x0
	v_lshlrev_b32_e32 v34, 16, v28
.LBB593_40:                             ;   in Loop: Header=BB593_4 Depth=1
	s_or_b32 exec_lo, exec_lo, s46
	s_wait_loadcnt_dscnt 0x0
	v_lshlrev_b32_e32 v35, 16, v33
.LBB593_41:                             ;   in Loop: Header=BB593_4 Depth=1
	s_or_b32 exec_lo, exec_lo, s45
	s_wait_loadcnt_dscnt 0x0
	v_lshlrev_b32_e32 v36, 16, v32
.LBB593_42:                             ;   in Loop: Header=BB593_4 Depth=1
	s_or_b32 exec_lo, exec_lo, s44
	s_wait_loadcnt_dscnt 0x0
	v_lshlrev_b32_e32 v37, 16, v31
.LBB593_43:                             ;   in Loop: Header=BB593_4 Depth=1
	s_or_b32 exec_lo, exec_lo, s43
	s_and_saveexec_b32 s43, s1
	s_cbranch_execz .LBB593_51
; %bb.44:                               ;   in Loop: Header=BB593_4 Depth=1
	v_mad_co_u64_u32 v[28:29], null, s28, v49, 0
	v_or_b32_e32 v52, 2, v49
	v_mad_co_u64_u32 v[31:32], null, s28, v30, 0
	v_or_b32_e32 v53, 3, v49
	v_cmp_gt_i32_e64 s7, s21, v30
	s_delay_alu instid0(VALU_DEP_4) | instskip(SKIP_3) | instid1(VALU_DEP_4)
	v_mad_co_u64_u32 v[38:39], null, s28, v52, 0
	v_mad_co_u64_u32 v[49:50], null, s29, v49, v[29:30]
	;; [unrolled: 1-line block ×4, first 2 shown]
	v_mov_b32_e32 v30, v39
	s_delay_alu instid0(VALU_DEP_4)
	v_dual_cndmask_b32 v50, 0, v28 :: v_dual_cndmask_b32 v51, 0, v49
	s_wait_alu 0xf1ff
	v_cndmask_b32_e64 v28, 0, v31, s7
	v_cndmask_b32_e64 v29, 0, v29, s7
	v_mad_co_u64_u32 v[30:31], null, s29, v52, v[30:31]
	v_mov_b32_e32 v31, v33
	v_lshlrev_b64_e32 v[49:50], 1, v[50:51]
	v_cmp_gt_i32_e32 vcc_lo, s21, v52
	v_lshlrev_b64_e32 v[51:52], 1, v[28:29]
	s_wait_alu 0xfffd
	v_cndmask_b32_e32 v39, 0, v30, vcc_lo
	s_delay_alu instid0(VALU_DEP_4)
	v_add_co_u32 v28, s7, v26, v49
	s_wait_alu 0xf1ff
	v_add_co_ci_u32_e64 v29, null, v27, v50, s7
	v_mad_co_u64_u32 v[30:31], null, s29, v53, v[31:32]
	v_cndmask_b32_e32 v38, 0, v38, vcc_lo
	v_add_co_u32 v28, vcc_lo, v28, v8
	s_wait_alu 0xfffd
	v_add_co_ci_u32_e64 v29, null, v29, v9, vcc_lo
	v_cmp_gt_i32_e32 vcc_lo, s21, v53
	v_add_co_u32 v31, s7, v26, v51
	s_wait_alu 0xf1ff
	v_add_co_ci_u32_e64 v49, null, v27, v52, s7
	s_wait_alu 0xfffd
	v_dual_cndmask_b32 v32, 0, v32 :: v_dual_cndmask_b32 v33, 0, v30
	v_lshlrev_b64_e32 v[38:39], 1, v[38:39]
	v_add_co_u32 v30, vcc_lo, v31, v8
	s_wait_alu 0xfffd
	v_add_co_ci_u32_e64 v31, null, v49, v9, vcc_lo
	v_lshlrev_b64_e32 v[32:33], 1, v[32:33]
	s_delay_alu instid0(VALU_DEP_4) | instskip(SKIP_2) | instid1(VALU_DEP_3)
	v_add_co_u32 v38, vcc_lo, v26, v38
	s_wait_alu 0xfffd
	v_add_co_ci_u32_e64 v39, null, v27, v39, vcc_lo
	v_add_co_u32 v32, vcc_lo, v26, v32
	s_wait_alu 0xfffd
	v_add_co_ci_u32_e64 v33, null, v27, v33, vcc_lo
	;; [unrolled: 3-line block ×4, first 2 shown]
	s_clause 0x3
	flat_load_u16 v50, v[28:29]
	flat_load_u16 v49, v[30:31]
	;; [unrolled: 1-line block ×4, first 2 shown]
	s_and_saveexec_b32 s7, s2
	s_cbranch_execz .LBB593_50
; %bb.45:                               ;   in Loop: Header=BB593_4 Depth=1
	s_clause 0x3
	flat_load_u16 v54, v[28:29] offset:64
	flat_load_u16 v53, v[30:31] offset:64
	flat_load_u16 v52, v[26:27] offset:64
	flat_load_u16 v51, v[32:33] offset:64
	s_and_saveexec_b32 s44, s3
	s_cbranch_execz .LBB593_49
; %bb.46:                               ;   in Loop: Header=BB593_4 Depth=1
	s_clause 0x3
	flat_load_u16 v58, v[28:29] offset:128
	flat_load_u16 v57, v[30:31] offset:128
	flat_load_u16 v56, v[26:27] offset:128
	flat_load_u16 v55, v[32:33] offset:128
	;; [unrolled: 8-line block ×3, first 2 shown]
	s_wait_loadcnt_dscnt 0x303
	v_lshlrev_b32_e32 v28, 16, v28
	s_wait_loadcnt_dscnt 0x202
	v_lshlrev_b32_e32 v29, 16, v29
	;; [unrolled: 2-line block ×3, first 2 shown]
	s_wait_loadcnt_dscnt 0x0
	v_dual_fmac_f32 v48, v37, v28 :: v_dual_lshlrev_b32 v27, 16, v27
	s_delay_alu instid0(VALU_DEP_1) | instskip(NEXT) | instid1(VALU_DEP_1)
	v_fmac_f32_e32 v48, v36, v29
	v_fmac_f32_e32 v48, v35, v26
	s_delay_alu instid0(VALU_DEP_1)
	v_fmac_f32_e32 v48, v34, v27
.LBB593_48:                             ;   in Loop: Header=BB593_4 Depth=1
	s_or_b32 exec_lo, exec_lo, s45
	s_wait_loadcnt_dscnt 0x202
	v_lshlrev_b32_e32 v27, 16, v57
	v_lshlrev_b32_e32 v26, 16, v58
	s_wait_loadcnt_dscnt 0x101
	s_delay_alu instid0(VALU_DEP_1) | instskip(NEXT) | instid1(VALU_DEP_1)
	v_dual_fmac_f32 v47, v37, v26 :: v_dual_lshlrev_b32 v26, 16, v56
	v_fmac_f32_e32 v47, v36, v27
	s_wait_loadcnt_dscnt 0x0
	s_delay_alu instid0(VALU_DEP_1) | instskip(NEXT) | instid1(VALU_DEP_1)
	v_dual_fmac_f32 v47, v35, v26 :: v_dual_lshlrev_b32 v26, 16, v55
	v_fmac_f32_e32 v47, v34, v26
.LBB593_49:                             ;   in Loop: Header=BB593_4 Depth=1
	s_or_b32 exec_lo, exec_lo, s44
	s_wait_loadcnt_dscnt 0x303
	v_lshlrev_b32_e32 v26, 16, v54
	s_wait_loadcnt_dscnt 0x202
	s_delay_alu instid0(VALU_DEP_1) | instskip(SKIP_2) | instid1(VALU_DEP_2)
	v_dual_fmac_f32 v46, v37, v26 :: v_dual_lshlrev_b32 v27, 16, v53
	s_wait_loadcnt_dscnt 0x101
	v_lshlrev_b32_e32 v26, 16, v52
	v_fmac_f32_e32 v46, v36, v27
	s_delay_alu instid0(VALU_DEP_1) | instskip(SKIP_2) | instid1(VALU_DEP_1)
	v_fmac_f32_e32 v46, v35, v26
	s_wait_loadcnt_dscnt 0x0
	v_lshlrev_b32_e32 v26, 16, v51
	v_fmac_f32_e32 v46, v34, v26
.LBB593_50:                             ;   in Loop: Header=BB593_4 Depth=1
	s_wait_alu 0xfffe
	s_or_b32 exec_lo, exec_lo, s7
	s_wait_loadcnt_dscnt 0x202
	v_lshlrev_b32_e32 v27, 16, v49
	v_lshlrev_b32_e32 v26, 16, v50
	s_wait_loadcnt_dscnt 0x101
	s_delay_alu instid0(VALU_DEP_1) | instskip(NEXT) | instid1(VALU_DEP_1)
	v_dual_fmac_f32 v45, v37, v26 :: v_dual_lshlrev_b32 v26, 16, v39
	v_fmac_f32_e32 v45, v36, v27
	s_delay_alu instid0(VALU_DEP_1) | instskip(SKIP_2) | instid1(VALU_DEP_1)
	v_fmac_f32_e32 v45, v35, v26
	s_wait_loadcnt_dscnt 0x0
	v_lshlrev_b32_e32 v26, 16, v38
	v_fmac_f32_e32 v45, v34, v26
.LBB593_51:                             ;   in Loop: Header=BB593_4 Depth=1
	s_or_b32 exec_lo, exec_lo, s43
.LBB593_52:                             ;   in Loop: Header=BB593_4 Depth=1
	ds_store_2addr_b32 v41, v45, v46 offset1:32
	ds_store_2addr_b32 v41, v47, v48 offset0:64 offset1:96
	s_wait_dscnt 0x0
	s_barrier_signal -1
	s_barrier_wait -1
	global_inv scope:SCOPE_SE
                                        ; implicit-def: $vgpr30
	s_and_saveexec_b32 s7, s0
	s_cbranch_execz .LBB593_72
; %bb.53:                               ;   in Loop: Header=BB593_4 Depth=1
	ds_load_2addr_stride64_b32 v[26:27], v0 offset1:2
	ds_load_2addr_stride64_b32 v[28:29], v0 offset0:4 offset1:6
	ds_load_2addr_stride64_b32 v[30:31], v0 offset0:8 offset1:10
	s_mov_b32 s44, s42
	s_wait_dscnt 0x2
	v_add_f32_e32 v32, v26, v27
	ds_load_2addr_stride64_b32 v[26:27], v0 offset0:12 offset1:14
	s_wait_dscnt 0x2
	v_add_f32_e32 v28, v28, v32
	s_delay_alu instid0(VALU_DEP_1) | instskip(SKIP_3) | instid1(VALU_DEP_1)
	v_add_f32_e32 v32, v29, v28
	ds_load_2addr_stride64_b32 v[28:29], v0 offset0:16 offset1:18
	s_wait_dscnt 0x2
	v_add_f32_e32 v30, v30, v32
	v_add_f32_e32 v32, v31, v30
	ds_load_2addr_stride64_b32 v[30:31], v0 offset0:20 offset1:22
	s_wait_dscnt 0x2
	v_add_f32_e32 v26, v26, v32
	s_delay_alu instid0(VALU_DEP_1) | instskip(SKIP_1) | instid1(VALU_DEP_1)
	v_add_f32_e32 v26, v27, v26
	s_wait_dscnt 0x1
	v_add_f32_e32 v28, v28, v26
	ds_load_2addr_stride64_b32 v[26:27], v0 offset0:24 offset1:26
	v_add_f32_e32 v28, v29, v28
	s_wait_dscnt 0x1
	s_delay_alu instid0(VALU_DEP_1) | instskip(SKIP_3) | instid1(VALU_DEP_1)
	v_add_f32_e32 v30, v30, v28
	ds_load_2addr_stride64_b32 v[28:29], v0 offset0:28 offset1:30
	v_add_f32_e32 v30, v31, v30
	s_wait_dscnt 0x1
	v_add_f32_e32 v26, v26, v30
                                        ; implicit-def: $vgpr30
	s_delay_alu instid0(VALU_DEP_1) | instskip(SKIP_1) | instid1(VALU_DEP_1)
	v_add_f32_e32 v26, v27, v26
	s_wait_dscnt 0x0
	v_add_f32_e32 v26, v28, v26
	s_delay_alu instid0(VALU_DEP_1)
	v_add_f32_e32 v26, v29, v26
	ds_store_b32 v0, v26
	s_and_saveexec_b32 s43, s6
	s_cbranch_execz .LBB593_71
; %bb.54:                               ;   in Loop: Header=BB593_4 Depth=1
	v_mul_f32_e32 v26, s22, v26
	s_and_b32 vcc_lo, exec_lo, s39
	s_mov_b32 s44, -1
                                        ; implicit-def: $vgpr27
	s_wait_alu 0xfffe
	s_cbranch_vccz .LBB593_60
; %bb.55:                               ;   in Loop: Header=BB593_4 Depth=1
	v_and_b32_e32 v27, 0x7f800000, v26
	s_delay_alu instid0(VALU_DEP_1) | instskip(SKIP_1) | instid1(SALU_CYCLE_1)
	v_cmp_ne_u32_e32 vcc_lo, 0x7f800000, v27
                                        ; implicit-def: $vgpr27
	s_and_saveexec_b32 s44, vcc_lo
	s_xor_b32 s44, exec_lo, s44
; %bb.56:                               ;   in Loop: Header=BB593_4 Depth=1
	v_bfe_u32 v27, v26, 16, 1
	s_delay_alu instid0(VALU_DEP_1)
	v_add3_u32 v27, v26, v27, 0x7fff
; %bb.57:                               ;   in Loop: Header=BB593_4 Depth=1
	s_and_not1_saveexec_b32 s44, s44
; %bb.58:                               ;   in Loop: Header=BB593_4 Depth=1
	v_and_b32_e32 v27, 0xffff, v26
	v_or_b32_e32 v28, 0x10000, v26
	s_delay_alu instid0(VALU_DEP_2) | instskip(SKIP_1) | instid1(VALU_DEP_2)
	v_cmp_eq_u32_e32 vcc_lo, 0, v27
	s_wait_alu 0xfffd
	v_cndmask_b32_e32 v27, v28, v26, vcc_lo
; %bb.59:                               ;   in Loop: Header=BB593_4 Depth=1
	s_or_b32 exec_lo, exec_lo, s44
	s_mov_b32 s44, 0
.LBB593_60:                             ;   in Loop: Header=BB593_4 Depth=1
	s_delay_alu instid0(SALU_CYCLE_1)
	s_and_not1_b32 vcc_lo, exec_lo, s44
	s_wait_alu 0xfffe
	s_cbranch_vccnz .LBB593_70
; %bb.61:                               ;   in Loop: Header=BB593_4 Depth=1
	v_lshlrev_b64_e32 v[27:28], 1, v[4:5]
	s_delay_alu instid0(VALU_DEP_1) | instskip(SKIP_1) | instid1(VALU_DEP_2)
	v_add_co_u32 v27, vcc_lo, v43, v27
	s_wait_alu 0xfffd
	v_add_co_ci_u32_e64 v28, null, v44, v28, vcc_lo
	flat_load_u16 v27, v[27:28]
	s_wait_loadcnt_dscnt 0x0
	v_lshlrev_b32_e32 v27, 16, v27
	s_delay_alu instid0(VALU_DEP_1) | instskip(NEXT) | instid1(VALU_DEP_1)
	v_mul_f32_e32 v27, s33, v27
	v_and_b32_e32 v28, 0x7f800000, v27
	s_delay_alu instid0(VALU_DEP_1) | instskip(SKIP_1) | instid1(SALU_CYCLE_1)
	v_cmp_ne_u32_e32 vcc_lo, 0x7f800000, v28
                                        ; implicit-def: $vgpr28
	s_and_saveexec_b32 s44, vcc_lo
	s_xor_b32 s44, exec_lo, s44
; %bb.62:                               ;   in Loop: Header=BB593_4 Depth=1
	v_bfe_u32 v28, v27, 16, 1
	s_delay_alu instid0(VALU_DEP_1)
	v_add3_u32 v28, v27, v28, 0x7fff
                                        ; implicit-def: $vgpr27
; %bb.63:                               ;   in Loop: Header=BB593_4 Depth=1
	s_and_not1_saveexec_b32 s44, s44
; %bb.64:                               ;   in Loop: Header=BB593_4 Depth=1
	v_and_b32_e32 v28, 0xffff, v27
	v_or_b32_e32 v29, 0x10000, v27
	s_delay_alu instid0(VALU_DEP_2) | instskip(SKIP_1) | instid1(VALU_DEP_2)
	v_cmp_eq_u32_e32 vcc_lo, 0, v28
	s_wait_alu 0xfffd
	v_cndmask_b32_e32 v28, v29, v27, vcc_lo
; %bb.65:                               ;   in Loop: Header=BB593_4 Depth=1
	s_or_b32 exec_lo, exec_lo, s44
	s_delay_alu instid0(VALU_DEP_1) | instskip(NEXT) | instid1(VALU_DEP_1)
	v_and_b32_e32 v27, 0xffff0000, v28
	v_add_f32_e32 v26, v26, v27
	s_delay_alu instid0(VALU_DEP_1) | instskip(NEXT) | instid1(VALU_DEP_1)
	v_and_b32_e32 v27, 0x7f800000, v26
	v_cmp_ne_u32_e32 vcc_lo, 0x7f800000, v27
                                        ; implicit-def: $vgpr27
	s_and_saveexec_b32 s44, vcc_lo
	s_delay_alu instid0(SALU_CYCLE_1)
	s_xor_b32 s44, exec_lo, s44
; %bb.66:                               ;   in Loop: Header=BB593_4 Depth=1
	v_bfe_u32 v27, v26, 16, 1
	s_delay_alu instid0(VALU_DEP_1)
	v_add3_u32 v27, v26, v27, 0x7fff
                                        ; implicit-def: $vgpr26
; %bb.67:                               ;   in Loop: Header=BB593_4 Depth=1
	s_and_not1_saveexec_b32 s44, s44
; %bb.68:                               ;   in Loop: Header=BB593_4 Depth=1
	v_and_b32_e32 v27, 0xffff, v26
	v_or_b32_e32 v28, 0x10000, v26
	s_delay_alu instid0(VALU_DEP_2) | instskip(SKIP_1) | instid1(VALU_DEP_2)
	v_cmp_eq_u32_e32 vcc_lo, 0, v27
	s_wait_alu 0xfffd
	v_cndmask_b32_e32 v27, v28, v26, vcc_lo
; %bb.69:                               ;   in Loop: Header=BB593_4 Depth=1
	s_or_b32 exec_lo, exec_lo, s44
.LBB593_70:                             ;   in Loop: Header=BB593_4 Depth=1
	s_delay_alu instid0(VALU_DEP_1)
	v_lshrrev_b32_e32 v30, 16, v27
	s_or_b32 s44, s42, exec_lo
.LBB593_71:                             ;   in Loop: Header=BB593_4 Depth=1
	s_or_b32 exec_lo, exec_lo, s43
	s_delay_alu instid0(SALU_CYCLE_1) | instskip(SKIP_1) | instid1(SALU_CYCLE_1)
	s_and_not1_b32 s42, s42, exec_lo
	s_and_b32 s43, s44, exec_lo
	s_or_b32 s42, s42, s43
.LBB593_72:                             ;   in Loop: Header=BB593_4 Depth=1
	s_wait_alu 0xfffe
	s_or_b32 exec_lo, exec_lo, s7
	v_dual_mov_b32 v27, v5 :: v_dual_mov_b32 v26, v4
	s_and_saveexec_b32 s7, s42
	s_cbranch_execz .LBB593_2
	s_branch .LBB593_75
.LBB593_73:                             ;   in Loop: Header=BB593_4 Depth=1
	v_mov_b32_e32 v30, 0
	s_mov_b32 s42, exec_lo
	s_or_b32 exec_lo, exec_lo, s43
	s_delay_alu instid0(SALU_CYCLE_1)
	s_and_b32 vcc_lo, exec_lo, s7
	s_wait_alu 0xfffe
	s_cbranch_vccnz .LBB593_22
.LBB593_74:                             ;   in Loop: Header=BB593_4 Depth=1
	v_dual_mov_b32 v27, v3 :: v_dual_mov_b32 v26, v2
	s_and_saveexec_b32 s7, s42
	s_cbranch_execz .LBB593_2
.LBB593_75:                             ;   in Loop: Header=BB593_4 Depth=1
	s_delay_alu instid0(VALU_DEP_1) | instskip(NEXT) | instid1(VALU_DEP_1)
	v_lshlrev_b64_e32 v[26:27], 1, v[26:27]
	v_add_co_u32 v26, vcc_lo, v43, v26
	s_wait_alu 0xfffd
	s_delay_alu instid0(VALU_DEP_2)
	v_add_co_ci_u32_e64 v27, null, v44, v27, vcc_lo
	flat_store_b16 v[26:27], v30
	s_branch .LBB593_2
.LBB593_76:
	s_endpgm
	.section	.rodata,"a",@progbits
	.p2align	6, 0x0
	.amdhsa_kernel _ZL20rocblas_gemvn_kernelILi32ELi16ElPK16rocblas_bfloat16fKPS0_EviiT3_lPKT2_lT1_lS8_lS9_lS5_lPT4_lS9_li
		.amdhsa_group_segment_fixed_size 8192
		.amdhsa_private_segment_fixed_size 0
		.amdhsa_kernarg_size 400
		.amdhsa_user_sgpr_count 2
		.amdhsa_user_sgpr_dispatch_ptr 0
		.amdhsa_user_sgpr_queue_ptr 0
		.amdhsa_user_sgpr_kernarg_segment_ptr 1
		.amdhsa_user_sgpr_dispatch_id 0
		.amdhsa_user_sgpr_private_segment_size 0
		.amdhsa_wavefront_size32 1
		.amdhsa_uses_dynamic_stack 0
		.amdhsa_enable_private_segment 0
		.amdhsa_system_sgpr_workgroup_id_x 1
		.amdhsa_system_sgpr_workgroup_id_y 0
		.amdhsa_system_sgpr_workgroup_id_z 1
		.amdhsa_system_sgpr_workgroup_info 0
		.amdhsa_system_vgpr_workitem_id 1
		.amdhsa_next_free_vgpr 74
		.amdhsa_next_free_sgpr 48
		.amdhsa_reserve_vcc 1
		.amdhsa_float_round_mode_32 0
		.amdhsa_float_round_mode_16_64 0
		.amdhsa_float_denorm_mode_32 3
		.amdhsa_float_denorm_mode_16_64 3
		.amdhsa_fp16_overflow 0
		.amdhsa_workgroup_processor_mode 1
		.amdhsa_memory_ordered 1
		.amdhsa_forward_progress 1
		.amdhsa_inst_pref_size 34
		.amdhsa_round_robin_scheduling 0
		.amdhsa_exception_fp_ieee_invalid_op 0
		.amdhsa_exception_fp_denorm_src 0
		.amdhsa_exception_fp_ieee_div_zero 0
		.amdhsa_exception_fp_ieee_overflow 0
		.amdhsa_exception_fp_ieee_underflow 0
		.amdhsa_exception_fp_ieee_inexact 0
		.amdhsa_exception_int_div_zero 0
	.end_amdhsa_kernel
	.section	.text._ZL20rocblas_gemvn_kernelILi32ELi16ElPK16rocblas_bfloat16fKPS0_EviiT3_lPKT2_lT1_lS8_lS9_lS5_lPT4_lS9_li,"axG",@progbits,_ZL20rocblas_gemvn_kernelILi32ELi16ElPK16rocblas_bfloat16fKPS0_EviiT3_lPKT2_lT1_lS8_lS9_lS5_lPT4_lS9_li,comdat
.Lfunc_end593:
	.size	_ZL20rocblas_gemvn_kernelILi32ELi16ElPK16rocblas_bfloat16fKPS0_EviiT3_lPKT2_lT1_lS8_lS9_lS5_lPT4_lS9_li, .Lfunc_end593-_ZL20rocblas_gemvn_kernelILi32ELi16ElPK16rocblas_bfloat16fKPS0_EviiT3_lPKT2_lT1_lS8_lS9_lS5_lPT4_lS9_li
                                        ; -- End function
	.set _ZL20rocblas_gemvn_kernelILi32ELi16ElPK16rocblas_bfloat16fKPS0_EviiT3_lPKT2_lT1_lS8_lS9_lS5_lPT4_lS9_li.num_vgpr, 74
	.set _ZL20rocblas_gemvn_kernelILi32ELi16ElPK16rocblas_bfloat16fKPS0_EviiT3_lPKT2_lT1_lS8_lS9_lS5_lPT4_lS9_li.num_agpr, 0
	.set _ZL20rocblas_gemvn_kernelILi32ELi16ElPK16rocblas_bfloat16fKPS0_EviiT3_lPKT2_lT1_lS8_lS9_lS5_lPT4_lS9_li.numbered_sgpr, 48
	.set _ZL20rocblas_gemvn_kernelILi32ELi16ElPK16rocblas_bfloat16fKPS0_EviiT3_lPKT2_lT1_lS8_lS9_lS5_lPT4_lS9_li.num_named_barrier, 0
	.set _ZL20rocblas_gemvn_kernelILi32ELi16ElPK16rocblas_bfloat16fKPS0_EviiT3_lPKT2_lT1_lS8_lS9_lS5_lPT4_lS9_li.private_seg_size, 0
	.set _ZL20rocblas_gemvn_kernelILi32ELi16ElPK16rocblas_bfloat16fKPS0_EviiT3_lPKT2_lT1_lS8_lS9_lS5_lPT4_lS9_li.uses_vcc, 1
	.set _ZL20rocblas_gemvn_kernelILi32ELi16ElPK16rocblas_bfloat16fKPS0_EviiT3_lPKT2_lT1_lS8_lS9_lS5_lPT4_lS9_li.uses_flat_scratch, 1
	.set _ZL20rocblas_gemvn_kernelILi32ELi16ElPK16rocblas_bfloat16fKPS0_EviiT3_lPKT2_lT1_lS8_lS9_lS5_lPT4_lS9_li.has_dyn_sized_stack, 0
	.set _ZL20rocblas_gemvn_kernelILi32ELi16ElPK16rocblas_bfloat16fKPS0_EviiT3_lPKT2_lT1_lS8_lS9_lS5_lPT4_lS9_li.has_recursion, 0
	.set _ZL20rocblas_gemvn_kernelILi32ELi16ElPK16rocblas_bfloat16fKPS0_EviiT3_lPKT2_lT1_lS8_lS9_lS5_lPT4_lS9_li.has_indirect_call, 0
	.section	.AMDGPU.csdata,"",@progbits
; Kernel info:
; codeLenInByte = 4272
; TotalNumSgprs: 50
; NumVgprs: 74
; ScratchSize: 0
; MemoryBound: 0
; FloatMode: 240
; IeeeMode: 1
; LDSByteSize: 8192 bytes/workgroup (compile time only)
; SGPRBlocks: 0
; VGPRBlocks: 9
; NumSGPRsForWavesPerEU: 50
; NumVGPRsForWavesPerEU: 74
; Occupancy: 16
; WaveLimiterHint : 1
; COMPUTE_PGM_RSRC2:SCRATCH_EN: 0
; COMPUTE_PGM_RSRC2:USER_SGPR: 2
; COMPUTE_PGM_RSRC2:TRAP_HANDLER: 0
; COMPUTE_PGM_RSRC2:TGID_X_EN: 1
; COMPUTE_PGM_RSRC2:TGID_Y_EN: 0
; COMPUTE_PGM_RSRC2:TGID_Z_EN: 1
; COMPUTE_PGM_RSRC2:TIDIG_COMP_CNT: 1
	.section	.text._ZL20rocblas_gemvn_kernelILi64ELi16EiPK16rocblas_bfloat16PKfKPS0_EviiT3_lPKT2_lT1_lSA_lSB_lS7_lPT4_lSB_li,"axG",@progbits,_ZL20rocblas_gemvn_kernelILi64ELi16EiPK16rocblas_bfloat16PKfKPS0_EviiT3_lPKT2_lT1_lSA_lSB_lS7_lPT4_lSB_li,comdat
	.globl	_ZL20rocblas_gemvn_kernelILi64ELi16EiPK16rocblas_bfloat16PKfKPS0_EviiT3_lPKT2_lT1_lSA_lSB_lS7_lPT4_lSB_li ; -- Begin function _ZL20rocblas_gemvn_kernelILi64ELi16EiPK16rocblas_bfloat16PKfKPS0_EviiT3_lPKT2_lT1_lSA_lSB_lS7_lPT4_lSB_li
	.p2align	8
	.type	_ZL20rocblas_gemvn_kernelILi64ELi16EiPK16rocblas_bfloat16PKfKPS0_EviiT3_lPKT2_lT1_lSA_lSB_lS7_lPT4_lSB_li,@function
_ZL20rocblas_gemvn_kernelILi64ELi16EiPK16rocblas_bfloat16PKfKPS0_EviiT3_lPKT2_lT1_lSA_lSB_lS7_lPT4_lSB_li: ; @_ZL20rocblas_gemvn_kernelILi64ELi16EiPK16rocblas_bfloat16PKfKPS0_EviiT3_lPKT2_lT1_lSA_lSB_lS7_lPT4_lSB_li
; %bb.0:
	s_clause 0x1
	s_load_b64 s[2:3], s[0:1], 0x9c
	s_load_b32 s33, s[0:1], 0x88
	s_lshr_b32 s10, ttmp7, 16
	s_wait_kmcnt 0x0
	s_lshr_b32 s4, s2, 16
	s_and_b32 s2, s2, 0xffff
	s_and_b32 s3, s3, 0xffff
	s_mul_i32 s2, s4, s2
	s_delay_alu instid0(SALU_CYCLE_1) | instskip(NEXT) | instid1(SALU_CYCLE_1)
	s_mul_i32 s2, s2, s3
	s_cmp_lg_u32 s2, 0x400
	s_cselect_b32 s2, -1, 0
	s_cmp_ge_u32 s10, s33
	s_cselect_b32 s3, -1, 0
	s_delay_alu instid0(SALU_CYCLE_1) | instskip(NEXT) | instid1(SALU_CYCLE_1)
	s_or_b32 s2, s2, s3
	s_and_b32 vcc_lo, exec_lo, s2
	s_cbranch_vccnz .LBB594_73
; %bb.1:
	s_clause 0x2
	s_load_b32 s6, s[0:1], 0x78
	s_load_b64 s[8:9], s[0:1], 0x0
	s_load_b256 s[12:19], s[0:1], 0x8
	v_and_b32_e32 v9, 0x3ff, v0
	v_bfe_u32 v8, v0, 10, 10
	s_clause 0x3
	s_load_b32 s35, s[0:1], 0x28
	s_load_b128 s[28:31], s[0:1], 0x38
	s_load_b32 s34, s[0:1], 0x48
	s_load_b256 s[20:27], s[0:1], 0x58
	s_lshl_b32 s36, ttmp9, 8
	v_mov_b32_e32 v1, 0
	v_add_nc_u32_e32 v23, s36, v9
	v_lshl_add_u32 v5, v8, 6, v9
	v_lshlrev_b32_e32 v24, 2, v8
	v_lshlrev_b32_e32 v6, 2, v9
	s_mov_b32 s11, 0
	v_add_nc_u32_e32 v7, 0x80, v23
	v_add_nc_u32_e32 v0, s36, v5
	;; [unrolled: 1-line block ×3, first 2 shown]
	v_or_b32_e32 v11, s36, v5
	v_add_nc_u32_e32 v10, 0xc0, v23
	v_or_b32_e32 v12, 3, v24
	v_lshl_add_u32 v25, v8, 8, v6
	s_wait_kmcnt 0x0
	v_mad_co_u64_u32 v[2:3], null, s6, v0, 0
	s_ashr_i32 s3, s6, 31
	v_cmp_gt_i32_e64 s2, s8, v7
	v_mul_lo_u32 v7, s35, v24
	s_ashr_i32 s7, s9, 31
	v_cmp_gt_i32_e64 s1, s8, v4
	s_wait_alu 0xfffe
	s_lshr_b32 s7, s7, 26
	v_mad_co_u64_u32 v[3:4], null, s3, v0, v[3:4]
	v_mul_lo_u32 v4, s6, v11
	v_cmp_gt_i32_e64 s6, s8, v11
	v_mul_lo_u32 v11, v8, s35
	v_cmp_gt_i32_e64 s3, s8, v10
	v_or_b32_e32 v10, 2, v24
	s_wait_alu 0xfffe
	s_add_co_i32 s37, s9, s7
	v_mul_lo_u32 v13, v8, s34
	s_ashr_i32 s5, s8, 31
	s_mov_b32 s4, s8
	s_wait_alu 0xfffe
	s_and_not1_b32 s37, s37, 63
	v_cmp_gt_i64_e32 vcc_lo, s[4:5], v[0:1]
	v_lshl_add_u32 v0, v8, 10, v6
	v_add3_u32 v26, v7, s35, v9
	v_mad_co_u64_u32 v[6:7], null, s35, v10, v[9:10]
	s_wait_alu 0xfffe
	s_sub_co_i32 s5, s9, s37
	v_mad_co_u64_u32 v[7:8], null, s35, v12, v[9:10]
	v_lshl_add_u32 v27, v11, 2, v9
	v_mad_co_u64_u32 v[8:9], null, s34, v24, s[34:35]
	v_mul_lo_u32 v28, s34, v10
	v_mul_lo_u32 v29, s34, v12
	s_wait_alu 0xfffe
	s_cmp_gt_i32 s5, 0
	v_cmp_gt_u32_e64 s5, 0x100, v5
	v_lshlrev_b64_e32 v[9:10], 1, v[2:3]
	v_cmp_gt_i32_e64 s0, s8, v23
	v_cmp_gt_i32_e64 s4, s37, v24
	v_ashrrev_i32_e32 v5, 31, v4
	v_lshlrev_b32_e32 v30, 2, v13
	s_cselect_b32 s38, -1, 0
	s_and_b32 s39, s5, vcc_lo
	s_lshl_b32 s40, s35, 6
	s_lshl_b32 s41, s34, 6
	s_lshl_b64 s[18:19], s[18:19], 1
	s_lshl_b64 s[30:31], s[30:31], 1
	;; [unrolled: 1-line block ×3, first 2 shown]
	s_branch .LBB594_4
.LBB594_2:                              ;   in Loop: Header=BB594_4 Depth=1
	s_wait_alu 0xfffe
	s_or_b32 exec_lo, exec_lo, s7
.LBB594_3:                              ;   in Loop: Header=BB594_4 Depth=1
	s_add_co_i32 s10, s10, 0x10000
	s_delay_alu instid0(SALU_CYCLE_1)
	s_cmp_lt_u32 s10, s33
	s_cbranch_scc0 .LBB594_73
.LBB594_4:                              ; =>This Loop Header: Depth=1
                                        ;     Child Loop BB594_25 Depth 2
	s_mul_u64 s[42:43], s[14:15], s[10:11]
	s_mul_u64 s[44:45], s[22:23], s[10:11]
	s_wait_alu 0xfffe
	s_lshl_b64 s[42:43], s[42:43], 2
	s_lshl_b64 s[44:45], s[44:45], 2
	s_wait_alu 0xfffe
	s_add_nc_u64 s[42:43], s[12:13], s[42:43]
	s_add_nc_u64 s[44:45], s[20:21], s[44:45]
	s_clause 0x1
	global_load_b32 v33, v1, s[42:43]
	global_load_b32 v11, v1, s[44:45]
	s_wait_loadcnt 0x1
	v_cmp_eq_f32_e64 s7, 0, v33
	s_wait_loadcnt 0x0
	v_cmp_eq_f32_e32 vcc_lo, 1.0, v11
	v_readfirstlane_b32 s42, v11
	s_and_b32 s8, s7, vcc_lo
	s_wait_alu 0xfffe
	s_and_b32 vcc_lo, exec_lo, s8
	s_wait_alu 0xfffe
	s_cbranch_vccnz .LBB594_3
; %bb.5:                                ;   in Loop: Header=BB594_4 Depth=1
	v_mov_b32_e32 v13, 0
	v_dual_mov_b32 v14, 0 :: v_dual_mov_b32 v11, 0
	v_cmp_neq_f32_e64 s8, 0, v33
	v_mov_b32_e32 v12, 0
	s_and_b32 vcc_lo, exec_lo, s7
	s_wait_alu 0xfffe
	s_cbranch_vccnz .LBB594_7
; %bb.6:                                ;   in Loop: Header=BB594_4 Depth=1
	s_lshl_b64 s[44:45], s[10:11], 3
	s_wait_alu 0xfffe
	s_add_nc_u64 s[44:45], s[16:17], s[44:45]
	global_load_b64 v[11:12], v1, s[44:45]
	s_wait_loadcnt 0x0
	v_add_co_u32 v11, vcc_lo, v11, s18
	s_wait_alu 0xfffd
	v_add_co_ci_u32_e64 v12, null, s19, v12, vcc_lo
.LBB594_7:                              ;   in Loop: Header=BB594_4 Depth=1
	s_and_not1_b32 vcc_lo, exec_lo, s8
	s_wait_alu 0xfffe
	s_cbranch_vccnz .LBB594_9
; %bb.8:                                ;   in Loop: Header=BB594_4 Depth=1
	s_lshl_b64 s[44:45], s[10:11], 3
	s_wait_alu 0xfffe
	s_add_nc_u64 s[44:45], s[28:29], s[44:45]
	global_load_b64 v[13:14], v1, s[44:45]
	s_wait_loadcnt 0x0
	v_add_co_u32 v13, vcc_lo, v13, s30
	s_wait_alu 0xfffd
	v_add_co_ci_u32_e64 v14, null, s31, v14, vcc_lo
.LBB594_9:                              ;   in Loop: Header=BB594_4 Depth=1
	s_lshl_b64 s[44:45], s[10:11], 3
	s_wait_alu 0xfffe
	s_add_nc_u64 s[44:45], s[24:25], s[44:45]
	global_load_b64 v[15:16], v1, s[44:45]
	s_wait_loadcnt 0x0
	v_add_co_u32 v31, vcc_lo, v15, s26
	s_wait_alu 0xfffd
	v_add_co_ci_u32_e64 v32, null, s27, v16, vcc_lo
	s_and_not1_b32 vcc_lo, exec_lo, s7
	s_wait_alu 0xfffe
	s_cbranch_vccnz .LBB594_17
; %bb.10:                               ;   in Loop: Header=BB594_4 Depth=1
	s_mov_b32 s7, 0
	s_mov_b32 s8, 0
                                        ; implicit-def: $vgpr15
	s_and_saveexec_b32 s43, s39
	s_cbranch_execz .LBB594_18
; %bb.11:                               ;   in Loop: Header=BB594_4 Depth=1
	s_cmp_eq_f32 s42, 0
	s_cbranch_scc1 .LBB594_57
; %bb.12:                               ;   in Loop: Header=BB594_4 Depth=1
	v_add_co_u32 v15, vcc_lo, v31, v9
	s_wait_alu 0xfffd
	v_add_co_ci_u32_e64 v16, null, v32, v10, vcc_lo
	flat_load_u16 v15, v[15:16]
	s_wait_loadcnt_dscnt 0x0
	v_lshlrev_b32_e32 v15, 16, v15
	s_delay_alu instid0(VALU_DEP_1) | instskip(NEXT) | instid1(VALU_DEP_1)
	v_mul_f32_e32 v15, s42, v15
	v_and_b32_e32 v16, 0x7f800000, v15
	s_delay_alu instid0(VALU_DEP_1)
	v_cmp_ne_u32_e32 vcc_lo, 0x7f800000, v16
                                        ; implicit-def: $vgpr16
	s_and_saveexec_b32 s8, vcc_lo
	s_wait_alu 0xfffe
	s_xor_b32 s8, exec_lo, s8
; %bb.13:                               ;   in Loop: Header=BB594_4 Depth=1
	v_bfe_u32 v16, v15, 16, 1
	s_delay_alu instid0(VALU_DEP_1)
	v_add3_u32 v16, v15, v16, 0x7fff
                                        ; implicit-def: $vgpr15
; %bb.14:                               ;   in Loop: Header=BB594_4 Depth=1
	s_wait_alu 0xfffe
	s_and_not1_saveexec_b32 s8, s8
; %bb.15:                               ;   in Loop: Header=BB594_4 Depth=1
	v_and_b32_e32 v16, 0xffff, v15
	v_or_b32_e32 v17, 0x10000, v15
	s_delay_alu instid0(VALU_DEP_2) | instskip(SKIP_1) | instid1(VALU_DEP_2)
	v_cmp_eq_u32_e32 vcc_lo, 0, v16
	s_wait_alu 0xfffd
	v_cndmask_b32_e32 v16, v17, v15, vcc_lo
; %bb.16:                               ;   in Loop: Header=BB594_4 Depth=1
	s_wait_alu 0xfffe
	s_or_b32 exec_lo, exec_lo, s8
	s_delay_alu instid0(VALU_DEP_1) | instskip(SKIP_2) | instid1(SALU_CYCLE_1)
	v_lshrrev_b32_e32 v15, 16, v16
	s_mov_b32 s8, exec_lo
	s_or_b32 exec_lo, exec_lo, s43
	s_and_b32 vcc_lo, exec_lo, s7
	s_wait_alu 0xfffe
	s_cbranch_vccnz .LBB594_19
	s_branch .LBB594_58
.LBB594_17:                             ;   in Loop: Header=BB594_4 Depth=1
	s_mov_b32 s8, 0
                                        ; implicit-def: $vgpr15
	s_cbranch_execnz .LBB594_19
	s_branch .LBB594_58
.LBB594_18:                             ;   in Loop: Header=BB594_4 Depth=1
	s_wait_alu 0xfffe
	s_or_b32 exec_lo, exec_lo, s43
	s_delay_alu instid0(SALU_CYCLE_1)
	s_and_b32 vcc_lo, exec_lo, s7
	s_wait_alu 0xfffe
	s_cbranch_vccz .LBB594_58
.LBB594_19:                             ;   in Loop: Header=BB594_4 Depth=1
	v_dual_mov_b32 v34, 0 :: v_dual_mov_b32 v35, 0
	v_dual_mov_b32 v38, v24 :: v_dual_mov_b32 v37, 0
	v_mov_b32_e32 v36, 0
	s_and_saveexec_b32 s7, s4
	s_cbranch_execz .LBB594_31
; %bb.20:                               ;   in Loop: Header=BB594_4 Depth=1
	v_dual_mov_b32 v34, 0 :: v_dual_mov_b32 v39, v27
	v_dual_mov_b32 v40, v7 :: v_dual_mov_b32 v41, v6
	v_dual_mov_b32 v42, v26 :: v_dual_mov_b32 v35, 0
	v_dual_mov_b32 v38, v24 :: v_dual_mov_b32 v37, 0
	v_mov_b32_e32 v36, 0
	s_mov_b32 s43, 0
	s_mov_b32 s44, 0
	s_branch .LBB594_25
.LBB594_21:                             ;   in Loop: Header=BB594_25 Depth=2
	s_or_b32 exec_lo, exec_lo, s48
	s_wait_loadcnt_dscnt 0x202
	v_lshlrev_b32_e32 v16, 16, v57
	v_lshlrev_b32_e32 v15, 16, v58
	s_wait_loadcnt_dscnt 0x101
	s_delay_alu instid0(VALU_DEP_1) | instskip(NEXT) | instid1(VALU_DEP_1)
	v_dual_fmac_f32 v36, v50, v15 :: v_dual_lshlrev_b32 v15, 16, v56
	v_fmac_f32_e32 v36, v46, v16
	s_delay_alu instid0(VALU_DEP_1) | instskip(SKIP_2) | instid1(VALU_DEP_1)
	v_fmac_f32_e32 v36, v48, v15
	s_wait_loadcnt_dscnt 0x0
	v_lshlrev_b32_e32 v15, 16, v55
	v_fmac_f32_e32 v36, v44, v15
.LBB594_22:                             ;   in Loop: Header=BB594_25 Depth=2
	s_or_b32 exec_lo, exec_lo, s47
	s_wait_loadcnt_dscnt 0x303
	v_lshlrev_b32_e32 v15, 16, v54
	s_wait_loadcnt_dscnt 0x202
	s_delay_alu instid0(VALU_DEP_1) | instskip(SKIP_2) | instid1(VALU_DEP_2)
	v_dual_fmac_f32 v35, v50, v15 :: v_dual_lshlrev_b32 v16, 16, v53
	s_wait_loadcnt_dscnt 0x101
	v_lshlrev_b32_e32 v15, 16, v52
	v_fmac_f32_e32 v35, v46, v16
	s_delay_alu instid0(VALU_DEP_1) | instskip(SKIP_2) | instid1(VALU_DEP_1)
	v_fmac_f32_e32 v35, v48, v15
	s_wait_loadcnt_dscnt 0x0
	v_lshlrev_b32_e32 v15, 16, v51
	v_fmac_f32_e32 v35, v44, v15
.LBB594_23:                             ;   in Loop: Header=BB594_25 Depth=2
	s_or_b32 exec_lo, exec_lo, s46
	s_wait_loadcnt_dscnt 0x202
	v_lshlrev_b32_e32 v16, 16, v47
	v_lshlrev_b32_e32 v15, 16, v49
	s_wait_loadcnt_dscnt 0x101
	s_delay_alu instid0(VALU_DEP_1) | instskip(NEXT) | instid1(VALU_DEP_1)
	v_dual_fmac_f32 v34, v50, v15 :: v_dual_lshlrev_b32 v15, 16, v45
	v_fmac_f32_e32 v34, v46, v16
	s_delay_alu instid0(VALU_DEP_1) | instskip(SKIP_2) | instid1(VALU_DEP_1)
	v_fmac_f32_e32 v34, v48, v15
	s_wait_loadcnt_dscnt 0x0
	v_lshlrev_b32_e32 v15, 16, v43
	v_fmac_f32_e32 v34, v44, v15
.LBB594_24:                             ;   in Loop: Header=BB594_25 Depth=2
	s_wait_alu 0xfffe
	s_or_b32 exec_lo, exec_lo, s45
	v_add_nc_u32_e32 v38, 64, v38
	v_add_nc_u32_e32 v42, s40, v42
	;; [unrolled: 1-line block ×5, first 2 shown]
	v_cmp_le_i32_e32 vcc_lo, s37, v38
	s_add_co_i32 s44, s44, s41
	s_or_b32 s43, vcc_lo, s43
	s_wait_alu 0xfffe
	s_and_not1_b32 exec_lo, exec_lo, s43
	s_cbranch_execz .LBB594_30
.LBB594_25:                             ;   Parent Loop BB594_4 Depth=1
                                        ; =>  This Inner Loop Header: Depth=2
	s_and_saveexec_b32 s45, s0
	s_cbranch_execz .LBB594_24
; %bb.26:                               ;   in Loop: Header=BB594_25 Depth=2
	s_wait_alu 0xfffe
	v_add_nc_u32_e32 v15, s44, v30
	v_add_nc_u32_e32 v17, s44, v8
	;; [unrolled: 1-line block ×5, first 2 shown]
	v_ashrrev_i32_e32 v16, 31, v15
	v_ashrrev_i32_e32 v18, 31, v17
	;; [unrolled: 1-line block ×5, first 2 shown]
	v_lshlrev_b64_e32 v[15:16], 1, v[15:16]
	v_lshlrev_b64_e32 v[17:18], 1, v[17:18]
	;; [unrolled: 1-line block ×4, first 2 shown]
	v_add_nc_u32_e32 v45, s36, v42
	v_add_nc_u32_e32 v47, s36, v41
	v_add_co_u32 v15, vcc_lo, v13, v15
	s_wait_alu 0xfffd
	v_add_co_ci_u32_e64 v16, null, v14, v16, vcc_lo
	v_add_co_u32 v17, vcc_lo, v13, v17
	s_wait_alu 0xfffd
	v_add_co_ci_u32_e64 v18, null, v14, v18, vcc_lo
	;; [unrolled: 3-line block ×4, first 2 shown]
	v_lshlrev_b64_e32 v[43:44], 1, v[43:44]
	s_clause 0x3
	flat_load_u16 v50, v[15:16]
	flat_load_u16 v51, v[17:18]
	flat_load_u16 v52, v[19:20]
	flat_load_u16 v53, v[21:22]
	v_add_nc_u32_e32 v19, s36, v40
	v_ashrrev_i32_e32 v46, 31, v45
	v_ashrrev_i32_e32 v48, 31, v47
	v_add_co_u32 v15, vcc_lo, v11, v43
	s_delay_alu instid0(VALU_DEP_4) | instskip(NEXT) | instid1(VALU_DEP_4)
	v_ashrrev_i32_e32 v20, 31, v19
	v_lshlrev_b64_e32 v[17:18], 1, v[45:46]
	s_wait_alu 0xfffd
	v_add_co_ci_u32_e64 v16, null, v12, v44, vcc_lo
	v_lshlrev_b64_e32 v[43:44], 1, v[47:48]
	v_lshlrev_b64_e32 v[19:20], 1, v[19:20]
	s_delay_alu instid0(VALU_DEP_4) | instskip(SKIP_2) | instid1(VALU_DEP_4)
	v_add_co_u32 v21, vcc_lo, v11, v17
	s_wait_alu 0xfffd
	v_add_co_ci_u32_e64 v22, null, v12, v18, vcc_lo
	v_add_co_u32 v17, vcc_lo, v11, v43
	s_wait_alu 0xfffd
	v_add_co_ci_u32_e64 v18, null, v12, v44, vcc_lo
	;; [unrolled: 3-line block ×3, first 2 shown]
	s_clause 0x3
	flat_load_u16 v49, v[15:16]
	flat_load_u16 v47, v[21:22]
	flat_load_u16 v45, v[17:18]
	flat_load_u16 v43, v[19:20]
	s_wait_loadcnt_dscnt 0x707
	v_lshlrev_b32_e32 v50, 16, v50
	s_wait_loadcnt_dscnt 0x606
	v_lshlrev_b32_e32 v46, 16, v51
	s_wait_loadcnt_dscnt 0x505
	v_lshlrev_b32_e32 v48, 16, v52
	s_wait_loadcnt_dscnt 0x404
	v_lshlrev_b32_e32 v44, 16, v53
	s_and_saveexec_b32 s46, s1
	s_cbranch_execz .LBB594_23
; %bb.27:                               ;   in Loop: Header=BB594_25 Depth=2
	s_clause 0x3
	flat_load_u16 v54, v[15:16] offset:128
	flat_load_u16 v53, v[21:22] offset:128
	flat_load_u16 v52, v[17:18] offset:128
	flat_load_u16 v51, v[19:20] offset:128
	s_and_saveexec_b32 s47, s2
	s_cbranch_execz .LBB594_22
; %bb.28:                               ;   in Loop: Header=BB594_25 Depth=2
	s_clause 0x3
	flat_load_u16 v58, v[15:16] offset:256
	flat_load_u16 v57, v[21:22] offset:256
	flat_load_u16 v56, v[17:18] offset:256
	flat_load_u16 v55, v[19:20] offset:256
	;; [unrolled: 8-line block ×3, first 2 shown]
	s_wait_loadcnt_dscnt 0x303
	v_lshlrev_b32_e32 v15, 16, v15
	s_wait_loadcnt_dscnt 0x202
	s_delay_alu instid0(VALU_DEP_1) | instskip(SKIP_3) | instid1(VALU_DEP_2)
	v_dual_fmac_f32 v37, v50, v15 :: v_dual_lshlrev_b32 v16, 16, v16
	s_wait_loadcnt_dscnt 0x101
	v_lshlrev_b32_e32 v15, 16, v17
	s_wait_loadcnt_dscnt 0x0
	v_dual_fmac_f32 v37, v46, v16 :: v_dual_lshlrev_b32 v16, 16, v18
	s_delay_alu instid0(VALU_DEP_1) | instskip(NEXT) | instid1(VALU_DEP_1)
	v_fmac_f32_e32 v37, v48, v15
	v_fmac_f32_e32 v37, v44, v16
	s_branch .LBB594_21
.LBB594_30:                             ;   in Loop: Header=BB594_4 Depth=1
	s_or_b32 exec_lo, exec_lo, s43
.LBB594_31:                             ;   in Loop: Header=BB594_4 Depth=1
	s_wait_alu 0xfffe
	s_or_b32 exec_lo, exec_lo, s7
	s_delay_alu instid0(SALU_CYCLE_1)
	s_and_not1_b32 vcc_lo, exec_lo, s38
	s_wait_alu 0xfffe
	s_cbranch_vccnz .LBB594_49
; %bb.32:                               ;   in Loop: Header=BB594_4 Depth=1
	v_cmp_gt_i32_e32 vcc_lo, s9, v38
	v_dual_mov_b32 v20, 0 :: v_dual_mov_b32 v19, 0
	v_or_b32_e32 v15, 1, v38
	v_dual_mov_b32 v22, 0 :: v_dual_mov_b32 v21, 0
	s_and_saveexec_b32 s43, vcc_lo
	s_cbranch_execz .LBB594_40
; %bb.33:                               ;   in Loop: Header=BB594_4 Depth=1
	v_mul_lo_u32 v16, v38, s34
	v_dual_mov_b32 v21, 0 :: v_dual_mov_b32 v20, 0
	v_mov_b32_e32 v19, 0
	s_mov_b32 s44, exec_lo
	s_delay_alu instid0(VALU_DEP_3) | instskip(NEXT) | instid1(VALU_DEP_1)
	v_ashrrev_i32_e32 v17, 31, v16
	v_lshlrev_b64_e32 v[16:17], 1, v[16:17]
	s_delay_alu instid0(VALU_DEP_1) | instskip(SKIP_1) | instid1(VALU_DEP_2)
	v_add_co_u32 v16, s7, v13, v16
	s_wait_alu 0xf1ff
	v_add_co_ci_u32_e64 v17, null, v14, v17, s7
	flat_load_u16 v16, v[16:17]
	v_cmpx_gt_i32_e64 s9, v15
	s_cbranch_execz .LBB594_39
; %bb.34:                               ;   in Loop: Header=BB594_4 Depth=1
	v_mul_lo_u32 v17, v15, s34
	v_dual_mov_b32 v19, 0 :: v_dual_mov_b32 v20, 0
	s_mov_b32 s45, exec_lo
	s_delay_alu instid0(VALU_DEP_2) | instskip(NEXT) | instid1(VALU_DEP_1)
	v_ashrrev_i32_e32 v18, 31, v17
	v_lshlrev_b64_e32 v[17:18], 1, v[17:18]
	s_delay_alu instid0(VALU_DEP_1) | instskip(SKIP_1) | instid1(VALU_DEP_2)
	v_add_co_u32 v17, s7, v13, v17
	s_wait_alu 0xf1ff
	v_add_co_ci_u32_e64 v18, null, v14, v18, s7
	flat_load_u16 v17, v[17:18]
	v_or_b32_e32 v18, 2, v38
	s_delay_alu instid0(VALU_DEP_1)
	v_cmpx_gt_i32_e64 s9, v18
	s_cbranch_execz .LBB594_38
; %bb.35:                               ;   in Loop: Header=BB594_4 Depth=1
	v_mul_lo_u32 v18, v18, s34
	v_or_b32_e32 v20, 3, v38
	s_mov_b32 s46, exec_lo
	s_delay_alu instid0(VALU_DEP_2) | instskip(NEXT) | instid1(VALU_DEP_1)
	v_ashrrev_i32_e32 v19, 31, v18
	v_lshlrev_b64_e32 v[18:19], 1, v[18:19]
	s_delay_alu instid0(VALU_DEP_1) | instskip(SKIP_1) | instid1(VALU_DEP_2)
	v_add_co_u32 v18, s7, v13, v18
	s_wait_alu 0xf1ff
	v_add_co_ci_u32_e64 v19, null, v14, v19, s7
	flat_load_u16 v18, v[18:19]
	v_mov_b32_e32 v19, 0
	v_cmpx_gt_i32_e64 s9, v20
	s_cbranch_execz .LBB594_37
; %bb.36:                               ;   in Loop: Header=BB594_4 Depth=1
	v_mul_lo_u32 v19, v20, s34
	s_delay_alu instid0(VALU_DEP_1) | instskip(NEXT) | instid1(VALU_DEP_1)
	v_ashrrev_i32_e32 v20, 31, v19
	v_lshlrev_b64_e32 v[19:20], 1, v[19:20]
	s_delay_alu instid0(VALU_DEP_1) | instskip(SKIP_1) | instid1(VALU_DEP_2)
	v_add_co_u32 v13, s7, v13, v19
	s_wait_alu 0xf1ff
	v_add_co_ci_u32_e64 v14, null, v14, v20, s7
	flat_load_u16 v13, v[13:14]
	s_wait_loadcnt_dscnt 0x0
	v_lshlrev_b32_e32 v19, 16, v13
.LBB594_37:                             ;   in Loop: Header=BB594_4 Depth=1
	s_or_b32 exec_lo, exec_lo, s46
	s_wait_loadcnt_dscnt 0x0
	v_lshlrev_b32_e32 v20, 16, v18
.LBB594_38:                             ;   in Loop: Header=BB594_4 Depth=1
	s_wait_alu 0xfffe
	s_or_b32 exec_lo, exec_lo, s45
	s_wait_loadcnt_dscnt 0x0
	v_lshlrev_b32_e32 v21, 16, v17
.LBB594_39:                             ;   in Loop: Header=BB594_4 Depth=1
	s_wait_alu 0xfffe
	s_or_b32 exec_lo, exec_lo, s44
	s_wait_loadcnt_dscnt 0x0
	v_lshlrev_b32_e32 v22, 16, v16
.LBB594_40:                             ;   in Loop: Header=BB594_4 Depth=1
	s_wait_alu 0xfffe
	s_or_b32 exec_lo, exec_lo, s43
	s_and_saveexec_b32 s7, s0
	s_cbranch_execz .LBB594_48
; %bb.41:                               ;   in Loop: Header=BB594_4 Depth=1
	v_mul_lo_u32 v14, v38, s35
	v_or_b32_e32 v13, 2, v38
	v_mul_lo_u32 v17, v15, s35
	v_or_b32_e32 v16, 3, v38
	s_delay_alu instid0(VALU_DEP_3) | instskip(NEXT) | instid1(VALU_DEP_2)
	v_mul_lo_u32 v18, v13, s35
	v_mul_lo_u32 v38, v16, s35
	v_cndmask_b32_e32 v14, 0, v14, vcc_lo
	v_cmp_gt_i32_e32 vcc_lo, s9, v15
	s_wait_alu 0xfffd
	v_cndmask_b32_e32 v15, 0, v17, vcc_lo
	v_cmp_gt_i32_e32 vcc_lo, s9, v13
	v_add_nc_u32_e32 v13, v14, v23
	s_delay_alu instid0(VALU_DEP_3)
	v_add_nc_u32_e32 v15, v15, v23
	s_wait_alu 0xfffd
	v_cndmask_b32_e32 v17, 0, v18, vcc_lo
	v_cmp_gt_i32_e32 vcc_lo, s9, v16
	v_ashrrev_i32_e32 v14, 31, v13
	s_wait_alu 0xfffd
	v_cndmask_b32_e32 v16, 0, v38, vcc_lo
	s_delay_alu instid0(VALU_DEP_2) | instskip(NEXT) | instid1(VALU_DEP_2)
	v_lshlrev_b64_e32 v[13:14], 1, v[13:14]
	v_add_nc_u32_e32 v38, v16, v23
	v_add_nc_u32_e32 v17, v17, v23
	v_ashrrev_i32_e32 v16, 31, v15
	s_delay_alu instid0(VALU_DEP_3) | instskip(NEXT) | instid1(VALU_DEP_3)
	v_ashrrev_i32_e32 v39, 31, v38
	v_ashrrev_i32_e32 v18, 31, v17
	s_delay_alu instid0(VALU_DEP_3) | instskip(SKIP_1) | instid1(VALU_DEP_4)
	v_lshlrev_b64_e32 v[40:41], 1, v[15:16]
	v_add_co_u32 v15, vcc_lo, v11, v13
	v_lshlrev_b64_e32 v[38:39], 1, v[38:39]
	s_delay_alu instid0(VALU_DEP_4)
	v_lshlrev_b64_e32 v[42:43], 1, v[17:18]
	s_wait_alu 0xfffd
	v_add_co_ci_u32_e64 v16, null, v12, v14, vcc_lo
	v_add_co_u32 v17, vcc_lo, v11, v40
	s_wait_alu 0xfffd
	v_add_co_ci_u32_e64 v18, null, v12, v41, vcc_lo
	v_add_co_u32 v13, vcc_lo, v11, v42
	;; [unrolled: 3-line block ×3, first 2 shown]
	s_wait_alu 0xfffd
	v_add_co_ci_u32_e64 v12, null, v12, v39, vcc_lo
	s_clause 0x3
	flat_load_u16 v41, v[15:16]
	flat_load_u16 v40, v[17:18]
	;; [unrolled: 1-line block ×4, first 2 shown]
	s_and_saveexec_b32 s43, s1
	s_cbranch_execz .LBB594_47
; %bb.42:                               ;   in Loop: Header=BB594_4 Depth=1
	s_clause 0x3
	flat_load_u16 v45, v[15:16] offset:128
	flat_load_u16 v44, v[17:18] offset:128
	flat_load_u16 v43, v[13:14] offset:128
	flat_load_u16 v42, v[11:12] offset:128
	s_and_saveexec_b32 s44, s2
	s_cbranch_execz .LBB594_46
; %bb.43:                               ;   in Loop: Header=BB594_4 Depth=1
	s_clause 0x3
	flat_load_u16 v49, v[15:16] offset:256
	flat_load_u16 v48, v[17:18] offset:256
	flat_load_u16 v47, v[13:14] offset:256
	flat_load_u16 v46, v[11:12] offset:256
	;; [unrolled: 8-line block ×3, first 2 shown]
	s_wait_loadcnt_dscnt 0x0
	v_lshlrev_b32_e32 v11, 16, v11
	v_lshlrev_b32_e32 v14, 16, v16
	;; [unrolled: 1-line block ×3, first 2 shown]
	s_delay_alu instid0(VALU_DEP_1) | instskip(NEXT) | instid1(VALU_DEP_1)
	v_dual_fmac_f32 v37, v22, v12 :: v_dual_lshlrev_b32 v12, 16, v13
	v_fmac_f32_e32 v37, v21, v14
	s_delay_alu instid0(VALU_DEP_1) | instskip(NEXT) | instid1(VALU_DEP_1)
	v_fmac_f32_e32 v37, v20, v12
	v_fmac_f32_e32 v37, v19, v11
.LBB594_45:                             ;   in Loop: Header=BB594_4 Depth=1
	s_wait_alu 0xfffe
	s_or_b32 exec_lo, exec_lo, s45
	s_wait_loadcnt_dscnt 0x202
	v_lshlrev_b32_e32 v12, 16, v48
	v_lshlrev_b32_e32 v11, 16, v49
	s_delay_alu instid0(VALU_DEP_1) | instskip(SKIP_1) | instid1(VALU_DEP_1)
	v_fmac_f32_e32 v36, v22, v11
	s_wait_loadcnt_dscnt 0x101
	v_dual_fmac_f32 v36, v21, v12 :: v_dual_lshlrev_b32 v11, 16, v47
	s_wait_loadcnt_dscnt 0x0
	s_delay_alu instid0(VALU_DEP_1) | instskip(NEXT) | instid1(VALU_DEP_1)
	v_dual_fmac_f32 v36, v20, v11 :: v_dual_lshlrev_b32 v11, 16, v46
	v_fmac_f32_e32 v36, v19, v11
.LBB594_46:                             ;   in Loop: Header=BB594_4 Depth=1
	s_wait_alu 0xfffe
	s_or_b32 exec_lo, exec_lo, s44
	s_wait_loadcnt_dscnt 0x303
	v_lshlrev_b32_e32 v11, 16, v45
	s_wait_loadcnt_dscnt 0x202
	s_delay_alu instid0(VALU_DEP_1) | instskip(SKIP_2) | instid1(VALU_DEP_2)
	v_dual_fmac_f32 v35, v22, v11 :: v_dual_lshlrev_b32 v12, 16, v44
	s_wait_loadcnt_dscnt 0x101
	v_lshlrev_b32_e32 v11, 16, v43
	v_fmac_f32_e32 v35, v21, v12
	s_delay_alu instid0(VALU_DEP_1) | instskip(SKIP_2) | instid1(VALU_DEP_1)
	v_fmac_f32_e32 v35, v20, v11
	s_wait_loadcnt_dscnt 0x0
	v_lshlrev_b32_e32 v11, 16, v42
	v_fmac_f32_e32 v35, v19, v11
.LBB594_47:                             ;   in Loop: Header=BB594_4 Depth=1
	s_wait_alu 0xfffe
	s_or_b32 exec_lo, exec_lo, s43
	s_wait_loadcnt_dscnt 0x202
	v_lshlrev_b32_e32 v12, 16, v40
	v_lshlrev_b32_e32 v11, 16, v41
	s_delay_alu instid0(VALU_DEP_1) | instskip(SKIP_1) | instid1(VALU_DEP_1)
	v_fmac_f32_e32 v34, v22, v11
	s_wait_loadcnt_dscnt 0x101
	v_dual_fmac_f32 v34, v21, v12 :: v_dual_lshlrev_b32 v11, 16, v39
	s_wait_loadcnt_dscnt 0x0
	s_delay_alu instid0(VALU_DEP_1) | instskip(NEXT) | instid1(VALU_DEP_1)
	v_dual_fmac_f32 v34, v20, v11 :: v_dual_lshlrev_b32 v11, 16, v38
	v_fmac_f32_e32 v34, v19, v11
.LBB594_48:                             ;   in Loop: Header=BB594_4 Depth=1
	s_wait_alu 0xfffe
	s_or_b32 exec_lo, exec_lo, s7
.LBB594_49:                             ;   in Loop: Header=BB594_4 Depth=1
	ds_store_2addr_stride64_b32 v0, v34, v35 offset1:1
	ds_store_2addr_stride64_b32 v0, v36, v37 offset0:2 offset1:3
	s_wait_dscnt 0x0
	s_barrier_signal -1
	s_barrier_wait -1
	global_inv scope:SCOPE_SE
                                        ; implicit-def: $vgpr15
	s_and_saveexec_b32 s7, s5
	s_cbranch_execz .LBB594_71
; %bb.50:                               ;   in Loop: Header=BB594_4 Depth=1
	ds_load_2addr_stride64_b32 v[11:12], v25 offset1:4
	ds_load_2addr_stride64_b32 v[13:14], v25 offset0:8 offset1:12
	ds_load_2addr_stride64_b32 v[15:16], v25 offset0:16 offset1:20
	s_mov_b32 s44, s8
	s_wait_dscnt 0x2
	v_add_f32_e32 v17, v11, v12
	ds_load_2addr_stride64_b32 v[11:12], v25 offset0:24 offset1:28
	s_wait_dscnt 0x2
	v_add_f32_e32 v13, v13, v17
	s_delay_alu instid0(VALU_DEP_1) | instskip(SKIP_3) | instid1(VALU_DEP_1)
	v_add_f32_e32 v17, v14, v13
	ds_load_2addr_stride64_b32 v[13:14], v25 offset0:32 offset1:36
	s_wait_dscnt 0x2
	v_add_f32_e32 v15, v15, v17
	v_add_f32_e32 v17, v16, v15
	ds_load_2addr_stride64_b32 v[15:16], v25 offset0:40 offset1:44
	s_wait_dscnt 0x2
	v_add_f32_e32 v11, v11, v17
	s_delay_alu instid0(VALU_DEP_1) | instskip(SKIP_1) | instid1(VALU_DEP_1)
	v_add_f32_e32 v11, v12, v11
	s_wait_dscnt 0x1
	v_add_f32_e32 v13, v13, v11
	ds_load_2addr_stride64_b32 v[11:12], v25 offset0:48 offset1:52
	v_add_f32_e32 v13, v14, v13
	s_wait_dscnt 0x1
	s_delay_alu instid0(VALU_DEP_1) | instskip(SKIP_3) | instid1(VALU_DEP_1)
	v_add_f32_e32 v15, v15, v13
	ds_load_2addr_stride64_b32 v[13:14], v25 offset0:56 offset1:60
	v_add_f32_e32 v15, v16, v15
	s_wait_dscnt 0x1
	v_add_f32_e32 v11, v11, v15
                                        ; implicit-def: $vgpr15
	s_delay_alu instid0(VALU_DEP_1) | instskip(SKIP_1) | instid1(VALU_DEP_1)
	v_add_f32_e32 v11, v12, v11
	s_wait_dscnt 0x0
	v_add_f32_e32 v11, v13, v11
	s_delay_alu instid0(VALU_DEP_1)
	v_add_f32_e32 v11, v14, v11
	ds_store_b32 v25, v11
	s_and_saveexec_b32 s43, s6
	s_cbranch_execz .LBB594_70
; %bb.51:                               ;   in Loop: Header=BB594_4 Depth=1
	v_mul_f32_e32 v11, v33, v11
	s_cmp_eq_f32 s42, 0
	s_cbranch_scc0 .LBB594_59
; %bb.52:                               ;   in Loop: Header=BB594_4 Depth=1
	s_delay_alu instid0(VALU_DEP_1) | instskip(NEXT) | instid1(VALU_DEP_1)
	v_and_b32_e32 v12, 0x7f800000, v11
	v_cmp_ne_u32_e32 vcc_lo, 0x7f800000, v12
                                        ; implicit-def: $vgpr12
	s_and_saveexec_b32 s44, vcc_lo
	s_wait_alu 0xfffe
	s_xor_b32 s44, exec_lo, s44
; %bb.53:                               ;   in Loop: Header=BB594_4 Depth=1
	v_bfe_u32 v12, v11, 16, 1
	s_delay_alu instid0(VALU_DEP_1)
	v_add3_u32 v12, v11, v12, 0x7fff
; %bb.54:                               ;   in Loop: Header=BB594_4 Depth=1
	s_wait_alu 0xfffe
	s_and_not1_saveexec_b32 s44, s44
; %bb.55:                               ;   in Loop: Header=BB594_4 Depth=1
	v_and_b32_e32 v12, 0xffff, v11
	v_or_b32_e32 v13, 0x10000, v11
	s_delay_alu instid0(VALU_DEP_2) | instskip(SKIP_1) | instid1(VALU_DEP_2)
	v_cmp_eq_u32_e32 vcc_lo, 0, v12
	s_wait_alu 0xfffd
	v_cndmask_b32_e32 v12, v13, v11, vcc_lo
; %bb.56:                               ;   in Loop: Header=BB594_4 Depth=1
	s_wait_alu 0xfffe
	s_or_b32 exec_lo, exec_lo, s44
	s_cbranch_execz .LBB594_60
	s_branch .LBB594_69
.LBB594_57:                             ;   in Loop: Header=BB594_4 Depth=1
	v_mov_b32_e32 v15, 0
	s_mov_b32 s8, exec_lo
	s_wait_alu 0xfffe
	s_or_b32 exec_lo, exec_lo, s43
	s_delay_alu instid0(SALU_CYCLE_1)
	s_and_b32 vcc_lo, exec_lo, s7
	s_wait_alu 0xfffe
	s_cbranch_vccnz .LBB594_19
.LBB594_58:                             ;   in Loop: Header=BB594_4 Depth=1
	v_dual_mov_b32 v12, v3 :: v_dual_mov_b32 v11, v2
	s_wait_alu 0xfffe
	s_and_saveexec_b32 s7, s8
	s_cbranch_execz .LBB594_2
	s_branch .LBB594_72
.LBB594_59:                             ;   in Loop: Header=BB594_4 Depth=1
                                        ; implicit-def: $vgpr12
.LBB594_60:                             ;   in Loop: Header=BB594_4 Depth=1
	v_lshlrev_b64_e32 v[12:13], 1, v[4:5]
	s_delay_alu instid0(VALU_DEP_1) | instskip(SKIP_1) | instid1(VALU_DEP_2)
	v_add_co_u32 v12, vcc_lo, v31, v12
	s_wait_alu 0xfffd
	v_add_co_ci_u32_e64 v13, null, v32, v13, vcc_lo
	flat_load_u16 v12, v[12:13]
	s_wait_loadcnt_dscnt 0x0
	v_lshlrev_b32_e32 v12, 16, v12
	s_delay_alu instid0(VALU_DEP_1) | instskip(NEXT) | instid1(VALU_DEP_1)
	v_mul_f32_e32 v12, s42, v12
	v_and_b32_e32 v13, 0x7f800000, v12
	s_delay_alu instid0(VALU_DEP_1)
	v_cmp_ne_u32_e32 vcc_lo, 0x7f800000, v13
                                        ; implicit-def: $vgpr13
	s_and_saveexec_b32 s42, vcc_lo
	s_wait_alu 0xfffe
	s_xor_b32 s42, exec_lo, s42
; %bb.61:                               ;   in Loop: Header=BB594_4 Depth=1
	v_bfe_u32 v13, v12, 16, 1
	s_delay_alu instid0(VALU_DEP_1)
	v_add3_u32 v13, v12, v13, 0x7fff
                                        ; implicit-def: $vgpr12
; %bb.62:                               ;   in Loop: Header=BB594_4 Depth=1
	s_wait_alu 0xfffe
	s_and_not1_saveexec_b32 s42, s42
; %bb.63:                               ;   in Loop: Header=BB594_4 Depth=1
	v_and_b32_e32 v13, 0xffff, v12
	v_or_b32_e32 v14, 0x10000, v12
	s_delay_alu instid0(VALU_DEP_2) | instskip(SKIP_1) | instid1(VALU_DEP_2)
	v_cmp_eq_u32_e32 vcc_lo, 0, v13
	s_wait_alu 0xfffd
	v_cndmask_b32_e32 v13, v14, v12, vcc_lo
; %bb.64:                               ;   in Loop: Header=BB594_4 Depth=1
	s_wait_alu 0xfffe
	s_or_b32 exec_lo, exec_lo, s42
	s_delay_alu instid0(VALU_DEP_1) | instskip(NEXT) | instid1(VALU_DEP_1)
	v_and_b32_e32 v12, 0xffff0000, v13
	v_add_f32_e32 v11, v11, v12
	s_delay_alu instid0(VALU_DEP_1) | instskip(NEXT) | instid1(VALU_DEP_1)
	v_and_b32_e32 v12, 0x7f800000, v11
	v_cmp_ne_u32_e32 vcc_lo, 0x7f800000, v12
                                        ; implicit-def: $vgpr12
	s_and_saveexec_b32 s42, vcc_lo
	s_wait_alu 0xfffe
	s_xor_b32 s42, exec_lo, s42
; %bb.65:                               ;   in Loop: Header=BB594_4 Depth=1
	v_bfe_u32 v12, v11, 16, 1
	s_delay_alu instid0(VALU_DEP_1)
	v_add3_u32 v12, v11, v12, 0x7fff
                                        ; implicit-def: $vgpr11
; %bb.66:                               ;   in Loop: Header=BB594_4 Depth=1
	s_wait_alu 0xfffe
	s_and_not1_saveexec_b32 s42, s42
; %bb.67:                               ;   in Loop: Header=BB594_4 Depth=1
	v_and_b32_e32 v12, 0xffff, v11
	v_or_b32_e32 v13, 0x10000, v11
	s_delay_alu instid0(VALU_DEP_2) | instskip(SKIP_1) | instid1(VALU_DEP_2)
	v_cmp_eq_u32_e32 vcc_lo, 0, v12
	s_wait_alu 0xfffd
	v_cndmask_b32_e32 v12, v13, v11, vcc_lo
; %bb.68:                               ;   in Loop: Header=BB594_4 Depth=1
	s_wait_alu 0xfffe
	s_or_b32 exec_lo, exec_lo, s42
.LBB594_69:                             ;   in Loop: Header=BB594_4 Depth=1
	s_delay_alu instid0(VALU_DEP_1)
	v_lshrrev_b32_e32 v15, 16, v12
	s_or_b32 s44, s8, exec_lo
.LBB594_70:                             ;   in Loop: Header=BB594_4 Depth=1
	s_wait_alu 0xfffe
	s_or_b32 exec_lo, exec_lo, s43
	s_delay_alu instid0(SALU_CYCLE_1)
	s_and_not1_b32 s8, s8, exec_lo
	s_and_b32 s42, s44, exec_lo
	s_wait_alu 0xfffe
	s_or_b32 s8, s8, s42
.LBB594_71:                             ;   in Loop: Header=BB594_4 Depth=1
	s_wait_alu 0xfffe
	s_or_b32 exec_lo, exec_lo, s7
	v_dual_mov_b32 v12, v5 :: v_dual_mov_b32 v11, v4
	s_and_saveexec_b32 s7, s8
	s_cbranch_execz .LBB594_2
.LBB594_72:                             ;   in Loop: Header=BB594_4 Depth=1
	s_delay_alu instid0(VALU_DEP_1) | instskip(NEXT) | instid1(VALU_DEP_1)
	v_lshlrev_b64_e32 v[11:12], 1, v[11:12]
	v_add_co_u32 v11, vcc_lo, v31, v11
	s_wait_alu 0xfffd
	s_delay_alu instid0(VALU_DEP_2)
	v_add_co_ci_u32_e64 v12, null, v32, v12, vcc_lo
	flat_store_b16 v[11:12], v15
	s_branch .LBB594_2
.LBB594_73:
	s_endpgm
	.section	.rodata,"a",@progbits
	.p2align	6, 0x0
	.amdhsa_kernel _ZL20rocblas_gemvn_kernelILi64ELi16EiPK16rocblas_bfloat16PKfKPS0_EviiT3_lPKT2_lT1_lSA_lSB_lS7_lPT4_lSB_li
		.amdhsa_group_segment_fixed_size 16384
		.amdhsa_private_segment_fixed_size 0
		.amdhsa_kernarg_size 400
		.amdhsa_user_sgpr_count 2
		.amdhsa_user_sgpr_dispatch_ptr 0
		.amdhsa_user_sgpr_queue_ptr 0
		.amdhsa_user_sgpr_kernarg_segment_ptr 1
		.amdhsa_user_sgpr_dispatch_id 0
		.amdhsa_user_sgpr_private_segment_size 0
		.amdhsa_wavefront_size32 1
		.amdhsa_uses_dynamic_stack 0
		.amdhsa_enable_private_segment 0
		.amdhsa_system_sgpr_workgroup_id_x 1
		.amdhsa_system_sgpr_workgroup_id_y 0
		.amdhsa_system_sgpr_workgroup_id_z 1
		.amdhsa_system_sgpr_workgroup_info 0
		.amdhsa_system_vgpr_workitem_id 1
		.amdhsa_next_free_vgpr 59
		.amdhsa_next_free_sgpr 49
		.amdhsa_reserve_vcc 1
		.amdhsa_float_round_mode_32 0
		.amdhsa_float_round_mode_16_64 0
		.amdhsa_float_denorm_mode_32 3
		.amdhsa_float_denorm_mode_16_64 3
		.amdhsa_fp16_overflow 0
		.amdhsa_workgroup_processor_mode 1
		.amdhsa_memory_ordered 1
		.amdhsa_forward_progress 1
		.amdhsa_inst_pref_size 32
		.amdhsa_round_robin_scheduling 0
		.amdhsa_exception_fp_ieee_invalid_op 0
		.amdhsa_exception_fp_denorm_src 0
		.amdhsa_exception_fp_ieee_div_zero 0
		.amdhsa_exception_fp_ieee_overflow 0
		.amdhsa_exception_fp_ieee_underflow 0
		.amdhsa_exception_fp_ieee_inexact 0
		.amdhsa_exception_int_div_zero 0
	.end_amdhsa_kernel
	.section	.text._ZL20rocblas_gemvn_kernelILi64ELi16EiPK16rocblas_bfloat16PKfKPS0_EviiT3_lPKT2_lT1_lSA_lSB_lS7_lPT4_lSB_li,"axG",@progbits,_ZL20rocblas_gemvn_kernelILi64ELi16EiPK16rocblas_bfloat16PKfKPS0_EviiT3_lPKT2_lT1_lSA_lSB_lS7_lPT4_lSB_li,comdat
.Lfunc_end594:
	.size	_ZL20rocblas_gemvn_kernelILi64ELi16EiPK16rocblas_bfloat16PKfKPS0_EviiT3_lPKT2_lT1_lSA_lSB_lS7_lPT4_lSB_li, .Lfunc_end594-_ZL20rocblas_gemvn_kernelILi64ELi16EiPK16rocblas_bfloat16PKfKPS0_EviiT3_lPKT2_lT1_lSA_lSB_lS7_lPT4_lSB_li
                                        ; -- End function
	.set _ZL20rocblas_gemvn_kernelILi64ELi16EiPK16rocblas_bfloat16PKfKPS0_EviiT3_lPKT2_lT1_lSA_lSB_lS7_lPT4_lSB_li.num_vgpr, 59
	.set _ZL20rocblas_gemvn_kernelILi64ELi16EiPK16rocblas_bfloat16PKfKPS0_EviiT3_lPKT2_lT1_lSA_lSB_lS7_lPT4_lSB_li.num_agpr, 0
	.set _ZL20rocblas_gemvn_kernelILi64ELi16EiPK16rocblas_bfloat16PKfKPS0_EviiT3_lPKT2_lT1_lSA_lSB_lS7_lPT4_lSB_li.numbered_sgpr, 49
	.set _ZL20rocblas_gemvn_kernelILi64ELi16EiPK16rocblas_bfloat16PKfKPS0_EviiT3_lPKT2_lT1_lSA_lSB_lS7_lPT4_lSB_li.num_named_barrier, 0
	.set _ZL20rocblas_gemvn_kernelILi64ELi16EiPK16rocblas_bfloat16PKfKPS0_EviiT3_lPKT2_lT1_lSA_lSB_lS7_lPT4_lSB_li.private_seg_size, 0
	.set _ZL20rocblas_gemvn_kernelILi64ELi16EiPK16rocblas_bfloat16PKfKPS0_EviiT3_lPKT2_lT1_lSA_lSB_lS7_lPT4_lSB_li.uses_vcc, 1
	.set _ZL20rocblas_gemvn_kernelILi64ELi16EiPK16rocblas_bfloat16PKfKPS0_EviiT3_lPKT2_lT1_lSA_lSB_lS7_lPT4_lSB_li.uses_flat_scratch, 1
	.set _ZL20rocblas_gemvn_kernelILi64ELi16EiPK16rocblas_bfloat16PKfKPS0_EviiT3_lPKT2_lT1_lSA_lSB_lS7_lPT4_lSB_li.has_dyn_sized_stack, 0
	.set _ZL20rocblas_gemvn_kernelILi64ELi16EiPK16rocblas_bfloat16PKfKPS0_EviiT3_lPKT2_lT1_lSA_lSB_lS7_lPT4_lSB_li.has_recursion, 0
	.set _ZL20rocblas_gemvn_kernelILi64ELi16EiPK16rocblas_bfloat16PKfKPS0_EviiT3_lPKT2_lT1_lSA_lSB_lS7_lPT4_lSB_li.has_indirect_call, 0
	.section	.AMDGPU.csdata,"",@progbits
; Kernel info:
; codeLenInByte = 4020
; TotalNumSgprs: 51
; NumVgprs: 59
; ScratchSize: 0
; MemoryBound: 0
; FloatMode: 240
; IeeeMode: 1
; LDSByteSize: 16384 bytes/workgroup (compile time only)
; SGPRBlocks: 0
; VGPRBlocks: 7
; NumSGPRsForWavesPerEU: 51
; NumVGPRsForWavesPerEU: 59
; Occupancy: 16
; WaveLimiterHint : 1
; COMPUTE_PGM_RSRC2:SCRATCH_EN: 0
; COMPUTE_PGM_RSRC2:USER_SGPR: 2
; COMPUTE_PGM_RSRC2:TRAP_HANDLER: 0
; COMPUTE_PGM_RSRC2:TGID_X_EN: 1
; COMPUTE_PGM_RSRC2:TGID_Y_EN: 0
; COMPUTE_PGM_RSRC2:TGID_Z_EN: 1
; COMPUTE_PGM_RSRC2:TIDIG_COMP_CNT: 1
	.section	.text._ZL20rocblas_gemvn_kernelILi64ELi16ElPK16rocblas_bfloat16PKfKPS0_EviiT3_lPKT2_lT1_lSA_lSB_lS7_lPT4_lSB_li,"axG",@progbits,_ZL20rocblas_gemvn_kernelILi64ELi16ElPK16rocblas_bfloat16PKfKPS0_EviiT3_lPKT2_lT1_lSA_lSB_lS7_lPT4_lSB_li,comdat
	.globl	_ZL20rocblas_gemvn_kernelILi64ELi16ElPK16rocblas_bfloat16PKfKPS0_EviiT3_lPKT2_lT1_lSA_lSB_lS7_lPT4_lSB_li ; -- Begin function _ZL20rocblas_gemvn_kernelILi64ELi16ElPK16rocblas_bfloat16PKfKPS0_EviiT3_lPKT2_lT1_lSA_lSB_lS7_lPT4_lSB_li
	.p2align	8
	.type	_ZL20rocblas_gemvn_kernelILi64ELi16ElPK16rocblas_bfloat16PKfKPS0_EviiT3_lPKT2_lT1_lSA_lSB_lS7_lPT4_lSB_li,@function
_ZL20rocblas_gemvn_kernelILi64ELi16ElPK16rocblas_bfloat16PKfKPS0_EviiT3_lPKT2_lT1_lSA_lSB_lS7_lPT4_lSB_li: ; @_ZL20rocblas_gemvn_kernelILi64ELi16ElPK16rocblas_bfloat16PKfKPS0_EviiT3_lPKT2_lT1_lSA_lSB_lS7_lPT4_lSB_li
; %bb.0:
	s_clause 0x1
	s_load_b64 s[2:3], s[0:1], 0x9c
	s_load_b32 s33, s[0:1], 0x88
	s_lshr_b32 s10, ttmp7, 16
	s_wait_kmcnt 0x0
	s_lshr_b32 s4, s2, 16
	s_and_b32 s2, s2, 0xffff
	s_and_b32 s3, s3, 0xffff
	s_mul_i32 s2, s4, s2
	s_delay_alu instid0(SALU_CYCLE_1) | instskip(NEXT) | instid1(SALU_CYCLE_1)
	s_mul_i32 s2, s2, s3
	s_cmp_lg_u32 s2, 0x400
	s_cselect_b32 s2, -1, 0
	s_cmp_ge_u32 s10, s33
	s_cselect_b32 s3, -1, 0
	s_delay_alu instid0(SALU_CYCLE_1) | instskip(NEXT) | instid1(SALU_CYCLE_1)
	s_or_b32 s2, s2, s3
	s_and_b32 vcc_lo, exec_lo, s2
	s_cbranch_vccnz .LBB595_73
; %bb.1:
	s_clause 0x6
	s_load_b64 s[38:39], s[0:1], 0x78
	s_load_b64 s[8:9], s[0:1], 0x0
	s_load_b256 s[12:19], s[0:1], 0x8
	s_load_b64 s[34:35], s[0:1], 0x28
	s_load_b128 s[28:31], s[0:1], 0x38
	s_load_b64 s[36:37], s[0:1], 0x48
	s_load_b256 s[20:27], s[0:1], 0x58
	v_dual_mov_b32 v1, 0 :: v_dual_and_b32 v2, 0x3ff, v0
	s_lshl_b32 s6, ttmp9, 8
	v_bfe_u32 v26, v0, 10, 10
	s_mov_b32 s11, 0
	s_delay_alu instid0(VALU_DEP_2) | instskip(SKIP_1) | instid1(VALU_DEP_3)
	v_add_nc_u32_e32 v8, s6, v2
	v_lshlrev_b32_e32 v16, 2, v2
	v_lshlrev_b32_e32 v40, 2, v26
	v_lshl_add_u32 v5, v26, 6, v2
	s_delay_alu instid0(VALU_DEP_4)
	v_add_nc_u32_e32 v6, 0x80, v8
	v_add_nc_u32_e32 v7, 0xc0, v8
	v_lshl_add_u32 v41, v26, 8, v16
	v_or_b32_e32 v19, 3, v40
	v_add_nc_u32_e32 v0, s6, v5
	v_or_b32_e32 v17, s6, v5
	s_wait_kmcnt 0x0
	s_ashr_i32 s3, s9, 31
	v_cmp_gt_i32_e64 s2, s8, v6
	s_lshr_b32 s3, s3, 26
	v_mad_co_u64_u32 v[10:11], null, s34, v19, 0
	s_add_co_i32 s42, s9, s3
	v_cmp_gt_i32_e64 s3, s8, v7
	v_mad_co_u64_u32 v[6:7], null, s36, v26, 0
	v_mad_co_u64_u32 v[12:13], null, s36, v19, 0
	;; [unrolled: 1-line block ×3, first 2 shown]
	s_ashr_i32 s5, s8, 31
	s_mov_b32 s4, s8
	v_mad_co_u64_u32 v[14:15], null, s37, v26, v[7:8]
	s_and_not1_b32 s42, s42, 63
	v_cmp_gt_i64_e32 vcc_lo, s[4:5], v[0:1]
	s_sub_co_i32 s5, s9, s42
	v_mul_lo_u32 v18, s39, v17
	s_wait_alu 0xfffe
	s_cmp_gt_i32 s5, 0
	v_cmp_gt_u32_e64 s5, 0x100, v5
	v_mov_b32_e32 v7, v14
	v_mad_co_u64_u32 v[14:15], null, s35, v19, v[11:12]
	s_cselect_b32 s43, -1, 0
	s_ashr_i32 s7, s6, 31
	v_cmp_gt_i32_e64 s6, s8, v17
	s_wait_alu 0xfffe
	s_mul_i32 s7, s38, s7
	v_ashrrev_i32_e32 v9, 31, v8
	v_cmp_gt_i32_e64 s0, s8, v8
	v_mov_b32_e32 v11, v14
	v_mad_co_u64_u32 v[22:23], null, s36, v40, s[36:37]
	v_add_nc_u32_e32 v4, 64, v8
	v_or_b32_e32 v29, 2, v40
	v_mad_co_u64_u32 v[24:25], null, s34, v40, s[34:35]
	v_lshlrev_b64_e32 v[6:7], 3, v[6:7]
	s_delay_alu instid0(VALU_DEP_4)
	v_cmp_gt_i32_e64 s1, s8, v4
	v_mad_co_u64_u32 v[3:4], null, s39, v0, v[3:4]
	v_mad_co_u64_u32 v[4:5], null, s38, v17, 0
	v_lshl_add_u32 v0, v26, 10, v16
	v_mad_co_u64_u32 v[15:16], null, s37, v19, v[13:14]
	v_mad_co_u64_u32 v[16:17], null, s34, v26, 0
	;; [unrolled: 1-line block ×3, first 2 shown]
	s_wait_alu 0xfffe
	v_add3_u32 v5, v5, s7, v18
	v_mad_co_u64_u32 v[18:19], null, s34, v29, 0
	s_delay_alu instid0(VALU_DEP_4) | instskip(SKIP_3) | instid1(VALU_DEP_4)
	v_dual_mov_b32 v13, v15 :: v_dual_mov_b32 v14, v17
	v_mov_b32_e32 v17, v25
	v_lshlrev_b64_e32 v[8:9], 1, v[8:9]
	v_lshlrev_b64_e32 v[10:11], 1, v[10:11]
	;; [unrolled: 1-line block ×3, first 2 shown]
	v_mov_b32_e32 v15, v19
	v_cmp_gt_i32_e64 s4, s42, v40
	s_and_b32 s44, s5, vcc_lo
	s_lshl_b64 s[38:39], s[36:37], 7
	s_lshl_b64 s[40:41], s[34:35], 7
	v_mad_co_u64_u32 v[26:27], null, s35, v26, v[14:15]
	v_mov_b32_e32 v14, v21
	v_mad_co_u64_u32 v[27:28], null, s35, v29, v[15:16]
	v_mov_b32_e32 v15, v23
	s_lshl_b64 s[18:19], s[18:19], 1
	s_lshl_b64 s[30:31], s[30:31], 1
	;; [unrolled: 1-line block ×3, first 2 shown]
	s_delay_alu instid0(VALU_DEP_1)
	v_mad_co_u64_u32 v[28:29], null, s37, v29, v[14:15]
	v_mad_co_u64_u32 v[14:15], null, s37, v40, v[15:16]
	;; [unrolled: 1-line block ×3, first 2 shown]
	v_mov_b32_e32 v17, v26
	v_mov_b32_e32 v19, v27
	;; [unrolled: 1-line block ×4, first 2 shown]
	s_delay_alu instid0(VALU_DEP_4) | instskip(SKIP_4) | instid1(VALU_DEP_4)
	v_lshlrev_b64_e32 v[14:15], 3, v[16:17]
	v_mov_b32_e32 v25, v29
	v_lshlrev_b64_e32 v[16:17], 1, v[18:19]
	v_lshlrev_b64_e32 v[18:19], 1, v[20:21]
	;; [unrolled: 1-line block ×5, first 2 shown]
	s_branch .LBB595_4
.LBB595_2:                              ;   in Loop: Header=BB595_4 Depth=1
	s_wait_alu 0xfffe
	s_or_b32 exec_lo, exec_lo, s7
.LBB595_3:                              ;   in Loop: Header=BB595_4 Depth=1
	s_add_co_i32 s10, s10, 0x10000
	s_delay_alu instid0(SALU_CYCLE_1)
	s_cmp_lt_u32 s10, s33
	s_cbranch_scc0 .LBB595_73
.LBB595_4:                              ; =>This Loop Header: Depth=1
                                        ;     Child Loop BB595_25 Depth 2
	s_mul_u64 s[46:47], s[14:15], s[10:11]
	s_mul_u64 s[48:49], s[22:23], s[10:11]
	s_lshl_b64 s[46:47], s[46:47], 2
	s_lshl_b64 s[48:49], s[48:49], 2
	s_add_nc_u64 s[46:47], s[12:13], s[46:47]
	s_add_nc_u64 s[48:49], s[20:21], s[48:49]
	s_clause 0x1
	global_load_b32 v44, v1, s[46:47]
	global_load_b32 v26, v1, s[48:49]
	s_wait_loadcnt 0x1
	v_cmp_eq_f32_e64 s7, 0, v44
	s_wait_loadcnt 0x0
	v_cmp_eq_f32_e32 vcc_lo, 1.0, v26
	v_readfirstlane_b32 s45, v26
	s_and_b32 s8, s7, vcc_lo
	s_wait_alu 0xfffe
	s_and_b32 vcc_lo, exec_lo, s8
	s_wait_alu 0xfffe
	s_cbranch_vccnz .LBB595_3
; %bb.5:                                ;   in Loop: Header=BB595_4 Depth=1
	v_mov_b32_e32 v28, 0
	v_dual_mov_b32 v29, 0 :: v_dual_mov_b32 v26, 0
	v_cmp_neq_f32_e64 s8, 0, v44
	v_mov_b32_e32 v27, 0
	s_and_b32 vcc_lo, exec_lo, s7
	s_wait_alu 0xfffe
	s_cbranch_vccnz .LBB595_7
; %bb.6:                                ;   in Loop: Header=BB595_4 Depth=1
	s_lshl_b64 s[46:47], s[10:11], 3
	s_delay_alu instid0(SALU_CYCLE_1)
	s_add_nc_u64 s[46:47], s[16:17], s[46:47]
	global_load_b64 v[26:27], v1, s[46:47]
	s_wait_loadcnt 0x0
	v_add_co_u32 v26, vcc_lo, v26, s18
	s_wait_alu 0xfffd
	v_add_co_ci_u32_e64 v27, null, s19, v27, vcc_lo
.LBB595_7:                              ;   in Loop: Header=BB595_4 Depth=1
	s_and_not1_b32 vcc_lo, exec_lo, s8
	s_wait_alu 0xfffe
	s_cbranch_vccnz .LBB595_9
; %bb.8:                                ;   in Loop: Header=BB595_4 Depth=1
	s_lshl_b64 s[46:47], s[10:11], 3
	s_delay_alu instid0(SALU_CYCLE_1)
	s_add_nc_u64 s[46:47], s[28:29], s[46:47]
	global_load_b64 v[28:29], v1, s[46:47]
	s_wait_loadcnt 0x0
	v_add_co_u32 v28, vcc_lo, v28, s30
	s_wait_alu 0xfffd
	v_add_co_ci_u32_e64 v29, null, s31, v29, vcc_lo
.LBB595_9:                              ;   in Loop: Header=BB595_4 Depth=1
	s_lshl_b64 s[46:47], s[10:11], 3
	s_delay_alu instid0(SALU_CYCLE_1)
	s_add_nc_u64 s[46:47], s[24:25], s[46:47]
	global_load_b64 v[30:31], v1, s[46:47]
	s_wait_loadcnt 0x0
	v_add_co_u32 v42, vcc_lo, v30, s26
	s_wait_alu 0xfffd
	v_add_co_ci_u32_e64 v43, null, s27, v31, vcc_lo
	s_and_not1_b32 vcc_lo, exec_lo, s7
	s_wait_alu 0xfffe
	s_cbranch_vccnz .LBB595_17
; %bb.10:                               ;   in Loop: Header=BB595_4 Depth=1
	s_mov_b32 s7, 0
	s_mov_b32 s8, 0
                                        ; implicit-def: $vgpr30
	s_and_saveexec_b32 s46, s44
	s_cbranch_execz .LBB595_18
; %bb.11:                               ;   in Loop: Header=BB595_4 Depth=1
	s_cmp_eq_f32 s45, 0
	s_cbranch_scc1 .LBB595_57
; %bb.12:                               ;   in Loop: Header=BB595_4 Depth=1
	v_add_co_u32 v30, vcc_lo, v42, v24
	s_wait_alu 0xfffd
	v_add_co_ci_u32_e64 v31, null, v43, v25, vcc_lo
	flat_load_u16 v30, v[30:31]
	s_wait_loadcnt_dscnt 0x0
	v_lshlrev_b32_e32 v30, 16, v30
	s_delay_alu instid0(VALU_DEP_1) | instskip(NEXT) | instid1(VALU_DEP_1)
	v_mul_f32_e32 v30, s45, v30
	v_and_b32_e32 v31, 0x7f800000, v30
	s_delay_alu instid0(VALU_DEP_1)
	v_cmp_ne_u32_e32 vcc_lo, 0x7f800000, v31
                                        ; implicit-def: $vgpr31
	s_and_saveexec_b32 s8, vcc_lo
	s_wait_alu 0xfffe
	s_xor_b32 s8, exec_lo, s8
; %bb.13:                               ;   in Loop: Header=BB595_4 Depth=1
	v_bfe_u32 v31, v30, 16, 1
	s_delay_alu instid0(VALU_DEP_1)
	v_add3_u32 v31, v30, v31, 0x7fff
                                        ; implicit-def: $vgpr30
; %bb.14:                               ;   in Loop: Header=BB595_4 Depth=1
	s_wait_alu 0xfffe
	s_and_not1_saveexec_b32 s8, s8
; %bb.15:                               ;   in Loop: Header=BB595_4 Depth=1
	v_and_b32_e32 v31, 0xffff, v30
	v_or_b32_e32 v32, 0x10000, v30
	s_delay_alu instid0(VALU_DEP_2) | instskip(SKIP_1) | instid1(VALU_DEP_2)
	v_cmp_eq_u32_e32 vcc_lo, 0, v31
	s_wait_alu 0xfffd
	v_cndmask_b32_e32 v31, v32, v30, vcc_lo
; %bb.16:                               ;   in Loop: Header=BB595_4 Depth=1
	s_wait_alu 0xfffe
	s_or_b32 exec_lo, exec_lo, s8
	s_delay_alu instid0(VALU_DEP_1) | instskip(SKIP_2) | instid1(SALU_CYCLE_1)
	v_lshrrev_b32_e32 v30, 16, v31
	s_mov_b32 s8, exec_lo
	s_or_b32 exec_lo, exec_lo, s46
	s_and_b32 vcc_lo, exec_lo, s7
	s_wait_alu 0xfffe
	s_cbranch_vccnz .LBB595_19
	s_branch .LBB595_58
.LBB595_17:                             ;   in Loop: Header=BB595_4 Depth=1
	s_mov_b32 s8, 0
                                        ; implicit-def: $vgpr30
	s_cbranch_execnz .LBB595_19
	s_branch .LBB595_58
.LBB595_18:                             ;   in Loop: Header=BB595_4 Depth=1
	s_or_b32 exec_lo, exec_lo, s46
	s_wait_alu 0xfffe
	s_and_b32 vcc_lo, exec_lo, s7
	s_wait_alu 0xfffe
	s_cbranch_vccz .LBB595_58
.LBB595_19:                             ;   in Loop: Header=BB595_4 Depth=1
	v_dual_mov_b32 v45, 0 :: v_dual_mov_b32 v46, 0
	v_dual_mov_b32 v49, v40 :: v_dual_mov_b32 v48, 0
	v_mov_b32_e32 v47, 0
	s_and_saveexec_b32 s46, s4
	s_cbranch_execz .LBB595_31
; %bb.20:                               ;   in Loop: Header=BB595_4 Depth=1
	v_add_co_u32 v50, vcc_lo, v26, v10
	s_wait_alu 0xfffd
	v_add_co_ci_u32_e64 v51, null, v27, v11, vcc_lo
	v_add_co_u32 v52, vcc_lo, v26, v14
	s_wait_alu 0xfffd
	v_add_co_ci_u32_e64 v53, null, v27, v15, vcc_lo
	;; [unrolled: 3-line block ×3, first 2 shown]
	v_add_co_u32 v56, vcc_lo, v26, v22
	v_dual_mov_b32 v31, v29 :: v_dual_mov_b32 v46, 0
	s_wait_alu 0xfffd
	v_add_co_ci_u32_e64 v57, null, v27, v23, vcc_lo
	v_dual_mov_b32 v45, 0 :: v_dual_mov_b32 v30, v28
	v_dual_mov_b32 v49, v40 :: v_dual_mov_b32 v48, 0
	v_mov_b32_e32 v47, 0
	s_mov_b32 s47, 0
	s_branch .LBB595_25
.LBB595_21:                             ;   in Loop: Header=BB595_25 Depth=2
	s_or_b32 exec_lo, exec_lo, s50
	s_wait_loadcnt_dscnt 0x303
	v_lshlrev_b32_e32 v32, 16, v73
	s_wait_loadcnt_dscnt 0x202
	v_lshlrev_b32_e32 v33, 16, v72
	s_wait_loadcnt_dscnt 0x101
	s_delay_alu instid0(VALU_DEP_2) | instskip(NEXT) | instid1(VALU_DEP_1)
	v_dual_fmac_f32 v47, v65, v32 :: v_dual_lshlrev_b32 v32, 16, v71
	v_fmac_f32_e32 v47, v61, v33
	s_wait_loadcnt_dscnt 0x0
	s_delay_alu instid0(VALU_DEP_1) | instskip(NEXT) | instid1(VALU_DEP_1)
	v_dual_fmac_f32 v47, v63, v32 :: v_dual_lshlrev_b32 v32, 16, v70
	v_fmac_f32_e32 v47, v59, v32
.LBB595_22:                             ;   in Loop: Header=BB595_25 Depth=2
	s_or_b32 exec_lo, exec_lo, s49
	s_wait_loadcnt_dscnt 0x303
	v_lshlrev_b32_e32 v32, 16, v69
	s_wait_loadcnt_dscnt 0x202
	v_lshlrev_b32_e32 v33, 16, v68
	s_delay_alu instid0(VALU_DEP_2) | instskip(SKIP_2) | instid1(VALU_DEP_2)
	v_fmac_f32_e32 v46, v65, v32
	s_wait_loadcnt_dscnt 0x101
	v_lshlrev_b32_e32 v32, 16, v67
	v_fmac_f32_e32 v46, v61, v33
	s_delay_alu instid0(VALU_DEP_1) | instskip(SKIP_2) | instid1(VALU_DEP_1)
	v_fmac_f32_e32 v46, v63, v32
	s_wait_loadcnt_dscnt 0x0
	v_lshlrev_b32_e32 v32, 16, v66
	v_fmac_f32_e32 v46, v59, v32
.LBB595_23:                             ;   in Loop: Header=BB595_25 Depth=2
	s_or_b32 exec_lo, exec_lo, s48
	s_wait_loadcnt_dscnt 0x202
	v_lshlrev_b32_e32 v33, 16, v62
	v_lshlrev_b32_e32 v32, 16, v64
	s_delay_alu instid0(VALU_DEP_1) | instskip(SKIP_1) | instid1(VALU_DEP_1)
	v_fmac_f32_e32 v45, v65, v32
	s_wait_loadcnt_dscnt 0x101
	v_dual_fmac_f32 v45, v61, v33 :: v_dual_lshlrev_b32 v32, 16, v60
	s_wait_loadcnt_dscnt 0x0
	s_delay_alu instid0(VALU_DEP_1) | instskip(NEXT) | instid1(VALU_DEP_1)
	v_dual_fmac_f32 v45, v63, v32 :: v_dual_lshlrev_b32 v32, 16, v58
	v_fmac_f32_e32 v45, v59, v32
.LBB595_24:                             ;   in Loop: Header=BB595_25 Depth=2
	s_wait_alu 0xfffe
	s_or_b32 exec_lo, exec_lo, s7
	v_add_co_u32 v30, vcc_lo, v30, s38
	s_wait_alu 0xfffd
	v_add_co_ci_u32_e64 v31, null, s39, v31, vcc_lo
	v_add_co_u32 v50, vcc_lo, v50, s40
	v_add_nc_u32_e32 v49, 64, v49
	s_wait_alu 0xfffd
	v_add_co_ci_u32_e64 v51, null, s41, v51, vcc_lo
	v_add_co_u32 v52, vcc_lo, v52, s40
	s_wait_alu 0xfffd
	v_add_co_ci_u32_e64 v53, null, s41, v53, vcc_lo
	v_add_co_u32 v54, vcc_lo, v54, s40
	s_wait_alu 0xfffd
	v_add_co_ci_u32_e64 v55, null, s41, v55, vcc_lo
	v_cmp_le_i32_e32 vcc_lo, s42, v49
	v_add_co_u32 v56, s7, v56, s40
	s_wait_alu 0xf1ff
	v_add_co_ci_u32_e64 v57, null, s41, v57, s7
	s_or_b32 s47, vcc_lo, s47
	s_delay_alu instid0(SALU_CYCLE_1)
	s_and_not1_b32 exec_lo, exec_lo, s47
	s_cbranch_execz .LBB595_30
.LBB595_25:                             ;   Parent Loop BB595_4 Depth=1
                                        ; =>  This Inner Loop Header: Depth=2
	s_and_saveexec_b32 s7, s0
	s_cbranch_execz .LBB595_24
; %bb.26:                               ;   in Loop: Header=BB595_25 Depth=2
	v_add_co_u32 v32, vcc_lo, v30, v6
	s_wait_alu 0xfffd
	v_add_co_ci_u32_e64 v33, null, v31, v7, vcc_lo
	v_add_co_u32 v34, vcc_lo, v30, v20
	s_wait_alu 0xfffd
	v_add_co_ci_u32_e64 v35, null, v31, v21, vcc_lo
	;; [unrolled: 3-line block ×4, first 2 shown]
	s_clause 0x3
	flat_load_u16 v59, v[32:33]
	flat_load_u16 v61, v[34:35]
	;; [unrolled: 1-line block ×4, first 2 shown]
	v_add_co_u32 v32, vcc_lo, v52, v8
	s_wait_alu 0xfffd
	v_add_co_ci_u32_e64 v33, null, v53, v9, vcc_lo
	v_add_co_u32 v36, vcc_lo, v56, v8
	s_wait_alu 0xfffd
	v_add_co_ci_u32_e64 v37, null, v57, v9, vcc_lo
	;; [unrolled: 3-line block ×4, first 2 shown]
	flat_load_u16 v64, v[32:33]
	flat_load_u16 v62, v[36:37]
	;; [unrolled: 1-line block ×4, first 2 shown]
	s_wait_loadcnt_dscnt 0x707
	v_lshlrev_b32_e32 v65, 16, v59
	s_wait_loadcnt_dscnt 0x606
	v_lshlrev_b32_e32 v61, 16, v61
	;; [unrolled: 2-line block ×4, first 2 shown]
	s_and_saveexec_b32 s48, s1
	s_cbranch_execz .LBB595_23
; %bb.27:                               ;   in Loop: Header=BB595_25 Depth=2
	flat_load_u16 v69, v[32:33] offset:128
	flat_load_u16 v68, v[36:37] offset:128
	flat_load_u16 v67, v[34:35] offset:128
	flat_load_u16 v66, v[38:39] offset:128
	s_and_saveexec_b32 s49, s2
	s_cbranch_execz .LBB595_22
; %bb.28:                               ;   in Loop: Header=BB595_25 Depth=2
	flat_load_u16 v73, v[32:33] offset:256
	flat_load_u16 v72, v[36:37] offset:256
	flat_load_u16 v71, v[34:35] offset:256
	flat_load_u16 v70, v[38:39] offset:256
	;; [unrolled: 7-line block ×3, first 2 shown]
	s_wait_loadcnt_dscnt 0x303
	v_lshlrev_b32_e32 v32, 16, v32
	s_wait_loadcnt_dscnt 0x202
	s_delay_alu instid0(VALU_DEP_1) | instskip(SKIP_3) | instid1(VALU_DEP_2)
	v_dual_fmac_f32 v48, v65, v32 :: v_dual_lshlrev_b32 v33, 16, v33
	s_wait_loadcnt_dscnt 0x101
	v_lshlrev_b32_e32 v32, 16, v34
	s_wait_loadcnt_dscnt 0x0
	v_dual_fmac_f32 v48, v61, v33 :: v_dual_lshlrev_b32 v33, 16, v35
	s_delay_alu instid0(VALU_DEP_1) | instskip(NEXT) | instid1(VALU_DEP_1)
	v_fmac_f32_e32 v48, v63, v32
	v_fmac_f32_e32 v48, v59, v33
	s_branch .LBB595_21
.LBB595_30:                             ;   in Loop: Header=BB595_4 Depth=1
	s_or_b32 exec_lo, exec_lo, s47
.LBB595_31:                             ;   in Loop: Header=BB595_4 Depth=1
	s_delay_alu instid0(SALU_CYCLE_1) | instskip(NEXT) | instid1(SALU_CYCLE_1)
	s_or_b32 exec_lo, exec_lo, s46
	s_and_not1_b32 vcc_lo, exec_lo, s43
	s_wait_alu 0xfffe
	s_cbranch_vccnz .LBB595_49
; %bb.32:                               ;   in Loop: Header=BB595_4 Depth=1
	v_cmp_gt_i32_e32 vcc_lo, s9, v49
	v_dual_mov_b32 v35, 0 :: v_dual_mov_b32 v34, 0
	v_or_b32_e32 v30, 1, v49
	v_dual_mov_b32 v37, 0 :: v_dual_mov_b32 v36, 0
	s_and_saveexec_b32 s46, vcc_lo
	s_cbranch_execz .LBB595_40
; %bb.33:                               ;   in Loop: Header=BB595_4 Depth=1
	v_mad_co_u64_u32 v[31:32], null, s36, v49, 0
	v_dual_mov_b32 v36, 0 :: v_dual_mov_b32 v35, 0
	v_mov_b32_e32 v34, 0
	s_mov_b32 s47, exec_lo
	s_delay_alu instid0(VALU_DEP_3) | instskip(NEXT) | instid1(VALU_DEP_1)
	v_mad_co_u64_u32 v[32:33], null, s37, v49, v[32:33]
	v_lshlrev_b64_e32 v[31:32], 1, v[31:32]
	s_delay_alu instid0(VALU_DEP_1) | instskip(SKIP_1) | instid1(VALU_DEP_2)
	v_add_co_u32 v31, s7, v28, v31
	s_wait_alu 0xf1ff
	v_add_co_ci_u32_e64 v32, null, v29, v32, s7
	flat_load_u16 v31, v[31:32]
	v_cmpx_gt_i32_e64 s9, v30
	s_cbranch_execz .LBB595_39
; %bb.34:                               ;   in Loop: Header=BB595_4 Depth=1
	v_mad_co_u64_u32 v[32:33], null, s36, v30, 0
	s_mov_b32 s48, exec_lo
	v_mov_b32_e32 v35, 0
	v_mad_co_u64_u32 v[33:34], null, s37, v30, v[33:34]
	v_mov_b32_e32 v34, 0
	s_delay_alu instid0(VALU_DEP_2) | instskip(NEXT) | instid1(VALU_DEP_1)
	v_lshlrev_b64_e32 v[32:33], 1, v[32:33]
	v_add_co_u32 v32, s7, v28, v32
	s_wait_alu 0xf1ff
	s_delay_alu instid0(VALU_DEP_2) | instskip(SKIP_2) | instid1(VALU_DEP_1)
	v_add_co_ci_u32_e64 v33, null, v29, v33, s7
	flat_load_u16 v32, v[32:33]
	v_or_b32_e32 v33, 2, v49
	v_cmpx_gt_i32_e64 s9, v33
	s_cbranch_execz .LBB595_38
; %bb.35:                               ;   in Loop: Header=BB595_4 Depth=1
	v_mad_co_u64_u32 v[34:35], null, s36, v33, 0
	s_mov_b32 s49, exec_lo
	v_mad_co_u64_u32 v[35:36], null, s37, v33, v[35:36]
	s_delay_alu instid0(VALU_DEP_1) | instskip(SKIP_1) | instid1(VALU_DEP_2)
	v_lshlrev_b64_e32 v[33:34], 1, v[34:35]
	v_or_b32_e32 v35, 3, v49
	v_add_co_u32 v33, s7, v28, v33
	s_wait_alu 0xf1ff
	s_delay_alu instid0(VALU_DEP_3)
	v_add_co_ci_u32_e64 v34, null, v29, v34, s7
	flat_load_u16 v33, v[33:34]
	v_mov_b32_e32 v34, 0
	v_cmpx_gt_i32_e64 s9, v35
	s_cbranch_execz .LBB595_37
; %bb.36:                               ;   in Loop: Header=BB595_4 Depth=1
	v_mad_co_u64_u32 v[36:37], null, s36, v35, 0
	s_delay_alu instid0(VALU_DEP_1) | instskip(NEXT) | instid1(VALU_DEP_1)
	v_mov_b32_e32 v34, v37
	v_mad_co_u64_u32 v[34:35], null, s37, v35, v[34:35]
	s_delay_alu instid0(VALU_DEP_1) | instskip(NEXT) | instid1(VALU_DEP_1)
	v_mov_b32_e32 v37, v34
	v_lshlrev_b64_e32 v[34:35], 1, v[36:37]
	s_delay_alu instid0(VALU_DEP_1) | instskip(SKIP_1) | instid1(VALU_DEP_2)
	v_add_co_u32 v28, s7, v28, v34
	s_wait_alu 0xf1ff
	v_add_co_ci_u32_e64 v29, null, v29, v35, s7
	flat_load_u16 v28, v[28:29]
	s_wait_loadcnt_dscnt 0x0
	v_lshlrev_b32_e32 v34, 16, v28
.LBB595_37:                             ;   in Loop: Header=BB595_4 Depth=1
	s_or_b32 exec_lo, exec_lo, s49
	s_wait_loadcnt_dscnt 0x0
	v_lshlrev_b32_e32 v35, 16, v33
.LBB595_38:                             ;   in Loop: Header=BB595_4 Depth=1
	s_or_b32 exec_lo, exec_lo, s48
	s_wait_loadcnt_dscnt 0x0
	v_lshlrev_b32_e32 v36, 16, v32
.LBB595_39:                             ;   in Loop: Header=BB595_4 Depth=1
	s_or_b32 exec_lo, exec_lo, s47
	s_wait_loadcnt_dscnt 0x0
	v_lshlrev_b32_e32 v37, 16, v31
.LBB595_40:                             ;   in Loop: Header=BB595_4 Depth=1
	s_or_b32 exec_lo, exec_lo, s46
	s_and_saveexec_b32 s46, s0
	s_cbranch_execz .LBB595_48
; %bb.41:                               ;   in Loop: Header=BB595_4 Depth=1
	v_mad_co_u64_u32 v[28:29], null, s34, v49, 0
	v_or_b32_e32 v52, 2, v49
	v_mad_co_u64_u32 v[31:32], null, s34, v30, 0
	v_or_b32_e32 v53, 3, v49
	v_cmp_gt_i32_e64 s7, s9, v30
	s_delay_alu instid0(VALU_DEP_4) | instskip(SKIP_3) | instid1(VALU_DEP_4)
	v_mad_co_u64_u32 v[38:39], null, s34, v52, 0
	v_mad_co_u64_u32 v[49:50], null, s35, v49, v[29:30]
	;; [unrolled: 1-line block ×4, first 2 shown]
	v_mov_b32_e32 v30, v39
	s_delay_alu instid0(VALU_DEP_4)
	v_dual_cndmask_b32 v50, 0, v28 :: v_dual_cndmask_b32 v51, 0, v49
	s_wait_alu 0xf1ff
	v_cndmask_b32_e64 v28, 0, v31, s7
	v_cndmask_b32_e64 v29, 0, v29, s7
	v_mad_co_u64_u32 v[30:31], null, s35, v52, v[30:31]
	v_mov_b32_e32 v31, v33
	v_lshlrev_b64_e32 v[49:50], 1, v[50:51]
	v_cmp_gt_i32_e32 vcc_lo, s9, v52
	v_lshlrev_b64_e32 v[51:52], 1, v[28:29]
	s_wait_alu 0xfffd
	v_cndmask_b32_e32 v39, 0, v30, vcc_lo
	s_delay_alu instid0(VALU_DEP_4)
	v_add_co_u32 v28, s7, v26, v49
	s_wait_alu 0xf1ff
	v_add_co_ci_u32_e64 v29, null, v27, v50, s7
	v_mad_co_u64_u32 v[30:31], null, s35, v53, v[31:32]
	v_cndmask_b32_e32 v38, 0, v38, vcc_lo
	v_add_co_u32 v28, vcc_lo, v28, v8
	s_wait_alu 0xfffd
	v_add_co_ci_u32_e64 v29, null, v29, v9, vcc_lo
	v_cmp_gt_i32_e32 vcc_lo, s9, v53
	v_add_co_u32 v31, s7, v26, v51
	s_wait_alu 0xf1ff
	v_add_co_ci_u32_e64 v49, null, v27, v52, s7
	s_wait_alu 0xfffd
	v_dual_cndmask_b32 v32, 0, v32 :: v_dual_cndmask_b32 v33, 0, v30
	v_lshlrev_b64_e32 v[38:39], 1, v[38:39]
	v_add_co_u32 v30, vcc_lo, v31, v8
	s_wait_alu 0xfffd
	v_add_co_ci_u32_e64 v31, null, v49, v9, vcc_lo
	v_lshlrev_b64_e32 v[32:33], 1, v[32:33]
	s_delay_alu instid0(VALU_DEP_4) | instskip(SKIP_2) | instid1(VALU_DEP_3)
	v_add_co_u32 v38, vcc_lo, v26, v38
	s_wait_alu 0xfffd
	v_add_co_ci_u32_e64 v39, null, v27, v39, vcc_lo
	v_add_co_u32 v32, vcc_lo, v26, v32
	s_wait_alu 0xfffd
	v_add_co_ci_u32_e64 v33, null, v27, v33, vcc_lo
	;; [unrolled: 3-line block ×4, first 2 shown]
	s_clause 0x3
	flat_load_u16 v50, v[28:29]
	flat_load_u16 v49, v[30:31]
	;; [unrolled: 1-line block ×4, first 2 shown]
	s_and_saveexec_b32 s7, s1
	s_cbranch_execz .LBB595_47
; %bb.42:                               ;   in Loop: Header=BB595_4 Depth=1
	s_clause 0x3
	flat_load_u16 v54, v[28:29] offset:128
	flat_load_u16 v53, v[30:31] offset:128
	flat_load_u16 v52, v[26:27] offset:128
	flat_load_u16 v51, v[32:33] offset:128
	s_and_saveexec_b32 s47, s2
	s_cbranch_execz .LBB595_46
; %bb.43:                               ;   in Loop: Header=BB595_4 Depth=1
	s_clause 0x3
	flat_load_u16 v58, v[28:29] offset:256
	flat_load_u16 v57, v[30:31] offset:256
	flat_load_u16 v56, v[26:27] offset:256
	flat_load_u16 v55, v[32:33] offset:256
	;; [unrolled: 8-line block ×3, first 2 shown]
	s_wait_loadcnt_dscnt 0x303
	v_lshlrev_b32_e32 v28, 16, v28
	s_wait_loadcnt_dscnt 0x202
	v_lshlrev_b32_e32 v29, 16, v29
	;; [unrolled: 2-line block ×3, first 2 shown]
	s_wait_loadcnt_dscnt 0x0
	v_dual_fmac_f32 v48, v37, v28 :: v_dual_lshlrev_b32 v27, 16, v27
	s_delay_alu instid0(VALU_DEP_1) | instskip(NEXT) | instid1(VALU_DEP_1)
	v_fmac_f32_e32 v48, v36, v29
	v_fmac_f32_e32 v48, v35, v26
	s_delay_alu instid0(VALU_DEP_1)
	v_fmac_f32_e32 v48, v34, v27
.LBB595_45:                             ;   in Loop: Header=BB595_4 Depth=1
	s_or_b32 exec_lo, exec_lo, s48
	s_wait_loadcnt_dscnt 0x202
	v_lshlrev_b32_e32 v27, 16, v57
	v_lshlrev_b32_e32 v26, 16, v58
	s_wait_loadcnt_dscnt 0x101
	s_delay_alu instid0(VALU_DEP_1) | instskip(NEXT) | instid1(VALU_DEP_1)
	v_dual_fmac_f32 v47, v37, v26 :: v_dual_lshlrev_b32 v26, 16, v56
	v_fmac_f32_e32 v47, v36, v27
	s_wait_loadcnt_dscnt 0x0
	s_delay_alu instid0(VALU_DEP_1) | instskip(NEXT) | instid1(VALU_DEP_1)
	v_dual_fmac_f32 v47, v35, v26 :: v_dual_lshlrev_b32 v26, 16, v55
	v_fmac_f32_e32 v47, v34, v26
.LBB595_46:                             ;   in Loop: Header=BB595_4 Depth=1
	s_or_b32 exec_lo, exec_lo, s47
	s_wait_loadcnt_dscnt 0x303
	v_lshlrev_b32_e32 v26, 16, v54
	s_wait_loadcnt_dscnt 0x202
	s_delay_alu instid0(VALU_DEP_1) | instskip(SKIP_2) | instid1(VALU_DEP_2)
	v_dual_fmac_f32 v46, v37, v26 :: v_dual_lshlrev_b32 v27, 16, v53
	s_wait_loadcnt_dscnt 0x101
	v_lshlrev_b32_e32 v26, 16, v52
	v_fmac_f32_e32 v46, v36, v27
	s_delay_alu instid0(VALU_DEP_1) | instskip(SKIP_2) | instid1(VALU_DEP_1)
	v_fmac_f32_e32 v46, v35, v26
	s_wait_loadcnt_dscnt 0x0
	v_lshlrev_b32_e32 v26, 16, v51
	v_fmac_f32_e32 v46, v34, v26
.LBB595_47:                             ;   in Loop: Header=BB595_4 Depth=1
	s_wait_alu 0xfffe
	s_or_b32 exec_lo, exec_lo, s7
	s_wait_loadcnt_dscnt 0x202
	v_lshlrev_b32_e32 v27, 16, v49
	v_lshlrev_b32_e32 v26, 16, v50
	s_wait_loadcnt_dscnt 0x101
	s_delay_alu instid0(VALU_DEP_1) | instskip(NEXT) | instid1(VALU_DEP_1)
	v_dual_fmac_f32 v45, v37, v26 :: v_dual_lshlrev_b32 v26, 16, v39
	v_fmac_f32_e32 v45, v36, v27
	s_delay_alu instid0(VALU_DEP_1) | instskip(SKIP_2) | instid1(VALU_DEP_1)
	v_fmac_f32_e32 v45, v35, v26
	s_wait_loadcnt_dscnt 0x0
	v_lshlrev_b32_e32 v26, 16, v38
	v_fmac_f32_e32 v45, v34, v26
.LBB595_48:                             ;   in Loop: Header=BB595_4 Depth=1
	s_or_b32 exec_lo, exec_lo, s46
.LBB595_49:                             ;   in Loop: Header=BB595_4 Depth=1
	ds_store_2addr_stride64_b32 v0, v45, v46 offset1:1
	ds_store_2addr_stride64_b32 v0, v47, v48 offset0:2 offset1:3
	s_wait_dscnt 0x0
	s_barrier_signal -1
	s_barrier_wait -1
	global_inv scope:SCOPE_SE
                                        ; implicit-def: $vgpr30
	s_and_saveexec_b32 s7, s5
	s_cbranch_execz .LBB595_71
; %bb.50:                               ;   in Loop: Header=BB595_4 Depth=1
	ds_load_2addr_stride64_b32 v[26:27], v41 offset1:4
	ds_load_2addr_stride64_b32 v[28:29], v41 offset0:8 offset1:12
	ds_load_2addr_stride64_b32 v[30:31], v41 offset0:16 offset1:20
	s_mov_b32 s47, s8
	s_wait_dscnt 0x2
	v_add_f32_e32 v32, v26, v27
	ds_load_2addr_stride64_b32 v[26:27], v41 offset0:24 offset1:28
	s_wait_dscnt 0x2
	v_add_f32_e32 v28, v28, v32
	s_delay_alu instid0(VALU_DEP_1) | instskip(SKIP_3) | instid1(VALU_DEP_1)
	v_add_f32_e32 v32, v29, v28
	ds_load_2addr_stride64_b32 v[28:29], v41 offset0:32 offset1:36
	s_wait_dscnt 0x2
	v_add_f32_e32 v30, v30, v32
	v_add_f32_e32 v32, v31, v30
	ds_load_2addr_stride64_b32 v[30:31], v41 offset0:40 offset1:44
	s_wait_dscnt 0x2
	v_add_f32_e32 v26, v26, v32
	s_delay_alu instid0(VALU_DEP_1) | instskip(SKIP_1) | instid1(VALU_DEP_1)
	v_add_f32_e32 v26, v27, v26
	s_wait_dscnt 0x1
	v_add_f32_e32 v28, v28, v26
	ds_load_2addr_stride64_b32 v[26:27], v41 offset0:48 offset1:52
	v_add_f32_e32 v28, v29, v28
	s_wait_dscnt 0x1
	s_delay_alu instid0(VALU_DEP_1) | instskip(SKIP_3) | instid1(VALU_DEP_1)
	v_add_f32_e32 v30, v30, v28
	ds_load_2addr_stride64_b32 v[28:29], v41 offset0:56 offset1:60
	v_add_f32_e32 v30, v31, v30
	s_wait_dscnt 0x1
	v_add_f32_e32 v26, v26, v30
                                        ; implicit-def: $vgpr30
	s_delay_alu instid0(VALU_DEP_1) | instskip(SKIP_1) | instid1(VALU_DEP_1)
	v_add_f32_e32 v26, v27, v26
	s_wait_dscnt 0x0
	v_add_f32_e32 v26, v28, v26
	s_delay_alu instid0(VALU_DEP_1)
	v_add_f32_e32 v26, v29, v26
	ds_store_b32 v41, v26
	s_and_saveexec_b32 s46, s6
	s_cbranch_execz .LBB595_70
; %bb.51:                               ;   in Loop: Header=BB595_4 Depth=1
	v_mul_f32_e32 v26, v44, v26
	s_cmp_eq_f32 s45, 0
	s_cbranch_scc0 .LBB595_59
; %bb.52:                               ;   in Loop: Header=BB595_4 Depth=1
	s_delay_alu instid0(VALU_DEP_1) | instskip(NEXT) | instid1(VALU_DEP_1)
	v_and_b32_e32 v27, 0x7f800000, v26
	v_cmp_ne_u32_e32 vcc_lo, 0x7f800000, v27
                                        ; implicit-def: $vgpr27
	s_and_saveexec_b32 s47, vcc_lo
	s_delay_alu instid0(SALU_CYCLE_1)
	s_xor_b32 s47, exec_lo, s47
; %bb.53:                               ;   in Loop: Header=BB595_4 Depth=1
	v_bfe_u32 v27, v26, 16, 1
	s_delay_alu instid0(VALU_DEP_1)
	v_add3_u32 v27, v26, v27, 0x7fff
; %bb.54:                               ;   in Loop: Header=BB595_4 Depth=1
	s_and_not1_saveexec_b32 s47, s47
; %bb.55:                               ;   in Loop: Header=BB595_4 Depth=1
	v_and_b32_e32 v27, 0xffff, v26
	v_or_b32_e32 v28, 0x10000, v26
	s_delay_alu instid0(VALU_DEP_2) | instskip(SKIP_1) | instid1(VALU_DEP_2)
	v_cmp_eq_u32_e32 vcc_lo, 0, v27
	s_wait_alu 0xfffd
	v_cndmask_b32_e32 v27, v28, v26, vcc_lo
; %bb.56:                               ;   in Loop: Header=BB595_4 Depth=1
	s_or_b32 exec_lo, exec_lo, s47
	s_cbranch_execz .LBB595_60
	s_branch .LBB595_69
.LBB595_57:                             ;   in Loop: Header=BB595_4 Depth=1
	v_mov_b32_e32 v30, 0
	s_mov_b32 s8, exec_lo
	s_or_b32 exec_lo, exec_lo, s46
	s_wait_alu 0xfffe
	s_and_b32 vcc_lo, exec_lo, s7
	s_wait_alu 0xfffe
	s_cbranch_vccnz .LBB595_19
.LBB595_58:                             ;   in Loop: Header=BB595_4 Depth=1
	v_dual_mov_b32 v27, v3 :: v_dual_mov_b32 v26, v2
	s_wait_alu 0xfffe
	s_and_saveexec_b32 s7, s8
	s_cbranch_execz .LBB595_2
	s_branch .LBB595_72
.LBB595_59:                             ;   in Loop: Header=BB595_4 Depth=1
                                        ; implicit-def: $vgpr27
.LBB595_60:                             ;   in Loop: Header=BB595_4 Depth=1
	v_lshlrev_b64_e32 v[27:28], 1, v[4:5]
	s_delay_alu instid0(VALU_DEP_1) | instskip(SKIP_1) | instid1(VALU_DEP_2)
	v_add_co_u32 v27, vcc_lo, v42, v27
	s_wait_alu 0xfffd
	v_add_co_ci_u32_e64 v28, null, v43, v28, vcc_lo
	flat_load_u16 v27, v[27:28]
	s_wait_loadcnt_dscnt 0x0
	v_lshlrev_b32_e32 v27, 16, v27
	s_delay_alu instid0(VALU_DEP_1) | instskip(NEXT) | instid1(VALU_DEP_1)
	v_mul_f32_e32 v27, s45, v27
	v_and_b32_e32 v28, 0x7f800000, v27
	s_delay_alu instid0(VALU_DEP_1)
	v_cmp_ne_u32_e32 vcc_lo, 0x7f800000, v28
                                        ; implicit-def: $vgpr28
	s_and_saveexec_b32 s45, vcc_lo
	s_wait_alu 0xfffe
	s_xor_b32 s45, exec_lo, s45
; %bb.61:                               ;   in Loop: Header=BB595_4 Depth=1
	v_bfe_u32 v28, v27, 16, 1
	s_delay_alu instid0(VALU_DEP_1)
	v_add3_u32 v28, v27, v28, 0x7fff
                                        ; implicit-def: $vgpr27
; %bb.62:                               ;   in Loop: Header=BB595_4 Depth=1
	s_wait_alu 0xfffe
	s_and_not1_saveexec_b32 s45, s45
; %bb.63:                               ;   in Loop: Header=BB595_4 Depth=1
	v_and_b32_e32 v28, 0xffff, v27
	v_or_b32_e32 v29, 0x10000, v27
	s_delay_alu instid0(VALU_DEP_2) | instskip(SKIP_1) | instid1(VALU_DEP_2)
	v_cmp_eq_u32_e32 vcc_lo, 0, v28
	s_wait_alu 0xfffd
	v_cndmask_b32_e32 v28, v29, v27, vcc_lo
; %bb.64:                               ;   in Loop: Header=BB595_4 Depth=1
	s_wait_alu 0xfffe
	s_or_b32 exec_lo, exec_lo, s45
	s_delay_alu instid0(VALU_DEP_1) | instskip(NEXT) | instid1(VALU_DEP_1)
	v_and_b32_e32 v27, 0xffff0000, v28
	v_add_f32_e32 v26, v26, v27
	s_delay_alu instid0(VALU_DEP_1) | instskip(NEXT) | instid1(VALU_DEP_1)
	v_and_b32_e32 v27, 0x7f800000, v26
	v_cmp_ne_u32_e32 vcc_lo, 0x7f800000, v27
                                        ; implicit-def: $vgpr27
	s_and_saveexec_b32 s45, vcc_lo
	s_wait_alu 0xfffe
	s_xor_b32 s45, exec_lo, s45
; %bb.65:                               ;   in Loop: Header=BB595_4 Depth=1
	v_bfe_u32 v27, v26, 16, 1
	s_delay_alu instid0(VALU_DEP_1)
	v_add3_u32 v27, v26, v27, 0x7fff
                                        ; implicit-def: $vgpr26
; %bb.66:                               ;   in Loop: Header=BB595_4 Depth=1
	s_wait_alu 0xfffe
	s_and_not1_saveexec_b32 s45, s45
; %bb.67:                               ;   in Loop: Header=BB595_4 Depth=1
	v_and_b32_e32 v27, 0xffff, v26
	v_or_b32_e32 v28, 0x10000, v26
	s_delay_alu instid0(VALU_DEP_2) | instskip(SKIP_1) | instid1(VALU_DEP_2)
	v_cmp_eq_u32_e32 vcc_lo, 0, v27
	s_wait_alu 0xfffd
	v_cndmask_b32_e32 v27, v28, v26, vcc_lo
; %bb.68:                               ;   in Loop: Header=BB595_4 Depth=1
	s_wait_alu 0xfffe
	s_or_b32 exec_lo, exec_lo, s45
.LBB595_69:                             ;   in Loop: Header=BB595_4 Depth=1
	s_delay_alu instid0(VALU_DEP_1)
	v_lshrrev_b32_e32 v30, 16, v27
	s_or_b32 s47, s8, exec_lo
.LBB595_70:                             ;   in Loop: Header=BB595_4 Depth=1
	s_or_b32 exec_lo, exec_lo, s46
	s_delay_alu instid0(SALU_CYCLE_1)
	s_and_not1_b32 s8, s8, exec_lo
	s_and_b32 s45, s47, exec_lo
	s_wait_alu 0xfffe
	s_or_b32 s8, s8, s45
.LBB595_71:                             ;   in Loop: Header=BB595_4 Depth=1
	s_wait_alu 0xfffe
	s_or_b32 exec_lo, exec_lo, s7
	v_dual_mov_b32 v27, v5 :: v_dual_mov_b32 v26, v4
	s_and_saveexec_b32 s7, s8
	s_cbranch_execz .LBB595_2
.LBB595_72:                             ;   in Loop: Header=BB595_4 Depth=1
	s_delay_alu instid0(VALU_DEP_1) | instskip(NEXT) | instid1(VALU_DEP_1)
	v_lshlrev_b64_e32 v[26:27], 1, v[26:27]
	v_add_co_u32 v26, vcc_lo, v42, v26
	s_wait_alu 0xfffd
	s_delay_alu instid0(VALU_DEP_2)
	v_add_co_ci_u32_e64 v27, null, v43, v27, vcc_lo
	flat_store_b16 v[26:27], v30
	s_branch .LBB595_2
.LBB595_73:
	s_endpgm
	.section	.rodata,"a",@progbits
	.p2align	6, 0x0
	.amdhsa_kernel _ZL20rocblas_gemvn_kernelILi64ELi16ElPK16rocblas_bfloat16PKfKPS0_EviiT3_lPKT2_lT1_lSA_lSB_lS7_lPT4_lSB_li
		.amdhsa_group_segment_fixed_size 16384
		.amdhsa_private_segment_fixed_size 0
		.amdhsa_kernarg_size 400
		.amdhsa_user_sgpr_count 2
		.amdhsa_user_sgpr_dispatch_ptr 0
		.amdhsa_user_sgpr_queue_ptr 0
		.amdhsa_user_sgpr_kernarg_segment_ptr 1
		.amdhsa_user_sgpr_dispatch_id 0
		.amdhsa_user_sgpr_private_segment_size 0
		.amdhsa_wavefront_size32 1
		.amdhsa_uses_dynamic_stack 0
		.amdhsa_enable_private_segment 0
		.amdhsa_system_sgpr_workgroup_id_x 1
		.amdhsa_system_sgpr_workgroup_id_y 0
		.amdhsa_system_sgpr_workgroup_id_z 1
		.amdhsa_system_sgpr_workgroup_info 0
		.amdhsa_system_vgpr_workitem_id 1
		.amdhsa_next_free_vgpr 74
		.amdhsa_next_free_sgpr 51
		.amdhsa_reserve_vcc 1
		.amdhsa_float_round_mode_32 0
		.amdhsa_float_round_mode_16_64 0
		.amdhsa_float_denorm_mode_32 3
		.amdhsa_float_denorm_mode_16_64 3
		.amdhsa_fp16_overflow 0
		.amdhsa_workgroup_processor_mode 1
		.amdhsa_memory_ordered 1
		.amdhsa_forward_progress 1
		.amdhsa_inst_pref_size 34
		.amdhsa_round_robin_scheduling 0
		.amdhsa_exception_fp_ieee_invalid_op 0
		.amdhsa_exception_fp_denorm_src 0
		.amdhsa_exception_fp_ieee_div_zero 0
		.amdhsa_exception_fp_ieee_overflow 0
		.amdhsa_exception_fp_ieee_underflow 0
		.amdhsa_exception_fp_ieee_inexact 0
		.amdhsa_exception_int_div_zero 0
	.end_amdhsa_kernel
	.section	.text._ZL20rocblas_gemvn_kernelILi64ELi16ElPK16rocblas_bfloat16PKfKPS0_EviiT3_lPKT2_lT1_lSA_lSB_lS7_lPT4_lSB_li,"axG",@progbits,_ZL20rocblas_gemvn_kernelILi64ELi16ElPK16rocblas_bfloat16PKfKPS0_EviiT3_lPKT2_lT1_lSA_lSB_lS7_lPT4_lSB_li,comdat
.Lfunc_end595:
	.size	_ZL20rocblas_gemvn_kernelILi64ELi16ElPK16rocblas_bfloat16PKfKPS0_EviiT3_lPKT2_lT1_lSA_lSB_lS7_lPT4_lSB_li, .Lfunc_end595-_ZL20rocblas_gemvn_kernelILi64ELi16ElPK16rocblas_bfloat16PKfKPS0_EviiT3_lPKT2_lT1_lSA_lSB_lS7_lPT4_lSB_li
                                        ; -- End function
	.set _ZL20rocblas_gemvn_kernelILi64ELi16ElPK16rocblas_bfloat16PKfKPS0_EviiT3_lPKT2_lT1_lSA_lSB_lS7_lPT4_lSB_li.num_vgpr, 74
	.set _ZL20rocblas_gemvn_kernelILi64ELi16ElPK16rocblas_bfloat16PKfKPS0_EviiT3_lPKT2_lT1_lSA_lSB_lS7_lPT4_lSB_li.num_agpr, 0
	.set _ZL20rocblas_gemvn_kernelILi64ELi16ElPK16rocblas_bfloat16PKfKPS0_EviiT3_lPKT2_lT1_lSA_lSB_lS7_lPT4_lSB_li.numbered_sgpr, 51
	.set _ZL20rocblas_gemvn_kernelILi64ELi16ElPK16rocblas_bfloat16PKfKPS0_EviiT3_lPKT2_lT1_lSA_lSB_lS7_lPT4_lSB_li.num_named_barrier, 0
	.set _ZL20rocblas_gemvn_kernelILi64ELi16ElPK16rocblas_bfloat16PKfKPS0_EviiT3_lPKT2_lT1_lSA_lSB_lS7_lPT4_lSB_li.private_seg_size, 0
	.set _ZL20rocblas_gemvn_kernelILi64ELi16ElPK16rocblas_bfloat16PKfKPS0_EviiT3_lPKT2_lT1_lSA_lSB_lS7_lPT4_lSB_li.uses_vcc, 1
	.set _ZL20rocblas_gemvn_kernelILi64ELi16ElPK16rocblas_bfloat16PKfKPS0_EviiT3_lPKT2_lT1_lSA_lSB_lS7_lPT4_lSB_li.uses_flat_scratch, 1
	.set _ZL20rocblas_gemvn_kernelILi64ELi16ElPK16rocblas_bfloat16PKfKPS0_EviiT3_lPKT2_lT1_lSA_lSB_lS7_lPT4_lSB_li.has_dyn_sized_stack, 0
	.set _ZL20rocblas_gemvn_kernelILi64ELi16ElPK16rocblas_bfloat16PKfKPS0_EviiT3_lPKT2_lT1_lSA_lSB_lS7_lPT4_lSB_li.has_recursion, 0
	.set _ZL20rocblas_gemvn_kernelILi64ELi16ElPK16rocblas_bfloat16PKfKPS0_EviiT3_lPKT2_lT1_lSA_lSB_lS7_lPT4_lSB_li.has_indirect_call, 0
	.section	.AMDGPU.csdata,"",@progbits
; Kernel info:
; codeLenInByte = 4300
; TotalNumSgprs: 53
; NumVgprs: 74
; ScratchSize: 0
; MemoryBound: 0
; FloatMode: 240
; IeeeMode: 1
; LDSByteSize: 16384 bytes/workgroup (compile time only)
; SGPRBlocks: 0
; VGPRBlocks: 9
; NumSGPRsForWavesPerEU: 53
; NumVGPRsForWavesPerEU: 74
; Occupancy: 16
; WaveLimiterHint : 1
; COMPUTE_PGM_RSRC2:SCRATCH_EN: 0
; COMPUTE_PGM_RSRC2:USER_SGPR: 2
; COMPUTE_PGM_RSRC2:TRAP_HANDLER: 0
; COMPUTE_PGM_RSRC2:TGID_X_EN: 1
; COMPUTE_PGM_RSRC2:TGID_Y_EN: 0
; COMPUTE_PGM_RSRC2:TGID_Z_EN: 1
; COMPUTE_PGM_RSRC2:TIDIG_COMP_CNT: 1
	.section	.text._ZL20rocblas_gemvn_kernelILi64ELi16EiPK16rocblas_bfloat16fKPS0_EviiT3_lPKT2_lT1_lS8_lS9_lS5_lPT4_lS9_li,"axG",@progbits,_ZL20rocblas_gemvn_kernelILi64ELi16EiPK16rocblas_bfloat16fKPS0_EviiT3_lPKT2_lT1_lS8_lS9_lS5_lPT4_lS9_li,comdat
	.globl	_ZL20rocblas_gemvn_kernelILi64ELi16EiPK16rocblas_bfloat16fKPS0_EviiT3_lPKT2_lT1_lS8_lS9_lS5_lPT4_lS9_li ; -- Begin function _ZL20rocblas_gemvn_kernelILi64ELi16EiPK16rocblas_bfloat16fKPS0_EviiT3_lPKT2_lT1_lS8_lS9_lS5_lPT4_lS9_li
	.p2align	8
	.type	_ZL20rocblas_gemvn_kernelILi64ELi16EiPK16rocblas_bfloat16fKPS0_EviiT3_lPKT2_lT1_lS8_lS9_lS5_lPT4_lS9_li,@function
_ZL20rocblas_gemvn_kernelILi64ELi16EiPK16rocblas_bfloat16fKPS0_EviiT3_lPKT2_lT1_lS8_lS9_lS5_lPT4_lS9_li: ; @_ZL20rocblas_gemvn_kernelILi64ELi16EiPK16rocblas_bfloat16fKPS0_EviiT3_lPKT2_lT1_lS8_lS9_lS5_lPT4_lS9_li
; %bb.0:
	s_clause 0x1
	s_load_b64 s[2:3], s[0:1], 0x9c
	s_load_b32 s23, s[0:1], 0x88
	s_lshr_b32 s24, ttmp7, 16
	s_wait_kmcnt 0x0
	s_lshr_b32 s4, s2, 16
	s_and_b32 s2, s2, 0xffff
	s_and_b32 s3, s3, 0xffff
	s_mul_i32 s2, s4, s2
	s_delay_alu instid0(SALU_CYCLE_1) | instskip(NEXT) | instid1(SALU_CYCLE_1)
	s_mul_i32 s2, s2, s3
	s_cmp_lg_u32 s2, 0x400
	s_cselect_b32 s2, -1, 0
	s_cmp_ge_u32 s24, s23
	s_cselect_b32 s3, -1, 0
	s_delay_alu instid0(SALU_CYCLE_1) | instskip(NEXT) | instid1(SALU_CYCLE_1)
	s_or_b32 s2, s2, s3
	s_and_b32 vcc_lo, exec_lo, s2
	s_cbranch_vccnz .LBB596_76
; %bb.1:
	s_clause 0x7
	s_load_b32 s4, s[0:1], 0x78
	s_load_b96 s[20:22], s[0:1], 0x0
	s_load_b32 s27, s[0:1], 0x58
	s_load_b32 s28, s[0:1], 0x28
	s_load_b128 s[8:11], s[0:1], 0x38
	s_load_b32 s26, s[0:1], 0x48
	s_load_b128 s[12:15], s[0:1], 0x68
	s_load_b128 s[16:19], s[0:1], 0x18
	v_and_b32_e32 v9, 0x3ff, v0
	v_bfe_u32 v8, v0, 10, 10
	v_mov_b32_e32 v1, 0
	s_mov_b32 s25, 0
	s_delay_alu instid0(VALU_DEP_3) | instskip(NEXT) | instid1(VALU_DEP_3)
	v_lshlrev_b32_e32 v0, 2, v9
	v_lshl_add_u32 v2, v8, 6, v9
	v_lshlrev_b32_e32 v23, 2, v8
	s_delay_alu instid0(VALU_DEP_3)
	v_lshl_add_u32 v24, v8, 10, v0
	v_lshl_add_u32 v25, v8, 8, v0
	s_wait_kmcnt 0x0
	s_ashr_i32 s5, s4, 31
	s_cmp_eq_f32 s22, 0
	s_mov_b32 s2, s20
	v_cmp_gt_u32_e64 s0, 0x100, v2
	v_mul_lo_u32 v7, s28, v23
	s_cselect_b32 s29, -1, 0
	s_cmp_neq_f32 s27, 1.0
	v_or_b32_e32 v12, 3, v23
	v_mul_lo_u32 v13, v8, s26
	s_cselect_b32 s1, -1, 0
	s_cmp_neq_f32 s22, 0
	s_delay_alu instid0(VALU_DEP_2)
	v_mul_lo_u32 v30, s26, v12
	s_cselect_b32 s6, -1, 0
	s_lshl_b32 s30, ttmp9, 8
	s_ashr_i32 s3, s20, 31
	v_add_nc_u32_e32 v0, s30, v2
	v_or_b32_e32 v4, s30, v2
	s_or_b32 s31, s6, s1
	s_cmp_neq_f32 s27, 0
	v_add_nc_u32_e32 v27, s30, v9
	v_cmp_gt_i64_e32 vcc_lo, s[2:3], v[0:1]
	v_mad_co_u64_u32 v[2:3], null, s4, v0, 0
	v_cmp_gt_i32_e64 s2, s20, v4
	v_mul_lo_u32 v4, s4, v4
	s_cselect_b32 s33, -1, 0
	s_cmp_eq_f32 s27, 0
	v_add_nc_u32_e32 v5, 64, v27
	v_add_nc_u32_e32 v11, 0xc0, v27
	;; [unrolled: 1-line block ×3, first 2 shown]
	s_cselect_b32 s34, -1, 0
	s_ashr_i32 s3, s21, 31
	v_cndmask_b32_e64 v26, 0, 1, s6
	s_wait_alu 0xfffe
	s_lshr_b32 s4, s3, 26
	v_cmp_gt_i32_e64 s3, s20, v5
	v_mad_co_u64_u32 v[5:6], null, s5, v0, v[3:4]
	v_cmp_gt_i32_e64 s5, s20, v11
	v_mul_lo_u32 v11, v8, s28
	s_wait_alu 0xfffe
	s_add_co_i32 s35, s21, s4
	v_cmp_gt_i32_e64 s4, s20, v10
	v_or_b32_e32 v10, 2, v23
	v_add3_u32 v0, v7, s28, v9
	v_mov_b32_e32 v3, v5
	s_and_not1_b32 s35, s35, 63
	v_cmp_gt_i32_e64 s1, s20, v27
	v_mad_co_u64_u32 v[6:7], null, s28, v10, v[9:10]
	v_mad_co_u64_u32 v[7:8], null, s28, v12, v[9:10]
	v_lshl_add_u32 v28, v11, 2, v9
	v_mad_co_u64_u32 v[8:9], null, s26, v23, s[26:27]
	v_mul_lo_u32 v29, s26, v10
	s_sub_co_i32 s6, s21, s35
	v_lshlrev_b64_e32 v[9:10], 1, v[2:3]
	s_wait_alu 0xfffe
	s_cmp_gt_i32 s6, 0
	v_cmp_gt_i32_e64 s6, s35, v23
	v_ashrrev_i32_e32 v5, 31, v4
	v_lshlrev_b32_e32 v31, 2, v13
	s_cselect_b32 s20, -1, 0
	s_and_b32 s36, s0, vcc_lo
	s_lshl_b32 s37, s28, 6
	s_lshl_b32 s38, s26, 6
	s_lshl_b64 s[18:19], s[18:19], 1
	s_lshl_b64 s[10:11], s[10:11], 1
	;; [unrolled: 1-line block ×3, first 2 shown]
	s_branch .LBB596_4
.LBB596_2:                              ;   in Loop: Header=BB596_4 Depth=1
	s_wait_alu 0xfffe
	s_or_b32 exec_lo, exec_lo, s7
.LBB596_3:                              ;   in Loop: Header=BB596_4 Depth=1
	s_add_co_i32 s24, s24, 0x10000
	s_delay_alu instid0(SALU_CYCLE_1)
	s_cmp_lt_u32 s24, s23
	s_cbranch_scc0 .LBB596_76
.LBB596_4:                              ; =>This Loop Header: Depth=1
                                        ;     Child Loop BB596_28 Depth 2
	s_and_not1_b32 vcc_lo, exec_lo, s31
	s_wait_alu 0xfffe
	s_cbranch_vccnz .LBB596_3
; %bb.5:                                ;   in Loop: Header=BB596_4 Depth=1
	s_and_not1_b32 vcc_lo, exec_lo, s29
	s_wait_alu 0xfffe
	s_cbranch_vccnz .LBB596_7
; %bb.6:                                ;   in Loop: Header=BB596_4 Depth=1
	s_mov_b32 s7, 0
	s_branch .LBB596_8
.LBB596_7:                              ;   in Loop: Header=BB596_4 Depth=1
	s_mov_b32 s7, -1
.LBB596_8:                              ;   in Loop: Header=BB596_4 Depth=1
	v_mov_b32_e32 v13, 0
	v_dual_mov_b32 v14, 0 :: v_dual_mov_b32 v11, 0
	v_mov_b32_e32 v12, 0
	s_wait_alu 0xfffe
	s_and_not1_b32 vcc_lo, exec_lo, s7
	s_wait_alu 0xfffe
	s_cbranch_vccnz .LBB596_10
; %bb.9:                                ;   in Loop: Header=BB596_4 Depth=1
	s_lshl_b64 s[40:41], s[24:25], 3
	s_wait_alu 0xfffe
	s_add_nc_u64 s[40:41], s[16:17], s[40:41]
	global_load_b64 v[11:12], v1, s[40:41]
	s_wait_loadcnt 0x0
	v_add_co_u32 v11, vcc_lo, v11, s18
	s_wait_alu 0xfffd
	v_add_co_ci_u32_e64 v12, null, s19, v12, vcc_lo
.LBB596_10:                             ;   in Loop: Header=BB596_4 Depth=1
	v_cmp_ne_u32_e32 vcc_lo, 1, v26
	s_cbranch_vccnz .LBB596_12
; %bb.11:                               ;   in Loop: Header=BB596_4 Depth=1
	s_lshl_b64 s[40:41], s[24:25], 3
	s_wait_alu 0xfffe
	s_add_nc_u64 s[40:41], s[8:9], s[40:41]
	global_load_b64 v[13:14], v1, s[40:41]
	s_wait_loadcnt 0x0
	v_add_co_u32 v13, vcc_lo, v13, s10
	s_wait_alu 0xfffd
	v_add_co_ci_u32_e64 v14, null, s11, v14, vcc_lo
.LBB596_12:                             ;   in Loop: Header=BB596_4 Depth=1
	s_lshl_b64 s[40:41], s[24:25], 3
	s_wait_alu 0xfffe
	s_add_nc_u64 s[40:41], s[12:13], s[40:41]
	global_load_b64 v[15:16], v1, s[40:41]
	s_wait_loadcnt 0x0
	v_add_co_u32 v32, vcc_lo, v15, s14
	s_wait_alu 0xfffd
	v_add_co_ci_u32_e64 v33, null, s15, v16, vcc_lo
	s_and_not1_b32 vcc_lo, exec_lo, s29
	s_wait_alu 0xfffe
	s_cbranch_vccnz .LBB596_20
; %bb.13:                               ;   in Loop: Header=BB596_4 Depth=1
	s_mov_b32 s7, 0
	s_mov_b32 s39, 0
                                        ; implicit-def: $vgpr15
	s_and_saveexec_b32 s40, s36
	s_cbranch_execz .LBB596_21
; %bb.14:                               ;   in Loop: Header=BB596_4 Depth=1
	s_and_not1_b32 vcc_lo, exec_lo, s33
	s_wait_alu 0xfffe
	s_cbranch_vccnz .LBB596_73
; %bb.15:                               ;   in Loop: Header=BB596_4 Depth=1
	v_add_co_u32 v15, vcc_lo, v32, v9
	s_wait_alu 0xfffd
	v_add_co_ci_u32_e64 v16, null, v33, v10, vcc_lo
	flat_load_u16 v15, v[15:16]
	s_wait_loadcnt_dscnt 0x0
	v_lshlrev_b32_e32 v15, 16, v15
	s_delay_alu instid0(VALU_DEP_1) | instskip(NEXT) | instid1(VALU_DEP_1)
	v_mul_f32_e32 v15, s27, v15
	v_and_b32_e32 v16, 0x7f800000, v15
	s_delay_alu instid0(VALU_DEP_1) | instskip(SKIP_1) | instid1(SALU_CYCLE_1)
	v_cmp_ne_u32_e32 vcc_lo, 0x7f800000, v16
                                        ; implicit-def: $vgpr16
	s_and_saveexec_b32 s39, vcc_lo
	s_xor_b32 s39, exec_lo, s39
; %bb.16:                               ;   in Loop: Header=BB596_4 Depth=1
	v_bfe_u32 v16, v15, 16, 1
	s_delay_alu instid0(VALU_DEP_1)
	v_add3_u32 v16, v15, v16, 0x7fff
                                        ; implicit-def: $vgpr15
; %bb.17:                               ;   in Loop: Header=BB596_4 Depth=1
	s_and_not1_saveexec_b32 s39, s39
; %bb.18:                               ;   in Loop: Header=BB596_4 Depth=1
	v_and_b32_e32 v16, 0xffff, v15
	v_or_b32_e32 v17, 0x10000, v15
	s_delay_alu instid0(VALU_DEP_2) | instskip(SKIP_1) | instid1(VALU_DEP_2)
	v_cmp_eq_u32_e32 vcc_lo, 0, v16
	s_wait_alu 0xfffd
	v_cndmask_b32_e32 v16, v17, v15, vcc_lo
; %bb.19:                               ;   in Loop: Header=BB596_4 Depth=1
	s_or_b32 exec_lo, exec_lo, s39
	s_delay_alu instid0(VALU_DEP_1) | instskip(SKIP_2) | instid1(SALU_CYCLE_1)
	v_lshrrev_b32_e32 v15, 16, v16
	s_mov_b32 s39, exec_lo
	s_or_b32 exec_lo, exec_lo, s40
	s_and_b32 vcc_lo, exec_lo, s7
	s_wait_alu 0xfffe
	s_cbranch_vccnz .LBB596_22
	s_branch .LBB596_74
.LBB596_20:                             ;   in Loop: Header=BB596_4 Depth=1
	s_mov_b32 s39, 0
                                        ; implicit-def: $vgpr15
	s_cbranch_execnz .LBB596_22
	s_branch .LBB596_74
.LBB596_21:                             ;   in Loop: Header=BB596_4 Depth=1
	s_wait_alu 0xfffe
	s_or_b32 exec_lo, exec_lo, s40
	s_delay_alu instid0(SALU_CYCLE_1)
	s_and_b32 vcc_lo, exec_lo, s7
	s_wait_alu 0xfffe
	s_cbranch_vccz .LBB596_74
.LBB596_22:                             ;   in Loop: Header=BB596_4 Depth=1
	v_dual_mov_b32 v34, 0 :: v_dual_mov_b32 v35, 0
	v_dual_mov_b32 v38, v23 :: v_dual_mov_b32 v37, 0
	v_mov_b32_e32 v36, 0
	s_and_saveexec_b32 s7, s6
	s_cbranch_execz .LBB596_34
; %bb.23:                               ;   in Loop: Header=BB596_4 Depth=1
	v_dual_mov_b32 v34, 0 :: v_dual_mov_b32 v39, v28
	v_dual_mov_b32 v40, v7 :: v_dual_mov_b32 v41, v6
	;; [unrolled: 1-line block ×4, first 2 shown]
	v_mov_b32_e32 v36, 0
	s_mov_b32 s40, 0
	s_mov_b32 s41, 0
	s_branch .LBB596_28
.LBB596_24:                             ;   in Loop: Header=BB596_28 Depth=2
	s_or_b32 exec_lo, exec_lo, s45
	s_wait_loadcnt_dscnt 0x202
	v_lshlrev_b32_e32 v16, 16, v57
	v_lshlrev_b32_e32 v15, 16, v58
	s_wait_loadcnt_dscnt 0x101
	s_delay_alu instid0(VALU_DEP_1) | instskip(NEXT) | instid1(VALU_DEP_1)
	v_dual_fmac_f32 v36, v50, v15 :: v_dual_lshlrev_b32 v15, 16, v56
	v_fmac_f32_e32 v36, v46, v16
	s_delay_alu instid0(VALU_DEP_1) | instskip(SKIP_2) | instid1(VALU_DEP_1)
	v_fmac_f32_e32 v36, v48, v15
	s_wait_loadcnt_dscnt 0x0
	v_lshlrev_b32_e32 v15, 16, v55
	v_fmac_f32_e32 v36, v44, v15
.LBB596_25:                             ;   in Loop: Header=BB596_28 Depth=2
	s_or_b32 exec_lo, exec_lo, s44
	s_wait_loadcnt_dscnt 0x303
	v_lshlrev_b32_e32 v15, 16, v54
	s_wait_loadcnt_dscnt 0x202
	s_delay_alu instid0(VALU_DEP_1) | instskip(SKIP_2) | instid1(VALU_DEP_2)
	v_dual_fmac_f32 v35, v50, v15 :: v_dual_lshlrev_b32 v16, 16, v53
	s_wait_loadcnt_dscnt 0x101
	v_lshlrev_b32_e32 v15, 16, v52
	v_fmac_f32_e32 v35, v46, v16
	s_delay_alu instid0(VALU_DEP_1) | instskip(SKIP_2) | instid1(VALU_DEP_1)
	v_fmac_f32_e32 v35, v48, v15
	s_wait_loadcnt_dscnt 0x0
	v_lshlrev_b32_e32 v15, 16, v51
	v_fmac_f32_e32 v35, v44, v15
.LBB596_26:                             ;   in Loop: Header=BB596_28 Depth=2
	s_or_b32 exec_lo, exec_lo, s43
	s_wait_loadcnt_dscnt 0x202
	v_lshlrev_b32_e32 v16, 16, v47
	v_lshlrev_b32_e32 v15, 16, v49
	s_wait_loadcnt_dscnt 0x101
	s_delay_alu instid0(VALU_DEP_1) | instskip(NEXT) | instid1(VALU_DEP_1)
	v_dual_fmac_f32 v34, v50, v15 :: v_dual_lshlrev_b32 v15, 16, v45
	v_fmac_f32_e32 v34, v46, v16
	s_delay_alu instid0(VALU_DEP_1) | instskip(SKIP_2) | instid1(VALU_DEP_1)
	v_fmac_f32_e32 v34, v48, v15
	s_wait_loadcnt_dscnt 0x0
	v_lshlrev_b32_e32 v15, 16, v43
	v_fmac_f32_e32 v34, v44, v15
.LBB596_27:                             ;   in Loop: Header=BB596_28 Depth=2
	s_or_b32 exec_lo, exec_lo, s42
	v_add_nc_u32_e32 v38, 64, v38
	v_add_nc_u32_e32 v42, s37, v42
	v_add_nc_u32_e32 v41, s37, v41
	v_add_nc_u32_e32 v40, s37, v40
	v_add_nc_u32_e32 v39, s37, v39
	v_cmp_le_i32_e32 vcc_lo, s35, v38
	s_wait_alu 0xfffe
	s_add_co_i32 s41, s41, s38
	s_or_b32 s40, vcc_lo, s40
	s_wait_alu 0xfffe
	s_and_not1_b32 exec_lo, exec_lo, s40
	s_cbranch_execz .LBB596_33
.LBB596_28:                             ;   Parent Loop BB596_4 Depth=1
                                        ; =>  This Inner Loop Header: Depth=2
	s_and_saveexec_b32 s42, s1
	s_cbranch_execz .LBB596_27
; %bb.29:                               ;   in Loop: Header=BB596_28 Depth=2
	s_wait_alu 0xfffe
	v_add_nc_u32_e32 v15, s41, v31
	v_add_nc_u32_e32 v17, s41, v8
	;; [unrolled: 1-line block ×5, first 2 shown]
	v_ashrrev_i32_e32 v16, 31, v15
	v_ashrrev_i32_e32 v18, 31, v17
	;; [unrolled: 1-line block ×5, first 2 shown]
	v_lshlrev_b64_e32 v[15:16], 1, v[15:16]
	v_lshlrev_b64_e32 v[17:18], 1, v[17:18]
	;; [unrolled: 1-line block ×4, first 2 shown]
	v_add_nc_u32_e32 v45, s30, v42
	v_add_nc_u32_e32 v47, s30, v41
	v_add_co_u32 v15, vcc_lo, v13, v15
	s_wait_alu 0xfffd
	v_add_co_ci_u32_e64 v16, null, v14, v16, vcc_lo
	v_add_co_u32 v17, vcc_lo, v13, v17
	s_wait_alu 0xfffd
	v_add_co_ci_u32_e64 v18, null, v14, v18, vcc_lo
	;; [unrolled: 3-line block ×4, first 2 shown]
	v_lshlrev_b64_e32 v[43:44], 1, v[43:44]
	s_clause 0x3
	flat_load_u16 v50, v[15:16]
	flat_load_u16 v51, v[17:18]
	;; [unrolled: 1-line block ×4, first 2 shown]
	v_add_nc_u32_e32 v19, s30, v40
	v_ashrrev_i32_e32 v46, 31, v45
	v_ashrrev_i32_e32 v48, 31, v47
	v_add_co_u32 v15, vcc_lo, v11, v43
	s_delay_alu instid0(VALU_DEP_4) | instskip(NEXT) | instid1(VALU_DEP_4)
	v_ashrrev_i32_e32 v20, 31, v19
	v_lshlrev_b64_e32 v[17:18], 1, v[45:46]
	s_wait_alu 0xfffd
	v_add_co_ci_u32_e64 v16, null, v12, v44, vcc_lo
	v_lshlrev_b64_e32 v[43:44], 1, v[47:48]
	v_lshlrev_b64_e32 v[19:20], 1, v[19:20]
	s_delay_alu instid0(VALU_DEP_4) | instskip(SKIP_2) | instid1(VALU_DEP_4)
	v_add_co_u32 v21, vcc_lo, v11, v17
	s_wait_alu 0xfffd
	v_add_co_ci_u32_e64 v22, null, v12, v18, vcc_lo
	v_add_co_u32 v17, vcc_lo, v11, v43
	s_wait_alu 0xfffd
	v_add_co_ci_u32_e64 v18, null, v12, v44, vcc_lo
	;; [unrolled: 3-line block ×3, first 2 shown]
	s_clause 0x3
	flat_load_u16 v49, v[15:16]
	flat_load_u16 v47, v[21:22]
	;; [unrolled: 1-line block ×4, first 2 shown]
	s_wait_loadcnt_dscnt 0x707
	v_lshlrev_b32_e32 v50, 16, v50
	s_wait_loadcnt_dscnt 0x606
	v_lshlrev_b32_e32 v46, 16, v51
	;; [unrolled: 2-line block ×4, first 2 shown]
	s_and_saveexec_b32 s43, s3
	s_cbranch_execz .LBB596_26
; %bb.30:                               ;   in Loop: Header=BB596_28 Depth=2
	s_clause 0x3
	flat_load_u16 v54, v[15:16] offset:128
	flat_load_u16 v53, v[21:22] offset:128
	flat_load_u16 v52, v[17:18] offset:128
	flat_load_u16 v51, v[19:20] offset:128
	s_and_saveexec_b32 s44, s4
	s_cbranch_execz .LBB596_25
; %bb.31:                               ;   in Loop: Header=BB596_28 Depth=2
	s_clause 0x3
	flat_load_u16 v58, v[15:16] offset:256
	flat_load_u16 v57, v[21:22] offset:256
	flat_load_u16 v56, v[17:18] offset:256
	flat_load_u16 v55, v[19:20] offset:256
	;; [unrolled: 8-line block ×3, first 2 shown]
	s_wait_loadcnt_dscnt 0x303
	v_lshlrev_b32_e32 v15, 16, v15
	s_wait_loadcnt_dscnt 0x202
	s_delay_alu instid0(VALU_DEP_1) | instskip(SKIP_3) | instid1(VALU_DEP_2)
	v_dual_fmac_f32 v37, v50, v15 :: v_dual_lshlrev_b32 v16, 16, v16
	s_wait_loadcnt_dscnt 0x101
	v_lshlrev_b32_e32 v15, 16, v17
	s_wait_loadcnt_dscnt 0x0
	v_dual_fmac_f32 v37, v46, v16 :: v_dual_lshlrev_b32 v16, 16, v18
	s_delay_alu instid0(VALU_DEP_1) | instskip(NEXT) | instid1(VALU_DEP_1)
	v_fmac_f32_e32 v37, v48, v15
	v_fmac_f32_e32 v37, v44, v16
	s_branch .LBB596_24
.LBB596_33:                             ;   in Loop: Header=BB596_4 Depth=1
	s_or_b32 exec_lo, exec_lo, s40
.LBB596_34:                             ;   in Loop: Header=BB596_4 Depth=1
	s_wait_alu 0xfffe
	s_or_b32 exec_lo, exec_lo, s7
	s_delay_alu instid0(SALU_CYCLE_1)
	s_and_not1_b32 vcc_lo, exec_lo, s20
	s_wait_alu 0xfffe
	s_cbranch_vccnz .LBB596_52
; %bb.35:                               ;   in Loop: Header=BB596_4 Depth=1
	v_cmp_gt_i32_e32 vcc_lo, s21, v38
	v_dual_mov_b32 v20, 0 :: v_dual_mov_b32 v19, 0
	v_or_b32_e32 v15, 1, v38
	v_dual_mov_b32 v22, 0 :: v_dual_mov_b32 v21, 0
	s_and_saveexec_b32 s40, vcc_lo
	s_cbranch_execz .LBB596_43
; %bb.36:                               ;   in Loop: Header=BB596_4 Depth=1
	v_mul_lo_u32 v16, v38, s26
	v_dual_mov_b32 v21, 0 :: v_dual_mov_b32 v20, 0
	v_mov_b32_e32 v19, 0
	s_mov_b32 s41, exec_lo
	s_delay_alu instid0(VALU_DEP_3) | instskip(NEXT) | instid1(VALU_DEP_1)
	v_ashrrev_i32_e32 v17, 31, v16
	v_lshlrev_b64_e32 v[16:17], 1, v[16:17]
	s_delay_alu instid0(VALU_DEP_1) | instskip(SKIP_1) | instid1(VALU_DEP_2)
	v_add_co_u32 v16, s7, v13, v16
	s_wait_alu 0xf1ff
	v_add_co_ci_u32_e64 v17, null, v14, v17, s7
	flat_load_u16 v16, v[16:17]
	v_cmpx_gt_i32_e64 s21, v15
	s_cbranch_execz .LBB596_42
; %bb.37:                               ;   in Loop: Header=BB596_4 Depth=1
	v_mul_lo_u32 v17, v15, s26
	v_dual_mov_b32 v19, 0 :: v_dual_mov_b32 v20, 0
	s_mov_b32 s42, exec_lo
	s_delay_alu instid0(VALU_DEP_2) | instskip(NEXT) | instid1(VALU_DEP_1)
	v_ashrrev_i32_e32 v18, 31, v17
	v_lshlrev_b64_e32 v[17:18], 1, v[17:18]
	s_delay_alu instid0(VALU_DEP_1) | instskip(SKIP_1) | instid1(VALU_DEP_2)
	v_add_co_u32 v17, s7, v13, v17
	s_wait_alu 0xf1ff
	v_add_co_ci_u32_e64 v18, null, v14, v18, s7
	flat_load_u16 v17, v[17:18]
	v_or_b32_e32 v18, 2, v38
	s_delay_alu instid0(VALU_DEP_1)
	v_cmpx_gt_i32_e64 s21, v18
	s_cbranch_execz .LBB596_41
; %bb.38:                               ;   in Loop: Header=BB596_4 Depth=1
	v_mul_lo_u32 v18, v18, s26
	v_or_b32_e32 v20, 3, v38
	s_mov_b32 s43, exec_lo
	s_delay_alu instid0(VALU_DEP_2) | instskip(NEXT) | instid1(VALU_DEP_1)
	v_ashrrev_i32_e32 v19, 31, v18
	v_lshlrev_b64_e32 v[18:19], 1, v[18:19]
	s_delay_alu instid0(VALU_DEP_1) | instskip(SKIP_1) | instid1(VALU_DEP_2)
	v_add_co_u32 v18, s7, v13, v18
	s_wait_alu 0xf1ff
	v_add_co_ci_u32_e64 v19, null, v14, v19, s7
	flat_load_u16 v18, v[18:19]
	v_mov_b32_e32 v19, 0
	v_cmpx_gt_i32_e64 s21, v20
	s_cbranch_execz .LBB596_40
; %bb.39:                               ;   in Loop: Header=BB596_4 Depth=1
	v_mul_lo_u32 v19, v20, s26
	s_delay_alu instid0(VALU_DEP_1) | instskip(NEXT) | instid1(VALU_DEP_1)
	v_ashrrev_i32_e32 v20, 31, v19
	v_lshlrev_b64_e32 v[19:20], 1, v[19:20]
	s_delay_alu instid0(VALU_DEP_1) | instskip(SKIP_1) | instid1(VALU_DEP_2)
	v_add_co_u32 v13, s7, v13, v19
	s_wait_alu 0xf1ff
	v_add_co_ci_u32_e64 v14, null, v14, v20, s7
	flat_load_u16 v13, v[13:14]
	s_wait_loadcnt_dscnt 0x0
	v_lshlrev_b32_e32 v19, 16, v13
.LBB596_40:                             ;   in Loop: Header=BB596_4 Depth=1
	s_or_b32 exec_lo, exec_lo, s43
	s_wait_loadcnt_dscnt 0x0
	v_lshlrev_b32_e32 v20, 16, v18
.LBB596_41:                             ;   in Loop: Header=BB596_4 Depth=1
	s_or_b32 exec_lo, exec_lo, s42
	s_wait_loadcnt_dscnt 0x0
	v_lshlrev_b32_e32 v21, 16, v17
.LBB596_42:                             ;   in Loop: Header=BB596_4 Depth=1
	s_wait_alu 0xfffe
	s_or_b32 exec_lo, exec_lo, s41
	s_wait_loadcnt_dscnt 0x0
	v_lshlrev_b32_e32 v22, 16, v16
.LBB596_43:                             ;   in Loop: Header=BB596_4 Depth=1
	s_wait_alu 0xfffe
	s_or_b32 exec_lo, exec_lo, s40
	s_and_saveexec_b32 s7, s1
	s_cbranch_execz .LBB596_51
; %bb.44:                               ;   in Loop: Header=BB596_4 Depth=1
	v_mul_lo_u32 v14, v38, s28
	v_or_b32_e32 v13, 2, v38
	v_mul_lo_u32 v17, v15, s28
	v_or_b32_e32 v16, 3, v38
	s_delay_alu instid0(VALU_DEP_3) | instskip(NEXT) | instid1(VALU_DEP_2)
	v_mul_lo_u32 v18, v13, s28
	v_mul_lo_u32 v38, v16, s28
	v_cndmask_b32_e32 v14, 0, v14, vcc_lo
	v_cmp_gt_i32_e32 vcc_lo, s21, v15
	s_wait_alu 0xfffd
	v_cndmask_b32_e32 v15, 0, v17, vcc_lo
	v_cmp_gt_i32_e32 vcc_lo, s21, v13
	v_add_nc_u32_e32 v13, v14, v27
	s_delay_alu instid0(VALU_DEP_3)
	v_add_nc_u32_e32 v15, v15, v27
	s_wait_alu 0xfffd
	v_cndmask_b32_e32 v17, 0, v18, vcc_lo
	v_cmp_gt_i32_e32 vcc_lo, s21, v16
	v_ashrrev_i32_e32 v14, 31, v13
	s_wait_alu 0xfffd
	v_cndmask_b32_e32 v16, 0, v38, vcc_lo
	s_delay_alu instid0(VALU_DEP_2) | instskip(NEXT) | instid1(VALU_DEP_2)
	v_lshlrev_b64_e32 v[13:14], 1, v[13:14]
	v_add_nc_u32_e32 v38, v16, v27
	v_add_nc_u32_e32 v17, v17, v27
	v_ashrrev_i32_e32 v16, 31, v15
	s_delay_alu instid0(VALU_DEP_3) | instskip(NEXT) | instid1(VALU_DEP_3)
	v_ashrrev_i32_e32 v39, 31, v38
	v_ashrrev_i32_e32 v18, 31, v17
	s_delay_alu instid0(VALU_DEP_3) | instskip(SKIP_1) | instid1(VALU_DEP_4)
	v_lshlrev_b64_e32 v[40:41], 1, v[15:16]
	v_add_co_u32 v15, vcc_lo, v11, v13
	v_lshlrev_b64_e32 v[38:39], 1, v[38:39]
	s_delay_alu instid0(VALU_DEP_4)
	v_lshlrev_b64_e32 v[42:43], 1, v[17:18]
	s_wait_alu 0xfffd
	v_add_co_ci_u32_e64 v16, null, v12, v14, vcc_lo
	v_add_co_u32 v17, vcc_lo, v11, v40
	s_wait_alu 0xfffd
	v_add_co_ci_u32_e64 v18, null, v12, v41, vcc_lo
	v_add_co_u32 v13, vcc_lo, v11, v42
	;; [unrolled: 3-line block ×3, first 2 shown]
	s_wait_alu 0xfffd
	v_add_co_ci_u32_e64 v12, null, v12, v39, vcc_lo
	s_clause 0x3
	flat_load_u16 v41, v[15:16]
	flat_load_u16 v40, v[17:18]
	;; [unrolled: 1-line block ×4, first 2 shown]
	s_and_saveexec_b32 s40, s3
	s_cbranch_execz .LBB596_50
; %bb.45:                               ;   in Loop: Header=BB596_4 Depth=1
	s_clause 0x3
	flat_load_u16 v45, v[15:16] offset:128
	flat_load_u16 v44, v[17:18] offset:128
	flat_load_u16 v43, v[13:14] offset:128
	flat_load_u16 v42, v[11:12] offset:128
	s_and_saveexec_b32 s41, s4
	s_cbranch_execz .LBB596_49
; %bb.46:                               ;   in Loop: Header=BB596_4 Depth=1
	s_clause 0x3
	flat_load_u16 v49, v[15:16] offset:256
	flat_load_u16 v48, v[17:18] offset:256
	flat_load_u16 v47, v[13:14] offset:256
	flat_load_u16 v46, v[11:12] offset:256
	;; [unrolled: 8-line block ×3, first 2 shown]
	s_wait_loadcnt_dscnt 0x0
	v_lshlrev_b32_e32 v11, 16, v11
	v_lshlrev_b32_e32 v14, 16, v16
	;; [unrolled: 1-line block ×3, first 2 shown]
	s_delay_alu instid0(VALU_DEP_1) | instskip(NEXT) | instid1(VALU_DEP_1)
	v_dual_fmac_f32 v37, v22, v12 :: v_dual_lshlrev_b32 v12, 16, v13
	v_fmac_f32_e32 v37, v21, v14
	s_delay_alu instid0(VALU_DEP_1) | instskip(NEXT) | instid1(VALU_DEP_1)
	v_fmac_f32_e32 v37, v20, v12
	v_fmac_f32_e32 v37, v19, v11
.LBB596_48:                             ;   in Loop: Header=BB596_4 Depth=1
	s_or_b32 exec_lo, exec_lo, s42
	s_wait_loadcnt_dscnt 0x202
	v_lshlrev_b32_e32 v12, 16, v48
	v_lshlrev_b32_e32 v11, 16, v49
	s_delay_alu instid0(VALU_DEP_1) | instskip(SKIP_1) | instid1(VALU_DEP_1)
	v_fmac_f32_e32 v36, v22, v11
	s_wait_loadcnt_dscnt 0x101
	v_dual_fmac_f32 v36, v21, v12 :: v_dual_lshlrev_b32 v11, 16, v47
	s_wait_loadcnt_dscnt 0x0
	s_delay_alu instid0(VALU_DEP_1) | instskip(NEXT) | instid1(VALU_DEP_1)
	v_dual_fmac_f32 v36, v20, v11 :: v_dual_lshlrev_b32 v11, 16, v46
	v_fmac_f32_e32 v36, v19, v11
.LBB596_49:                             ;   in Loop: Header=BB596_4 Depth=1
	s_wait_alu 0xfffe
	s_or_b32 exec_lo, exec_lo, s41
	s_wait_loadcnt_dscnt 0x303
	v_lshlrev_b32_e32 v11, 16, v45
	s_wait_loadcnt_dscnt 0x202
	s_delay_alu instid0(VALU_DEP_1) | instskip(SKIP_2) | instid1(VALU_DEP_2)
	v_dual_fmac_f32 v35, v22, v11 :: v_dual_lshlrev_b32 v12, 16, v44
	s_wait_loadcnt_dscnt 0x101
	v_lshlrev_b32_e32 v11, 16, v43
	v_fmac_f32_e32 v35, v21, v12
	s_delay_alu instid0(VALU_DEP_1) | instskip(SKIP_2) | instid1(VALU_DEP_1)
	v_fmac_f32_e32 v35, v20, v11
	s_wait_loadcnt_dscnt 0x0
	v_lshlrev_b32_e32 v11, 16, v42
	v_fmac_f32_e32 v35, v19, v11
.LBB596_50:                             ;   in Loop: Header=BB596_4 Depth=1
	s_wait_alu 0xfffe
	s_or_b32 exec_lo, exec_lo, s40
	s_wait_loadcnt_dscnt 0x202
	v_lshlrev_b32_e32 v12, 16, v40
	v_lshlrev_b32_e32 v11, 16, v41
	s_delay_alu instid0(VALU_DEP_1) | instskip(SKIP_1) | instid1(VALU_DEP_1)
	v_fmac_f32_e32 v34, v22, v11
	s_wait_loadcnt_dscnt 0x101
	v_dual_fmac_f32 v34, v21, v12 :: v_dual_lshlrev_b32 v11, 16, v39
	s_wait_loadcnt_dscnt 0x0
	s_delay_alu instid0(VALU_DEP_1) | instskip(NEXT) | instid1(VALU_DEP_1)
	v_dual_fmac_f32 v34, v20, v11 :: v_dual_lshlrev_b32 v11, 16, v38
	v_fmac_f32_e32 v34, v19, v11
.LBB596_51:                             ;   in Loop: Header=BB596_4 Depth=1
	s_wait_alu 0xfffe
	s_or_b32 exec_lo, exec_lo, s7
.LBB596_52:                             ;   in Loop: Header=BB596_4 Depth=1
	ds_store_2addr_stride64_b32 v24, v34, v35 offset1:1
	ds_store_2addr_stride64_b32 v24, v36, v37 offset0:2 offset1:3
	s_wait_dscnt 0x0
	s_barrier_signal -1
	s_barrier_wait -1
	global_inv scope:SCOPE_SE
                                        ; implicit-def: $vgpr15
	s_and_saveexec_b32 s7, s0
	s_cbranch_execz .LBB596_72
; %bb.53:                               ;   in Loop: Header=BB596_4 Depth=1
	ds_load_2addr_stride64_b32 v[11:12], v25 offset1:4
	ds_load_2addr_stride64_b32 v[13:14], v25 offset0:8 offset1:12
	ds_load_2addr_stride64_b32 v[15:16], v25 offset0:16 offset1:20
	s_mov_b32 s41, s39
	s_wait_dscnt 0x2
	v_add_f32_e32 v17, v11, v12
	ds_load_2addr_stride64_b32 v[11:12], v25 offset0:24 offset1:28
	s_wait_dscnt 0x2
	v_add_f32_e32 v13, v13, v17
	s_delay_alu instid0(VALU_DEP_1) | instskip(SKIP_3) | instid1(VALU_DEP_1)
	v_add_f32_e32 v17, v14, v13
	ds_load_2addr_stride64_b32 v[13:14], v25 offset0:32 offset1:36
	s_wait_dscnt 0x2
	v_add_f32_e32 v15, v15, v17
	v_add_f32_e32 v17, v16, v15
	ds_load_2addr_stride64_b32 v[15:16], v25 offset0:40 offset1:44
	s_wait_dscnt 0x2
	v_add_f32_e32 v11, v11, v17
	s_delay_alu instid0(VALU_DEP_1) | instskip(SKIP_1) | instid1(VALU_DEP_1)
	v_add_f32_e32 v11, v12, v11
	s_wait_dscnt 0x1
	v_add_f32_e32 v13, v13, v11
	ds_load_2addr_stride64_b32 v[11:12], v25 offset0:48 offset1:52
	v_add_f32_e32 v13, v14, v13
	s_wait_dscnt 0x1
	s_delay_alu instid0(VALU_DEP_1) | instskip(SKIP_3) | instid1(VALU_DEP_1)
	v_add_f32_e32 v15, v15, v13
	ds_load_2addr_stride64_b32 v[13:14], v25 offset0:56 offset1:60
	v_add_f32_e32 v15, v16, v15
	s_wait_dscnt 0x1
	v_add_f32_e32 v11, v11, v15
                                        ; implicit-def: $vgpr15
	s_delay_alu instid0(VALU_DEP_1) | instskip(SKIP_1) | instid1(VALU_DEP_1)
	v_add_f32_e32 v11, v12, v11
	s_wait_dscnt 0x0
	v_add_f32_e32 v11, v13, v11
	s_delay_alu instid0(VALU_DEP_1)
	v_add_f32_e32 v11, v14, v11
	ds_store_b32 v25, v11
	s_and_saveexec_b32 s40, s2
	s_cbranch_execz .LBB596_71
; %bb.54:                               ;   in Loop: Header=BB596_4 Depth=1
	v_mul_f32_e32 v11, s22, v11
	s_and_b32 vcc_lo, exec_lo, s34
	s_mov_b32 s41, -1
                                        ; implicit-def: $vgpr12
	s_wait_alu 0xfffe
	s_cbranch_vccz .LBB596_60
; %bb.55:                               ;   in Loop: Header=BB596_4 Depth=1
	v_and_b32_e32 v12, 0x7f800000, v11
	s_delay_alu instid0(VALU_DEP_1)
	v_cmp_ne_u32_e32 vcc_lo, 0x7f800000, v12
                                        ; implicit-def: $vgpr12
	s_and_saveexec_b32 s41, vcc_lo
	s_wait_alu 0xfffe
	s_xor_b32 s41, exec_lo, s41
; %bb.56:                               ;   in Loop: Header=BB596_4 Depth=1
	v_bfe_u32 v12, v11, 16, 1
	s_delay_alu instid0(VALU_DEP_1)
	v_add3_u32 v12, v11, v12, 0x7fff
; %bb.57:                               ;   in Loop: Header=BB596_4 Depth=1
	s_wait_alu 0xfffe
	s_and_not1_saveexec_b32 s41, s41
; %bb.58:                               ;   in Loop: Header=BB596_4 Depth=1
	v_and_b32_e32 v12, 0xffff, v11
	v_or_b32_e32 v13, 0x10000, v11
	s_delay_alu instid0(VALU_DEP_2) | instskip(SKIP_1) | instid1(VALU_DEP_2)
	v_cmp_eq_u32_e32 vcc_lo, 0, v12
	s_wait_alu 0xfffd
	v_cndmask_b32_e32 v12, v13, v11, vcc_lo
; %bb.59:                               ;   in Loop: Header=BB596_4 Depth=1
	s_wait_alu 0xfffe
	s_or_b32 exec_lo, exec_lo, s41
	s_mov_b32 s41, 0
.LBB596_60:                             ;   in Loop: Header=BB596_4 Depth=1
	s_wait_alu 0xfffe
	s_and_not1_b32 vcc_lo, exec_lo, s41
	s_wait_alu 0xfffe
	s_cbranch_vccnz .LBB596_70
; %bb.61:                               ;   in Loop: Header=BB596_4 Depth=1
	v_lshlrev_b64_e32 v[12:13], 1, v[4:5]
	s_delay_alu instid0(VALU_DEP_1) | instskip(SKIP_1) | instid1(VALU_DEP_2)
	v_add_co_u32 v12, vcc_lo, v32, v12
	s_wait_alu 0xfffd
	v_add_co_ci_u32_e64 v13, null, v33, v13, vcc_lo
	flat_load_u16 v12, v[12:13]
	s_wait_loadcnt_dscnt 0x0
	v_lshlrev_b32_e32 v12, 16, v12
	s_delay_alu instid0(VALU_DEP_1) | instskip(NEXT) | instid1(VALU_DEP_1)
	v_mul_f32_e32 v12, s27, v12
	v_and_b32_e32 v13, 0x7f800000, v12
	s_delay_alu instid0(VALU_DEP_1)
	v_cmp_ne_u32_e32 vcc_lo, 0x7f800000, v13
                                        ; implicit-def: $vgpr13
	s_and_saveexec_b32 s41, vcc_lo
	s_wait_alu 0xfffe
	s_xor_b32 s41, exec_lo, s41
; %bb.62:                               ;   in Loop: Header=BB596_4 Depth=1
	v_bfe_u32 v13, v12, 16, 1
	s_delay_alu instid0(VALU_DEP_1)
	v_add3_u32 v13, v12, v13, 0x7fff
                                        ; implicit-def: $vgpr12
; %bb.63:                               ;   in Loop: Header=BB596_4 Depth=1
	s_wait_alu 0xfffe
	s_and_not1_saveexec_b32 s41, s41
; %bb.64:                               ;   in Loop: Header=BB596_4 Depth=1
	v_and_b32_e32 v13, 0xffff, v12
	v_or_b32_e32 v14, 0x10000, v12
	s_delay_alu instid0(VALU_DEP_2) | instskip(SKIP_1) | instid1(VALU_DEP_2)
	v_cmp_eq_u32_e32 vcc_lo, 0, v13
	s_wait_alu 0xfffd
	v_cndmask_b32_e32 v13, v14, v12, vcc_lo
; %bb.65:                               ;   in Loop: Header=BB596_4 Depth=1
	s_wait_alu 0xfffe
	s_or_b32 exec_lo, exec_lo, s41
	s_delay_alu instid0(VALU_DEP_1) | instskip(NEXT) | instid1(VALU_DEP_1)
	v_and_b32_e32 v12, 0xffff0000, v13
	v_add_f32_e32 v11, v11, v12
	s_delay_alu instid0(VALU_DEP_1) | instskip(NEXT) | instid1(VALU_DEP_1)
	v_and_b32_e32 v12, 0x7f800000, v11
	v_cmp_ne_u32_e32 vcc_lo, 0x7f800000, v12
                                        ; implicit-def: $vgpr12
	s_and_saveexec_b32 s41, vcc_lo
	s_wait_alu 0xfffe
	s_xor_b32 s41, exec_lo, s41
; %bb.66:                               ;   in Loop: Header=BB596_4 Depth=1
	v_bfe_u32 v12, v11, 16, 1
	s_delay_alu instid0(VALU_DEP_1)
	v_add3_u32 v12, v11, v12, 0x7fff
                                        ; implicit-def: $vgpr11
; %bb.67:                               ;   in Loop: Header=BB596_4 Depth=1
	s_wait_alu 0xfffe
	s_and_not1_saveexec_b32 s41, s41
; %bb.68:                               ;   in Loop: Header=BB596_4 Depth=1
	v_and_b32_e32 v12, 0xffff, v11
	v_or_b32_e32 v13, 0x10000, v11
	s_delay_alu instid0(VALU_DEP_2) | instskip(SKIP_1) | instid1(VALU_DEP_2)
	v_cmp_eq_u32_e32 vcc_lo, 0, v12
	s_wait_alu 0xfffd
	v_cndmask_b32_e32 v12, v13, v11, vcc_lo
; %bb.69:                               ;   in Loop: Header=BB596_4 Depth=1
	s_wait_alu 0xfffe
	s_or_b32 exec_lo, exec_lo, s41
.LBB596_70:                             ;   in Loop: Header=BB596_4 Depth=1
	s_delay_alu instid0(VALU_DEP_1)
	v_lshrrev_b32_e32 v15, 16, v12
	s_or_b32 s41, s39, exec_lo
.LBB596_71:                             ;   in Loop: Header=BB596_4 Depth=1
	s_wait_alu 0xfffe
	s_or_b32 exec_lo, exec_lo, s40
	s_delay_alu instid0(SALU_CYCLE_1)
	s_and_not1_b32 s39, s39, exec_lo
	s_and_b32 s40, s41, exec_lo
	s_wait_alu 0xfffe
	s_or_b32 s39, s39, s40
.LBB596_72:                             ;   in Loop: Header=BB596_4 Depth=1
	s_wait_alu 0xfffe
	s_or_b32 exec_lo, exec_lo, s7
	v_dual_mov_b32 v12, v5 :: v_dual_mov_b32 v11, v4
	s_and_saveexec_b32 s7, s39
	s_cbranch_execz .LBB596_2
	s_branch .LBB596_75
.LBB596_73:                             ;   in Loop: Header=BB596_4 Depth=1
	v_mov_b32_e32 v15, 0
	s_mov_b32 s39, exec_lo
	s_or_b32 exec_lo, exec_lo, s40
	s_delay_alu instid0(SALU_CYCLE_1)
	s_and_b32 vcc_lo, exec_lo, s7
	s_wait_alu 0xfffe
	s_cbranch_vccnz .LBB596_22
.LBB596_74:                             ;   in Loop: Header=BB596_4 Depth=1
	v_dual_mov_b32 v12, v3 :: v_dual_mov_b32 v11, v2
	s_and_saveexec_b32 s7, s39
	s_cbranch_execz .LBB596_2
.LBB596_75:                             ;   in Loop: Header=BB596_4 Depth=1
	s_delay_alu instid0(VALU_DEP_1) | instskip(NEXT) | instid1(VALU_DEP_1)
	v_lshlrev_b64_e32 v[11:12], 1, v[11:12]
	v_add_co_u32 v11, vcc_lo, v32, v11
	s_wait_alu 0xfffd
	s_delay_alu instid0(VALU_DEP_2)
	v_add_co_ci_u32_e64 v12, null, v33, v12, vcc_lo
	flat_store_b16 v[11:12], v15
	s_branch .LBB596_2
.LBB596_76:
	s_endpgm
	.section	.rodata,"a",@progbits
	.p2align	6, 0x0
	.amdhsa_kernel _ZL20rocblas_gemvn_kernelILi64ELi16EiPK16rocblas_bfloat16fKPS0_EviiT3_lPKT2_lT1_lS8_lS9_lS5_lPT4_lS9_li
		.amdhsa_group_segment_fixed_size 16384
		.amdhsa_private_segment_fixed_size 0
		.amdhsa_kernarg_size 400
		.amdhsa_user_sgpr_count 2
		.amdhsa_user_sgpr_dispatch_ptr 0
		.amdhsa_user_sgpr_queue_ptr 0
		.amdhsa_user_sgpr_kernarg_segment_ptr 1
		.amdhsa_user_sgpr_dispatch_id 0
		.amdhsa_user_sgpr_private_segment_size 0
		.amdhsa_wavefront_size32 1
		.amdhsa_uses_dynamic_stack 0
		.amdhsa_enable_private_segment 0
		.amdhsa_system_sgpr_workgroup_id_x 1
		.amdhsa_system_sgpr_workgroup_id_y 0
		.amdhsa_system_sgpr_workgroup_id_z 1
		.amdhsa_system_sgpr_workgroup_info 0
		.amdhsa_system_vgpr_workitem_id 1
		.amdhsa_next_free_vgpr 59
		.amdhsa_next_free_sgpr 46
		.amdhsa_reserve_vcc 1
		.amdhsa_float_round_mode_32 0
		.amdhsa_float_round_mode_16_64 0
		.amdhsa_float_denorm_mode_32 3
		.amdhsa_float_denorm_mode_16_64 3
		.amdhsa_fp16_overflow 0
		.amdhsa_workgroup_processor_mode 1
		.amdhsa_memory_ordered 1
		.amdhsa_forward_progress 1
		.amdhsa_inst_pref_size 32
		.amdhsa_round_robin_scheduling 0
		.amdhsa_exception_fp_ieee_invalid_op 0
		.amdhsa_exception_fp_denorm_src 0
		.amdhsa_exception_fp_ieee_div_zero 0
		.amdhsa_exception_fp_ieee_overflow 0
		.amdhsa_exception_fp_ieee_underflow 0
		.amdhsa_exception_fp_ieee_inexact 0
		.amdhsa_exception_int_div_zero 0
	.end_amdhsa_kernel
	.section	.text._ZL20rocblas_gemvn_kernelILi64ELi16EiPK16rocblas_bfloat16fKPS0_EviiT3_lPKT2_lT1_lS8_lS9_lS5_lPT4_lS9_li,"axG",@progbits,_ZL20rocblas_gemvn_kernelILi64ELi16EiPK16rocblas_bfloat16fKPS0_EviiT3_lPKT2_lT1_lS8_lS9_lS5_lPT4_lS9_li,comdat
.Lfunc_end596:
	.size	_ZL20rocblas_gemvn_kernelILi64ELi16EiPK16rocblas_bfloat16fKPS0_EviiT3_lPKT2_lT1_lS8_lS9_lS5_lPT4_lS9_li, .Lfunc_end596-_ZL20rocblas_gemvn_kernelILi64ELi16EiPK16rocblas_bfloat16fKPS0_EviiT3_lPKT2_lT1_lS8_lS9_lS5_lPT4_lS9_li
                                        ; -- End function
	.set _ZL20rocblas_gemvn_kernelILi64ELi16EiPK16rocblas_bfloat16fKPS0_EviiT3_lPKT2_lT1_lS8_lS9_lS5_lPT4_lS9_li.num_vgpr, 59
	.set _ZL20rocblas_gemvn_kernelILi64ELi16EiPK16rocblas_bfloat16fKPS0_EviiT3_lPKT2_lT1_lS8_lS9_lS5_lPT4_lS9_li.num_agpr, 0
	.set _ZL20rocblas_gemvn_kernelILi64ELi16EiPK16rocblas_bfloat16fKPS0_EviiT3_lPKT2_lT1_lS8_lS9_lS5_lPT4_lS9_li.numbered_sgpr, 46
	.set _ZL20rocblas_gemvn_kernelILi64ELi16EiPK16rocblas_bfloat16fKPS0_EviiT3_lPKT2_lT1_lS8_lS9_lS5_lPT4_lS9_li.num_named_barrier, 0
	.set _ZL20rocblas_gemvn_kernelILi64ELi16EiPK16rocblas_bfloat16fKPS0_EviiT3_lPKT2_lT1_lS8_lS9_lS5_lPT4_lS9_li.private_seg_size, 0
	.set _ZL20rocblas_gemvn_kernelILi64ELi16EiPK16rocblas_bfloat16fKPS0_EviiT3_lPKT2_lT1_lS8_lS9_lS5_lPT4_lS9_li.uses_vcc, 1
	.set _ZL20rocblas_gemvn_kernelILi64ELi16EiPK16rocblas_bfloat16fKPS0_EviiT3_lPKT2_lT1_lS8_lS9_lS5_lPT4_lS9_li.uses_flat_scratch, 1
	.set _ZL20rocblas_gemvn_kernelILi64ELi16EiPK16rocblas_bfloat16fKPS0_EviiT3_lPKT2_lT1_lS8_lS9_lS5_lPT4_lS9_li.has_dyn_sized_stack, 0
	.set _ZL20rocblas_gemvn_kernelILi64ELi16EiPK16rocblas_bfloat16fKPS0_EviiT3_lPKT2_lT1_lS8_lS9_lS5_lPT4_lS9_li.has_recursion, 0
	.set _ZL20rocblas_gemvn_kernelILi64ELi16EiPK16rocblas_bfloat16fKPS0_EviiT3_lPKT2_lT1_lS8_lS9_lS5_lPT4_lS9_li.has_indirect_call, 0
	.section	.AMDGPU.csdata,"",@progbits
; Kernel info:
; codeLenInByte = 4004
; TotalNumSgprs: 48
; NumVgprs: 59
; ScratchSize: 0
; MemoryBound: 0
; FloatMode: 240
; IeeeMode: 1
; LDSByteSize: 16384 bytes/workgroup (compile time only)
; SGPRBlocks: 0
; VGPRBlocks: 7
; NumSGPRsForWavesPerEU: 48
; NumVGPRsForWavesPerEU: 59
; Occupancy: 16
; WaveLimiterHint : 1
; COMPUTE_PGM_RSRC2:SCRATCH_EN: 0
; COMPUTE_PGM_RSRC2:USER_SGPR: 2
; COMPUTE_PGM_RSRC2:TRAP_HANDLER: 0
; COMPUTE_PGM_RSRC2:TGID_X_EN: 1
; COMPUTE_PGM_RSRC2:TGID_Y_EN: 0
; COMPUTE_PGM_RSRC2:TGID_Z_EN: 1
; COMPUTE_PGM_RSRC2:TIDIG_COMP_CNT: 1
	.section	.text._ZL20rocblas_gemvn_kernelILi64ELi16ElPK16rocblas_bfloat16fKPS0_EviiT3_lPKT2_lT1_lS8_lS9_lS5_lPT4_lS9_li,"axG",@progbits,_ZL20rocblas_gemvn_kernelILi64ELi16ElPK16rocblas_bfloat16fKPS0_EviiT3_lPKT2_lT1_lS8_lS9_lS5_lPT4_lS9_li,comdat
	.globl	_ZL20rocblas_gemvn_kernelILi64ELi16ElPK16rocblas_bfloat16fKPS0_EviiT3_lPKT2_lT1_lS8_lS9_lS5_lPT4_lS9_li ; -- Begin function _ZL20rocblas_gemvn_kernelILi64ELi16ElPK16rocblas_bfloat16fKPS0_EviiT3_lPKT2_lT1_lS8_lS9_lS5_lPT4_lS9_li
	.p2align	8
	.type	_ZL20rocblas_gemvn_kernelILi64ELi16ElPK16rocblas_bfloat16fKPS0_EviiT3_lPKT2_lT1_lS8_lS9_lS5_lPT4_lS9_li,@function
_ZL20rocblas_gemvn_kernelILi64ELi16ElPK16rocblas_bfloat16fKPS0_EviiT3_lPKT2_lT1_lS8_lS9_lS5_lPT4_lS9_li: ; @_ZL20rocblas_gemvn_kernelILi64ELi16ElPK16rocblas_bfloat16fKPS0_EviiT3_lPKT2_lT1_lS8_lS9_lS5_lPT4_lS9_li
; %bb.0:
	s_clause 0x1
	s_load_b64 s[2:3], s[0:1], 0x9c
	s_load_b32 s23, s[0:1], 0x88
	s_lshr_b32 s24, ttmp7, 16
	s_wait_kmcnt 0x0
	s_lshr_b32 s4, s2, 16
	s_and_b32 s2, s2, 0xffff
	s_and_b32 s3, s3, 0xffff
	s_mul_i32 s2, s4, s2
	s_delay_alu instid0(SALU_CYCLE_1) | instskip(NEXT) | instid1(SALU_CYCLE_1)
	s_mul_i32 s2, s2, s3
	s_cmp_lg_u32 s2, 0x400
	s_cselect_b32 s2, -1, 0
	s_cmp_ge_u32 s24, s23
	s_cselect_b32 s3, -1, 0
	s_delay_alu instid0(SALU_CYCLE_1) | instskip(NEXT) | instid1(SALU_CYCLE_1)
	s_or_b32 s2, s2, s3
	s_and_b32 vcc_lo, exec_lo, s2
	s_cbranch_vccnz .LBB597_76
; %bb.1:
	s_clause 0x7
	s_load_b96 s[20:22], s[0:1], 0x0
	s_load_b32 s33, s[0:1], 0x58
	s_load_b64 s[26:27], s[0:1], 0x48
	s_load_b128 s[8:11], s[0:1], 0x18
	s_load_b64 s[28:29], s[0:1], 0x28
	s_load_b128 s[12:15], s[0:1], 0x38
	;; [unrolled: 2-line block ×3, first 2 shown]
	v_dual_mov_b32 v1, 0 :: v_dual_and_b32 v2, 0x3ff, v0
	v_bfe_u32 v26, v0, 10, 10
	s_mov_b32 s25, 0
	s_delay_alu instid0(VALU_DEP_2) | instskip(NEXT) | instid1(VALU_DEP_2)
	v_lshlrev_b32_e32 v16, 2, v2
	v_lshl_add_u32 v3, v26, 6, v2
	v_lshlrev_b32_e32 v40, 2, v26
	s_delay_alu instid0(VALU_DEP_2)
	v_cmp_gt_u32_e64 s0, 0x100, v3
	s_wait_kmcnt 0x0
	s_cmp_eq_f32 s22, 0
	v_mad_co_u64_u32 v[6:7], null, s26, v26, 0
	s_mov_b32 s2, s20
	s_cselect_b32 s36, -1, 0
	s_cmp_neq_f32 s33, 1.0
	v_or_b32_e32 v19, 3, v40
	s_cselect_b32 s1, -1, 0
	s_cmp_neq_f32 s22, 0
	s_delay_alu instid0(VALU_DEP_1)
	v_mad_co_u64_u32 v[12:13], null, s26, v19, 0
	s_cselect_b32 s4, -1, 0
	s_lshl_b32 s30, ttmp9, 8
	s_ashr_i32 s3, s20, 31
	v_add_nc_u32_e32 v0, s30, v3
	s_or_b32 s37, s4, s1
	s_cmp_neq_f32 s33, 0
	v_add_nc_u32_e32 v8, s30, v2
	v_or_b32_e32 v17, s30, v3
	v_mad_co_u64_u32 v[2:3], null, s6, v0, 0
	s_cselect_b32 s38, -1, 0
	s_cmp_eq_f32 s33, 0
	v_add_nc_u32_e32 v4, 64, v8
	v_cmp_gt_i64_e32 vcc_lo, s[2:3], v[0:1]
	v_add_nc_u32_e32 v5, 0x80, v8
	s_cselect_b32 s39, -1, 0
	s_ashr_i32 s2, s21, 31
	v_add_nc_u32_e32 v10, 0xc0, v8
	s_wait_alu 0xfffe
	s_lshr_b32 s2, s2, 26
	v_cndmask_b32_e64 v42, 0, 1, s4
	s_wait_alu 0xfffe
	s_add_co_i32 s40, s21, s2
	v_cmp_gt_i32_e64 s2, s20, v4
	v_mad_co_u64_u32 v[3:4], null, s7, v0, v[3:4]
	v_mov_b32_e32 v0, v7
	v_cmp_gt_i32_e64 s4, s20, v10
	v_mad_co_u64_u32 v[10:11], null, s28, v19, 0
	s_and_not1_b32 s40, s40, 63
	v_mad_co_u64_u32 v[14:15], null, s27, v26, v[0:1]
	v_cmp_gt_i32_e64 s3, s20, v5
	s_sub_co_i32 s5, s21, s40
	v_mul_lo_u32 v18, s7, v17
	v_mad_co_u64_u32 v[4:5], null, s6, v17, 0
	s_wait_alu 0xfffe
	s_cmp_gt_i32 s5, 0
	v_mov_b32_e32 v7, v14
	v_mad_co_u64_u32 v[14:15], null, s29, v19, v[11:12]
	s_cselect_b32 s41, -1, 0
	s_ashr_i32 s30, s30, 31
	v_lshl_add_u32 v41, v26, 10, v16
	s_wait_alu 0xfffe
	s_mul_i32 s7, s6, s30
	v_lshl_add_u32 v0, v26, 8, v16
	v_cmp_gt_i32_e64 s6, s20, v17
	v_mov_b32_e32 v11, v14
	v_or_b32_e32 v29, 2, v40
	v_mad_co_u64_u32 v[15:16], null, s27, v19, v[13:14]
	s_wait_alu 0xfffe
	v_add3_u32 v5, v5, s7, v18
	v_mad_co_u64_u32 v[16:17], null, s28, v26, 0
	v_mad_co_u64_u32 v[18:19], null, s28, v29, 0
	;; [unrolled: 1-line block ×3, first 2 shown]
	v_mov_b32_e32 v13, v15
	v_mad_co_u64_u32 v[22:23], null, s26, v40, s[26:27]
	s_delay_alu instid0(VALU_DEP_4) | instskip(SKIP_3) | instid1(VALU_DEP_4)
	v_dual_mov_b32 v14, v17 :: v_dual_mov_b32 v15, v19
	v_mad_co_u64_u32 v[24:25], null, s28, v40, s[28:29]
	v_ashrrev_i32_e32 v9, 31, v8
	v_cmp_gt_i32_e64 s1, s20, v8
	v_mad_co_u64_u32 v[26:27], null, s29, v26, v[14:15]
	v_mad_co_u64_u32 v[27:28], null, s29, v29, v[15:16]
	v_dual_mov_b32 v14, v21 :: v_dual_mov_b32 v15, v23
	v_mov_b32_e32 v17, v25
	v_lshlrev_b64_e32 v[6:7], 3, v[6:7]
	v_lshlrev_b64_e32 v[8:9], 1, v[8:9]
	;; [unrolled: 1-line block ×3, first 2 shown]
	v_mov_b32_e32 v19, v27
	v_mad_co_u64_u32 v[28:29], null, s27, v29, v[14:15]
	v_mad_co_u64_u32 v[14:15], null, s27, v40, v[15:16]
	;; [unrolled: 1-line block ×3, first 2 shown]
	v_mov_b32_e32 v17, v26
	v_lshlrev_b64_e32 v[12:13], 1, v[12:13]
	v_mov_b32_e32 v21, v28
	v_cmp_gt_i32_e64 s5, s40, v40
	v_mov_b32_e32 v23, v14
	v_lshlrev_b64_e32 v[14:15], 3, v[16:17]
	v_mov_b32_e32 v25, v29
	v_lshlrev_b64_e32 v[16:17], 1, v[18:19]
	v_lshlrev_b64_e32 v[18:19], 1, v[20:21]
	;; [unrolled: 1-line block ×3, first 2 shown]
	s_and_b32 s20, s0, vcc_lo
	v_lshlrev_b64_e32 v[22:23], 1, v[24:25]
	v_lshlrev_b64_e32 v[24:25], 1, v[2:3]
	s_lshl_b64 s[30:31], s[26:27], 7
	s_lshl_b64 s[34:35], s[28:29], 7
	;; [unrolled: 1-line block ×5, first 2 shown]
	s_branch .LBB597_4
.LBB597_2:                              ;   in Loop: Header=BB597_4 Depth=1
	s_wait_alu 0xfffe
	s_or_b32 exec_lo, exec_lo, s7
.LBB597_3:                              ;   in Loop: Header=BB597_4 Depth=1
	s_add_co_i32 s24, s24, 0x10000
	s_delay_alu instid0(SALU_CYCLE_1)
	s_cmp_lt_u32 s24, s23
	s_cbranch_scc0 .LBB597_76
.LBB597_4:                              ; =>This Loop Header: Depth=1
                                        ;     Child Loop BB597_28 Depth 2
	s_and_not1_b32 vcc_lo, exec_lo, s37
	s_wait_alu 0xfffe
	s_cbranch_vccnz .LBB597_3
; %bb.5:                                ;   in Loop: Header=BB597_4 Depth=1
	s_and_not1_b32 vcc_lo, exec_lo, s36
	s_wait_alu 0xfffe
	s_cbranch_vccnz .LBB597_7
; %bb.6:                                ;   in Loop: Header=BB597_4 Depth=1
	s_mov_b32 s7, 0
	s_branch .LBB597_8
.LBB597_7:                              ;   in Loop: Header=BB597_4 Depth=1
	s_mov_b32 s7, -1
.LBB597_8:                              ;   in Loop: Header=BB597_4 Depth=1
	v_mov_b32_e32 v28, 0
	v_dual_mov_b32 v29, 0 :: v_dual_mov_b32 v26, 0
	v_mov_b32_e32 v27, 0
	s_wait_alu 0xfffe
	s_and_not1_b32 vcc_lo, exec_lo, s7
	s_wait_alu 0xfffe
	s_cbranch_vccnz .LBB597_10
; %bb.9:                                ;   in Loop: Header=BB597_4 Depth=1
	s_lshl_b64 s[42:43], s[24:25], 3
	s_delay_alu instid0(SALU_CYCLE_1)
	s_add_nc_u64 s[42:43], s[8:9], s[42:43]
	global_load_b64 v[26:27], v1, s[42:43]
	s_wait_loadcnt 0x0
	v_add_co_u32 v26, vcc_lo, v26, s10
	s_wait_alu 0xfffd
	v_add_co_ci_u32_e64 v27, null, s11, v27, vcc_lo
.LBB597_10:                             ;   in Loop: Header=BB597_4 Depth=1
	v_cmp_ne_u32_e32 vcc_lo, 1, v42
	s_cbranch_vccnz .LBB597_12
; %bb.11:                               ;   in Loop: Header=BB597_4 Depth=1
	s_lshl_b64 s[42:43], s[24:25], 3
	s_delay_alu instid0(SALU_CYCLE_1)
	s_add_nc_u64 s[42:43], s[12:13], s[42:43]
	global_load_b64 v[28:29], v1, s[42:43]
	s_wait_loadcnt 0x0
	v_add_co_u32 v28, vcc_lo, v28, s14
	s_wait_alu 0xfffd
	v_add_co_ci_u32_e64 v29, null, s15, v29, vcc_lo
.LBB597_12:                             ;   in Loop: Header=BB597_4 Depth=1
	s_lshl_b64 s[42:43], s[24:25], 3
	s_delay_alu instid0(SALU_CYCLE_1)
	s_add_nc_u64 s[42:43], s[16:17], s[42:43]
	global_load_b64 v[30:31], v1, s[42:43]
	s_wait_loadcnt 0x0
	v_add_co_u32 v43, vcc_lo, v30, s18
	s_wait_alu 0xfffd
	v_add_co_ci_u32_e64 v44, null, s19, v31, vcc_lo
	s_and_not1_b32 vcc_lo, exec_lo, s36
	s_wait_alu 0xfffe
	s_cbranch_vccnz .LBB597_20
; %bb.13:                               ;   in Loop: Header=BB597_4 Depth=1
	s_mov_b32 s7, 0
	s_mov_b32 s42, 0
                                        ; implicit-def: $vgpr30
	s_and_saveexec_b32 s43, s20
	s_cbranch_execz .LBB597_21
; %bb.14:                               ;   in Loop: Header=BB597_4 Depth=1
	s_and_not1_b32 vcc_lo, exec_lo, s38
	s_wait_alu 0xfffe
	s_cbranch_vccnz .LBB597_73
; %bb.15:                               ;   in Loop: Header=BB597_4 Depth=1
	v_add_co_u32 v30, vcc_lo, v43, v24
	s_wait_alu 0xfffd
	v_add_co_ci_u32_e64 v31, null, v44, v25, vcc_lo
	flat_load_u16 v30, v[30:31]
	s_wait_loadcnt_dscnt 0x0
	v_lshlrev_b32_e32 v30, 16, v30
	s_delay_alu instid0(VALU_DEP_1) | instskip(NEXT) | instid1(VALU_DEP_1)
	v_mul_f32_e32 v30, s33, v30
	v_and_b32_e32 v31, 0x7f800000, v30
	s_delay_alu instid0(VALU_DEP_1) | instskip(SKIP_1) | instid1(SALU_CYCLE_1)
	v_cmp_ne_u32_e32 vcc_lo, 0x7f800000, v31
                                        ; implicit-def: $vgpr31
	s_and_saveexec_b32 s42, vcc_lo
	s_xor_b32 s42, exec_lo, s42
; %bb.16:                               ;   in Loop: Header=BB597_4 Depth=1
	v_bfe_u32 v31, v30, 16, 1
	s_delay_alu instid0(VALU_DEP_1)
	v_add3_u32 v31, v30, v31, 0x7fff
                                        ; implicit-def: $vgpr30
; %bb.17:                               ;   in Loop: Header=BB597_4 Depth=1
	s_and_not1_saveexec_b32 s42, s42
; %bb.18:                               ;   in Loop: Header=BB597_4 Depth=1
	v_and_b32_e32 v31, 0xffff, v30
	v_or_b32_e32 v32, 0x10000, v30
	s_delay_alu instid0(VALU_DEP_2) | instskip(SKIP_1) | instid1(VALU_DEP_2)
	v_cmp_eq_u32_e32 vcc_lo, 0, v31
	s_wait_alu 0xfffd
	v_cndmask_b32_e32 v31, v32, v30, vcc_lo
; %bb.19:                               ;   in Loop: Header=BB597_4 Depth=1
	s_or_b32 exec_lo, exec_lo, s42
	s_delay_alu instid0(VALU_DEP_1) | instskip(SKIP_2) | instid1(SALU_CYCLE_1)
	v_lshrrev_b32_e32 v30, 16, v31
	s_mov_b32 s42, exec_lo
	s_or_b32 exec_lo, exec_lo, s43
	s_and_b32 vcc_lo, exec_lo, s7
	s_wait_alu 0xfffe
	s_cbranch_vccnz .LBB597_22
	s_branch .LBB597_74
.LBB597_20:                             ;   in Loop: Header=BB597_4 Depth=1
	s_mov_b32 s42, 0
                                        ; implicit-def: $vgpr30
	s_cbranch_execnz .LBB597_22
	s_branch .LBB597_74
.LBB597_21:                             ;   in Loop: Header=BB597_4 Depth=1
	s_or_b32 exec_lo, exec_lo, s43
	s_wait_alu 0xfffe
	s_and_b32 vcc_lo, exec_lo, s7
	s_wait_alu 0xfffe
	s_cbranch_vccz .LBB597_74
.LBB597_22:                             ;   in Loop: Header=BB597_4 Depth=1
	v_dual_mov_b32 v45, 0 :: v_dual_mov_b32 v46, 0
	v_dual_mov_b32 v49, v40 :: v_dual_mov_b32 v48, 0
	v_mov_b32_e32 v47, 0
	s_and_saveexec_b32 s43, s5
	s_cbranch_execz .LBB597_34
; %bb.23:                               ;   in Loop: Header=BB597_4 Depth=1
	v_add_co_u32 v50, vcc_lo, v26, v10
	s_wait_alu 0xfffd
	v_add_co_ci_u32_e64 v51, null, v27, v11, vcc_lo
	v_add_co_u32 v52, vcc_lo, v26, v14
	s_wait_alu 0xfffd
	v_add_co_ci_u32_e64 v53, null, v27, v15, vcc_lo
	;; [unrolled: 3-line block ×3, first 2 shown]
	v_add_co_u32 v56, vcc_lo, v26, v22
	v_dual_mov_b32 v31, v29 :: v_dual_mov_b32 v46, 0
	s_wait_alu 0xfffd
	v_add_co_ci_u32_e64 v57, null, v27, v23, vcc_lo
	v_dual_mov_b32 v45, 0 :: v_dual_mov_b32 v30, v28
	v_dual_mov_b32 v49, v40 :: v_dual_mov_b32 v48, 0
	v_mov_b32_e32 v47, 0
	s_mov_b32 s44, 0
	s_branch .LBB597_28
.LBB597_24:                             ;   in Loop: Header=BB597_28 Depth=2
	s_or_b32 exec_lo, exec_lo, s47
	s_wait_loadcnt_dscnt 0x303
	v_lshlrev_b32_e32 v32, 16, v73
	s_wait_loadcnt_dscnt 0x202
	v_lshlrev_b32_e32 v33, 16, v72
	s_wait_loadcnt_dscnt 0x101
	s_delay_alu instid0(VALU_DEP_2) | instskip(NEXT) | instid1(VALU_DEP_1)
	v_dual_fmac_f32 v47, v65, v32 :: v_dual_lshlrev_b32 v32, 16, v71
	v_fmac_f32_e32 v47, v61, v33
	s_wait_loadcnt_dscnt 0x0
	s_delay_alu instid0(VALU_DEP_1) | instskip(NEXT) | instid1(VALU_DEP_1)
	v_dual_fmac_f32 v47, v63, v32 :: v_dual_lshlrev_b32 v32, 16, v70
	v_fmac_f32_e32 v47, v59, v32
.LBB597_25:                             ;   in Loop: Header=BB597_28 Depth=2
	s_or_b32 exec_lo, exec_lo, s46
	s_wait_loadcnt_dscnt 0x303
	v_lshlrev_b32_e32 v32, 16, v69
	s_wait_loadcnt_dscnt 0x202
	v_lshlrev_b32_e32 v33, 16, v68
	s_delay_alu instid0(VALU_DEP_2) | instskip(SKIP_2) | instid1(VALU_DEP_2)
	v_fmac_f32_e32 v46, v65, v32
	s_wait_loadcnt_dscnt 0x101
	v_lshlrev_b32_e32 v32, 16, v67
	v_fmac_f32_e32 v46, v61, v33
	s_delay_alu instid0(VALU_DEP_1) | instskip(SKIP_2) | instid1(VALU_DEP_1)
	v_fmac_f32_e32 v46, v63, v32
	s_wait_loadcnt_dscnt 0x0
	v_lshlrev_b32_e32 v32, 16, v66
	v_fmac_f32_e32 v46, v59, v32
.LBB597_26:                             ;   in Loop: Header=BB597_28 Depth=2
	s_or_b32 exec_lo, exec_lo, s45
	s_wait_loadcnt_dscnt 0x202
	v_lshlrev_b32_e32 v33, 16, v62
	v_lshlrev_b32_e32 v32, 16, v64
	s_delay_alu instid0(VALU_DEP_1) | instskip(SKIP_1) | instid1(VALU_DEP_1)
	v_fmac_f32_e32 v45, v65, v32
	s_wait_loadcnt_dscnt 0x101
	v_dual_fmac_f32 v45, v61, v33 :: v_dual_lshlrev_b32 v32, 16, v60
	s_wait_loadcnt_dscnt 0x0
	s_delay_alu instid0(VALU_DEP_1) | instskip(NEXT) | instid1(VALU_DEP_1)
	v_dual_fmac_f32 v45, v63, v32 :: v_dual_lshlrev_b32 v32, 16, v58
	v_fmac_f32_e32 v45, v59, v32
.LBB597_27:                             ;   in Loop: Header=BB597_28 Depth=2
	s_wait_alu 0xfffe
	s_or_b32 exec_lo, exec_lo, s7
	v_add_co_u32 v30, vcc_lo, v30, s30
	s_wait_alu 0xfffd
	v_add_co_ci_u32_e64 v31, null, s31, v31, vcc_lo
	v_add_co_u32 v50, vcc_lo, v50, s34
	v_add_nc_u32_e32 v49, 64, v49
	s_wait_alu 0xfffd
	v_add_co_ci_u32_e64 v51, null, s35, v51, vcc_lo
	v_add_co_u32 v52, vcc_lo, v52, s34
	s_wait_alu 0xfffd
	v_add_co_ci_u32_e64 v53, null, s35, v53, vcc_lo
	v_add_co_u32 v54, vcc_lo, v54, s34
	s_wait_alu 0xfffd
	v_add_co_ci_u32_e64 v55, null, s35, v55, vcc_lo
	v_cmp_le_i32_e32 vcc_lo, s40, v49
	v_add_co_u32 v56, s7, v56, s34
	s_wait_alu 0xf1ff
	v_add_co_ci_u32_e64 v57, null, s35, v57, s7
	s_or_b32 s44, vcc_lo, s44
	s_delay_alu instid0(SALU_CYCLE_1)
	s_and_not1_b32 exec_lo, exec_lo, s44
	s_cbranch_execz .LBB597_33
.LBB597_28:                             ;   Parent Loop BB597_4 Depth=1
                                        ; =>  This Inner Loop Header: Depth=2
	s_and_saveexec_b32 s7, s1
	s_cbranch_execz .LBB597_27
; %bb.29:                               ;   in Loop: Header=BB597_28 Depth=2
	v_add_co_u32 v32, vcc_lo, v30, v6
	s_wait_alu 0xfffd
	v_add_co_ci_u32_e64 v33, null, v31, v7, vcc_lo
	v_add_co_u32 v34, vcc_lo, v30, v20
	s_wait_alu 0xfffd
	v_add_co_ci_u32_e64 v35, null, v31, v21, vcc_lo
	;; [unrolled: 3-line block ×4, first 2 shown]
	s_clause 0x3
	flat_load_u16 v59, v[32:33]
	flat_load_u16 v61, v[34:35]
	;; [unrolled: 1-line block ×4, first 2 shown]
	v_add_co_u32 v32, vcc_lo, v52, v8
	s_wait_alu 0xfffd
	v_add_co_ci_u32_e64 v33, null, v53, v9, vcc_lo
	v_add_co_u32 v36, vcc_lo, v56, v8
	s_wait_alu 0xfffd
	v_add_co_ci_u32_e64 v37, null, v57, v9, vcc_lo
	v_add_co_u32 v34, vcc_lo, v54, v8
	s_wait_alu 0xfffd
	v_add_co_ci_u32_e64 v35, null, v55, v9, vcc_lo
	v_add_co_u32 v38, vcc_lo, v50, v8
	s_wait_alu 0xfffd
	v_add_co_ci_u32_e64 v39, null, v51, v9, vcc_lo
	flat_load_u16 v64, v[32:33]
	flat_load_u16 v62, v[36:37]
	;; [unrolled: 1-line block ×4, first 2 shown]
	s_wait_loadcnt_dscnt 0x707
	v_lshlrev_b32_e32 v65, 16, v59
	s_wait_loadcnt_dscnt 0x606
	v_lshlrev_b32_e32 v61, 16, v61
	;; [unrolled: 2-line block ×4, first 2 shown]
	s_and_saveexec_b32 s45, s2
	s_cbranch_execz .LBB597_26
; %bb.30:                               ;   in Loop: Header=BB597_28 Depth=2
	flat_load_u16 v69, v[32:33] offset:128
	flat_load_u16 v68, v[36:37] offset:128
	flat_load_u16 v67, v[34:35] offset:128
	flat_load_u16 v66, v[38:39] offset:128
	s_and_saveexec_b32 s46, s3
	s_cbranch_execz .LBB597_25
; %bb.31:                               ;   in Loop: Header=BB597_28 Depth=2
	flat_load_u16 v73, v[32:33] offset:256
	flat_load_u16 v72, v[36:37] offset:256
	flat_load_u16 v71, v[34:35] offset:256
	flat_load_u16 v70, v[38:39] offset:256
	s_and_saveexec_b32 s47, s4
	s_cbranch_execz .LBB597_24
; %bb.32:                               ;   in Loop: Header=BB597_28 Depth=2
	flat_load_u16 v32, v[32:33] offset:384
	flat_load_u16 v33, v[36:37] offset:384
	flat_load_u16 v34, v[34:35] offset:384
	flat_load_u16 v35, v[38:39] offset:384
	s_wait_loadcnt_dscnt 0x303
	v_lshlrev_b32_e32 v32, 16, v32
	s_wait_loadcnt_dscnt 0x202
	s_delay_alu instid0(VALU_DEP_1) | instskip(SKIP_3) | instid1(VALU_DEP_2)
	v_dual_fmac_f32 v48, v65, v32 :: v_dual_lshlrev_b32 v33, 16, v33
	s_wait_loadcnt_dscnt 0x101
	v_lshlrev_b32_e32 v32, 16, v34
	s_wait_loadcnt_dscnt 0x0
	v_dual_fmac_f32 v48, v61, v33 :: v_dual_lshlrev_b32 v33, 16, v35
	s_delay_alu instid0(VALU_DEP_1) | instskip(NEXT) | instid1(VALU_DEP_1)
	v_fmac_f32_e32 v48, v63, v32
	v_fmac_f32_e32 v48, v59, v33
	s_branch .LBB597_24
.LBB597_33:                             ;   in Loop: Header=BB597_4 Depth=1
	s_or_b32 exec_lo, exec_lo, s44
.LBB597_34:                             ;   in Loop: Header=BB597_4 Depth=1
	s_delay_alu instid0(SALU_CYCLE_1) | instskip(NEXT) | instid1(SALU_CYCLE_1)
	s_or_b32 exec_lo, exec_lo, s43
	s_and_not1_b32 vcc_lo, exec_lo, s41
	s_wait_alu 0xfffe
	s_cbranch_vccnz .LBB597_52
; %bb.35:                               ;   in Loop: Header=BB597_4 Depth=1
	v_cmp_gt_i32_e32 vcc_lo, s21, v49
	v_dual_mov_b32 v35, 0 :: v_dual_mov_b32 v34, 0
	v_or_b32_e32 v30, 1, v49
	v_dual_mov_b32 v37, 0 :: v_dual_mov_b32 v36, 0
	s_and_saveexec_b32 s43, vcc_lo
	s_cbranch_execz .LBB597_43
; %bb.36:                               ;   in Loop: Header=BB597_4 Depth=1
	v_mad_co_u64_u32 v[31:32], null, s26, v49, 0
	v_dual_mov_b32 v36, 0 :: v_dual_mov_b32 v35, 0
	v_mov_b32_e32 v34, 0
	s_mov_b32 s44, exec_lo
	s_delay_alu instid0(VALU_DEP_3) | instskip(NEXT) | instid1(VALU_DEP_1)
	v_mad_co_u64_u32 v[32:33], null, s27, v49, v[32:33]
	v_lshlrev_b64_e32 v[31:32], 1, v[31:32]
	s_delay_alu instid0(VALU_DEP_1) | instskip(SKIP_1) | instid1(VALU_DEP_2)
	v_add_co_u32 v31, s7, v28, v31
	s_wait_alu 0xf1ff
	v_add_co_ci_u32_e64 v32, null, v29, v32, s7
	flat_load_u16 v31, v[31:32]
	v_cmpx_gt_i32_e64 s21, v30
	s_cbranch_execz .LBB597_42
; %bb.37:                               ;   in Loop: Header=BB597_4 Depth=1
	v_mad_co_u64_u32 v[32:33], null, s26, v30, 0
	s_mov_b32 s45, exec_lo
	v_mov_b32_e32 v35, 0
	v_mad_co_u64_u32 v[33:34], null, s27, v30, v[33:34]
	v_mov_b32_e32 v34, 0
	s_delay_alu instid0(VALU_DEP_2) | instskip(NEXT) | instid1(VALU_DEP_1)
	v_lshlrev_b64_e32 v[32:33], 1, v[32:33]
	v_add_co_u32 v32, s7, v28, v32
	s_wait_alu 0xf1ff
	s_delay_alu instid0(VALU_DEP_2) | instskip(SKIP_2) | instid1(VALU_DEP_1)
	v_add_co_ci_u32_e64 v33, null, v29, v33, s7
	flat_load_u16 v32, v[32:33]
	v_or_b32_e32 v33, 2, v49
	v_cmpx_gt_i32_e64 s21, v33
	s_cbranch_execz .LBB597_41
; %bb.38:                               ;   in Loop: Header=BB597_4 Depth=1
	v_mad_co_u64_u32 v[34:35], null, s26, v33, 0
	s_mov_b32 s46, exec_lo
	v_mad_co_u64_u32 v[35:36], null, s27, v33, v[35:36]
	s_delay_alu instid0(VALU_DEP_1) | instskip(SKIP_1) | instid1(VALU_DEP_2)
	v_lshlrev_b64_e32 v[33:34], 1, v[34:35]
	v_or_b32_e32 v35, 3, v49
	v_add_co_u32 v33, s7, v28, v33
	s_wait_alu 0xf1ff
	s_delay_alu instid0(VALU_DEP_3)
	v_add_co_ci_u32_e64 v34, null, v29, v34, s7
	flat_load_u16 v33, v[33:34]
	v_mov_b32_e32 v34, 0
	v_cmpx_gt_i32_e64 s21, v35
	s_cbranch_execz .LBB597_40
; %bb.39:                               ;   in Loop: Header=BB597_4 Depth=1
	v_mad_co_u64_u32 v[36:37], null, s26, v35, 0
	s_delay_alu instid0(VALU_DEP_1) | instskip(NEXT) | instid1(VALU_DEP_1)
	v_mov_b32_e32 v34, v37
	v_mad_co_u64_u32 v[34:35], null, s27, v35, v[34:35]
	s_delay_alu instid0(VALU_DEP_1) | instskip(NEXT) | instid1(VALU_DEP_1)
	v_mov_b32_e32 v37, v34
	v_lshlrev_b64_e32 v[34:35], 1, v[36:37]
	s_delay_alu instid0(VALU_DEP_1) | instskip(SKIP_1) | instid1(VALU_DEP_2)
	v_add_co_u32 v28, s7, v28, v34
	s_wait_alu 0xf1ff
	v_add_co_ci_u32_e64 v29, null, v29, v35, s7
	flat_load_u16 v28, v[28:29]
	s_wait_loadcnt_dscnt 0x0
	v_lshlrev_b32_e32 v34, 16, v28
.LBB597_40:                             ;   in Loop: Header=BB597_4 Depth=1
	s_or_b32 exec_lo, exec_lo, s46
	s_wait_loadcnt_dscnt 0x0
	v_lshlrev_b32_e32 v35, 16, v33
.LBB597_41:                             ;   in Loop: Header=BB597_4 Depth=1
	s_or_b32 exec_lo, exec_lo, s45
	s_wait_loadcnt_dscnt 0x0
	v_lshlrev_b32_e32 v36, 16, v32
.LBB597_42:                             ;   in Loop: Header=BB597_4 Depth=1
	s_or_b32 exec_lo, exec_lo, s44
	s_wait_loadcnt_dscnt 0x0
	v_lshlrev_b32_e32 v37, 16, v31
.LBB597_43:                             ;   in Loop: Header=BB597_4 Depth=1
	s_or_b32 exec_lo, exec_lo, s43
	s_and_saveexec_b32 s43, s1
	s_cbranch_execz .LBB597_51
; %bb.44:                               ;   in Loop: Header=BB597_4 Depth=1
	v_mad_co_u64_u32 v[28:29], null, s28, v49, 0
	v_or_b32_e32 v52, 2, v49
	v_mad_co_u64_u32 v[31:32], null, s28, v30, 0
	v_or_b32_e32 v53, 3, v49
	v_cmp_gt_i32_e64 s7, s21, v30
	s_delay_alu instid0(VALU_DEP_4) | instskip(SKIP_3) | instid1(VALU_DEP_4)
	v_mad_co_u64_u32 v[38:39], null, s28, v52, 0
	v_mad_co_u64_u32 v[49:50], null, s29, v49, v[29:30]
	v_mad_co_u64_u32 v[29:30], null, s29, v30, v[32:33]
	v_mad_co_u64_u32 v[32:33], null, s28, v53, 0
	v_mov_b32_e32 v30, v39
	s_delay_alu instid0(VALU_DEP_4)
	v_dual_cndmask_b32 v50, 0, v28 :: v_dual_cndmask_b32 v51, 0, v49
	s_wait_alu 0xf1ff
	v_cndmask_b32_e64 v28, 0, v31, s7
	v_cndmask_b32_e64 v29, 0, v29, s7
	v_mad_co_u64_u32 v[30:31], null, s29, v52, v[30:31]
	v_mov_b32_e32 v31, v33
	v_lshlrev_b64_e32 v[49:50], 1, v[50:51]
	v_cmp_gt_i32_e32 vcc_lo, s21, v52
	v_lshlrev_b64_e32 v[51:52], 1, v[28:29]
	s_wait_alu 0xfffd
	v_cndmask_b32_e32 v39, 0, v30, vcc_lo
	s_delay_alu instid0(VALU_DEP_4)
	v_add_co_u32 v28, s7, v26, v49
	s_wait_alu 0xf1ff
	v_add_co_ci_u32_e64 v29, null, v27, v50, s7
	v_mad_co_u64_u32 v[30:31], null, s29, v53, v[31:32]
	v_cndmask_b32_e32 v38, 0, v38, vcc_lo
	v_add_co_u32 v28, vcc_lo, v28, v8
	s_wait_alu 0xfffd
	v_add_co_ci_u32_e64 v29, null, v29, v9, vcc_lo
	v_cmp_gt_i32_e32 vcc_lo, s21, v53
	v_add_co_u32 v31, s7, v26, v51
	s_wait_alu 0xf1ff
	v_add_co_ci_u32_e64 v49, null, v27, v52, s7
	s_wait_alu 0xfffd
	v_dual_cndmask_b32 v32, 0, v32 :: v_dual_cndmask_b32 v33, 0, v30
	v_lshlrev_b64_e32 v[38:39], 1, v[38:39]
	v_add_co_u32 v30, vcc_lo, v31, v8
	s_wait_alu 0xfffd
	v_add_co_ci_u32_e64 v31, null, v49, v9, vcc_lo
	v_lshlrev_b64_e32 v[32:33], 1, v[32:33]
	s_delay_alu instid0(VALU_DEP_4) | instskip(SKIP_2) | instid1(VALU_DEP_3)
	v_add_co_u32 v38, vcc_lo, v26, v38
	s_wait_alu 0xfffd
	v_add_co_ci_u32_e64 v39, null, v27, v39, vcc_lo
	v_add_co_u32 v32, vcc_lo, v26, v32
	s_wait_alu 0xfffd
	v_add_co_ci_u32_e64 v33, null, v27, v33, vcc_lo
	;; [unrolled: 3-line block ×4, first 2 shown]
	s_clause 0x3
	flat_load_u16 v50, v[28:29]
	flat_load_u16 v49, v[30:31]
	;; [unrolled: 1-line block ×4, first 2 shown]
	s_and_saveexec_b32 s7, s2
	s_cbranch_execz .LBB597_50
; %bb.45:                               ;   in Loop: Header=BB597_4 Depth=1
	s_clause 0x3
	flat_load_u16 v54, v[28:29] offset:128
	flat_load_u16 v53, v[30:31] offset:128
	flat_load_u16 v52, v[26:27] offset:128
	flat_load_u16 v51, v[32:33] offset:128
	s_and_saveexec_b32 s44, s3
	s_cbranch_execz .LBB597_49
; %bb.46:                               ;   in Loop: Header=BB597_4 Depth=1
	s_clause 0x3
	flat_load_u16 v58, v[28:29] offset:256
	flat_load_u16 v57, v[30:31] offset:256
	flat_load_u16 v56, v[26:27] offset:256
	flat_load_u16 v55, v[32:33] offset:256
	;; [unrolled: 8-line block ×3, first 2 shown]
	s_wait_loadcnt_dscnt 0x303
	v_lshlrev_b32_e32 v28, 16, v28
	s_wait_loadcnt_dscnt 0x202
	v_lshlrev_b32_e32 v29, 16, v29
	;; [unrolled: 2-line block ×3, first 2 shown]
	s_wait_loadcnt_dscnt 0x0
	v_dual_fmac_f32 v48, v37, v28 :: v_dual_lshlrev_b32 v27, 16, v27
	s_delay_alu instid0(VALU_DEP_1) | instskip(NEXT) | instid1(VALU_DEP_1)
	v_fmac_f32_e32 v48, v36, v29
	v_fmac_f32_e32 v48, v35, v26
	s_delay_alu instid0(VALU_DEP_1)
	v_fmac_f32_e32 v48, v34, v27
.LBB597_48:                             ;   in Loop: Header=BB597_4 Depth=1
	s_or_b32 exec_lo, exec_lo, s45
	s_wait_loadcnt_dscnt 0x202
	v_lshlrev_b32_e32 v27, 16, v57
	v_lshlrev_b32_e32 v26, 16, v58
	s_wait_loadcnt_dscnt 0x101
	s_delay_alu instid0(VALU_DEP_1) | instskip(NEXT) | instid1(VALU_DEP_1)
	v_dual_fmac_f32 v47, v37, v26 :: v_dual_lshlrev_b32 v26, 16, v56
	v_fmac_f32_e32 v47, v36, v27
	s_wait_loadcnt_dscnt 0x0
	s_delay_alu instid0(VALU_DEP_1) | instskip(NEXT) | instid1(VALU_DEP_1)
	v_dual_fmac_f32 v47, v35, v26 :: v_dual_lshlrev_b32 v26, 16, v55
	v_fmac_f32_e32 v47, v34, v26
.LBB597_49:                             ;   in Loop: Header=BB597_4 Depth=1
	s_or_b32 exec_lo, exec_lo, s44
	s_wait_loadcnt_dscnt 0x303
	v_lshlrev_b32_e32 v26, 16, v54
	s_wait_loadcnt_dscnt 0x202
	s_delay_alu instid0(VALU_DEP_1) | instskip(SKIP_2) | instid1(VALU_DEP_2)
	v_dual_fmac_f32 v46, v37, v26 :: v_dual_lshlrev_b32 v27, 16, v53
	s_wait_loadcnt_dscnt 0x101
	v_lshlrev_b32_e32 v26, 16, v52
	v_fmac_f32_e32 v46, v36, v27
	s_delay_alu instid0(VALU_DEP_1) | instskip(SKIP_2) | instid1(VALU_DEP_1)
	v_fmac_f32_e32 v46, v35, v26
	s_wait_loadcnt_dscnt 0x0
	v_lshlrev_b32_e32 v26, 16, v51
	v_fmac_f32_e32 v46, v34, v26
.LBB597_50:                             ;   in Loop: Header=BB597_4 Depth=1
	s_wait_alu 0xfffe
	s_or_b32 exec_lo, exec_lo, s7
	s_wait_loadcnt_dscnt 0x202
	v_lshlrev_b32_e32 v27, 16, v49
	v_lshlrev_b32_e32 v26, 16, v50
	s_wait_loadcnt_dscnt 0x101
	s_delay_alu instid0(VALU_DEP_1) | instskip(NEXT) | instid1(VALU_DEP_1)
	v_dual_fmac_f32 v45, v37, v26 :: v_dual_lshlrev_b32 v26, 16, v39
	v_fmac_f32_e32 v45, v36, v27
	s_delay_alu instid0(VALU_DEP_1) | instskip(SKIP_2) | instid1(VALU_DEP_1)
	v_fmac_f32_e32 v45, v35, v26
	s_wait_loadcnt_dscnt 0x0
	v_lshlrev_b32_e32 v26, 16, v38
	v_fmac_f32_e32 v45, v34, v26
.LBB597_51:                             ;   in Loop: Header=BB597_4 Depth=1
	s_or_b32 exec_lo, exec_lo, s43
.LBB597_52:                             ;   in Loop: Header=BB597_4 Depth=1
	ds_store_2addr_stride64_b32 v41, v45, v46 offset1:1
	ds_store_2addr_stride64_b32 v41, v47, v48 offset0:2 offset1:3
	s_wait_dscnt 0x0
	s_barrier_signal -1
	s_barrier_wait -1
	global_inv scope:SCOPE_SE
                                        ; implicit-def: $vgpr30
	s_and_saveexec_b32 s7, s0
	s_cbranch_execz .LBB597_72
; %bb.53:                               ;   in Loop: Header=BB597_4 Depth=1
	ds_load_2addr_stride64_b32 v[26:27], v0 offset1:4
	ds_load_2addr_stride64_b32 v[28:29], v0 offset0:8 offset1:12
	ds_load_2addr_stride64_b32 v[30:31], v0 offset0:16 offset1:20
	s_mov_b32 s44, s42
	s_wait_dscnt 0x2
	v_add_f32_e32 v32, v26, v27
	ds_load_2addr_stride64_b32 v[26:27], v0 offset0:24 offset1:28
	s_wait_dscnt 0x2
	v_add_f32_e32 v28, v28, v32
	s_delay_alu instid0(VALU_DEP_1) | instskip(SKIP_3) | instid1(VALU_DEP_1)
	v_add_f32_e32 v32, v29, v28
	ds_load_2addr_stride64_b32 v[28:29], v0 offset0:32 offset1:36
	s_wait_dscnt 0x2
	v_add_f32_e32 v30, v30, v32
	v_add_f32_e32 v32, v31, v30
	ds_load_2addr_stride64_b32 v[30:31], v0 offset0:40 offset1:44
	s_wait_dscnt 0x2
	v_add_f32_e32 v26, v26, v32
	s_delay_alu instid0(VALU_DEP_1) | instskip(SKIP_1) | instid1(VALU_DEP_1)
	v_add_f32_e32 v26, v27, v26
	s_wait_dscnt 0x1
	v_add_f32_e32 v28, v28, v26
	ds_load_2addr_stride64_b32 v[26:27], v0 offset0:48 offset1:52
	v_add_f32_e32 v28, v29, v28
	s_wait_dscnt 0x1
	s_delay_alu instid0(VALU_DEP_1) | instskip(SKIP_3) | instid1(VALU_DEP_1)
	v_add_f32_e32 v30, v30, v28
	ds_load_2addr_stride64_b32 v[28:29], v0 offset0:56 offset1:60
	v_add_f32_e32 v30, v31, v30
	s_wait_dscnt 0x1
	v_add_f32_e32 v26, v26, v30
                                        ; implicit-def: $vgpr30
	s_delay_alu instid0(VALU_DEP_1) | instskip(SKIP_1) | instid1(VALU_DEP_1)
	v_add_f32_e32 v26, v27, v26
	s_wait_dscnt 0x0
	v_add_f32_e32 v26, v28, v26
	s_delay_alu instid0(VALU_DEP_1)
	v_add_f32_e32 v26, v29, v26
	ds_store_b32 v0, v26
	s_and_saveexec_b32 s43, s6
	s_cbranch_execz .LBB597_71
; %bb.54:                               ;   in Loop: Header=BB597_4 Depth=1
	v_mul_f32_e32 v26, s22, v26
	s_and_b32 vcc_lo, exec_lo, s39
	s_mov_b32 s44, -1
                                        ; implicit-def: $vgpr27
	s_wait_alu 0xfffe
	s_cbranch_vccz .LBB597_60
; %bb.55:                               ;   in Loop: Header=BB597_4 Depth=1
	v_and_b32_e32 v27, 0x7f800000, v26
	s_delay_alu instid0(VALU_DEP_1) | instskip(SKIP_1) | instid1(SALU_CYCLE_1)
	v_cmp_ne_u32_e32 vcc_lo, 0x7f800000, v27
                                        ; implicit-def: $vgpr27
	s_and_saveexec_b32 s44, vcc_lo
	s_xor_b32 s44, exec_lo, s44
; %bb.56:                               ;   in Loop: Header=BB597_4 Depth=1
	v_bfe_u32 v27, v26, 16, 1
	s_delay_alu instid0(VALU_DEP_1)
	v_add3_u32 v27, v26, v27, 0x7fff
; %bb.57:                               ;   in Loop: Header=BB597_4 Depth=1
	s_and_not1_saveexec_b32 s44, s44
; %bb.58:                               ;   in Loop: Header=BB597_4 Depth=1
	v_and_b32_e32 v27, 0xffff, v26
	v_or_b32_e32 v28, 0x10000, v26
	s_delay_alu instid0(VALU_DEP_2) | instskip(SKIP_1) | instid1(VALU_DEP_2)
	v_cmp_eq_u32_e32 vcc_lo, 0, v27
	s_wait_alu 0xfffd
	v_cndmask_b32_e32 v27, v28, v26, vcc_lo
; %bb.59:                               ;   in Loop: Header=BB597_4 Depth=1
	s_or_b32 exec_lo, exec_lo, s44
	s_mov_b32 s44, 0
.LBB597_60:                             ;   in Loop: Header=BB597_4 Depth=1
	s_delay_alu instid0(SALU_CYCLE_1)
	s_and_not1_b32 vcc_lo, exec_lo, s44
	s_wait_alu 0xfffe
	s_cbranch_vccnz .LBB597_70
; %bb.61:                               ;   in Loop: Header=BB597_4 Depth=1
	v_lshlrev_b64_e32 v[27:28], 1, v[4:5]
	s_delay_alu instid0(VALU_DEP_1) | instskip(SKIP_1) | instid1(VALU_DEP_2)
	v_add_co_u32 v27, vcc_lo, v43, v27
	s_wait_alu 0xfffd
	v_add_co_ci_u32_e64 v28, null, v44, v28, vcc_lo
	flat_load_u16 v27, v[27:28]
	s_wait_loadcnt_dscnt 0x0
	v_lshlrev_b32_e32 v27, 16, v27
	s_delay_alu instid0(VALU_DEP_1) | instskip(NEXT) | instid1(VALU_DEP_1)
	v_mul_f32_e32 v27, s33, v27
	v_and_b32_e32 v28, 0x7f800000, v27
	s_delay_alu instid0(VALU_DEP_1) | instskip(SKIP_1) | instid1(SALU_CYCLE_1)
	v_cmp_ne_u32_e32 vcc_lo, 0x7f800000, v28
                                        ; implicit-def: $vgpr28
	s_and_saveexec_b32 s44, vcc_lo
	s_xor_b32 s44, exec_lo, s44
; %bb.62:                               ;   in Loop: Header=BB597_4 Depth=1
	v_bfe_u32 v28, v27, 16, 1
	s_delay_alu instid0(VALU_DEP_1)
	v_add3_u32 v28, v27, v28, 0x7fff
                                        ; implicit-def: $vgpr27
; %bb.63:                               ;   in Loop: Header=BB597_4 Depth=1
	s_and_not1_saveexec_b32 s44, s44
; %bb.64:                               ;   in Loop: Header=BB597_4 Depth=1
	v_and_b32_e32 v28, 0xffff, v27
	v_or_b32_e32 v29, 0x10000, v27
	s_delay_alu instid0(VALU_DEP_2) | instskip(SKIP_1) | instid1(VALU_DEP_2)
	v_cmp_eq_u32_e32 vcc_lo, 0, v28
	s_wait_alu 0xfffd
	v_cndmask_b32_e32 v28, v29, v27, vcc_lo
; %bb.65:                               ;   in Loop: Header=BB597_4 Depth=1
	s_or_b32 exec_lo, exec_lo, s44
	s_delay_alu instid0(VALU_DEP_1) | instskip(NEXT) | instid1(VALU_DEP_1)
	v_and_b32_e32 v27, 0xffff0000, v28
	v_add_f32_e32 v26, v26, v27
	s_delay_alu instid0(VALU_DEP_1) | instskip(NEXT) | instid1(VALU_DEP_1)
	v_and_b32_e32 v27, 0x7f800000, v26
	v_cmp_ne_u32_e32 vcc_lo, 0x7f800000, v27
                                        ; implicit-def: $vgpr27
	s_and_saveexec_b32 s44, vcc_lo
	s_delay_alu instid0(SALU_CYCLE_1)
	s_xor_b32 s44, exec_lo, s44
; %bb.66:                               ;   in Loop: Header=BB597_4 Depth=1
	v_bfe_u32 v27, v26, 16, 1
	s_delay_alu instid0(VALU_DEP_1)
	v_add3_u32 v27, v26, v27, 0x7fff
                                        ; implicit-def: $vgpr26
; %bb.67:                               ;   in Loop: Header=BB597_4 Depth=1
	s_and_not1_saveexec_b32 s44, s44
; %bb.68:                               ;   in Loop: Header=BB597_4 Depth=1
	v_and_b32_e32 v27, 0xffff, v26
	v_or_b32_e32 v28, 0x10000, v26
	s_delay_alu instid0(VALU_DEP_2) | instskip(SKIP_1) | instid1(VALU_DEP_2)
	v_cmp_eq_u32_e32 vcc_lo, 0, v27
	s_wait_alu 0xfffd
	v_cndmask_b32_e32 v27, v28, v26, vcc_lo
; %bb.69:                               ;   in Loop: Header=BB597_4 Depth=1
	s_or_b32 exec_lo, exec_lo, s44
.LBB597_70:                             ;   in Loop: Header=BB597_4 Depth=1
	s_delay_alu instid0(VALU_DEP_1)
	v_lshrrev_b32_e32 v30, 16, v27
	s_or_b32 s44, s42, exec_lo
.LBB597_71:                             ;   in Loop: Header=BB597_4 Depth=1
	s_or_b32 exec_lo, exec_lo, s43
	s_delay_alu instid0(SALU_CYCLE_1) | instskip(SKIP_1) | instid1(SALU_CYCLE_1)
	s_and_not1_b32 s42, s42, exec_lo
	s_and_b32 s43, s44, exec_lo
	s_or_b32 s42, s42, s43
.LBB597_72:                             ;   in Loop: Header=BB597_4 Depth=1
	s_wait_alu 0xfffe
	s_or_b32 exec_lo, exec_lo, s7
	v_dual_mov_b32 v27, v5 :: v_dual_mov_b32 v26, v4
	s_and_saveexec_b32 s7, s42
	s_cbranch_execz .LBB597_2
	s_branch .LBB597_75
.LBB597_73:                             ;   in Loop: Header=BB597_4 Depth=1
	v_mov_b32_e32 v30, 0
	s_mov_b32 s42, exec_lo
	s_or_b32 exec_lo, exec_lo, s43
	s_delay_alu instid0(SALU_CYCLE_1)
	s_and_b32 vcc_lo, exec_lo, s7
	s_wait_alu 0xfffe
	s_cbranch_vccnz .LBB597_22
.LBB597_74:                             ;   in Loop: Header=BB597_4 Depth=1
	v_dual_mov_b32 v27, v3 :: v_dual_mov_b32 v26, v2
	s_and_saveexec_b32 s7, s42
	s_cbranch_execz .LBB597_2
.LBB597_75:                             ;   in Loop: Header=BB597_4 Depth=1
	s_delay_alu instid0(VALU_DEP_1) | instskip(NEXT) | instid1(VALU_DEP_1)
	v_lshlrev_b64_e32 v[26:27], 1, v[26:27]
	v_add_co_u32 v26, vcc_lo, v43, v26
	s_wait_alu 0xfffd
	s_delay_alu instid0(VALU_DEP_2)
	v_add_co_ci_u32_e64 v27, null, v44, v27, vcc_lo
	flat_store_b16 v[26:27], v30
	s_branch .LBB597_2
.LBB597_76:
	s_endpgm
	.section	.rodata,"a",@progbits
	.p2align	6, 0x0
	.amdhsa_kernel _ZL20rocblas_gemvn_kernelILi64ELi16ElPK16rocblas_bfloat16fKPS0_EviiT3_lPKT2_lT1_lS8_lS9_lS5_lPT4_lS9_li
		.amdhsa_group_segment_fixed_size 16384
		.amdhsa_private_segment_fixed_size 0
		.amdhsa_kernarg_size 400
		.amdhsa_user_sgpr_count 2
		.amdhsa_user_sgpr_dispatch_ptr 0
		.amdhsa_user_sgpr_queue_ptr 0
		.amdhsa_user_sgpr_kernarg_segment_ptr 1
		.amdhsa_user_sgpr_dispatch_id 0
		.amdhsa_user_sgpr_private_segment_size 0
		.amdhsa_wavefront_size32 1
		.amdhsa_uses_dynamic_stack 0
		.amdhsa_enable_private_segment 0
		.amdhsa_system_sgpr_workgroup_id_x 1
		.amdhsa_system_sgpr_workgroup_id_y 0
		.amdhsa_system_sgpr_workgroup_id_z 1
		.amdhsa_system_sgpr_workgroup_info 0
		.amdhsa_system_vgpr_workitem_id 1
		.amdhsa_next_free_vgpr 74
		.amdhsa_next_free_sgpr 48
		.amdhsa_reserve_vcc 1
		.amdhsa_float_round_mode_32 0
		.amdhsa_float_round_mode_16_64 0
		.amdhsa_float_denorm_mode_32 3
		.amdhsa_float_denorm_mode_16_64 3
		.amdhsa_fp16_overflow 0
		.amdhsa_workgroup_processor_mode 1
		.amdhsa_memory_ordered 1
		.amdhsa_forward_progress 1
		.amdhsa_inst_pref_size 34
		.amdhsa_round_robin_scheduling 0
		.amdhsa_exception_fp_ieee_invalid_op 0
		.amdhsa_exception_fp_denorm_src 0
		.amdhsa_exception_fp_ieee_div_zero 0
		.amdhsa_exception_fp_ieee_overflow 0
		.amdhsa_exception_fp_ieee_underflow 0
		.amdhsa_exception_fp_ieee_inexact 0
		.amdhsa_exception_int_div_zero 0
	.end_amdhsa_kernel
	.section	.text._ZL20rocblas_gemvn_kernelILi64ELi16ElPK16rocblas_bfloat16fKPS0_EviiT3_lPKT2_lT1_lS8_lS9_lS5_lPT4_lS9_li,"axG",@progbits,_ZL20rocblas_gemvn_kernelILi64ELi16ElPK16rocblas_bfloat16fKPS0_EviiT3_lPKT2_lT1_lS8_lS9_lS5_lPT4_lS9_li,comdat
.Lfunc_end597:
	.size	_ZL20rocblas_gemvn_kernelILi64ELi16ElPK16rocblas_bfloat16fKPS0_EviiT3_lPKT2_lT1_lS8_lS9_lS5_lPT4_lS9_li, .Lfunc_end597-_ZL20rocblas_gemvn_kernelILi64ELi16ElPK16rocblas_bfloat16fKPS0_EviiT3_lPKT2_lT1_lS8_lS9_lS5_lPT4_lS9_li
                                        ; -- End function
	.set _ZL20rocblas_gemvn_kernelILi64ELi16ElPK16rocblas_bfloat16fKPS0_EviiT3_lPKT2_lT1_lS8_lS9_lS5_lPT4_lS9_li.num_vgpr, 74
	.set _ZL20rocblas_gemvn_kernelILi64ELi16ElPK16rocblas_bfloat16fKPS0_EviiT3_lPKT2_lT1_lS8_lS9_lS5_lPT4_lS9_li.num_agpr, 0
	.set _ZL20rocblas_gemvn_kernelILi64ELi16ElPK16rocblas_bfloat16fKPS0_EviiT3_lPKT2_lT1_lS8_lS9_lS5_lPT4_lS9_li.numbered_sgpr, 48
	.set _ZL20rocblas_gemvn_kernelILi64ELi16ElPK16rocblas_bfloat16fKPS0_EviiT3_lPKT2_lT1_lS8_lS9_lS5_lPT4_lS9_li.num_named_barrier, 0
	.set _ZL20rocblas_gemvn_kernelILi64ELi16ElPK16rocblas_bfloat16fKPS0_EviiT3_lPKT2_lT1_lS8_lS9_lS5_lPT4_lS9_li.private_seg_size, 0
	.set _ZL20rocblas_gemvn_kernelILi64ELi16ElPK16rocblas_bfloat16fKPS0_EviiT3_lPKT2_lT1_lS8_lS9_lS5_lPT4_lS9_li.uses_vcc, 1
	.set _ZL20rocblas_gemvn_kernelILi64ELi16ElPK16rocblas_bfloat16fKPS0_EviiT3_lPKT2_lT1_lS8_lS9_lS5_lPT4_lS9_li.uses_flat_scratch, 1
	.set _ZL20rocblas_gemvn_kernelILi64ELi16ElPK16rocblas_bfloat16fKPS0_EviiT3_lPKT2_lT1_lS8_lS9_lS5_lPT4_lS9_li.has_dyn_sized_stack, 0
	.set _ZL20rocblas_gemvn_kernelILi64ELi16ElPK16rocblas_bfloat16fKPS0_EviiT3_lPKT2_lT1_lS8_lS9_lS5_lPT4_lS9_li.has_recursion, 0
	.set _ZL20rocblas_gemvn_kernelILi64ELi16ElPK16rocblas_bfloat16fKPS0_EviiT3_lPKT2_lT1_lS8_lS9_lS5_lPT4_lS9_li.has_indirect_call, 0
	.section	.AMDGPU.csdata,"",@progbits
; Kernel info:
; codeLenInByte = 4276
; TotalNumSgprs: 50
; NumVgprs: 74
; ScratchSize: 0
; MemoryBound: 0
; FloatMode: 240
; IeeeMode: 1
; LDSByteSize: 16384 bytes/workgroup (compile time only)
; SGPRBlocks: 0
; VGPRBlocks: 9
; NumSGPRsForWavesPerEU: 50
; NumVGPRsForWavesPerEU: 74
; Occupancy: 16
; WaveLimiterHint : 1
; COMPUTE_PGM_RSRC2:SCRATCH_EN: 0
; COMPUTE_PGM_RSRC2:USER_SGPR: 2
; COMPUTE_PGM_RSRC2:TRAP_HANDLER: 0
; COMPUTE_PGM_RSRC2:TGID_X_EN: 1
; COMPUTE_PGM_RSRC2:TGID_Y_EN: 0
; COMPUTE_PGM_RSRC2:TGID_Z_EN: 1
; COMPUTE_PGM_RSRC2:TIDIG_COMP_CNT: 1
	.section	.text._ZL22rocblas_gemvtsm_kernelILb0ELi256EPK16rocblas_bfloat16PKfKPS0_EviiT2_lPKT1_lilSA_lilS7_lPT3_lil,"axG",@progbits,_ZL22rocblas_gemvtsm_kernelILb0ELi256EPK16rocblas_bfloat16PKfKPS0_EviiT2_lPKT1_lilSA_lilS7_lPT3_lil,comdat
	.globl	_ZL22rocblas_gemvtsm_kernelILb0ELi256EPK16rocblas_bfloat16PKfKPS0_EviiT2_lPKT1_lilSA_lilS7_lPT3_lil ; -- Begin function _ZL22rocblas_gemvtsm_kernelILb0ELi256EPK16rocblas_bfloat16PKfKPS0_EviiT2_lPKT1_lilSA_lilS7_lPT3_lil
	.p2align	8
	.type	_ZL22rocblas_gemvtsm_kernelILb0ELi256EPK16rocblas_bfloat16PKfKPS0_EviiT2_lPKT1_lilSA_lilS7_lPT3_lil,@function
_ZL22rocblas_gemvtsm_kernelILb0ELi256EPK16rocblas_bfloat16PKfKPS0_EviiT2_lPKT1_lilSA_lilS7_lPT3_lil: ; @_ZL22rocblas_gemvtsm_kernelILb0ELi256EPK16rocblas_bfloat16PKfKPS0_EviiT2_lPKT1_lilSA_lilS7_lPT3_lil
; %bb.0:
	s_clause 0x1
	s_load_b256 s[12:19], s[0:1], 0x8
	s_load_b256 s[4:11], s[0:1], 0x58
	s_mov_b32 s2, ttmp9
	s_mov_b32 s3, 0
	s_wait_kmcnt 0x0
	s_mul_u64 s[14:15], s[14:15], s[2:3]
	s_mul_u64 s[6:7], s[6:7], s[2:3]
	s_lshl_b64 s[14:15], s[14:15], 2
	s_lshl_b64 s[6:7], s[6:7], 2
	s_add_nc_u64 s[12:13], s[12:13], s[14:15]
	s_add_nc_u64 s[4:5], s[4:5], s[6:7]
	s_load_b32 s21, s[12:13], 0x0
	s_load_b32 s20, s[4:5], 0x0
	s_wait_kmcnt 0x0
	s_cmp_eq_f32 s21, 0
	s_cselect_b32 s4, -1, 0
	s_cmp_eq_f32 s20, 1.0
	s_cselect_b32 s5, -1, 0
	s_delay_alu instid0(SALU_CYCLE_1) | instskip(NEXT) | instid1(SALU_CYCLE_1)
	s_and_b32 s4, s4, s5
	s_and_b32 vcc_lo, exec_lo, s4
	s_cbranch_vccnz .LBB598_74
; %bb.1:
	s_cmp_neq_f32 s21, 0
	s_mov_b64 s[12:13], 0
	s_mov_b64 s[6:7], 0
	s_cselect_b32 s4, -1, 0
	s_cmp_eq_f32 s21, 0
	s_cselect_b32 s5, -1, 0
	s_delay_alu instid0(SALU_CYCLE_1)
	s_and_b32 vcc_lo, exec_lo, s5
	s_cbranch_vccnz .LBB598_3
; %bb.2:
	s_lshl_b64 s[6:7], s[2:3], 3
	s_lshl_b64 s[14:15], s[18:19], 1
	s_add_nc_u64 s[6:7], s[16:17], s[6:7]
	s_load_b64 s[6:7], s[6:7], 0x0
	s_wait_kmcnt 0x0
	s_add_nc_u64 s[6:7], s[6:7], s[14:15]
.LBB598_3:
	s_and_not1_b32 vcc_lo, exec_lo, s4
	s_cbranch_vccnz .LBB598_5
; %bb.4:
	s_load_b128 s[12:15], s[0:1], 0x38
	s_lshl_b64 s[16:17], s[2:3], 3
	s_wait_kmcnt 0x0
	s_add_nc_u64 s[12:13], s[12:13], s[16:17]
	s_lshl_b64 s[14:15], s[14:15], 1
	s_load_b64 s[12:13], s[12:13], 0x0
	s_wait_kmcnt 0x0
	s_add_nc_u64 s[12:13], s[12:13], s[14:15]
.LBB598_5:
	s_lshl_b64 s[2:3], s[2:3], 3
	s_and_not1_b32 vcc_lo, exec_lo, s5
	s_add_nc_u64 s[8:9], s[8:9], s[2:3]
	s_clause 0x1
	s_load_b64 s[2:3], s[0:1], 0x0
	s_load_b32 s4, s[0:1], 0x78
	s_load_b64 s[8:9], s[8:9], 0x0
	s_mov_b32 s5, -1
	s_cbranch_vccnz .LBB598_24
; %bb.6:
	s_wait_kmcnt 0x0
	s_cmp_gt_i32 s3, 0
	s_cselect_b32 s16, -1, 0
	s_cmp_neq_f32 s20, 0
	v_cndmask_b32_e64 v1, 0, 1, s16
	s_delay_alu instid0(VALU_DEP_1)
	v_cmp_ne_u32_e32 vcc_lo, 1, v1
	s_cbranch_scc1 .LBB598_13
; %bb.7:
	s_and_b32 vcc_lo, exec_lo, vcc_lo
	s_cbranch_vccnz .LBB598_12
; %bb.8:
	v_mad_co_i64_i32 v[1:2], null, s4, v0, 0
	s_lshl_b64 s[14:15], s[10:11], 1
	v_mov_b32_e32 v3, 0
	s_add_nc_u64 s[14:15], s[8:9], s[14:15]
	s_ashr_i32 s5, s4, 31
	v_lshlrev_b64_e32 v[1:2], 1, v[1:2]
	s_delay_alu instid0(VALU_DEP_1) | instskip(NEXT) | instid1(VALU_DEP_1)
	v_add_co_u32 v1, vcc_lo, s14, v1
	v_add_co_ci_u32_e64 v2, null, s15, v2, vcc_lo
	s_wait_alu 0xfffe
	s_lshl_b64 s[14:15], s[4:5], 9
	s_mov_b32 s5, 0
	s_branch .LBB598_10
.LBB598_9:                              ;   in Loop: Header=BB598_10 Depth=1
	s_wait_alu 0xfffe
	s_or_b32 exec_lo, exec_lo, s17
	v_add_co_u32 v1, vcc_lo, v1, s14
	s_wait_alu 0xfffd
	v_add_co_ci_u32_e64 v2, null, s15, v2, vcc_lo
	s_addk_co_i32 s5, 0x100
	s_wait_alu 0xfffe
	s_cmp_ge_i32 s5, s3
	s_cbranch_scc1 .LBB598_12
.LBB598_10:                             ; =>This Inner Loop Header: Depth=1
	s_wait_alu 0xfffe
	v_add_nc_u32_e32 v4, s5, v0
	s_mov_b32 s17, exec_lo
	s_delay_alu instid0(VALU_DEP_1)
	v_cmpx_gt_i32_e64 s3, v4
	s_cbranch_execz .LBB598_9
; %bb.11:                               ;   in Loop: Header=BB598_10 Depth=1
	flat_store_b16 v[1:2], v3
	s_branch .LBB598_9
.LBB598_12:
	s_mov_b32 s5, 0
.LBB598_13:
	s_wait_alu 0xfffe
	s_and_not1_b32 vcc_lo, exec_lo, s5
	s_wait_alu 0xfffe
	s_cbranch_vccnz .LBB598_23
; %bb.14:
	s_and_not1_b32 vcc_lo, exec_lo, s16
	s_wait_alu 0xfffe
	s_cbranch_vccnz .LBB598_23
; %bb.15:
	v_mad_co_i64_i32 v[1:2], null, s4, v0, 0
	s_lshl_b64 s[14:15], s[10:11], 1
	s_ashr_i32 s5, s4, 31
	s_wait_alu 0xfffe
	s_add_nc_u64 s[14:15], s[8:9], s[14:15]
	v_lshlrev_b64_e32 v[1:2], 1, v[1:2]
	s_wait_alu 0xfffe
	s_delay_alu instid0(VALU_DEP_1) | instskip(SKIP_1) | instid1(VALU_DEP_2)
	v_add_co_u32 v1, vcc_lo, s14, v1
	s_wait_alu 0xfffd
	v_add_co_ci_u32_e64 v2, null, s15, v2, vcc_lo
	s_lshl_b64 s[14:15], s[4:5], 9
	s_mov_b32 s5, 0
	s_branch .LBB598_18
.LBB598_16:                             ;   in Loop: Header=BB598_18 Depth=1
	s_wait_alu 0xfffe
	s_or_b32 exec_lo, exec_lo, s17
	flat_store_d16_hi_b16 v[1:2], v4
.LBB598_17:                             ;   in Loop: Header=BB598_18 Depth=1
	s_wait_alu 0xfffe
	s_or_b32 exec_lo, exec_lo, s16
	v_add_co_u32 v1, vcc_lo, v1, s14
	s_wait_alu 0xfffd
	v_add_co_ci_u32_e64 v2, null, s15, v2, vcc_lo
	s_addk_co_i32 s5, 0x100
	s_wait_alu 0xfffe
	s_cmp_ge_i32 s5, s3
	s_cbranch_scc1 .LBB598_23
.LBB598_18:                             ; =>This Inner Loop Header: Depth=1
	s_wait_alu 0xfffe
	v_add_nc_u32_e32 v3, s5, v0
	s_mov_b32 s16, exec_lo
	s_delay_alu instid0(VALU_DEP_1)
	v_cmpx_gt_i32_e64 s3, v3
	s_cbranch_execz .LBB598_17
; %bb.19:                               ;   in Loop: Header=BB598_18 Depth=1
	flat_load_u16 v3, v[1:2]
	s_wait_loadcnt_dscnt 0x0
	v_lshlrev_b32_e32 v3, 16, v3
	s_delay_alu instid0(VALU_DEP_1) | instskip(NEXT) | instid1(VALU_DEP_1)
	v_mul_f32_e32 v3, s20, v3
	v_and_b32_e32 v4, 0x7f800000, v3
	s_delay_alu instid0(VALU_DEP_1)
	v_cmp_ne_u32_e32 vcc_lo, 0x7f800000, v4
                                        ; implicit-def: $vgpr4
	s_and_saveexec_b32 s17, vcc_lo
	s_wait_alu 0xfffe
	s_xor_b32 s17, exec_lo, s17
; %bb.20:                               ;   in Loop: Header=BB598_18 Depth=1
	v_bfe_u32 v4, v3, 16, 1
	s_delay_alu instid0(VALU_DEP_1)
	v_add3_u32 v4, v3, v4, 0x7fff
                                        ; implicit-def: $vgpr3
; %bb.21:                               ;   in Loop: Header=BB598_18 Depth=1
	s_wait_alu 0xfffe
	s_and_not1_saveexec_b32 s17, s17
	s_cbranch_execz .LBB598_16
; %bb.22:                               ;   in Loop: Header=BB598_18 Depth=1
	v_and_b32_e32 v4, 0xffff, v3
	v_or_b32_e32 v5, 0x10000, v3
	s_delay_alu instid0(VALU_DEP_2) | instskip(SKIP_1) | instid1(VALU_DEP_2)
	v_cmp_eq_u32_e32 vcc_lo, 0, v4
	s_wait_alu 0xfffd
	v_cndmask_b32_e32 v4, v5, v3, vcc_lo
	s_branch .LBB598_16
.LBB598_23:
	s_mov_b32 s5, 0
.LBB598_24:
	s_wait_alu 0xfffe
	s_and_not1_b32 vcc_lo, exec_lo, s5
	s_wait_alu 0xfffe
	s_cbranch_vccnz .LBB598_74
; %bb.25:
	s_mov_b32 s5, exec_lo
	s_wait_kmcnt 0x0
	v_cmpx_gt_i32_e64 s2, v0
	s_cbranch_execz .LBB598_31
; %bb.26:
	s_load_b32 s14, s[0:1], 0x48
	s_wait_kmcnt 0x0
	v_mad_co_i64_i32 v[1:2], null, s14, v0, 0
	s_delay_alu instid0(VALU_DEP_1) | instskip(NEXT) | instid1(VALU_DEP_1)
	v_lshlrev_b64_e32 v[1:2], 1, v[1:2]
	v_add_co_u32 v1, vcc_lo, s12, v1
	s_wait_alu 0xfffd
	s_delay_alu instid0(VALU_DEP_2) | instskip(SKIP_3) | instid1(VALU_DEP_1)
	v_add_co_ci_u32_e64 v2, null, s13, v2, vcc_lo
	flat_load_u16 v1, v[1:2]
	s_wait_loadcnt_dscnt 0x0
	v_lshlrev_b32_e32 v1, 16, v1
	v_mul_f32_e32 v1, s21, v1
	s_delay_alu instid0(VALU_DEP_1) | instskip(NEXT) | instid1(VALU_DEP_1)
	v_and_b32_e32 v2, 0x7f800000, v1
	v_cmp_ne_u32_e32 vcc_lo, 0x7f800000, v2
                                        ; implicit-def: $vgpr2
	s_and_saveexec_b32 s12, vcc_lo
	s_wait_alu 0xfffe
	s_xor_b32 s12, exec_lo, s12
; %bb.27:
	v_bfe_u32 v2, v1, 16, 1
	s_delay_alu instid0(VALU_DEP_1)
	v_add3_u32 v2, v1, v2, 0x7fff
                                        ; implicit-def: $vgpr1
; %bb.28:
	s_wait_alu 0xfffe
	s_and_not1_saveexec_b32 s12, s12
; %bb.29:
	v_and_b32_e32 v2, 0xffff, v1
	v_or_b32_e32 v3, 0x10000, v1
	s_delay_alu instid0(VALU_DEP_2) | instskip(SKIP_1) | instid1(VALU_DEP_2)
	v_cmp_eq_u32_e32 vcc_lo, 0, v2
	s_wait_alu 0xfffd
	v_cndmask_b32_e32 v2, v3, v1, vcc_lo
; %bb.30:
	s_wait_alu 0xfffe
	s_or_b32 exec_lo, exec_lo, s12
	s_delay_alu instid0(VALU_DEP_1)
	v_and_b32_e32 v1, 0xffff0000, v2
	v_lshlrev_b32_e32 v2, 2, v0
	ds_store_b32 v2, v1
.LBB598_31:
	s_wait_alu 0xfffe
	s_or_b32 exec_lo, exec_lo, s5
	s_cmp_lt_i32 s3, 1
	s_wait_storecnt_dscnt 0x0
	s_barrier_signal -1
	s_barrier_wait -1
	global_inv scope:SCOPE_SE
	s_cbranch_scc1 .LBB598_74
; %bb.32:
	s_load_b32 s16, s[0:1], 0x28
	s_lshl_b64 s[0:1], s[10:11], 1
	s_ashr_i32 s5, s4, 31
	s_add_nc_u64 s[0:1], s[8:9], s[0:1]
	s_mov_b32 s8, 0
	s_wait_kmcnt 0x0
	v_mad_co_i64_i32 v[1:2], null, s16, v0, 0
	s_ashr_i32 s17, s16, 31
	s_cmp_neq_f32 s20, 0
	s_cselect_b32 s10, -1, 0
	v_lshlrev_b64_e32 v[1:2], 1, v[1:2]
	s_cmp_gt_i32 s2, 0
	s_cselect_b32 s11, -1, 0
	s_and_b32 s12, s2, 3
	s_cmp_gt_u32 s2, 3
	s_delay_alu instid0(VALU_DEP_1)
	v_add_co_u32 v7, vcc_lo, s6, v1
	s_wait_alu 0xfffd
	v_add_co_ci_u32_e64 v8, null, s7, v2, vcc_lo
	s_cselect_b32 s13, -1, 0
	v_add_co_u32 v1, vcc_lo, v7, 4
	s_and_b32 s2, s2, 0x7ffffffc
	s_wait_alu 0xfffd
	v_add_co_ci_u32_e64 v2, null, 0, v8, vcc_lo
	s_wait_alu 0xfffe
	s_cmp_lg_u32 s12, 0
	s_cselect_b32 s14, -1, 0
	s_lshl_b64 s[6:7], s[16:17], 9
	s_branch .LBB598_35
.LBB598_33:                             ;   in Loop: Header=BB598_35 Depth=1
	s_wait_alu 0xfffe
	s_or_b32 exec_lo, exec_lo, s15
	v_add_co_u32 v3, vcc_lo, s0, v3
	s_wait_alu 0xfffd
	v_add_co_ci_u32_e64 v4, null, s1, v4, vcc_lo
	flat_store_d16_hi_b16 v[3:4], v5
.LBB598_34:                             ;   in Loop: Header=BB598_35 Depth=1
	s_wait_alu 0xfffe
	s_or_b32 exec_lo, exec_lo, s9
	v_add_co_u32 v1, vcc_lo, v1, s6
	s_wait_alu 0xfffd
	v_add_co_ci_u32_e64 v2, null, s7, v2, vcc_lo
	v_add_co_u32 v7, vcc_lo, v7, s6
	s_wait_alu 0xfffd
	v_add_co_ci_u32_e64 v8, null, s7, v8, vcc_lo
	s_addk_co_i32 s8, 0x100
	s_wait_alu 0xfffe
	s_cmp_ge_i32 s8, s3
	s_cbranch_scc1 .LBB598_74
.LBB598_35:                             ; =>This Loop Header: Depth=1
                                        ;     Child Loop BB598_46 Depth 2
                                        ;     Child Loop BB598_66 Depth 2
	v_add_nc_u32_e32 v3, s8, v0
	s_mov_b32 s9, exec_lo
	s_delay_alu instid0(VALU_DEP_1)
	v_cmpx_gt_i32_e64 s3, v3
	s_cbranch_execz .LBB598_34
; %bb.36:                               ;   in Loop: Header=BB598_35 Depth=1
	v_mad_co_u64_u32 v[4:5], null, v3, s4, 0
	s_and_not1_b32 vcc_lo, exec_lo, s10
	v_mad_co_u64_u32 v[5:6], null, v3, s5, v[5:6]
	s_delay_alu instid0(VALU_DEP_1)
	v_lshlrev_b64_e32 v[3:4], 1, v[4:5]
	s_wait_alu 0xfffe
	s_cbranch_vccnz .LBB598_42
; %bb.37:                               ;   in Loop: Header=BB598_35 Depth=1
	s_delay_alu instid0(VALU_DEP_1) | instskip(SKIP_1) | instid1(VALU_DEP_2)
	v_add_co_u32 v5, vcc_lo, s0, v3
	s_wait_alu 0xfffd
	v_add_co_ci_u32_e64 v6, null, s1, v4, vcc_lo
	flat_load_u16 v5, v[5:6]
	s_wait_loadcnt_dscnt 0x0
	v_lshlrev_b32_e32 v5, 16, v5
	s_delay_alu instid0(VALU_DEP_1) | instskip(NEXT) | instid1(VALU_DEP_1)
	v_mul_f32_e32 v5, s20, v5
	v_and_b32_e32 v6, 0x7f800000, v5
	s_delay_alu instid0(VALU_DEP_1)
	v_cmp_ne_u32_e32 vcc_lo, 0x7f800000, v6
                                        ; implicit-def: $vgpr6
	s_and_saveexec_b32 s15, vcc_lo
	s_wait_alu 0xfffe
	s_xor_b32 s15, exec_lo, s15
; %bb.38:                               ;   in Loop: Header=BB598_35 Depth=1
	v_bfe_u32 v6, v5, 16, 1
	s_delay_alu instid0(VALU_DEP_1)
	v_add3_u32 v6, v5, v6, 0x7fff
                                        ; implicit-def: $vgpr5
; %bb.39:                               ;   in Loop: Header=BB598_35 Depth=1
	s_wait_alu 0xfffe
	s_and_not1_saveexec_b32 s15, s15
; %bb.40:                               ;   in Loop: Header=BB598_35 Depth=1
	v_and_b32_e32 v6, 0xffff, v5
	v_or_b32_e32 v9, 0x10000, v5
	s_delay_alu instid0(VALU_DEP_2) | instskip(SKIP_1) | instid1(VALU_DEP_2)
	v_cmp_eq_u32_e32 vcc_lo, 0, v6
	s_wait_alu 0xfffd
	v_cndmask_b32_e32 v6, v9, v5, vcc_lo
; %bb.41:                               ;   in Loop: Header=BB598_35 Depth=1
	s_wait_alu 0xfffe
	s_or_b32 exec_lo, exec_lo, s15
	s_delay_alu instid0(VALU_DEP_1) | instskip(NEXT) | instid1(VALU_DEP_1)
	v_and_b32_e32 v5, 0xffff0000, v6
	v_cvt_i32_f32_e32 v5, v5
	s_delay_alu instid0(VALU_DEP_1)
	v_cvt_f32_i32_e32 v9, v5
	s_and_not1_b32 vcc_lo, exec_lo, s11
	s_wait_alu 0xfffe
	s_cbranch_vccz .LBB598_43
	s_branch .LBB598_70
.LBB598_42:                             ;   in Loop: Header=BB598_35 Depth=1
	v_mov_b32_e32 v9, 0
	s_and_not1_b32 vcc_lo, exec_lo, s11
	s_wait_alu 0xfffe
	s_cbranch_vccnz .LBB598_70
.LBB598_43:                             ;   in Loop: Header=BB598_35 Depth=1
	s_and_not1_b32 vcc_lo, exec_lo, s13
	s_mov_b32 s15, 0
	s_wait_alu 0xfffe
	s_cbranch_vccnz .LBB598_63
; %bb.44:                               ;   in Loop: Header=BB598_35 Depth=1
	v_dual_mov_b32 v6, v2 :: v_dual_mov_b32 v5, v1
	s_mov_b32 s16, 0
	s_branch .LBB598_46
.LBB598_45:                             ;   in Loop: Header=BB598_46 Depth=2
	s_wait_alu 0xfffe
	s_or_b32 exec_lo, exec_lo, s17
	v_and_b32_e32 v11, 0xffff0000, v11
	v_and_b32_e32 v10, 0xffff0000, v10
	v_add_co_u32 v5, vcc_lo, v5, 8
	s_wait_alu 0xfffd
	v_add_co_ci_u32_e64 v6, null, 0, v6, vcc_lo
	s_delay_alu instid0(VALU_DEP_3)
	v_dual_add_f32 v9, v9, v10 :: v_dual_and_b32 v10, 0xffff0000, v12
	s_add_co_i32 s16, s16, 4
	s_add_co_i32 s15, s15, 16
	s_wait_alu 0xfffe
	s_cmp_eq_u32 s2, s16
	v_add_f32_e32 v9, v9, v11
	v_and_b32_e32 v11, 0xffff0000, v13
	s_delay_alu instid0(VALU_DEP_2) | instskip(NEXT) | instid1(VALU_DEP_1)
	v_add_f32_e32 v9, v9, v10
	v_add_f32_e32 v9, v9, v11
	s_cbranch_scc1 .LBB598_62
.LBB598_46:                             ;   Parent Loop BB598_35 Depth=1
                                        ; =>  This Inner Loop Header: Depth=2
	flat_load_u16 v10, v[5:6] offset:-4
	s_wait_loadcnt_dscnt 0x0
	v_dual_mov_b32 v11, s15 :: v_dual_lshlrev_b32 v10, 16, v10
	ds_load_b32 v11, v11
	s_wait_dscnt 0x0
	v_mul_f32_e32 v11, v11, v10
	s_delay_alu instid0(VALU_DEP_1) | instskip(NEXT) | instid1(VALU_DEP_1)
	v_and_b32_e32 v10, 0x7f800000, v11
	v_cmp_ne_u32_e32 vcc_lo, 0x7f800000, v10
                                        ; implicit-def: $vgpr10
	s_and_saveexec_b32 s17, vcc_lo
	s_wait_alu 0xfffe
	s_xor_b32 s17, exec_lo, s17
; %bb.47:                               ;   in Loop: Header=BB598_46 Depth=2
	v_bfe_u32 v10, v11, 16, 1
	s_delay_alu instid0(VALU_DEP_1)
	v_add3_u32 v10, v11, v10, 0x7fff
                                        ; implicit-def: $vgpr11
; %bb.48:                               ;   in Loop: Header=BB598_46 Depth=2
	s_wait_alu 0xfffe
	s_and_not1_saveexec_b32 s17, s17
; %bb.49:                               ;   in Loop: Header=BB598_46 Depth=2
	v_and_b32_e32 v10, 0xffff, v11
	v_or_b32_e32 v12, 0x10000, v11
	s_delay_alu instid0(VALU_DEP_2) | instskip(SKIP_1) | instid1(VALU_DEP_2)
	v_cmp_eq_u32_e32 vcc_lo, 0, v10
	s_wait_alu 0xfffd
	v_cndmask_b32_e32 v10, v12, v11, vcc_lo
; %bb.50:                               ;   in Loop: Header=BB598_46 Depth=2
	s_wait_alu 0xfffe
	s_or_b32 exec_lo, exec_lo, s17
	flat_load_u16 v11, v[5:6] offset:-2
	s_wait_loadcnt_dscnt 0x0
	v_dual_mov_b32 v12, s15 :: v_dual_lshlrev_b32 v11, 16, v11
	ds_load_b32 v12, v12 offset:4
	s_wait_dscnt 0x0
	v_mul_f32_e32 v12, v12, v11
	s_delay_alu instid0(VALU_DEP_1) | instskip(NEXT) | instid1(VALU_DEP_1)
	v_and_b32_e32 v11, 0x7f800000, v12
	v_cmp_ne_u32_e32 vcc_lo, 0x7f800000, v11
                                        ; implicit-def: $vgpr11
	s_and_saveexec_b32 s17, vcc_lo
	s_wait_alu 0xfffe
	s_xor_b32 s17, exec_lo, s17
; %bb.51:                               ;   in Loop: Header=BB598_46 Depth=2
	v_bfe_u32 v11, v12, 16, 1
	s_delay_alu instid0(VALU_DEP_1)
	v_add3_u32 v11, v12, v11, 0x7fff
                                        ; implicit-def: $vgpr12
; %bb.52:                               ;   in Loop: Header=BB598_46 Depth=2
	s_wait_alu 0xfffe
	s_and_not1_saveexec_b32 s17, s17
; %bb.53:                               ;   in Loop: Header=BB598_46 Depth=2
	v_and_b32_e32 v11, 0xffff, v12
	v_or_b32_e32 v13, 0x10000, v12
	s_delay_alu instid0(VALU_DEP_2) | instskip(SKIP_1) | instid1(VALU_DEP_2)
	v_cmp_eq_u32_e32 vcc_lo, 0, v11
	s_wait_alu 0xfffd
	v_cndmask_b32_e32 v11, v13, v12, vcc_lo
; %bb.54:                               ;   in Loop: Header=BB598_46 Depth=2
	s_wait_alu 0xfffe
	s_or_b32 exec_lo, exec_lo, s17
	flat_load_u16 v12, v[5:6]
	s_wait_loadcnt_dscnt 0x0
	v_dual_mov_b32 v13, s15 :: v_dual_lshlrev_b32 v12, 16, v12
	ds_load_b32 v13, v13 offset:8
	s_wait_dscnt 0x0
	v_mul_f32_e32 v13, v13, v12
	s_delay_alu instid0(VALU_DEP_1) | instskip(NEXT) | instid1(VALU_DEP_1)
	v_and_b32_e32 v12, 0x7f800000, v13
	v_cmp_ne_u32_e32 vcc_lo, 0x7f800000, v12
                                        ; implicit-def: $vgpr12
	s_and_saveexec_b32 s17, vcc_lo
	s_wait_alu 0xfffe
	s_xor_b32 s17, exec_lo, s17
; %bb.55:                               ;   in Loop: Header=BB598_46 Depth=2
	v_bfe_u32 v12, v13, 16, 1
	s_delay_alu instid0(VALU_DEP_1)
	v_add3_u32 v12, v13, v12, 0x7fff
                                        ; implicit-def: $vgpr13
; %bb.56:                               ;   in Loop: Header=BB598_46 Depth=2
	s_wait_alu 0xfffe
	s_and_not1_saveexec_b32 s17, s17
; %bb.57:                               ;   in Loop: Header=BB598_46 Depth=2
	v_and_b32_e32 v12, 0xffff, v13
	v_or_b32_e32 v14, 0x10000, v13
	s_delay_alu instid0(VALU_DEP_2) | instskip(SKIP_1) | instid1(VALU_DEP_2)
	v_cmp_eq_u32_e32 vcc_lo, 0, v12
	s_wait_alu 0xfffd
	v_cndmask_b32_e32 v12, v14, v13, vcc_lo
; %bb.58:                               ;   in Loop: Header=BB598_46 Depth=2
	s_wait_alu 0xfffe
	s_or_b32 exec_lo, exec_lo, s17
	flat_load_u16 v13, v[5:6] offset:2
	s_wait_loadcnt_dscnt 0x0
	v_dual_mov_b32 v14, s15 :: v_dual_lshlrev_b32 v13, 16, v13
	ds_load_b32 v14, v14 offset:12
	s_wait_dscnt 0x0
	v_mul_f32_e32 v14, v14, v13
	s_delay_alu instid0(VALU_DEP_1) | instskip(NEXT) | instid1(VALU_DEP_1)
	v_and_b32_e32 v13, 0x7f800000, v14
	v_cmp_ne_u32_e32 vcc_lo, 0x7f800000, v13
                                        ; implicit-def: $vgpr13
	s_and_saveexec_b32 s17, vcc_lo
	s_wait_alu 0xfffe
	s_xor_b32 s17, exec_lo, s17
; %bb.59:                               ;   in Loop: Header=BB598_46 Depth=2
	v_bfe_u32 v13, v14, 16, 1
	s_delay_alu instid0(VALU_DEP_1)
	v_add3_u32 v13, v14, v13, 0x7fff
                                        ; implicit-def: $vgpr14
; %bb.60:                               ;   in Loop: Header=BB598_46 Depth=2
	s_wait_alu 0xfffe
	s_and_not1_saveexec_b32 s17, s17
	s_cbranch_execz .LBB598_45
; %bb.61:                               ;   in Loop: Header=BB598_46 Depth=2
	v_and_b32_e32 v13, 0xffff, v14
	v_or_b32_e32 v15, 0x10000, v14
	s_delay_alu instid0(VALU_DEP_2) | instskip(SKIP_1) | instid1(VALU_DEP_2)
	v_cmp_eq_u32_e32 vcc_lo, 0, v13
	s_wait_alu 0xfffd
	v_cndmask_b32_e32 v13, v15, v14, vcc_lo
	s_branch .LBB598_45
.LBB598_62:                             ;   in Loop: Header=BB598_35 Depth=1
	s_mov_b32 s15, s2
.LBB598_63:                             ;   in Loop: Header=BB598_35 Depth=1
	s_and_not1_b32 vcc_lo, exec_lo, s14
	s_wait_alu 0xfffe
	s_cbranch_vccnz .LBB598_70
; %bb.64:                               ;   in Loop: Header=BB598_35 Depth=1
	s_lshl_b32 s16, s15, 1
	s_lshl_b32 s15, s15, 2
	s_wait_alu 0xfffe
	v_add_co_u32 v5, vcc_lo, v7, s16
	s_wait_alu 0xfffd
	v_add_co_ci_u32_e64 v6, null, 0, v8, vcc_lo
	s_mov_b32 s16, s12
	s_branch .LBB598_66
.LBB598_65:                             ;   in Loop: Header=BB598_66 Depth=2
	s_wait_alu 0xfffe
	s_or_b32 exec_lo, exec_lo, s17
	s_delay_alu instid0(VALU_DEP_1) | instskip(SKIP_3) | instid1(VALU_DEP_3)
	v_and_b32_e32 v10, 0xffff0000, v11
	v_add_co_u32 v5, vcc_lo, v5, 2
	s_wait_alu 0xfffd
	v_add_co_ci_u32_e64 v6, null, 0, v6, vcc_lo
	v_add_f32_e32 v9, v9, v10
	s_add_co_i32 s16, s16, -1
	s_add_co_i32 s15, s15, 4
	s_wait_alu 0xfffe
	s_cmp_lg_u32 s16, 0
	s_cbranch_scc0 .LBB598_70
.LBB598_66:                             ;   Parent Loop BB598_35 Depth=1
                                        ; =>  This Inner Loop Header: Depth=2
	flat_load_u16 v10, v[5:6]
	s_wait_loadcnt_dscnt 0x0
	v_dual_mov_b32 v11, s15 :: v_dual_lshlrev_b32 v10, 16, v10
	ds_load_b32 v11, v11
	s_wait_dscnt 0x0
	v_mul_f32_e32 v10, v11, v10
	s_delay_alu instid0(VALU_DEP_1) | instskip(NEXT) | instid1(VALU_DEP_1)
	v_and_b32_e32 v11, 0x7f800000, v10
	v_cmp_ne_u32_e32 vcc_lo, 0x7f800000, v11
                                        ; implicit-def: $vgpr11
	s_and_saveexec_b32 s17, vcc_lo
	s_wait_alu 0xfffe
	s_xor_b32 s17, exec_lo, s17
; %bb.67:                               ;   in Loop: Header=BB598_66 Depth=2
	v_bfe_u32 v11, v10, 16, 1
	s_delay_alu instid0(VALU_DEP_1)
	v_add3_u32 v11, v10, v11, 0x7fff
                                        ; implicit-def: $vgpr10
; %bb.68:                               ;   in Loop: Header=BB598_66 Depth=2
	s_wait_alu 0xfffe
	s_and_not1_saveexec_b32 s17, s17
	s_cbranch_execz .LBB598_65
; %bb.69:                               ;   in Loop: Header=BB598_66 Depth=2
	v_and_b32_e32 v11, 0xffff, v10
	v_or_b32_e32 v12, 0x10000, v10
	s_delay_alu instid0(VALU_DEP_2) | instskip(SKIP_1) | instid1(VALU_DEP_2)
	v_cmp_eq_u32_e32 vcc_lo, 0, v11
	s_wait_alu 0xfffd
	v_cndmask_b32_e32 v11, v12, v10, vcc_lo
	s_branch .LBB598_65
.LBB598_70:                             ;   in Loop: Header=BB598_35 Depth=1
	s_delay_alu instid0(VALU_DEP_1) | instskip(NEXT) | instid1(VALU_DEP_1)
	v_and_b32_e32 v5, 0x7f800000, v9
	v_cmp_ne_u32_e32 vcc_lo, 0x7f800000, v5
                                        ; implicit-def: $vgpr5
	s_and_saveexec_b32 s15, vcc_lo
	s_wait_alu 0xfffe
	s_xor_b32 s15, exec_lo, s15
; %bb.71:                               ;   in Loop: Header=BB598_35 Depth=1
	v_bfe_u32 v5, v9, 16, 1
	s_delay_alu instid0(VALU_DEP_1)
	v_add3_u32 v5, v9, v5, 0x7fff
                                        ; implicit-def: $vgpr9
; %bb.72:                               ;   in Loop: Header=BB598_35 Depth=1
	s_wait_alu 0xfffe
	s_and_not1_saveexec_b32 s15, s15
	s_cbranch_execz .LBB598_33
; %bb.73:                               ;   in Loop: Header=BB598_35 Depth=1
	v_and_b32_e32 v5, 0xffff, v9
	v_or_b32_e32 v6, 0x10000, v9
	s_delay_alu instid0(VALU_DEP_2) | instskip(SKIP_1) | instid1(VALU_DEP_2)
	v_cmp_eq_u32_e32 vcc_lo, 0, v5
	s_wait_alu 0xfffd
	v_cndmask_b32_e32 v5, v6, v9, vcc_lo
	s_branch .LBB598_33
.LBB598_74:
	s_endpgm
	.section	.rodata,"a",@progbits
	.p2align	6, 0x0
	.amdhsa_kernel _ZL22rocblas_gemvtsm_kernelILb0ELi256EPK16rocblas_bfloat16PKfKPS0_EviiT2_lPKT1_lilSA_lilS7_lPT3_lil
		.amdhsa_group_segment_fixed_size 256
		.amdhsa_private_segment_fixed_size 0
		.amdhsa_kernarg_size 136
		.amdhsa_user_sgpr_count 2
		.amdhsa_user_sgpr_dispatch_ptr 0
		.amdhsa_user_sgpr_queue_ptr 0
		.amdhsa_user_sgpr_kernarg_segment_ptr 1
		.amdhsa_user_sgpr_dispatch_id 0
		.amdhsa_user_sgpr_private_segment_size 0
		.amdhsa_wavefront_size32 1
		.amdhsa_uses_dynamic_stack 0
		.amdhsa_enable_private_segment 0
		.amdhsa_system_sgpr_workgroup_id_x 1
		.amdhsa_system_sgpr_workgroup_id_y 0
		.amdhsa_system_sgpr_workgroup_id_z 0
		.amdhsa_system_sgpr_workgroup_info 0
		.amdhsa_system_vgpr_workitem_id 0
		.amdhsa_next_free_vgpr 16
		.amdhsa_next_free_sgpr 22
		.amdhsa_reserve_vcc 1
		.amdhsa_float_round_mode_32 0
		.amdhsa_float_round_mode_16_64 0
		.amdhsa_float_denorm_mode_32 3
		.amdhsa_float_denorm_mode_16_64 3
		.amdhsa_fp16_overflow 0
		.amdhsa_workgroup_processor_mode 1
		.amdhsa_memory_ordered 1
		.amdhsa_forward_progress 1
		.amdhsa_inst_pref_size 21
		.amdhsa_round_robin_scheduling 0
		.amdhsa_exception_fp_ieee_invalid_op 0
		.amdhsa_exception_fp_denorm_src 0
		.amdhsa_exception_fp_ieee_div_zero 0
		.amdhsa_exception_fp_ieee_overflow 0
		.amdhsa_exception_fp_ieee_underflow 0
		.amdhsa_exception_fp_ieee_inexact 0
		.amdhsa_exception_int_div_zero 0
	.end_amdhsa_kernel
	.section	.text._ZL22rocblas_gemvtsm_kernelILb0ELi256EPK16rocblas_bfloat16PKfKPS0_EviiT2_lPKT1_lilSA_lilS7_lPT3_lil,"axG",@progbits,_ZL22rocblas_gemvtsm_kernelILb0ELi256EPK16rocblas_bfloat16PKfKPS0_EviiT2_lPKT1_lilSA_lilS7_lPT3_lil,comdat
.Lfunc_end598:
	.size	_ZL22rocblas_gemvtsm_kernelILb0ELi256EPK16rocblas_bfloat16PKfKPS0_EviiT2_lPKT1_lilSA_lilS7_lPT3_lil, .Lfunc_end598-_ZL22rocblas_gemvtsm_kernelILb0ELi256EPK16rocblas_bfloat16PKfKPS0_EviiT2_lPKT1_lilSA_lilS7_lPT3_lil
                                        ; -- End function
	.set _ZL22rocblas_gemvtsm_kernelILb0ELi256EPK16rocblas_bfloat16PKfKPS0_EviiT2_lPKT1_lilSA_lilS7_lPT3_lil.num_vgpr, 16
	.set _ZL22rocblas_gemvtsm_kernelILb0ELi256EPK16rocblas_bfloat16PKfKPS0_EviiT2_lPKT1_lilSA_lilS7_lPT3_lil.num_agpr, 0
	.set _ZL22rocblas_gemvtsm_kernelILb0ELi256EPK16rocblas_bfloat16PKfKPS0_EviiT2_lPKT1_lilSA_lilS7_lPT3_lil.numbered_sgpr, 22
	.set _ZL22rocblas_gemvtsm_kernelILb0ELi256EPK16rocblas_bfloat16PKfKPS0_EviiT2_lPKT1_lilSA_lilS7_lPT3_lil.num_named_barrier, 0
	.set _ZL22rocblas_gemvtsm_kernelILb0ELi256EPK16rocblas_bfloat16PKfKPS0_EviiT2_lPKT1_lilSA_lilS7_lPT3_lil.private_seg_size, 0
	.set _ZL22rocblas_gemvtsm_kernelILb0ELi256EPK16rocblas_bfloat16PKfKPS0_EviiT2_lPKT1_lilSA_lilS7_lPT3_lil.uses_vcc, 1
	.set _ZL22rocblas_gemvtsm_kernelILb0ELi256EPK16rocblas_bfloat16PKfKPS0_EviiT2_lPKT1_lilSA_lilS7_lPT3_lil.uses_flat_scratch, 0
	.set _ZL22rocblas_gemvtsm_kernelILb0ELi256EPK16rocblas_bfloat16PKfKPS0_EviiT2_lPKT1_lilSA_lilS7_lPT3_lil.has_dyn_sized_stack, 0
	.set _ZL22rocblas_gemvtsm_kernelILb0ELi256EPK16rocblas_bfloat16PKfKPS0_EviiT2_lPKT1_lilSA_lilS7_lPT3_lil.has_recursion, 0
	.set _ZL22rocblas_gemvtsm_kernelILb0ELi256EPK16rocblas_bfloat16PKfKPS0_EviiT2_lPKT1_lilSA_lilS7_lPT3_lil.has_indirect_call, 0
	.section	.AMDGPU.csdata,"",@progbits
; Kernel info:
; codeLenInByte = 2676
; TotalNumSgprs: 24
; NumVgprs: 16
; ScratchSize: 0
; MemoryBound: 0
; FloatMode: 240
; IeeeMode: 1
; LDSByteSize: 256 bytes/workgroup (compile time only)
; SGPRBlocks: 0
; VGPRBlocks: 1
; NumSGPRsForWavesPerEU: 24
; NumVGPRsForWavesPerEU: 16
; Occupancy: 16
; WaveLimiterHint : 1
; COMPUTE_PGM_RSRC2:SCRATCH_EN: 0
; COMPUTE_PGM_RSRC2:USER_SGPR: 2
; COMPUTE_PGM_RSRC2:TRAP_HANDLER: 0
; COMPUTE_PGM_RSRC2:TGID_X_EN: 1
; COMPUTE_PGM_RSRC2:TGID_Y_EN: 0
; COMPUTE_PGM_RSRC2:TGID_Z_EN: 0
; COMPUTE_PGM_RSRC2:TIDIG_COMP_CNT: 0
	.section	.text._ZL22rocblas_gemvtsm_kernelILb0ELi256EPK16rocblas_bfloat16fKPS0_EviiT2_lPKT1_lilS8_lilS5_lPT3_lil,"axG",@progbits,_ZL22rocblas_gemvtsm_kernelILb0ELi256EPK16rocblas_bfloat16fKPS0_EviiT2_lPKT1_lilS8_lilS5_lPT3_lil,comdat
	.globl	_ZL22rocblas_gemvtsm_kernelILb0ELi256EPK16rocblas_bfloat16fKPS0_EviiT2_lPKT1_lilS8_lilS5_lPT3_lil ; -- Begin function _ZL22rocblas_gemvtsm_kernelILb0ELi256EPK16rocblas_bfloat16fKPS0_EviiT2_lPKT1_lilS8_lilS5_lPT3_lil
	.p2align	8
	.type	_ZL22rocblas_gemvtsm_kernelILb0ELi256EPK16rocblas_bfloat16fKPS0_EviiT2_lPKT1_lilS8_lilS5_lPT3_lil,@function
_ZL22rocblas_gemvtsm_kernelILb0ELi256EPK16rocblas_bfloat16fKPS0_EviiT2_lPKT1_lilS8_lilS5_lPT3_lil: ; @_ZL22rocblas_gemvtsm_kernelILb0ELi256EPK16rocblas_bfloat16fKPS0_EviiT2_lPKT1_lilS8_lilS5_lPT3_lil
; %bb.0:
	s_clause 0x1
	s_load_b96 s[8:10], s[0:1], 0x0
	s_load_b32 s11, s[0:1], 0x58
	s_mov_b32 s5, 0
	s_wait_kmcnt 0x0
	s_cmp_eq_f32 s10, 0
	s_cselect_b32 s2, -1, 0
	s_cmp_eq_f32 s11, 1.0
	s_cselect_b32 s3, -1, 0
	s_delay_alu instid0(SALU_CYCLE_1) | instskip(NEXT) | instid1(SALU_CYCLE_1)
	s_and_b32 s2, s2, s3
	s_and_b32 vcc_lo, exec_lo, s2
	s_cbranch_vccnz .LBB599_76
; %bb.1:
	s_cmp_neq_f32 s10, 0
	s_mov_b32 s4, ttmp9
	s_cselect_b32 s6, -1, 0
	s_cmp_eq_f32 s10, 0
	s_cselect_b32 s16, -1, 0
	s_and_b32 vcc_lo, exec_lo, s6
	s_cbranch_vccnz .LBB599_3
; %bb.2:
	s_mov_b32 s3, 0
	s_mov_b32 s2, ttmp9
	s_mov_b32 s7, s3
	s_mov_b64 s[14:15], 0
	s_and_not1_b32 vcc_lo, exec_lo, s7
	s_mov_b64 s[12:13], 0
	s_cbranch_vccz .LBB599_4
	s_branch .LBB599_5
.LBB599_3:
	s_mov_b64 s[2:3], s[4:5]
	s_mov_b64 s[14:15], 0
	;; [unrolled: 1-line block ×3, first 2 shown]
.LBB599_4:
	s_load_b128 s[20:23], s[0:1], 0x18
	s_lshl_b64 s[4:5], s[4:5], 3
	s_wait_kmcnt 0x0
	s_add_nc_u64 s[4:5], s[20:21], s[4:5]
	s_lshl_b64 s[12:13], s[22:23], 1
	s_load_b64 s[4:5], s[4:5], 0x0
	s_wait_kmcnt 0x0
	s_add_nc_u64 s[12:13], s[4:5], s[12:13]
.LBB599_5:
	s_and_not1_b32 vcc_lo, exec_lo, s6
	s_cbranch_vccnz .LBB599_7
; %bb.6:
	s_load_b128 s[4:7], s[0:1], 0x38
	s_lshl_b64 s[14:15], s[2:3], 3
	s_wait_kmcnt 0x0
	s_add_nc_u64 s[4:5], s[4:5], s[14:15]
	s_lshl_b64 s[6:7], s[6:7], 1
	s_load_b64 s[4:5], s[4:5], 0x0
	s_wait_kmcnt 0x0
	s_add_nc_u64 s[14:15], s[4:5], s[6:7]
.LBB599_7:
	s_load_b128 s[4:7], s[0:1], 0x68
	s_lshl_b64 s[18:19], s[2:3], 3
	s_load_b32 s2, s[0:1], 0x78
	s_and_not1_b32 vcc_lo, exec_lo, s16
	s_mov_b32 s3, -1
	s_wait_kmcnt 0x0
	s_add_nc_u64 s[4:5], s[4:5], s[18:19]
	s_load_b64 s[4:5], s[4:5], 0x0
	s_cbranch_vccnz .LBB599_26
; %bb.8:
	s_cmp_gt_i32 s9, 0
	s_cselect_b32 s18, -1, 0
	s_cmp_neq_f32 s11, 0
	v_cndmask_b32_e64 v1, 0, 1, s18
	s_delay_alu instid0(VALU_DEP_1)
	v_cmp_ne_u32_e32 vcc_lo, 1, v1
	s_cbranch_scc1 .LBB599_15
; %bb.9:
	s_and_b32 vcc_lo, exec_lo, vcc_lo
	s_cbranch_vccnz .LBB599_14
; %bb.10:
	v_mad_co_i64_i32 v[1:2], null, s2, v0, 0
	s_lshl_b64 s[16:17], s[6:7], 1
	v_mov_b32_e32 v3, 0
	s_wait_kmcnt 0x0
	s_add_nc_u64 s[16:17], s[4:5], s[16:17]
	s_ashr_i32 s3, s2, 31
	v_lshlrev_b64_e32 v[1:2], 1, v[1:2]
	s_delay_alu instid0(VALU_DEP_1) | instskip(NEXT) | instid1(VALU_DEP_1)
	v_add_co_u32 v1, vcc_lo, s16, v1
	v_add_co_ci_u32_e64 v2, null, s17, v2, vcc_lo
	s_wait_alu 0xfffe
	s_lshl_b64 s[16:17], s[2:3], 9
	s_mov_b32 s3, 0
	s_branch .LBB599_12
.LBB599_11:                             ;   in Loop: Header=BB599_12 Depth=1
	s_wait_alu 0xfffe
	s_or_b32 exec_lo, exec_lo, s19
	v_add_co_u32 v1, vcc_lo, v1, s16
	s_wait_alu 0xfffd
	v_add_co_ci_u32_e64 v2, null, s17, v2, vcc_lo
	s_addk_co_i32 s3, 0x100
	s_wait_alu 0xfffe
	s_cmp_ge_i32 s3, s9
	s_cbranch_scc1 .LBB599_14
.LBB599_12:                             ; =>This Inner Loop Header: Depth=1
	s_wait_alu 0xfffe
	v_add_nc_u32_e32 v4, s3, v0
	s_mov_b32 s19, exec_lo
	s_delay_alu instid0(VALU_DEP_1)
	v_cmpx_gt_i32_e64 s9, v4
	s_cbranch_execz .LBB599_11
; %bb.13:                               ;   in Loop: Header=BB599_12 Depth=1
	flat_store_b16 v[1:2], v3
	s_branch .LBB599_11
.LBB599_14:
	s_mov_b32 s3, 0
.LBB599_15:
	s_wait_alu 0xfffe
	s_and_not1_b32 vcc_lo, exec_lo, s3
	s_wait_alu 0xfffe
	s_cbranch_vccnz .LBB599_25
; %bb.16:
	s_and_not1_b32 vcc_lo, exec_lo, s18
	s_wait_alu 0xfffe
	s_cbranch_vccnz .LBB599_25
; %bb.17:
	v_mad_co_i64_i32 v[1:2], null, s2, v0, 0
	s_lshl_b64 s[16:17], s[6:7], 1
	s_ashr_i32 s3, s2, 31
	s_wait_kmcnt 0x0
	s_wait_alu 0xfffe
	s_add_nc_u64 s[16:17], s[4:5], s[16:17]
	v_lshlrev_b64_e32 v[1:2], 1, v[1:2]
	s_wait_alu 0xfffe
	s_delay_alu instid0(VALU_DEP_1) | instskip(SKIP_1) | instid1(VALU_DEP_2)
	v_add_co_u32 v1, vcc_lo, s16, v1
	s_wait_alu 0xfffd
	v_add_co_ci_u32_e64 v2, null, s17, v2, vcc_lo
	s_lshl_b64 s[16:17], s[2:3], 9
	s_mov_b32 s3, 0
	s_branch .LBB599_20
.LBB599_18:                             ;   in Loop: Header=BB599_20 Depth=1
	s_wait_alu 0xfffe
	s_or_b32 exec_lo, exec_lo, s19
	flat_store_d16_hi_b16 v[1:2], v4
.LBB599_19:                             ;   in Loop: Header=BB599_20 Depth=1
	s_wait_alu 0xfffe
	s_or_b32 exec_lo, exec_lo, s18
	v_add_co_u32 v1, vcc_lo, v1, s16
	s_wait_alu 0xfffd
	v_add_co_ci_u32_e64 v2, null, s17, v2, vcc_lo
	s_addk_co_i32 s3, 0x100
	s_wait_alu 0xfffe
	s_cmp_ge_i32 s3, s9
	s_cbranch_scc1 .LBB599_25
.LBB599_20:                             ; =>This Inner Loop Header: Depth=1
	s_wait_alu 0xfffe
	v_add_nc_u32_e32 v3, s3, v0
	s_mov_b32 s18, exec_lo
	s_delay_alu instid0(VALU_DEP_1)
	v_cmpx_gt_i32_e64 s9, v3
	s_cbranch_execz .LBB599_19
; %bb.21:                               ;   in Loop: Header=BB599_20 Depth=1
	flat_load_u16 v3, v[1:2]
	s_wait_loadcnt_dscnt 0x0
	v_lshlrev_b32_e32 v3, 16, v3
	s_delay_alu instid0(VALU_DEP_1) | instskip(NEXT) | instid1(VALU_DEP_1)
	v_mul_f32_e32 v3, s11, v3
	v_and_b32_e32 v4, 0x7f800000, v3
	s_delay_alu instid0(VALU_DEP_1)
	v_cmp_ne_u32_e32 vcc_lo, 0x7f800000, v4
                                        ; implicit-def: $vgpr4
	s_and_saveexec_b32 s19, vcc_lo
	s_wait_alu 0xfffe
	s_xor_b32 s19, exec_lo, s19
; %bb.22:                               ;   in Loop: Header=BB599_20 Depth=1
	v_bfe_u32 v4, v3, 16, 1
	s_delay_alu instid0(VALU_DEP_1)
	v_add3_u32 v4, v3, v4, 0x7fff
                                        ; implicit-def: $vgpr3
; %bb.23:                               ;   in Loop: Header=BB599_20 Depth=1
	s_wait_alu 0xfffe
	s_and_not1_saveexec_b32 s19, s19
	s_cbranch_execz .LBB599_18
; %bb.24:                               ;   in Loop: Header=BB599_20 Depth=1
	v_and_b32_e32 v4, 0xffff, v3
	v_or_b32_e32 v5, 0x10000, v3
	s_delay_alu instid0(VALU_DEP_2) | instskip(SKIP_1) | instid1(VALU_DEP_2)
	v_cmp_eq_u32_e32 vcc_lo, 0, v4
	s_wait_alu 0xfffd
	v_cndmask_b32_e32 v4, v5, v3, vcc_lo
	s_branch .LBB599_18
.LBB599_25:
	s_mov_b32 s3, 0
.LBB599_26:
	s_wait_alu 0xfffe
	s_and_not1_b32 vcc_lo, exec_lo, s3
	s_wait_alu 0xfffe
	s_cbranch_vccnz .LBB599_76
; %bb.27:
	s_mov_b32 s3, exec_lo
	v_cmpx_gt_i32_e64 s8, v0
	s_cbranch_execz .LBB599_33
; %bb.28:
	s_load_b32 s16, s[0:1], 0x48
	s_wait_kmcnt 0x0
	v_mad_co_i64_i32 v[1:2], null, s16, v0, 0
	s_delay_alu instid0(VALU_DEP_1) | instskip(NEXT) | instid1(VALU_DEP_1)
	v_lshlrev_b64_e32 v[1:2], 1, v[1:2]
	v_add_co_u32 v1, vcc_lo, s14, v1
	s_wait_alu 0xfffd
	s_delay_alu instid0(VALU_DEP_2) | instskip(SKIP_3) | instid1(VALU_DEP_1)
	v_add_co_ci_u32_e64 v2, null, s15, v2, vcc_lo
	flat_load_u16 v1, v[1:2]
	s_wait_loadcnt_dscnt 0x0
	v_lshlrev_b32_e32 v1, 16, v1
	v_mul_f32_e32 v1, s10, v1
	s_delay_alu instid0(VALU_DEP_1) | instskip(NEXT) | instid1(VALU_DEP_1)
	v_and_b32_e32 v2, 0x7f800000, v1
	v_cmp_ne_u32_e32 vcc_lo, 0x7f800000, v2
                                        ; implicit-def: $vgpr2
	s_and_saveexec_b32 s10, vcc_lo
	s_wait_alu 0xfffe
	s_xor_b32 s10, exec_lo, s10
; %bb.29:
	v_bfe_u32 v2, v1, 16, 1
	s_delay_alu instid0(VALU_DEP_1)
	v_add3_u32 v2, v1, v2, 0x7fff
                                        ; implicit-def: $vgpr1
; %bb.30:
	s_wait_alu 0xfffe
	s_and_not1_saveexec_b32 s10, s10
; %bb.31:
	v_and_b32_e32 v2, 0xffff, v1
	v_or_b32_e32 v3, 0x10000, v1
	s_delay_alu instid0(VALU_DEP_2) | instskip(SKIP_1) | instid1(VALU_DEP_2)
	v_cmp_eq_u32_e32 vcc_lo, 0, v2
	s_wait_alu 0xfffd
	v_cndmask_b32_e32 v2, v3, v1, vcc_lo
; %bb.32:
	s_wait_alu 0xfffe
	s_or_b32 exec_lo, exec_lo, s10
	s_delay_alu instid0(VALU_DEP_1)
	v_and_b32_e32 v1, 0xffff0000, v2
	v_lshlrev_b32_e32 v2, 2, v0
	ds_store_b32 v2, v1
.LBB599_33:
	s_wait_alu 0xfffe
	s_or_b32 exec_lo, exec_lo, s3
	s_cmp_lt_i32 s9, 1
	s_wait_storecnt_dscnt 0x0
	s_barrier_signal -1
	s_barrier_wait -1
	global_inv scope:SCOPE_SE
	s_cbranch_scc1 .LBB599_76
; %bb.34:
	s_load_b32 s16, s[0:1], 0x28
	s_lshl_b64 s[0:1], s[6:7], 1
	s_ashr_i32 s3, s2, 31
	s_wait_kmcnt 0x0
	s_add_nc_u64 s[0:1], s[4:5], s[0:1]
	v_mad_co_i64_i32 v[1:2], null, s16, v0, 0
	s_ashr_i32 s17, s16, 31
	s_cmp_neq_f32 s11, 0
	s_cselect_b32 s6, -1, 0
	v_lshlrev_b64_e32 v[1:2], 1, v[1:2]
	s_cmp_gt_i32 s8, 0
	s_cselect_b32 s7, -1, 0
	s_and_b32 s10, s8, 3
	s_cmp_gt_u32 s8, 3
	s_delay_alu instid0(VALU_DEP_1)
	v_add_co_u32 v7, vcc_lo, s12, v1
	s_wait_alu 0xfffd
	v_add_co_ci_u32_e64 v8, null, s13, v2, vcc_lo
	s_cselect_b32 s14, -1, 0
	v_add_co_u32 v1, vcc_lo, v7, 4
	s_and_b32 s8, s8, 0x7ffffffc
	s_wait_alu 0xfffd
	v_add_co_ci_u32_e64 v2, null, 0, v8, vcc_lo
	s_wait_alu 0xfffe
	s_cmp_lg_u32 s10, 0
	s_mov_b32 s13, 0
	s_cselect_b32 s12, -1, 0
	s_lshl_b64 s[4:5], s[16:17], 9
	s_branch .LBB599_37
.LBB599_35:                             ;   in Loop: Header=BB599_37 Depth=1
	s_wait_alu 0xfffe
	s_or_b32 exec_lo, exec_lo, s16
	v_add_co_u32 v3, vcc_lo, s0, v3
	s_wait_alu 0xfffd
	v_add_co_ci_u32_e64 v4, null, s1, v4, vcc_lo
	flat_store_d16_hi_b16 v[3:4], v5
.LBB599_36:                             ;   in Loop: Header=BB599_37 Depth=1
	s_wait_alu 0xfffe
	s_or_b32 exec_lo, exec_lo, s15
	v_add_co_u32 v1, vcc_lo, v1, s4
	s_wait_alu 0xfffd
	v_add_co_ci_u32_e64 v2, null, s5, v2, vcc_lo
	v_add_co_u32 v7, vcc_lo, v7, s4
	s_wait_alu 0xfffd
	v_add_co_ci_u32_e64 v8, null, s5, v8, vcc_lo
	s_addk_co_i32 s13, 0x100
	s_wait_alu 0xfffe
	s_cmp_ge_i32 s13, s9
	s_cbranch_scc1 .LBB599_76
.LBB599_37:                             ; =>This Loop Header: Depth=1
                                        ;     Child Loop BB599_48 Depth 2
                                        ;     Child Loop BB599_68 Depth 2
	s_wait_alu 0xfffe
	v_add_nc_u32_e32 v3, s13, v0
	s_mov_b32 s15, exec_lo
	s_delay_alu instid0(VALU_DEP_1)
	v_cmpx_gt_i32_e64 s9, v3
	s_cbranch_execz .LBB599_36
; %bb.38:                               ;   in Loop: Header=BB599_37 Depth=1
	v_mad_co_u64_u32 v[4:5], null, v3, s2, 0
	s_and_not1_b32 vcc_lo, exec_lo, s6
	v_mad_co_u64_u32 v[5:6], null, v3, s3, v[5:6]
	s_delay_alu instid0(VALU_DEP_1)
	v_lshlrev_b64_e32 v[3:4], 1, v[4:5]
	s_wait_alu 0xfffe
	s_cbranch_vccnz .LBB599_44
; %bb.39:                               ;   in Loop: Header=BB599_37 Depth=1
	s_delay_alu instid0(VALU_DEP_1) | instskip(SKIP_1) | instid1(VALU_DEP_2)
	v_add_co_u32 v5, vcc_lo, s0, v3
	s_wait_alu 0xfffd
	v_add_co_ci_u32_e64 v6, null, s1, v4, vcc_lo
	flat_load_u16 v5, v[5:6]
	s_wait_loadcnt_dscnt 0x0
	v_lshlrev_b32_e32 v5, 16, v5
	s_delay_alu instid0(VALU_DEP_1) | instskip(NEXT) | instid1(VALU_DEP_1)
	v_mul_f32_e32 v5, s11, v5
	v_and_b32_e32 v6, 0x7f800000, v5
	s_delay_alu instid0(VALU_DEP_1)
	v_cmp_ne_u32_e32 vcc_lo, 0x7f800000, v6
                                        ; implicit-def: $vgpr6
	s_and_saveexec_b32 s16, vcc_lo
	s_wait_alu 0xfffe
	s_xor_b32 s16, exec_lo, s16
; %bb.40:                               ;   in Loop: Header=BB599_37 Depth=1
	v_bfe_u32 v6, v5, 16, 1
	s_delay_alu instid0(VALU_DEP_1)
	v_add3_u32 v6, v5, v6, 0x7fff
                                        ; implicit-def: $vgpr5
; %bb.41:                               ;   in Loop: Header=BB599_37 Depth=1
	s_wait_alu 0xfffe
	s_and_not1_saveexec_b32 s16, s16
; %bb.42:                               ;   in Loop: Header=BB599_37 Depth=1
	v_and_b32_e32 v6, 0xffff, v5
	v_or_b32_e32 v9, 0x10000, v5
	s_delay_alu instid0(VALU_DEP_2) | instskip(SKIP_1) | instid1(VALU_DEP_2)
	v_cmp_eq_u32_e32 vcc_lo, 0, v6
	s_wait_alu 0xfffd
	v_cndmask_b32_e32 v6, v9, v5, vcc_lo
; %bb.43:                               ;   in Loop: Header=BB599_37 Depth=1
	s_wait_alu 0xfffe
	s_or_b32 exec_lo, exec_lo, s16
	s_delay_alu instid0(VALU_DEP_1) | instskip(NEXT) | instid1(VALU_DEP_1)
	v_and_b32_e32 v5, 0xffff0000, v6
	v_cvt_i32_f32_e32 v5, v5
	s_delay_alu instid0(VALU_DEP_1)
	v_cvt_f32_i32_e32 v9, v5
	s_and_not1_b32 vcc_lo, exec_lo, s7
	s_wait_alu 0xfffe
	s_cbranch_vccz .LBB599_45
	s_branch .LBB599_72
.LBB599_44:                             ;   in Loop: Header=BB599_37 Depth=1
	v_mov_b32_e32 v9, 0
	s_and_not1_b32 vcc_lo, exec_lo, s7
	s_wait_alu 0xfffe
	s_cbranch_vccnz .LBB599_72
.LBB599_45:                             ;   in Loop: Header=BB599_37 Depth=1
	s_and_not1_b32 vcc_lo, exec_lo, s14
	s_mov_b32 s16, 0
	s_wait_alu 0xfffe
	s_cbranch_vccnz .LBB599_65
; %bb.46:                               ;   in Loop: Header=BB599_37 Depth=1
	v_dual_mov_b32 v6, v2 :: v_dual_mov_b32 v5, v1
	s_mov_b32 s17, 0
	s_branch .LBB599_48
.LBB599_47:                             ;   in Loop: Header=BB599_48 Depth=2
	s_wait_alu 0xfffe
	s_or_b32 exec_lo, exec_lo, s18
	v_and_b32_e32 v11, 0xffff0000, v11
	v_and_b32_e32 v10, 0xffff0000, v10
	v_add_co_u32 v5, vcc_lo, v5, 8
	s_wait_alu 0xfffd
	v_add_co_ci_u32_e64 v6, null, 0, v6, vcc_lo
	s_delay_alu instid0(VALU_DEP_3)
	v_dual_add_f32 v9, v9, v10 :: v_dual_and_b32 v10, 0xffff0000, v12
	s_add_co_i32 s17, s17, 4
	s_add_co_i32 s16, s16, 16
	s_wait_alu 0xfffe
	s_cmp_eq_u32 s8, s17
	v_add_f32_e32 v9, v9, v11
	v_and_b32_e32 v11, 0xffff0000, v13
	s_delay_alu instid0(VALU_DEP_2) | instskip(NEXT) | instid1(VALU_DEP_1)
	v_add_f32_e32 v9, v9, v10
	v_add_f32_e32 v9, v9, v11
	s_cbranch_scc1 .LBB599_64
.LBB599_48:                             ;   Parent Loop BB599_37 Depth=1
                                        ; =>  This Inner Loop Header: Depth=2
	flat_load_u16 v10, v[5:6] offset:-4
	s_wait_loadcnt_dscnt 0x0
	v_dual_mov_b32 v11, s16 :: v_dual_lshlrev_b32 v10, 16, v10
	ds_load_b32 v11, v11
	s_wait_dscnt 0x0
	v_mul_f32_e32 v11, v11, v10
	s_delay_alu instid0(VALU_DEP_1) | instskip(NEXT) | instid1(VALU_DEP_1)
	v_and_b32_e32 v10, 0x7f800000, v11
	v_cmp_ne_u32_e32 vcc_lo, 0x7f800000, v10
                                        ; implicit-def: $vgpr10
	s_and_saveexec_b32 s18, vcc_lo
	s_wait_alu 0xfffe
	s_xor_b32 s18, exec_lo, s18
; %bb.49:                               ;   in Loop: Header=BB599_48 Depth=2
	v_bfe_u32 v10, v11, 16, 1
	s_delay_alu instid0(VALU_DEP_1)
	v_add3_u32 v10, v11, v10, 0x7fff
                                        ; implicit-def: $vgpr11
; %bb.50:                               ;   in Loop: Header=BB599_48 Depth=2
	s_wait_alu 0xfffe
	s_and_not1_saveexec_b32 s18, s18
; %bb.51:                               ;   in Loop: Header=BB599_48 Depth=2
	v_and_b32_e32 v10, 0xffff, v11
	v_or_b32_e32 v12, 0x10000, v11
	s_delay_alu instid0(VALU_DEP_2) | instskip(SKIP_1) | instid1(VALU_DEP_2)
	v_cmp_eq_u32_e32 vcc_lo, 0, v10
	s_wait_alu 0xfffd
	v_cndmask_b32_e32 v10, v12, v11, vcc_lo
; %bb.52:                               ;   in Loop: Header=BB599_48 Depth=2
	s_wait_alu 0xfffe
	s_or_b32 exec_lo, exec_lo, s18
	flat_load_u16 v11, v[5:6] offset:-2
	s_wait_loadcnt_dscnt 0x0
	v_dual_mov_b32 v12, s16 :: v_dual_lshlrev_b32 v11, 16, v11
	ds_load_b32 v12, v12 offset:4
	s_wait_dscnt 0x0
	v_mul_f32_e32 v12, v12, v11
	s_delay_alu instid0(VALU_DEP_1) | instskip(NEXT) | instid1(VALU_DEP_1)
	v_and_b32_e32 v11, 0x7f800000, v12
	v_cmp_ne_u32_e32 vcc_lo, 0x7f800000, v11
                                        ; implicit-def: $vgpr11
	s_and_saveexec_b32 s18, vcc_lo
	s_wait_alu 0xfffe
	s_xor_b32 s18, exec_lo, s18
; %bb.53:                               ;   in Loop: Header=BB599_48 Depth=2
	v_bfe_u32 v11, v12, 16, 1
	s_delay_alu instid0(VALU_DEP_1)
	v_add3_u32 v11, v12, v11, 0x7fff
                                        ; implicit-def: $vgpr12
; %bb.54:                               ;   in Loop: Header=BB599_48 Depth=2
	s_wait_alu 0xfffe
	s_and_not1_saveexec_b32 s18, s18
; %bb.55:                               ;   in Loop: Header=BB599_48 Depth=2
	v_and_b32_e32 v11, 0xffff, v12
	v_or_b32_e32 v13, 0x10000, v12
	s_delay_alu instid0(VALU_DEP_2) | instskip(SKIP_1) | instid1(VALU_DEP_2)
	v_cmp_eq_u32_e32 vcc_lo, 0, v11
	s_wait_alu 0xfffd
	v_cndmask_b32_e32 v11, v13, v12, vcc_lo
; %bb.56:                               ;   in Loop: Header=BB599_48 Depth=2
	s_wait_alu 0xfffe
	s_or_b32 exec_lo, exec_lo, s18
	flat_load_u16 v12, v[5:6]
	s_wait_loadcnt_dscnt 0x0
	v_dual_mov_b32 v13, s16 :: v_dual_lshlrev_b32 v12, 16, v12
	ds_load_b32 v13, v13 offset:8
	s_wait_dscnt 0x0
	v_mul_f32_e32 v13, v13, v12
	s_delay_alu instid0(VALU_DEP_1) | instskip(NEXT) | instid1(VALU_DEP_1)
	v_and_b32_e32 v12, 0x7f800000, v13
	v_cmp_ne_u32_e32 vcc_lo, 0x7f800000, v12
                                        ; implicit-def: $vgpr12
	s_and_saveexec_b32 s18, vcc_lo
	s_wait_alu 0xfffe
	s_xor_b32 s18, exec_lo, s18
; %bb.57:                               ;   in Loop: Header=BB599_48 Depth=2
	v_bfe_u32 v12, v13, 16, 1
	s_delay_alu instid0(VALU_DEP_1)
	v_add3_u32 v12, v13, v12, 0x7fff
                                        ; implicit-def: $vgpr13
; %bb.58:                               ;   in Loop: Header=BB599_48 Depth=2
	s_wait_alu 0xfffe
	s_and_not1_saveexec_b32 s18, s18
; %bb.59:                               ;   in Loop: Header=BB599_48 Depth=2
	v_and_b32_e32 v12, 0xffff, v13
	v_or_b32_e32 v14, 0x10000, v13
	s_delay_alu instid0(VALU_DEP_2) | instskip(SKIP_1) | instid1(VALU_DEP_2)
	v_cmp_eq_u32_e32 vcc_lo, 0, v12
	s_wait_alu 0xfffd
	v_cndmask_b32_e32 v12, v14, v13, vcc_lo
; %bb.60:                               ;   in Loop: Header=BB599_48 Depth=2
	s_wait_alu 0xfffe
	s_or_b32 exec_lo, exec_lo, s18
	flat_load_u16 v13, v[5:6] offset:2
	s_wait_loadcnt_dscnt 0x0
	v_dual_mov_b32 v14, s16 :: v_dual_lshlrev_b32 v13, 16, v13
	ds_load_b32 v14, v14 offset:12
	s_wait_dscnt 0x0
	v_mul_f32_e32 v14, v14, v13
	s_delay_alu instid0(VALU_DEP_1) | instskip(NEXT) | instid1(VALU_DEP_1)
	v_and_b32_e32 v13, 0x7f800000, v14
	v_cmp_ne_u32_e32 vcc_lo, 0x7f800000, v13
                                        ; implicit-def: $vgpr13
	s_and_saveexec_b32 s18, vcc_lo
	s_wait_alu 0xfffe
	s_xor_b32 s18, exec_lo, s18
; %bb.61:                               ;   in Loop: Header=BB599_48 Depth=2
	v_bfe_u32 v13, v14, 16, 1
	s_delay_alu instid0(VALU_DEP_1)
	v_add3_u32 v13, v14, v13, 0x7fff
                                        ; implicit-def: $vgpr14
; %bb.62:                               ;   in Loop: Header=BB599_48 Depth=2
	s_wait_alu 0xfffe
	s_and_not1_saveexec_b32 s18, s18
	s_cbranch_execz .LBB599_47
; %bb.63:                               ;   in Loop: Header=BB599_48 Depth=2
	v_and_b32_e32 v13, 0xffff, v14
	v_or_b32_e32 v15, 0x10000, v14
	s_delay_alu instid0(VALU_DEP_2) | instskip(SKIP_1) | instid1(VALU_DEP_2)
	v_cmp_eq_u32_e32 vcc_lo, 0, v13
	s_wait_alu 0xfffd
	v_cndmask_b32_e32 v13, v15, v14, vcc_lo
	s_branch .LBB599_47
.LBB599_64:                             ;   in Loop: Header=BB599_37 Depth=1
	s_mov_b32 s16, s8
.LBB599_65:                             ;   in Loop: Header=BB599_37 Depth=1
	s_and_not1_b32 vcc_lo, exec_lo, s12
	s_wait_alu 0xfffe
	s_cbranch_vccnz .LBB599_72
; %bb.66:                               ;   in Loop: Header=BB599_37 Depth=1
	s_lshl_b32 s17, s16, 1
	s_lshl_b32 s16, s16, 2
	s_wait_alu 0xfffe
	v_add_co_u32 v5, vcc_lo, v7, s17
	s_wait_alu 0xfffd
	v_add_co_ci_u32_e64 v6, null, 0, v8, vcc_lo
	s_mov_b32 s17, s10
	s_branch .LBB599_68
.LBB599_67:                             ;   in Loop: Header=BB599_68 Depth=2
	s_wait_alu 0xfffe
	s_or_b32 exec_lo, exec_lo, s18
	s_delay_alu instid0(VALU_DEP_1) | instskip(SKIP_3) | instid1(VALU_DEP_3)
	v_and_b32_e32 v10, 0xffff0000, v11
	v_add_co_u32 v5, vcc_lo, v5, 2
	s_wait_alu 0xfffd
	v_add_co_ci_u32_e64 v6, null, 0, v6, vcc_lo
	v_add_f32_e32 v9, v9, v10
	s_add_co_i32 s17, s17, -1
	s_add_co_i32 s16, s16, 4
	s_wait_alu 0xfffe
	s_cmp_lg_u32 s17, 0
	s_cbranch_scc0 .LBB599_72
.LBB599_68:                             ;   Parent Loop BB599_37 Depth=1
                                        ; =>  This Inner Loop Header: Depth=2
	flat_load_u16 v10, v[5:6]
	s_wait_loadcnt_dscnt 0x0
	v_dual_mov_b32 v11, s16 :: v_dual_lshlrev_b32 v10, 16, v10
	ds_load_b32 v11, v11
	s_wait_dscnt 0x0
	v_mul_f32_e32 v10, v11, v10
	s_delay_alu instid0(VALU_DEP_1) | instskip(NEXT) | instid1(VALU_DEP_1)
	v_and_b32_e32 v11, 0x7f800000, v10
	v_cmp_ne_u32_e32 vcc_lo, 0x7f800000, v11
                                        ; implicit-def: $vgpr11
	s_and_saveexec_b32 s18, vcc_lo
	s_wait_alu 0xfffe
	s_xor_b32 s18, exec_lo, s18
; %bb.69:                               ;   in Loop: Header=BB599_68 Depth=2
	v_bfe_u32 v11, v10, 16, 1
	s_delay_alu instid0(VALU_DEP_1)
	v_add3_u32 v11, v10, v11, 0x7fff
                                        ; implicit-def: $vgpr10
; %bb.70:                               ;   in Loop: Header=BB599_68 Depth=2
	s_wait_alu 0xfffe
	s_and_not1_saveexec_b32 s18, s18
	s_cbranch_execz .LBB599_67
; %bb.71:                               ;   in Loop: Header=BB599_68 Depth=2
	v_and_b32_e32 v11, 0xffff, v10
	v_or_b32_e32 v12, 0x10000, v10
	s_delay_alu instid0(VALU_DEP_2) | instskip(SKIP_1) | instid1(VALU_DEP_2)
	v_cmp_eq_u32_e32 vcc_lo, 0, v11
	s_wait_alu 0xfffd
	v_cndmask_b32_e32 v11, v12, v10, vcc_lo
	s_branch .LBB599_67
.LBB599_72:                             ;   in Loop: Header=BB599_37 Depth=1
	s_delay_alu instid0(VALU_DEP_1) | instskip(NEXT) | instid1(VALU_DEP_1)
	v_and_b32_e32 v5, 0x7f800000, v9
	v_cmp_ne_u32_e32 vcc_lo, 0x7f800000, v5
                                        ; implicit-def: $vgpr5
	s_and_saveexec_b32 s16, vcc_lo
	s_wait_alu 0xfffe
	s_xor_b32 s16, exec_lo, s16
; %bb.73:                               ;   in Loop: Header=BB599_37 Depth=1
	v_bfe_u32 v5, v9, 16, 1
	s_delay_alu instid0(VALU_DEP_1)
	v_add3_u32 v5, v9, v5, 0x7fff
                                        ; implicit-def: $vgpr9
; %bb.74:                               ;   in Loop: Header=BB599_37 Depth=1
	s_wait_alu 0xfffe
	s_and_not1_saveexec_b32 s16, s16
	s_cbranch_execz .LBB599_35
; %bb.75:                               ;   in Loop: Header=BB599_37 Depth=1
	v_and_b32_e32 v5, 0xffff, v9
	v_or_b32_e32 v6, 0x10000, v9
	s_delay_alu instid0(VALU_DEP_2) | instskip(SKIP_1) | instid1(VALU_DEP_2)
	v_cmp_eq_u32_e32 vcc_lo, 0, v5
	s_wait_alu 0xfffd
	v_cndmask_b32_e32 v5, v6, v9, vcc_lo
	s_branch .LBB599_35
.LBB599_76:
	s_endpgm
	.section	.rodata,"a",@progbits
	.p2align	6, 0x0
	.amdhsa_kernel _ZL22rocblas_gemvtsm_kernelILb0ELi256EPK16rocblas_bfloat16fKPS0_EviiT2_lPKT1_lilS8_lilS5_lPT3_lil
		.amdhsa_group_segment_fixed_size 256
		.amdhsa_private_segment_fixed_size 0
		.amdhsa_kernarg_size 136
		.amdhsa_user_sgpr_count 2
		.amdhsa_user_sgpr_dispatch_ptr 0
		.amdhsa_user_sgpr_queue_ptr 0
		.amdhsa_user_sgpr_kernarg_segment_ptr 1
		.amdhsa_user_sgpr_dispatch_id 0
		.amdhsa_user_sgpr_private_segment_size 0
		.amdhsa_wavefront_size32 1
		.amdhsa_uses_dynamic_stack 0
		.amdhsa_enable_private_segment 0
		.amdhsa_system_sgpr_workgroup_id_x 1
		.amdhsa_system_sgpr_workgroup_id_y 0
		.amdhsa_system_sgpr_workgroup_id_z 0
		.amdhsa_system_sgpr_workgroup_info 0
		.amdhsa_system_vgpr_workitem_id 0
		.amdhsa_next_free_vgpr 16
		.amdhsa_next_free_sgpr 24
		.amdhsa_reserve_vcc 1
		.amdhsa_float_round_mode_32 0
		.amdhsa_float_round_mode_16_64 0
		.amdhsa_float_denorm_mode_32 3
		.amdhsa_float_denorm_mode_16_64 3
		.amdhsa_fp16_overflow 0
		.amdhsa_workgroup_processor_mode 1
		.amdhsa_memory_ordered 1
		.amdhsa_forward_progress 1
		.amdhsa_inst_pref_size 21
		.amdhsa_round_robin_scheduling 0
		.amdhsa_exception_fp_ieee_invalid_op 0
		.amdhsa_exception_fp_denorm_src 0
		.amdhsa_exception_fp_ieee_div_zero 0
		.amdhsa_exception_fp_ieee_overflow 0
		.amdhsa_exception_fp_ieee_underflow 0
		.amdhsa_exception_fp_ieee_inexact 0
		.amdhsa_exception_int_div_zero 0
	.end_amdhsa_kernel
	.section	.text._ZL22rocblas_gemvtsm_kernelILb0ELi256EPK16rocblas_bfloat16fKPS0_EviiT2_lPKT1_lilS8_lilS5_lPT3_lil,"axG",@progbits,_ZL22rocblas_gemvtsm_kernelILb0ELi256EPK16rocblas_bfloat16fKPS0_EviiT2_lPKT1_lilS8_lilS5_lPT3_lil,comdat
.Lfunc_end599:
	.size	_ZL22rocblas_gemvtsm_kernelILb0ELi256EPK16rocblas_bfloat16fKPS0_EviiT2_lPKT1_lilS8_lilS5_lPT3_lil, .Lfunc_end599-_ZL22rocblas_gemvtsm_kernelILb0ELi256EPK16rocblas_bfloat16fKPS0_EviiT2_lPKT1_lilS8_lilS5_lPT3_lil
                                        ; -- End function
	.set _ZL22rocblas_gemvtsm_kernelILb0ELi256EPK16rocblas_bfloat16fKPS0_EviiT2_lPKT1_lilS8_lilS5_lPT3_lil.num_vgpr, 16
	.set _ZL22rocblas_gemvtsm_kernelILb0ELi256EPK16rocblas_bfloat16fKPS0_EviiT2_lPKT1_lilS8_lilS5_lPT3_lil.num_agpr, 0
	.set _ZL22rocblas_gemvtsm_kernelILb0ELi256EPK16rocblas_bfloat16fKPS0_EviiT2_lPKT1_lilS8_lilS5_lPT3_lil.numbered_sgpr, 24
	.set _ZL22rocblas_gemvtsm_kernelILb0ELi256EPK16rocblas_bfloat16fKPS0_EviiT2_lPKT1_lilS8_lilS5_lPT3_lil.num_named_barrier, 0
	.set _ZL22rocblas_gemvtsm_kernelILb0ELi256EPK16rocblas_bfloat16fKPS0_EviiT2_lPKT1_lilS8_lilS5_lPT3_lil.private_seg_size, 0
	.set _ZL22rocblas_gemvtsm_kernelILb0ELi256EPK16rocblas_bfloat16fKPS0_EviiT2_lPKT1_lilS8_lilS5_lPT3_lil.uses_vcc, 1
	.set _ZL22rocblas_gemvtsm_kernelILb0ELi256EPK16rocblas_bfloat16fKPS0_EviiT2_lPKT1_lilS8_lilS5_lPT3_lil.uses_flat_scratch, 0
	.set _ZL22rocblas_gemvtsm_kernelILb0ELi256EPK16rocblas_bfloat16fKPS0_EviiT2_lPKT1_lilS8_lilS5_lPT3_lil.has_dyn_sized_stack, 0
	.set _ZL22rocblas_gemvtsm_kernelILb0ELi256EPK16rocblas_bfloat16fKPS0_EviiT2_lPKT1_lilS8_lilS5_lPT3_lil.has_recursion, 0
	.set _ZL22rocblas_gemvtsm_kernelILb0ELi256EPK16rocblas_bfloat16fKPS0_EviiT2_lPKT1_lilS8_lilS5_lPT3_lil.has_indirect_call, 0
	.section	.AMDGPU.csdata,"",@progbits
; Kernel info:
; codeLenInByte = 2680
; TotalNumSgprs: 26
; NumVgprs: 16
; ScratchSize: 0
; MemoryBound: 0
; FloatMode: 240
; IeeeMode: 1
; LDSByteSize: 256 bytes/workgroup (compile time only)
; SGPRBlocks: 0
; VGPRBlocks: 1
; NumSGPRsForWavesPerEU: 26
; NumVGPRsForWavesPerEU: 16
; Occupancy: 16
; WaveLimiterHint : 1
; COMPUTE_PGM_RSRC2:SCRATCH_EN: 0
; COMPUTE_PGM_RSRC2:USER_SGPR: 2
; COMPUTE_PGM_RSRC2:TRAP_HANDLER: 0
; COMPUTE_PGM_RSRC2:TGID_X_EN: 1
; COMPUTE_PGM_RSRC2:TGID_Y_EN: 0
; COMPUTE_PGM_RSRC2:TGID_Z_EN: 0
; COMPUTE_PGM_RSRC2:TIDIG_COMP_CNT: 0
	.section	.text._ZL23rocblas_gemvt_sn_kernelILb0ELi256ELi4EiPK16rocblas_bfloat16PKffEviiT4_lPKT3_lilS8_lilPT5_i,"axG",@progbits,_ZL23rocblas_gemvt_sn_kernelILb0ELi256ELi4EiPK16rocblas_bfloat16PKffEviiT4_lPKT3_lilS8_lilPT5_i,comdat
	.globl	_ZL23rocblas_gemvt_sn_kernelILb0ELi256ELi4EiPK16rocblas_bfloat16PKffEviiT4_lPKT3_lilS8_lilPT5_i ; -- Begin function _ZL23rocblas_gemvt_sn_kernelILb0ELi256ELi4EiPK16rocblas_bfloat16PKffEviiT4_lPKT3_lilS8_lilPT5_i
	.p2align	8
	.type	_ZL23rocblas_gemvt_sn_kernelILb0ELi256ELi4EiPK16rocblas_bfloat16PKffEviiT4_lPKT3_lilS8_lilPT5_i,@function
_ZL23rocblas_gemvt_sn_kernelILb0ELi256ELi4EiPK16rocblas_bfloat16PKffEviiT4_lPKT3_lilS8_lilPT5_i: ; @_ZL23rocblas_gemvt_sn_kernelILb0ELi256ELi4EiPK16rocblas_bfloat16PKffEviiT4_lPKT3_lilS8_lilPT5_i
; %bb.0:
	s_load_b32 s33, s[0:1], 0x60
	s_lshr_b32 s10, ttmp7, 16
	s_wait_kmcnt 0x0
	s_cmp_ge_u32 s10, s33
	s_cbranch_scc1 .LBB600_87
; %bb.1:
	s_clause 0x6
	s_load_b64 s[26:27], s[0:1], 0x0
	s_load_b256 s[12:19], s[0:1], 0x8
	s_load_b32 s28, s[0:1], 0x68
	s_load_b32 s30, s[0:1], 0x28
	s_load_b128 s[20:23], s[0:1], 0x38
	s_load_b32 s64, s[0:1], 0x48
	s_load_b64 s[34:35], s[0:1], 0x58
	v_cmp_eq_u32_e64 s0, 0, v0
	v_and_b32_e32 v1, 31, v0
	v_cmp_gt_u32_e64 s1, 32, v0
	v_cmp_gt_u32_e64 s2, 8, v0
	v_lshrrev_b32_e32 v2, 3, v0
	s_mov_b32 s37, 0
	v_cmp_eq_u32_e64 s3, 0, v1
	s_mov_b32 s29, s37
	v_lshlrev_b32_e32 v29, 2, v1
	v_and_b32_e32 v30, 28, v2
	v_mbcnt_lo_u32_b32 v31, -1, 0
	s_mov_b32 s24, ttmp9
	s_mov_b32 s25, s37
	s_wait_kmcnt 0x0
	s_ashr_i32 s5, s27, 31
	s_cmp_gt_i32 s27, 0
	s_mov_b32 s4, s27
	s_cselect_b32 s6, -1, 0
	s_lshl_b32 s7, ttmp9, 10
	s_mul_u64 s[38:39], s[4:5], s[28:29]
	v_lshl_or_b32 v0, v0, 2, s7
	s_lshr_b32 s4, s5, 30
	s_ashr_i32 s5, s26, 31
	s_add_co_i32 s4, s27, s4
	s_lshr_b32 s5, s5, 30
	v_mul_lo_u32 v5, s64, v0
	s_add_co_i32 s5, s26, s5
	v_add_nc_u32_e32 v3, 4, v0
	s_and_b32 s66, s4, -4
	s_and_b32 s4, s5, -4
	s_and_b32 s65, s0, s6
	s_sub_co_i32 s67, s26, s4
	v_ashrrev_i32_e32 v1, 31, v0
	v_add_nc_u32_e32 v2, s64, v5
	v_cmp_ge_i32_e64 s4, s26, v3
	v_ashrrev_i32_e32 v6, 31, v5
	s_cmp_gt_i32 s66, 0
	v_add_nc_u32_e32 v4, s67, v0
	v_add_nc_u32_e32 v13, s64, v2
	v_ashrrev_i32_e32 v3, 31, v2
	s_cselect_b32 s68, -1, 0
	s_cmp_gt_i32 s67, 0
	v_lshlrev_b64_e32 v[7:8], 1, v[0:1]
	v_add_nc_u32_e32 v15, s64, v13
	v_ashrrev_i32_e32 v14, 31, v13
	s_cselect_b32 s69, -1, 0
	s_lshl_b32 s36, s30, 1
	v_lshlrev_b64_e32 v[9:10], 1, v[5:6]
	v_ashrrev_i32_e32 v16, 31, v15
	v_lshlrev_b64_e32 v[11:12], 1, v[2:3]
	v_lshlrev_b64_e32 v[13:14], 1, v[13:14]
	v_cmp_ge_i32_e64 s5, s26, v4
	v_mov_b32_e32 v0, 0
	v_lshlrev_b64_e32 v[15:16], 1, v[15:16]
	v_lshl_or_b32 v6, v31, 2, 64
	s_lshl_b64 s[40:41], s[24:25], 2
	s_mov_b64 s[50:51], s[36:37]
	s_mul_i32 s36, s30, 3
	s_add_nc_u64 s[42:43], s[34:35], s[40:41]
	s_lshl_b64 s[44:45], s[38:39], 2
	s_lshl_b64 s[46:47], s[28:29], 2
	s_mov_b32 s31, s37
	s_lshl_b32 s48, s30, 2
	s_mov_b32 s49, s37
	s_mov_b64 s[52:53], s[36:37]
	s_lshl_b64 s[18:19], s[18:19], 1
	s_lshl_b64 s[22:23], s[22:23], 1
	s_branch .LBB600_3
.LBB600_2:                              ;   in Loop: Header=BB600_3 Depth=1
	s_add_co_i32 s10, s10, 0x10000
	s_delay_alu instid0(SALU_CYCLE_1)
	s_cmp_lt_u32 s10, s33
	s_cbranch_scc0 .LBB600_87
.LBB600_3:                              ; =>This Loop Header: Depth=1
                                        ;     Child Loop BB600_10 Depth 2
                                        ;     Child Loop BB600_16 Depth 2
                                        ;       Child Loop BB600_47 Depth 3
                                        ;       Child Loop BB600_50 Depth 3
                                        ;     Child Loop BB600_66 Depth 2
                                        ;       Child Loop BB600_79 Depth 3
                                        ;       Child Loop BB600_82 Depth 3
	s_mov_b32 s11, s37
	v_mov_b32_e32 v17, 0
	s_mul_u64 s[6:7], s[14:15], s[10:11]
	v_dual_mov_b32 v18, 0 :: v_dual_mov_b32 v1, 0
	s_wait_alu 0xfffe
	s_lshl_b64 s[6:7], s[6:7], 2
	v_mov_b32_e32 v2, 0
	s_wait_alu 0xfffe
	s_add_nc_u64 s[6:7], s[12:13], s[6:7]
	global_load_b32 v32, v0, s[6:7]
	s_wait_loadcnt 0x0
	v_cmp_eq_f32_e64 s6, 0, v32
	v_cmp_neq_f32_e64 s7, 0, v32
	s_wait_alu 0xfffe
	s_and_b32 vcc_lo, exec_lo, s6
	s_wait_alu 0xfffe
	s_cbranch_vccnz .LBB600_5
; %bb.4:                                ;   in Loop: Header=BB600_3 Depth=1
	s_lshl_b64 s[8:9], s[10:11], 3
	s_wait_alu 0xfffe
	s_add_nc_u64 s[8:9], s[16:17], s[8:9]
	global_load_b64 v[1:2], v0, s[8:9]
	s_wait_loadcnt 0x0
	v_add_co_u32 v1, vcc_lo, v1, s18
	s_wait_alu 0xfffd
	v_add_co_ci_u32_e64 v2, null, s19, v2, vcc_lo
.LBB600_5:                              ;   in Loop: Header=BB600_3 Depth=1
	s_and_not1_b32 vcc_lo, exec_lo, s7
	s_wait_alu 0xfffe
	s_cbranch_vccnz .LBB600_7
; %bb.6:                                ;   in Loop: Header=BB600_3 Depth=1
	s_lshl_b64 s[8:9], s[10:11], 3
	s_wait_alu 0xfffe
	s_add_nc_u64 s[8:9], s[20:21], s[8:9]
	global_load_b64 v[3:4], v0, s[8:9]
	s_wait_loadcnt 0x0
	v_add_co_u32 v17, vcc_lo, v3, s22
	s_wait_alu 0xfffd
	v_add_co_ci_u32_e64 v18, null, s23, v4, vcc_lo
.LBB600_7:                              ;   in Loop: Header=BB600_3 Depth=1
	s_and_not1_b32 vcc_lo, exec_lo, s6
	s_mov_b32 s6, -1
	s_wait_alu 0xfffe
	s_cbranch_vccnz .LBB600_12
; %bb.8:                                ;   in Loop: Header=BB600_3 Depth=1
	s_and_saveexec_b32 s8, s65
	s_cbranch_execz .LBB600_11
; %bb.9:                                ;   in Loop: Header=BB600_3 Depth=1
	s_mul_u64 s[6:7], s[44:45], s[10:11]
	s_mov_b32 s9, s27
	s_wait_alu 0xfffe
	s_add_nc_u64 s[6:7], s[42:43], s[6:7]
.LBB600_10:                             ;   Parent Loop BB600_3 Depth=1
                                        ; =>  This Inner Loop Header: Depth=2
	s_add_co_i32 s9, s9, -1
	global_store_b32 v0, v0, s[6:7]
	s_wait_alu 0xfffe
	s_cmp_eq_u32 s9, 0
	s_add_nc_u64 s[6:7], s[6:7], s[46:47]
	s_cbranch_scc0 .LBB600_10
.LBB600_11:                             ;   in Loop: Header=BB600_3 Depth=1
	s_wait_alu 0xfffe
	s_or_b32 exec_lo, exec_lo, s8
	s_mov_b32 s6, 0
.LBB600_12:                             ;   in Loop: Header=BB600_3 Depth=1
	s_wait_alu 0xfffe
	s_and_not1_b32 vcc_lo, exec_lo, s6
	s_wait_alu 0xfffe
	s_cbranch_vccnz .LBB600_2
; %bb.13:                               ;   in Loop: Header=BB600_3 Depth=1
	v_add_co_u32 v33, vcc_lo, v1, v7
	s_mul_u64 s[54:55], s[38:39], s[10:11]
	s_wait_alu 0xfffd
	v_add_co_ci_u32_e64 v34, null, v2, v8, vcc_lo
	v_cmp_gt_u32_e64 s9, 24, v31
	v_cmp_gt_u32_e64 s8, 28, v31
	;; [unrolled: 1-line block ×3, first 2 shown]
	v_cmp_ne_u32_e64 s6, 31, v31
	s_lshl_b64 s[54:55], s[54:55], 2
	s_and_not1_b32 vcc_lo, exec_lo, s68
	s_add_nc_u64 s[54:55], s[34:35], s[54:55]
	s_wait_alu 0xfffe
	s_cbranch_vccnz .LBB600_62
; %bb.14:                               ;   in Loop: Header=BB600_3 Depth=1
	s_wait_alu 0xf1ff
	v_cndmask_b32_e64 v2, 0, 4, s8
	v_cndmask_b32_e64 v3, 0, 2, s7
	v_add_co_u32 v19, vcc_lo, v17, v9
	v_cndmask_b32_e64 v1, 0, 8, s9
	v_add_co_ci_u32_e64 v4, null, 0, v31, s6
	v_add_lshl_u32 v36, v2, v31, 2
	v_add_lshl_u32 v37, v3, v31, 2
	s_wait_alu 0xfffd
	v_add_co_ci_u32_e64 v20, null, v18, v10, vcc_lo
	v_add_co_u32 v21, vcc_lo, v17, v11
	v_dual_mov_b32 v2, v0 :: v_dual_mov_b32 v3, v0
	s_wait_alu 0xfffd
	v_add_co_ci_u32_e64 v22, null, v18, v12, vcc_lo
	v_add_co_u32 v23, vcc_lo, v17, v13
	v_add_lshl_u32 v35, v1, v31, 2
	v_dual_mov_b32 v1, v0 :: v_dual_lshlrev_b32 v38, 2, v4
	s_wait_alu 0xfffd
	v_add_co_ci_u32_e64 v24, null, v18, v14, vcc_lo
	v_add_co_u32 v25, vcc_lo, v17, v15
	v_mov_b32_e32 v4, v3
	s_wait_alu 0xfffd
	v_add_co_ci_u32_e64 v26, null, v18, v16, vcc_lo
	v_mov_b32_e32 v3, v2
	v_mov_b32_e32 v2, v1
	v_mov_b32_e32 v1, v0
	s_mov_b32 s8, 0
	s_mov_b64 s[56:57], s[52:53]
	s_mov_b64 s[58:59], s[50:51]
	;; [unrolled: 1-line block ×3, first 2 shown]
	s_mov_b32 s11, 0
	s_branch .LBB600_16
.LBB600_15:                             ;   in Loop: Header=BB600_16 Depth=2
	s_wait_alu 0xfffe
	s_or_b32 exec_lo, exec_lo, s6
	s_add_co_i32 s11, s11, 4
	s_add_co_i32 s8, s8, s48
	s_add_nc_u64 s[60:61], s[60:61], s[48:49]
	s_add_nc_u64 s[58:59], s[58:59], s[48:49]
	s_cmp_ge_i32 s11, s66
	s_add_nc_u64 s[56:57], s[56:57], s[48:49]
	s_cbranch_scc1 .LBB600_63
.LBB600_16:                             ;   Parent Loop BB600_3 Depth=1
                                        ; =>  This Loop Header: Depth=2
                                        ;       Child Loop BB600_47 Depth 3
                                        ;       Child Loop BB600_50 Depth 3
                                        ; implicit-def: $vgpr39
                                        ; implicit-def: $vgpr40
                                        ; implicit-def: $vgpr41
                                        ; implicit-def: $vgpr42
	s_and_saveexec_b32 s6, s4
	s_wait_alu 0xfffe
	s_xor_b32 s6, exec_lo, s6
	s_cbranch_execnz .LBB600_43
; %bb.17:                               ;   in Loop: Header=BB600_16 Depth=2
	s_wait_alu 0xfffe
	s_and_not1_saveexec_b32 s25, s6
	s_cbranch_execnz .LBB600_44
.LBB600_18:                             ;   in Loop: Header=BB600_16 Depth=2
	s_or_b32 exec_lo, exec_lo, s25
	s_and_saveexec_b32 s6, s1
.LBB600_19:                             ;   in Loop: Header=BB600_16 Depth=2
	ds_store_b32 v29, v0
.LBB600_20:                             ;   in Loop: Header=BB600_16 Depth=2
	s_wait_alu 0xfffe
	s_or_b32 exec_lo, exec_lo, s6
	s_wait_dscnt 0x0
	ds_bpermute_b32 v27, v6, v42
	s_wait_storecnt_dscnt 0x0
	s_barrier_signal -1
	s_barrier_wait -1
	global_inv scope:SCOPE_SE
	v_add_f32_e32 v27, v42, v27
	ds_bpermute_b32 v28, v35, v27
	s_wait_dscnt 0x0
	v_add_f32_e32 v27, v27, v28
	ds_bpermute_b32 v28, v36, v27
	s_wait_dscnt 0x0
	v_add_f32_e32 v27, v27, v28
	ds_bpermute_b32 v28, v37, v27
	s_wait_dscnt 0x0
	v_add_f32_e32 v27, v27, v28
	ds_bpermute_b32 v28, v38, v27
	s_and_saveexec_b32 s6, s3
	s_cbranch_execz .LBB600_22
; %bb.21:                               ;   in Loop: Header=BB600_16 Depth=2
	s_wait_dscnt 0x0
	v_add_f32_e32 v27, v27, v28
	ds_store_b32 v30, v27
.LBB600_22:                             ;   in Loop: Header=BB600_16 Depth=2
	s_wait_alu 0xfffe
	s_or_b32 exec_lo, exec_lo, s6
	v_mov_b32_e32 v27, 0
	s_wait_loadcnt_dscnt 0x0
	s_barrier_signal -1
	s_barrier_wait -1
	global_inv scope:SCOPE_SE
	s_and_saveexec_b32 s6, s2
	s_cbranch_execnz .LBB600_51
; %bb.23:                               ;   in Loop: Header=BB600_16 Depth=2
	s_wait_alu 0xfffe
	s_or_b32 exec_lo, exec_lo, s6
	s_and_saveexec_b32 s6, s1
	s_cbranch_execnz .LBB600_52
.LBB600_24:                             ;   in Loop: Header=BB600_16 Depth=2
	s_wait_alu 0xfffe
	s_or_b32 exec_lo, exec_lo, s6
	s_and_saveexec_b32 s6, s1
.LBB600_25:                             ;   in Loop: Header=BB600_16 Depth=2
	ds_store_b32 v29, v0
.LBB600_26:                             ;   in Loop: Header=BB600_16 Depth=2
	s_wait_alu 0xfffe
	s_or_b32 exec_lo, exec_lo, s6
	ds_bpermute_b32 v28, v6, v41
	s_wait_loadcnt_dscnt 0x0
	s_barrier_signal -1
	s_barrier_wait -1
	global_inv scope:SCOPE_SE
	v_add_f32_e32 v28, v41, v28
	ds_bpermute_b32 v41, v35, v28
	s_wait_dscnt 0x0
	v_add_f32_e32 v28, v28, v41
	ds_bpermute_b32 v41, v36, v28
	s_wait_dscnt 0x0
	;; [unrolled: 3-line block ×3, first 2 shown]
	v_add_f32_e32 v28, v28, v41
	ds_bpermute_b32 v41, v38, v28
	s_and_saveexec_b32 s6, s3
	s_cbranch_execz .LBB600_28
; %bb.27:                               ;   in Loop: Header=BB600_16 Depth=2
	s_wait_dscnt 0x0
	v_add_f32_e32 v28, v28, v41
	ds_store_b32 v30, v28
.LBB600_28:                             ;   in Loop: Header=BB600_16 Depth=2
	s_wait_alu 0xfffe
	s_or_b32 exec_lo, exec_lo, s6
	v_mov_b32_e32 v28, 0
	s_wait_loadcnt_dscnt 0x0
	s_barrier_signal -1
	s_barrier_wait -1
	global_inv scope:SCOPE_SE
	s_and_saveexec_b32 s6, s2
	s_cbranch_execnz .LBB600_53
; %bb.29:                               ;   in Loop: Header=BB600_16 Depth=2
	s_wait_alu 0xfffe
	s_or_b32 exec_lo, exec_lo, s6
	s_and_saveexec_b32 s6, s1
	s_cbranch_execnz .LBB600_54
.LBB600_30:                             ;   in Loop: Header=BB600_16 Depth=2
	s_wait_alu 0xfffe
	s_or_b32 exec_lo, exec_lo, s6
	s_and_saveexec_b32 s6, s1
.LBB600_31:                             ;   in Loop: Header=BB600_16 Depth=2
	ds_store_b32 v29, v0
.LBB600_32:                             ;   in Loop: Header=BB600_16 Depth=2
	s_wait_alu 0xfffe
	s_or_b32 exec_lo, exec_lo, s6
	ds_bpermute_b32 v41, v6, v40
	s_wait_loadcnt_dscnt 0x0
	s_barrier_signal -1
	s_barrier_wait -1
	global_inv scope:SCOPE_SE
	v_add_f32_e32 v40, v40, v41
	ds_bpermute_b32 v41, v35, v40
	s_wait_dscnt 0x0
	v_add_f32_e32 v40, v40, v41
	ds_bpermute_b32 v41, v36, v40
	s_wait_dscnt 0x0
	;; [unrolled: 3-line block ×3, first 2 shown]
	v_add_f32_e32 v40, v40, v41
	ds_bpermute_b32 v41, v38, v40
	s_and_saveexec_b32 s6, s3
	s_cbranch_execz .LBB600_34
; %bb.33:                               ;   in Loop: Header=BB600_16 Depth=2
	s_wait_dscnt 0x0
	v_add_f32_e32 v40, v40, v41
	ds_store_b32 v30, v40
.LBB600_34:                             ;   in Loop: Header=BB600_16 Depth=2
	s_wait_alu 0xfffe
	s_or_b32 exec_lo, exec_lo, s6
	v_mov_b32_e32 v40, 0
	s_wait_loadcnt_dscnt 0x0
	s_barrier_signal -1
	s_barrier_wait -1
	global_inv scope:SCOPE_SE
	s_and_saveexec_b32 s6, s2
	s_cbranch_execnz .LBB600_55
; %bb.35:                               ;   in Loop: Header=BB600_16 Depth=2
	s_wait_alu 0xfffe
	s_or_b32 exec_lo, exec_lo, s6
	s_and_saveexec_b32 s6, s1
	s_cbranch_execnz .LBB600_56
.LBB600_36:                             ;   in Loop: Header=BB600_16 Depth=2
	s_wait_alu 0xfffe
	s_or_b32 exec_lo, exec_lo, s6
	s_and_saveexec_b32 s6, s1
.LBB600_37:                             ;   in Loop: Header=BB600_16 Depth=2
	ds_store_b32 v29, v0
.LBB600_38:                             ;   in Loop: Header=BB600_16 Depth=2
	s_wait_alu 0xfffe
	s_or_b32 exec_lo, exec_lo, s6
	ds_bpermute_b32 v41, v6, v39
	s_wait_loadcnt_dscnt 0x0
	s_barrier_signal -1
	s_barrier_wait -1
	global_inv scope:SCOPE_SE
	v_add_f32_e32 v39, v39, v41
	ds_bpermute_b32 v41, v35, v39
	s_wait_dscnt 0x0
	v_add_f32_e32 v39, v39, v41
	ds_bpermute_b32 v41, v36, v39
	s_wait_dscnt 0x0
	v_add_f32_e32 v39, v39, v41
	ds_bpermute_b32 v41, v37, v39
	s_wait_dscnt 0x0
	v_add_f32_e32 v39, v39, v41
	ds_bpermute_b32 v41, v38, v39
	s_and_saveexec_b32 s6, s3
	s_cbranch_execz .LBB600_40
; %bb.39:                               ;   in Loop: Header=BB600_16 Depth=2
	s_wait_dscnt 0x0
	v_add_f32_e32 v39, v39, v41
	ds_store_b32 v30, v39
.LBB600_40:                             ;   in Loop: Header=BB600_16 Depth=2
	s_wait_alu 0xfffe
	s_or_b32 exec_lo, exec_lo, s6
	v_mov_b32_e32 v39, 0
	s_wait_loadcnt_dscnt 0x0
	s_barrier_signal -1
	s_barrier_wait -1
	global_inv scope:SCOPE_SE
	s_and_saveexec_b32 s6, s2
	s_cbranch_execnz .LBB600_57
; %bb.41:                               ;   in Loop: Header=BB600_16 Depth=2
	s_wait_alu 0xfffe
	s_or_b32 exec_lo, exec_lo, s6
	s_and_saveexec_b32 s6, s1
	s_cbranch_execnz .LBB600_58
.LBB600_42:                             ;   in Loop: Header=BB600_16 Depth=2
	s_wait_alu 0xfffe
	s_or_b32 exec_lo, exec_lo, s6
	s_and_saveexec_b32 s6, s0
	s_cbranch_execz .LBB600_15
	s_branch .LBB600_59
.LBB600_43:                             ;   in Loop: Header=BB600_16 Depth=2
	s_mul_i32 s62, s11, s30
	s_wait_alu 0xfffe
	s_ashr_i32 s63, s62, 31
	s_add_co_i32 s70, s62, s30
	s_wait_alu 0xfffe
	s_lshl_b64 s[62:63], s[62:63], 1
	s_ashr_i32 s71, s70, 31
	s_wait_alu 0xfffe
	v_add_co_u32 v1, vcc_lo, v33, s62
	s_wait_alu 0xfffd
	v_add_co_ci_u32_e64 v2, null, s63, v34, vcc_lo
	s_lshl_b64 s[62:63], s[70:71], 1
	s_wait_alu 0xfffe
	v_add_co_u32 v3, vcc_lo, v33, s62
	s_add_co_i32 s62, s70, s30
	s_wait_alu 0xfffd
	v_add_co_ci_u32_e64 v4, null, s63, v34, vcc_lo
	s_wait_alu 0xfffe
	s_ashr_i32 s63, s62, 31
	s_add_co_i32 s70, s62, s30
	s_wait_alu 0xfffe
	s_lshl_b64 s[62:63], s[62:63], 1
	s_wait_dscnt 0x0
	s_clause 0x1
	flat_load_b64 v[27:28], v[1:2]
	flat_load_b64 v[39:40], v[3:4]
	s_ashr_i32 s71, s70, 31
	s_wait_alu 0xfffe
	v_add_co_u32 v1, vcc_lo, v33, s62
	s_wait_alu 0xfffd
	v_add_co_ci_u32_e64 v2, null, s63, v34, vcc_lo
	s_lshl_b64 s[62:63], s[70:71], 1
	s_clause 0x2
	flat_load_u16 v45, v[19:20]
	flat_load_u16 v46, v[21:22]
	;; [unrolled: 1-line block ×3, first 2 shown]
	s_wait_alu 0xfffe
	v_add_co_u32 v3, vcc_lo, v33, s62
	s_wait_alu 0xfffd
	v_add_co_ci_u32_e64 v4, null, s63, v34, vcc_lo
	s_clause 0x1
	flat_load_b64 v[41:42], v[1:2]
	flat_load_b64 v[43:44], v[3:4]
	flat_load_u16 v4, v[25:26]
	s_wait_loadcnt_dscnt 0x202
	v_and_b32_e32 v51, 0xffff0000, v41
	v_lshlrev_b32_e32 v49, 16, v40
	s_wait_loadcnt_dscnt 0x101
	v_lshlrev_b32_e32 v54, 16, v43
	v_and_b32_e32 v43, 0xffff0000, v43
	s_wait_loadcnt_dscnt 0x0
	v_lshlrev_b32_e32 v4, 16, v4
	v_lshlrev_b32_e32 v3, 16, v47
	v_lshlrev_b32_e32 v2, 16, v46
	v_lshlrev_b32_e32 v1, 16, v45
	v_lshlrev_b32_e32 v46, 16, v28
	v_lshlrev_b32_e32 v45, 16, v27
	v_lshlrev_b32_e32 v52, 16, v42
	v_and_b32_e32 v27, 0xffff0000, v27
	v_and_b32_e32 v53, 0xffff0000, v42
	v_lshlrev_b32_e32 v47, 16, v39
	v_fma_f32 v42, v1, v45, 0
	v_and_b32_e32 v45, 0xffff0000, v44
	v_and_b32_e32 v50, 0xffff0000, v40
	;; [unrolled: 1-line block ×3, first 2 shown]
	s_delay_alu instid0(VALU_DEP_4) | instskip(SKIP_3) | instid1(VALU_DEP_4)
	v_dual_fmac_f32 v42, v2, v27 :: v_dual_lshlrev_b32 v39, 16, v41
	v_fma_f32 v41, v1, v47, 0
	v_lshlrev_b32_e32 v27, 16, v44
	v_and_b32_e32 v28, 0xffff0000, v28
	v_fma_f32 v40, v1, v39, 0
	v_fma_f32 v39, v54, v1, 0
	v_dual_fmac_f32 v41, v2, v48 :: v_dual_fmac_f32 v42, v3, v46
	s_delay_alu instid0(VALU_DEP_1) | instskip(NEXT) | instid1(VALU_DEP_4)
	v_dual_fmac_f32 v42, v4, v28 :: v_dual_fmac_f32 v41, v3, v49
	v_fmac_f32_e32 v40, v2, v51
	s_delay_alu instid0(VALU_DEP_1) | instskip(NEXT) | instid1(VALU_DEP_1)
	v_dual_fmac_f32 v39, v2, v43 :: v_dual_fmac_f32 v40, v3, v52
	v_dual_fmac_f32 v39, v27, v3 :: v_dual_fmac_f32 v40, v4, v53
	s_delay_alu instid0(VALU_DEP_1)
	v_fmac_f32_e32 v39, v4, v45
	v_fmac_f32_e32 v41, v4, v50
	s_and_not1_saveexec_b32 s25, s6
	s_cbranch_execz .LBB600_18
.LBB600_44:                             ;   in Loop: Header=BB600_16 Depth=2
	s_wait_dscnt 0x0
	v_dual_mov_b32 v39, 0 :: v_dual_mov_b32 v40, 0
	v_dual_mov_b32 v41, 0 :: v_dual_mov_b32 v42, 0
	s_and_saveexec_b32 s26, s5
	s_cbranch_execz .LBB600_61
; %bb.45:                               ;   in Loop: Header=BB600_16 Depth=2
	s_and_not1_b32 vcc_lo, exec_lo, s69
	s_wait_alu 0xfffe
	s_cbranch_vccnz .LBB600_48
; %bb.46:                               ;   in Loop: Header=BB600_16 Depth=2
	v_mov_b32_e32 v27, v5
	s_mov_b64 s[62:63], 0
.LBB600_47:                             ;   Parent Loop BB600_3 Depth=1
                                        ;     Parent Loop BB600_16 Depth=2
                                        ; =>    This Inner Loop Header: Depth=3
	s_delay_alu instid0(VALU_DEP_1) | instskip(SKIP_2) | instid1(VALU_DEP_1)
	v_ashrrev_i32_e32 v28, 31, v27
	s_wait_alu 0xfffe
	s_cmp_eq_u32 s62, 3
	v_lshlrev_b64_e32 v[39:40], 1, v[27:28]
	s_delay_alu instid0(VALU_DEP_1) | instskip(SKIP_1) | instid1(VALU_DEP_2)
	v_add_co_u32 v39, vcc_lo, v17, v39
	s_wait_alu 0xfffd
	v_add_co_ci_u32_e64 v40, null, v18, v40, vcc_lo
	s_cselect_b32 vcc_lo, -1, 0
	s_cmp_eq_u32 s62, 2
	s_cselect_b32 s6, -1, 0
	flat_load_u16 v28, v[39:40]
	s_cmp_eq_u32 s62, 1
	s_cselect_b32 s7, -1, 0
	s_cmp_eq_u32 s62, 0
	s_add_nc_u64 s[62:63], s[62:63], 1
	s_wait_loadcnt_dscnt 0x0
	v_lshlrev_b32_e32 v28, 16, v28
	s_wait_alu 0xfffe
	s_delay_alu instid0(VALU_DEP_1)
	v_dual_cndmask_b32 v4, v4, v28 :: v_dual_add_nc_u32 v27, s64, v27
	s_cselect_b32 vcc_lo, -1, 0
	v_cndmask_b32_e64 v3, v3, v28, s6
	v_cndmask_b32_e64 v2, v2, v28, s7
	s_wait_alu 0xfffe
	v_cndmask_b32_e32 v1, v1, v28, vcc_lo
	s_cmp_eq_u32 s67, s62
	s_cbranch_scc0 .LBB600_47
.LBB600_48:                             ;   in Loop: Header=BB600_16 Depth=2
	s_and_not1_b32 vcc_lo, exec_lo, s69
	s_wait_alu 0xfffe
	s_cbranch_vccnz .LBB600_60
; %bb.49:                               ;   in Loop: Header=BB600_16 Depth=2
	s_ashr_i32 s9, s8, 31
	v_dual_mov_b32 v42, 0 :: v_dual_mov_b32 v41, 0
	s_wait_alu 0xfffe
	s_lshl_b64 s[6:7], s[8:9], 1
	v_dual_mov_b32 v40, 0 :: v_dual_mov_b32 v39, 0
	s_wait_alu 0xfffe
	v_add_co_u32 v27, vcc_lo, v33, s6
	s_wait_alu 0xfffd
	v_add_co_ci_u32_e64 v28, null, s7, v34, vcc_lo
	s_mov_b64 s[62:63], 0
.LBB600_50:                             ;   Parent Loop BB600_3 Depth=1
                                        ;     Parent Loop BB600_16 Depth=2
                                        ; =>    This Inner Loop Header: Depth=3
	s_wait_alu 0xfffe
	s_cmp_eq_u32 s62, 1
	s_cselect_b32 vcc_lo, -1, 0
	s_cmp_eq_u32 s62, 2
	s_wait_alu 0xfffe
	v_cndmask_b32_e32 v43, v1, v2, vcc_lo
	s_cselect_b32 vcc_lo, -1, 0
	s_cmp_eq_u32 s62, 3
	s_wait_alu 0xfffe
	s_delay_alu instid0(VALU_DEP_1)
	v_cndmask_b32_e32 v49, v43, v3, vcc_lo
	s_cselect_b32 vcc_lo, -1, 0
	s_add_co_i32 s6, s60, s62
	s_add_co_i32 s70, s58, s62
	s_wait_alu 0xfffe
	s_ashr_i32 s7, s6, 31
	s_add_co_i32 s72, s56, s62
	s_ashr_i32 s71, s70, 31
	s_wait_alu 0xfffe
	s_lshl_b64 s[6:7], s[6:7], 1
	s_ashr_i32 s73, s72, 31
	s_lshl_b64 s[70:71], s[70:71], 1
	s_wait_alu 0xfffe
	v_add_co_u32 v43, s6, v33, s6
	s_lshl_b64 s[72:73], s[72:73], 1
	v_add_co_ci_u32_e64 v44, null, s7, v34, s6
	v_add_co_u32 v45, s6, v33, s70
	s_wait_alu 0xf1ff
	v_add_co_ci_u32_e64 v46, null, s71, v34, s6
	s_wait_alu 0xfffe
	v_add_co_u32 v47, s6, v33, s72
	s_wait_alu 0xf1ff
	v_add_co_ci_u32_e64 v48, null, s73, v34, s6
	flat_load_u16 v50, v[27:28]
	s_clause 0x2
	flat_load_u16 v43, v[43:44]
	flat_load_u16 v44, v[45:46]
	;; [unrolled: 1-line block ×3, first 2 shown]
	v_cndmask_b32_e32 v46, v49, v4, vcc_lo
	v_add_co_u32 v27, s6, v27, 2
	s_wait_alu 0xf1ff
	v_add_co_ci_u32_e64 v28, null, 0, v28, s6
	s_add_nc_u64 s[62:63], s[62:63], 1
	s_wait_alu 0xfffe
	s_cmp_lg_u32 s67, s62
	s_wait_loadcnt_dscnt 0x303
	v_lshlrev_b32_e32 v47, 16, v50
	s_wait_loadcnt_dscnt 0x202
	v_lshlrev_b32_e32 v43, 16, v43
	;; [unrolled: 2-line block ×3, first 2 shown]
	s_wait_loadcnt_dscnt 0x0
	v_dual_fmac_f32 v42, v46, v47 :: v_dual_lshlrev_b32 v45, 16, v45
	v_fmac_f32_e32 v41, v46, v43
	s_delay_alu instid0(VALU_DEP_3) | instskip(NEXT) | instid1(VALU_DEP_3)
	v_fmac_f32_e32 v40, v46, v44
	v_fmac_f32_e32 v39, v46, v45
	s_cbranch_scc1 .LBB600_50
	s_branch .LBB600_61
.LBB600_51:                             ;   in Loop: Header=BB600_16 Depth=2
	ds_load_b32 v27, v29
	s_wait_alu 0xfffe
	s_or_b32 exec_lo, exec_lo, s6
	s_and_saveexec_b32 s6, s1
	s_cbranch_execz .LBB600_24
.LBB600_52:                             ;   in Loop: Header=BB600_16 Depth=2
	s_wait_dscnt 0x0
	ds_bpermute_b32 v28, v36, v27
	s_wait_dscnt 0x0
	v_add_f32_e32 v27, v27, v28
	ds_bpermute_b32 v28, v37, v27
	s_wait_dscnt 0x0
	v_add_f32_e32 v27, v27, v28
	;; [unrolled: 3-line block ×3, first 2 shown]
	s_wait_alu 0xfffe
	s_or_b32 exec_lo, exec_lo, s6
	s_and_saveexec_b32 s6, s1
	s_cbranch_execnz .LBB600_25
	s_branch .LBB600_26
.LBB600_53:                             ;   in Loop: Header=BB600_16 Depth=2
	ds_load_b32 v28, v29
	s_wait_alu 0xfffe
	s_or_b32 exec_lo, exec_lo, s6
	s_and_saveexec_b32 s6, s1
	s_cbranch_execz .LBB600_30
.LBB600_54:                             ;   in Loop: Header=BB600_16 Depth=2
	s_wait_dscnt 0x0
	ds_bpermute_b32 v41, v36, v28
	s_wait_dscnt 0x0
	v_add_f32_e32 v28, v28, v41
	ds_bpermute_b32 v41, v37, v28
	s_wait_dscnt 0x0
	v_add_f32_e32 v28, v28, v41
	;; [unrolled: 3-line block ×3, first 2 shown]
	s_wait_alu 0xfffe
	s_or_b32 exec_lo, exec_lo, s6
	s_and_saveexec_b32 s6, s1
	s_cbranch_execnz .LBB600_31
	s_branch .LBB600_32
.LBB600_55:                             ;   in Loop: Header=BB600_16 Depth=2
	ds_load_b32 v40, v29
	s_wait_alu 0xfffe
	s_or_b32 exec_lo, exec_lo, s6
	s_and_saveexec_b32 s6, s1
	s_cbranch_execz .LBB600_36
.LBB600_56:                             ;   in Loop: Header=BB600_16 Depth=2
	s_wait_dscnt 0x0
	ds_bpermute_b32 v41, v36, v40
	s_wait_dscnt 0x0
	v_add_f32_e32 v40, v40, v41
	ds_bpermute_b32 v41, v37, v40
	s_wait_dscnt 0x0
	v_add_f32_e32 v40, v40, v41
	;; [unrolled: 3-line block ×3, first 2 shown]
	s_wait_alu 0xfffe
	s_or_b32 exec_lo, exec_lo, s6
	s_and_saveexec_b32 s6, s1
	s_cbranch_execnz .LBB600_37
	s_branch .LBB600_38
.LBB600_57:                             ;   in Loop: Header=BB600_16 Depth=2
	ds_load_b32 v39, v29
	s_wait_alu 0xfffe
	s_or_b32 exec_lo, exec_lo, s6
	s_and_saveexec_b32 s6, s1
	s_cbranch_execz .LBB600_42
.LBB600_58:                             ;   in Loop: Header=BB600_16 Depth=2
	s_wait_dscnt 0x0
	ds_bpermute_b32 v41, v36, v39
	s_wait_dscnt 0x0
	v_add_f32_e32 v39, v39, v41
	ds_bpermute_b32 v41, v37, v39
	s_wait_dscnt 0x0
	v_add_f32_e32 v39, v39, v41
	;; [unrolled: 3-line block ×3, first 2 shown]
	s_wait_alu 0xfffe
	s_or_b32 exec_lo, exec_lo, s6
	s_and_saveexec_b32 s6, s0
	s_cbranch_execz .LBB600_15
.LBB600_59:                             ;   in Loop: Header=BB600_16 Depth=2
	s_mul_i32 s7, s11, s28
	v_mul_f32_e32 v27, v32, v27
	s_wait_alu 0xfffe
	s_add_co_i32 s36, s7, s24
	v_mul_f32_e32 v28, v32, v28
	s_wait_alu 0xfffe
	s_lshl_b64 s[62:63], s[36:37], 2
	s_add_co_i32 s36, s36, s28
	s_wait_alu 0xfffe
	s_add_nc_u64 s[62:63], s[54:55], s[62:63]
	s_lshl_b64 s[70:71], s[36:37], 2
	s_add_co_i32 s36, s36, s28
	s_wait_alu 0xfffe
	s_add_nc_u64 s[70:71], s[54:55], s[70:71]
	s_clause 0x1
	global_store_b32 v0, v27, s[62:63]
	global_store_b32 v0, v28, s[70:71]
	v_mul_f32_e32 v27, v32, v40
	s_lshl_b64 s[62:63], s[36:37], 2
	s_add_co_i32 s36, s36, s28
	s_wait_dscnt 0x0
	v_mul_f32_e32 v28, v32, v39
	s_wait_alu 0xfffe
	s_lshl_b64 s[70:71], s[36:37], 2
	s_add_nc_u64 s[62:63], s[54:55], s[62:63]
	s_wait_alu 0xfffe
	s_add_nc_u64 s[70:71], s[54:55], s[70:71]
	s_clause 0x1
	global_store_b32 v0, v27, s[62:63]
	global_store_b32 v0, v28, s[70:71]
	s_branch .LBB600_15
.LBB600_60:                             ;   in Loop: Header=BB600_16 Depth=2
	v_dual_mov_b32 v39, 0 :: v_dual_mov_b32 v40, 0
	v_dual_mov_b32 v41, 0 :: v_dual_mov_b32 v42, 0
.LBB600_61:                             ;   in Loop: Header=BB600_16 Depth=2
	s_wait_alu 0xfffe
	s_or_b32 exec_lo, exec_lo, s26
	s_delay_alu instid0(SALU_CYCLE_1)
	s_or_b32 exec_lo, exec_lo, s25
	s_and_saveexec_b32 s6, s1
	s_cbranch_execnz .LBB600_19
	s_branch .LBB600_20
.LBB600_62:                             ;   in Loop: Header=BB600_3 Depth=1
	v_mov_b32_e32 v3, v0
	v_dual_mov_b32 v1, v0 :: v_dual_mov_b32 v2, v0
	s_mov_b32 s11, 0
	s_delay_alu instid0(VALU_DEP_2) | instskip(NEXT) | instid1(VALU_DEP_2)
	v_mov_b32_e32 v4, v3
	v_mov_b32_e32 v3, v2
	s_delay_alu instid0(VALU_DEP_3)
	v_mov_b32_e32 v2, v1
	v_mov_b32_e32 v1, v0
.LBB600_63:                             ;   in Loop: Header=BB600_3 Depth=1
	s_cmp_ge_i32 s11, s27
	s_cbranch_scc1 .LBB600_2
; %bb.64:                               ;   in Loop: Header=BB600_3 Depth=1
	v_cmp_gt_u32_e32 vcc_lo, 24, v31
	s_add_nc_u64 s[8:9], s[54:55], s[40:41]
	s_mul_i32 s54, s30, s11
	s_mov_b32 s36, s11
	s_wait_alu 0xfffd
	v_cndmask_b32_e64 v19, 0, 8, vcc_lo
	v_cmp_gt_u32_e32 vcc_lo, 28, v31
	s_delay_alu instid0(VALU_DEP_2) | instskip(SKIP_3) | instid1(VALU_DEP_2)
	v_add_lshl_u32 v35, v19, v31, 2
	s_wait_alu 0xfffd
	v_cndmask_b32_e64 v20, 0, 4, vcc_lo
	v_cmp_gt_u32_e32 vcc_lo, 30, v31
	v_add_lshl_u32 v36, v20, v31, 2
	s_wait_alu 0xfffd
	v_cndmask_b32_e64 v21, 0, 2, vcc_lo
	v_cmp_ne_u32_e32 vcc_lo, 31, v31
	s_delay_alu instid0(VALU_DEP_2)
	v_add_lshl_u32 v37, v21, v31, 2
	s_wait_alu 0xfffd
	v_add_co_ci_u32_e64 v22, null, 0, v31, vcc_lo
	v_add_co_u32 v19, vcc_lo, v17, v9
	s_wait_alu 0xfffd
	v_add_co_ci_u32_e64 v20, null, v18, v10, vcc_lo
	v_add_co_u32 v21, vcc_lo, v17, v11
	v_lshlrev_b32_e32 v38, 2, v22
	s_wait_alu 0xfffd
	v_add_co_ci_u32_e64 v22, null, v18, v12, vcc_lo
	v_add_co_u32 v23, vcc_lo, v17, v13
	s_wait_alu 0xfffd
	v_add_co_ci_u32_e64 v24, null, v18, v14, vcc_lo
	v_add_co_u32 v25, vcc_lo, v17, v15
	s_wait_alu 0xfffd
	v_add_co_ci_u32_e64 v26, null, v18, v16, vcc_lo
	s_branch .LBB600_66
.LBB600_65:                             ;   in Loop: Header=BB600_66 Depth=2
	s_wait_alu 0xfffe
	s_or_b32 exec_lo, exec_lo, s6
	s_add_co_i32 s36, s36, 1
	s_add_co_i32 s54, s54, s30
	s_wait_alu 0xfffe
	s_cmp_ge_i32 s36, s27
	s_cbranch_scc1 .LBB600_2
.LBB600_66:                             ;   Parent Loop BB600_3 Depth=1
                                        ; =>  This Loop Header: Depth=2
                                        ;       Child Loop BB600_79 Depth 3
                                        ;       Child Loop BB600_82 Depth 3
	s_wait_dscnt 0x0
	v_mov_b32_e32 v39, s37
	s_and_saveexec_b32 s6, s4
	s_wait_alu 0xfffe
	s_xor_b32 s6, exec_lo, s6
	s_cbranch_execnz .LBB600_75
; %bb.67:                               ;   in Loop: Header=BB600_66 Depth=2
	s_wait_alu 0xfffe
	s_and_not1_saveexec_b32 s11, s6
	s_cbranch_execnz .LBB600_76
.LBB600_68:                             ;   in Loop: Header=BB600_66 Depth=2
	s_or_b32 exec_lo, exec_lo, s11
	s_and_saveexec_b32 s6, s1
.LBB600_69:                             ;   in Loop: Header=BB600_66 Depth=2
	ds_store_b32 v29, v0
.LBB600_70:                             ;   in Loop: Header=BB600_66 Depth=2
	s_wait_alu 0xfffe
	s_or_b32 exec_lo, exec_lo, s6
	ds_bpermute_b32 v27, v6, v39
	s_wait_storecnt 0x0
	s_wait_loadcnt_dscnt 0x0
	s_barrier_signal -1
	s_barrier_wait -1
	global_inv scope:SCOPE_SE
	v_add_f32_e32 v27, v39, v27
	ds_bpermute_b32 v28, v35, v27
	s_wait_dscnt 0x0
	v_add_f32_e32 v27, v27, v28
	ds_bpermute_b32 v28, v36, v27
	s_wait_dscnt 0x0
	;; [unrolled: 3-line block ×3, first 2 shown]
	v_add_f32_e32 v27, v27, v28
	ds_bpermute_b32 v28, v38, v27
	s_and_saveexec_b32 s6, s3
	s_cbranch_execz .LBB600_72
; %bb.71:                               ;   in Loop: Header=BB600_66 Depth=2
	s_wait_dscnt 0x0
	v_add_f32_e32 v27, v27, v28
	ds_store_b32 v30, v27
.LBB600_72:                             ;   in Loop: Header=BB600_66 Depth=2
	s_wait_alu 0xfffe
	s_or_b32 exec_lo, exec_lo, s6
	v_mov_b32_e32 v27, 0
	s_wait_loadcnt_dscnt 0x0
	s_barrier_signal -1
	s_barrier_wait -1
	global_inv scope:SCOPE_SE
	s_and_saveexec_b32 s6, s2
	s_cbranch_execnz .LBB600_84
; %bb.73:                               ;   in Loop: Header=BB600_66 Depth=2
	s_wait_alu 0xfffe
	s_or_b32 exec_lo, exec_lo, s6
	s_and_saveexec_b32 s6, s1
	s_cbranch_execnz .LBB600_85
.LBB600_74:                             ;   in Loop: Header=BB600_66 Depth=2
	s_wait_alu 0xfffe
	s_or_b32 exec_lo, exec_lo, s6
	s_and_saveexec_b32 s6, s0
	s_cbranch_execz .LBB600_65
	s_branch .LBB600_86
.LBB600_75:                             ;   in Loop: Header=BB600_66 Depth=2
	s_mul_i32 s56, s36, s30
	s_wait_alu 0xfffe
	s_ashr_i32 s57, s56, 31
	s_wait_alu 0xfffe
	s_lshl_b64 s[56:57], s[56:57], 1
	s_wait_alu 0xfffe
	v_add_co_u32 v1, vcc_lo, v33, s56
	s_wait_alu 0xfffd
	v_add_co_ci_u32_e64 v2, null, s57, v34, vcc_lo
	flat_load_u16 v3, v[19:20]
	flat_load_b64 v[27:28], v[1:2]
	s_clause 0x2
	flat_load_u16 v2, v[21:22]
	flat_load_u16 v4, v[23:24]
	;; [unrolled: 1-line block ×3, first 2 shown]
	s_wait_loadcnt_dscnt 0x404
	v_lshlrev_b32_e32 v1, 16, v3
	s_wait_loadcnt_dscnt 0x303
	v_lshlrev_b32_e32 v3, 16, v27
	v_and_b32_e32 v27, 0xffff0000, v27
	s_delay_alu instid0(VALU_DEP_2) | instskip(SKIP_4) | instid1(VALU_DEP_1)
	v_fma_f32 v39, v1, v3, 0
	s_wait_loadcnt_dscnt 0x101
	v_lshlrev_b32_e32 v3, 16, v4
	v_lshlrev_b32_e32 v2, 16, v2
	s_wait_loadcnt_dscnt 0x0
	v_dual_fmac_f32 v39, v2, v27 :: v_dual_lshlrev_b32 v4, 16, v40
	v_lshlrev_b32_e32 v27, 16, v28
	s_delay_alu instid0(VALU_DEP_1) | instskip(NEXT) | instid1(VALU_DEP_1)
	v_dual_fmac_f32 v39, v3, v27 :: v_dual_and_b32 v28, 0xffff0000, v28
	v_fmac_f32_e32 v39, v4, v28
	s_and_not1_saveexec_b32 s11, s6
	s_cbranch_execz .LBB600_68
.LBB600_76:                             ;   in Loop: Header=BB600_66 Depth=2
	s_and_saveexec_b32 s25, s5
	s_cbranch_execz .LBB600_83
; %bb.77:                               ;   in Loop: Header=BB600_66 Depth=2
	s_and_not1_b32 vcc_lo, exec_lo, s69
	s_wait_alu 0xfffe
	s_cbranch_vccnz .LBB600_80
; %bb.78:                               ;   in Loop: Header=BB600_66 Depth=2
	v_mov_b32_e32 v27, v5
	s_mov_b64 s[56:57], 0
.LBB600_79:                             ;   Parent Loop BB600_3 Depth=1
                                        ;     Parent Loop BB600_66 Depth=2
                                        ; =>    This Inner Loop Header: Depth=3
	s_delay_alu instid0(VALU_DEP_1) | instskip(SKIP_2) | instid1(VALU_DEP_1)
	v_ashrrev_i32_e32 v28, 31, v27
	s_wait_alu 0xfffe
	s_cmp_eq_u32 s56, 3
	v_lshlrev_b64_e32 v[40:41], 1, v[27:28]
	s_delay_alu instid0(VALU_DEP_1) | instskip(SKIP_1) | instid1(VALU_DEP_2)
	v_add_co_u32 v40, vcc_lo, v17, v40
	s_wait_alu 0xfffd
	v_add_co_ci_u32_e64 v41, null, v18, v41, vcc_lo
	s_cselect_b32 vcc_lo, -1, 0
	s_cmp_eq_u32 s56, 2
	s_cselect_b32 s6, -1, 0
	flat_load_u16 v28, v[40:41]
	s_cmp_eq_u32 s56, 1
	s_cselect_b32 s7, -1, 0
	s_cmp_eq_u32 s56, 0
	s_add_nc_u64 s[56:57], s[56:57], 1
	s_wait_loadcnt_dscnt 0x0
	v_lshlrev_b32_e32 v28, 16, v28
	s_wait_alu 0xfffe
	s_delay_alu instid0(VALU_DEP_1)
	v_dual_cndmask_b32 v4, v4, v28 :: v_dual_add_nc_u32 v27, s64, v27
	s_cselect_b32 vcc_lo, -1, 0
	v_cndmask_b32_e64 v3, v3, v28, s6
	v_cndmask_b32_e64 v2, v2, v28, s7
	s_wait_alu 0xfffe
	v_cndmask_b32_e32 v1, v1, v28, vcc_lo
	s_cmp_eq_u32 s67, s56
	s_cbranch_scc0 .LBB600_79
.LBB600_80:                             ;   in Loop: Header=BB600_66 Depth=2
	s_and_not1_b32 vcc_lo, exec_lo, s69
	s_wait_alu 0xfffe
	s_cbranch_vccnz .LBB600_83
; %bb.81:                               ;   in Loop: Header=BB600_66 Depth=2
	s_ashr_i32 s55, s54, 31
	s_delay_alu instid0(SALU_CYCLE_1)
	s_lshl_b64 s[6:7], s[54:55], 1
	s_wait_alu 0xfffe
	v_add_co_u32 v27, vcc_lo, v33, s6
	s_wait_alu 0xfffd
	v_add_co_ci_u32_e64 v28, null, s7, v34, vcc_lo
	s_mov_b64 s[6:7], 0
.LBB600_82:                             ;   Parent Loop BB600_3 Depth=1
                                        ;     Parent Loop BB600_66 Depth=2
                                        ; =>    This Inner Loop Header: Depth=3
	flat_load_u16 v40, v[27:28]
	s_wait_alu 0xfffe
	s_cmp_eq_u32 s6, 1
	s_cselect_b32 vcc_lo, -1, 0
	s_cmp_eq_u32 s6, 2
	s_wait_alu 0xfffe
	v_cndmask_b32_e32 v41, v1, v2, vcc_lo
	s_cselect_b32 vcc_lo, -1, 0
	s_cmp_eq_u32 s6, 3
	s_add_nc_u64 s[6:7], s[6:7], 1
	s_wait_loadcnt_dscnt 0x0
	s_wait_alu 0xfffe
	v_dual_cndmask_b32 v41, v41, v3 :: v_dual_lshlrev_b32 v40, 16, v40
	s_cselect_b32 vcc_lo, -1, 0
	s_cmp_lg_u32 s67, s6
	s_wait_alu 0xfffe
	s_delay_alu instid0(VALU_DEP_1) | instskip(SKIP_3) | instid1(VALU_DEP_3)
	v_cndmask_b32_e32 v41, v41, v4, vcc_lo
	v_add_co_u32 v27, vcc_lo, v27, 2
	s_wait_alu 0xfffd
	v_add_co_ci_u32_e64 v28, null, 0, v28, vcc_lo
	v_fmac_f32_e32 v39, v41, v40
	s_cbranch_scc1 .LBB600_82
.LBB600_83:                             ;   in Loop: Header=BB600_66 Depth=2
	s_or_b32 exec_lo, exec_lo, s25
	s_delay_alu instid0(SALU_CYCLE_1)
	s_or_b32 exec_lo, exec_lo, s11
	s_and_saveexec_b32 s6, s1
	s_cbranch_execnz .LBB600_69
	s_branch .LBB600_70
.LBB600_84:                             ;   in Loop: Header=BB600_66 Depth=2
	ds_load_b32 v27, v29
	s_wait_alu 0xfffe
	s_or_b32 exec_lo, exec_lo, s6
	s_and_saveexec_b32 s6, s1
	s_cbranch_execz .LBB600_74
.LBB600_85:                             ;   in Loop: Header=BB600_66 Depth=2
	s_wait_dscnt 0x0
	ds_bpermute_b32 v28, v36, v27
	s_wait_dscnt 0x0
	v_add_f32_e32 v27, v27, v28
	ds_bpermute_b32 v28, v37, v27
	s_wait_dscnt 0x0
	v_add_f32_e32 v27, v27, v28
	ds_bpermute_b32 v28, v38, v27
	s_wait_dscnt 0x0
	v_add_f32_e32 v27, v27, v28
	s_wait_alu 0xfffe
	s_or_b32 exec_lo, exec_lo, s6
	s_and_saveexec_b32 s6, s0
	s_cbranch_execz .LBB600_65
.LBB600_86:                             ;   in Loop: Header=BB600_66 Depth=2
	s_mul_u64 s[56:57], s[36:37], s[28:29]
	s_wait_dscnt 0x0
	v_mul_f32_e32 v27, v32, v27
	s_wait_alu 0xfffe
	s_lshl_b64 s[56:57], s[56:57], 2
	s_wait_alu 0xfffe
	s_add_nc_u64 s[56:57], s[8:9], s[56:57]
	global_store_b32 v0, v27, s[56:57]
	s_branch .LBB600_65
.LBB600_87:
	s_endpgm
	.section	.rodata,"a",@progbits
	.p2align	6, 0x0
	.amdhsa_kernel _ZL23rocblas_gemvt_sn_kernelILb0ELi256ELi4EiPK16rocblas_bfloat16PKffEviiT4_lPKT3_lilS8_lilPT5_i
		.amdhsa_group_segment_fixed_size 128
		.amdhsa_private_segment_fixed_size 0
		.amdhsa_kernarg_size 360
		.amdhsa_user_sgpr_count 2
		.amdhsa_user_sgpr_dispatch_ptr 0
		.amdhsa_user_sgpr_queue_ptr 0
		.amdhsa_user_sgpr_kernarg_segment_ptr 1
		.amdhsa_user_sgpr_dispatch_id 0
		.amdhsa_user_sgpr_private_segment_size 0
		.amdhsa_wavefront_size32 1
		.amdhsa_uses_dynamic_stack 0
		.amdhsa_enable_private_segment 0
		.amdhsa_system_sgpr_workgroup_id_x 1
		.amdhsa_system_sgpr_workgroup_id_y 0
		.amdhsa_system_sgpr_workgroup_id_z 1
		.amdhsa_system_sgpr_workgroup_info 0
		.amdhsa_system_vgpr_workitem_id 0
		.amdhsa_next_free_vgpr 55
		.amdhsa_next_free_sgpr 74
		.amdhsa_reserve_vcc 1
		.amdhsa_float_round_mode_32 0
		.amdhsa_float_round_mode_16_64 0
		.amdhsa_float_denorm_mode_32 3
		.amdhsa_float_denorm_mode_16_64 3
		.amdhsa_fp16_overflow 0
		.amdhsa_workgroup_processor_mode 1
		.amdhsa_memory_ordered 1
		.amdhsa_forward_progress 1
		.amdhsa_inst_pref_size 38
		.amdhsa_round_robin_scheduling 0
		.amdhsa_exception_fp_ieee_invalid_op 0
		.amdhsa_exception_fp_denorm_src 0
		.amdhsa_exception_fp_ieee_div_zero 0
		.amdhsa_exception_fp_ieee_overflow 0
		.amdhsa_exception_fp_ieee_underflow 0
		.amdhsa_exception_fp_ieee_inexact 0
		.amdhsa_exception_int_div_zero 0
	.end_amdhsa_kernel
	.section	.text._ZL23rocblas_gemvt_sn_kernelILb0ELi256ELi4EiPK16rocblas_bfloat16PKffEviiT4_lPKT3_lilS8_lilPT5_i,"axG",@progbits,_ZL23rocblas_gemvt_sn_kernelILb0ELi256ELi4EiPK16rocblas_bfloat16PKffEviiT4_lPKT3_lilS8_lilPT5_i,comdat
.Lfunc_end600:
	.size	_ZL23rocblas_gemvt_sn_kernelILb0ELi256ELi4EiPK16rocblas_bfloat16PKffEviiT4_lPKT3_lilS8_lilPT5_i, .Lfunc_end600-_ZL23rocblas_gemvt_sn_kernelILb0ELi256ELi4EiPK16rocblas_bfloat16PKffEviiT4_lPKT3_lilS8_lilPT5_i
                                        ; -- End function
	.set _ZL23rocblas_gemvt_sn_kernelILb0ELi256ELi4EiPK16rocblas_bfloat16PKffEviiT4_lPKT3_lilS8_lilPT5_i.num_vgpr, 55
	.set _ZL23rocblas_gemvt_sn_kernelILb0ELi256ELi4EiPK16rocblas_bfloat16PKffEviiT4_lPKT3_lilS8_lilPT5_i.num_agpr, 0
	.set _ZL23rocblas_gemvt_sn_kernelILb0ELi256ELi4EiPK16rocblas_bfloat16PKffEviiT4_lPKT3_lilS8_lilPT5_i.numbered_sgpr, 74
	.set _ZL23rocblas_gemvt_sn_kernelILb0ELi256ELi4EiPK16rocblas_bfloat16PKffEviiT4_lPKT3_lilS8_lilPT5_i.num_named_barrier, 0
	.set _ZL23rocblas_gemvt_sn_kernelILb0ELi256ELi4EiPK16rocblas_bfloat16PKffEviiT4_lPKT3_lilS8_lilPT5_i.private_seg_size, 0
	.set _ZL23rocblas_gemvt_sn_kernelILb0ELi256ELi4EiPK16rocblas_bfloat16PKffEviiT4_lPKT3_lilS8_lilPT5_i.uses_vcc, 1
	.set _ZL23rocblas_gemvt_sn_kernelILb0ELi256ELi4EiPK16rocblas_bfloat16PKffEviiT4_lPKT3_lilS8_lilPT5_i.uses_flat_scratch, 1
	.set _ZL23rocblas_gemvt_sn_kernelILb0ELi256ELi4EiPK16rocblas_bfloat16PKffEviiT4_lPKT3_lilS8_lilPT5_i.has_dyn_sized_stack, 0
	.set _ZL23rocblas_gemvt_sn_kernelILb0ELi256ELi4EiPK16rocblas_bfloat16PKffEviiT4_lPKT3_lilS8_lilPT5_i.has_recursion, 0
	.set _ZL23rocblas_gemvt_sn_kernelILb0ELi256ELi4EiPK16rocblas_bfloat16PKffEviiT4_lPKT3_lilS8_lilPT5_i.has_indirect_call, 0
	.section	.AMDGPU.csdata,"",@progbits
; Kernel info:
; codeLenInByte = 4760
; TotalNumSgprs: 76
; NumVgprs: 55
; ScratchSize: 0
; MemoryBound: 0
; FloatMode: 240
; IeeeMode: 1
; LDSByteSize: 128 bytes/workgroup (compile time only)
; SGPRBlocks: 0
; VGPRBlocks: 6
; NumSGPRsForWavesPerEU: 76
; NumVGPRsForWavesPerEU: 55
; Occupancy: 16
; WaveLimiterHint : 0
; COMPUTE_PGM_RSRC2:SCRATCH_EN: 0
; COMPUTE_PGM_RSRC2:USER_SGPR: 2
; COMPUTE_PGM_RSRC2:TRAP_HANDLER: 0
; COMPUTE_PGM_RSRC2:TGID_X_EN: 1
; COMPUTE_PGM_RSRC2:TGID_Y_EN: 0
; COMPUTE_PGM_RSRC2:TGID_Z_EN: 1
; COMPUTE_PGM_RSRC2:TIDIG_COMP_CNT: 0
	.section	.text._ZL23rocblas_gemvt_sn_kernelILb0ELi256ELi4ElPK16rocblas_bfloat16PKffEviiT4_lPKT3_lilS8_lilPT5_i,"axG",@progbits,_ZL23rocblas_gemvt_sn_kernelILb0ELi256ELi4ElPK16rocblas_bfloat16PKffEviiT4_lPKT3_lilS8_lilPT5_i,comdat
	.globl	_ZL23rocblas_gemvt_sn_kernelILb0ELi256ELi4ElPK16rocblas_bfloat16PKffEviiT4_lPKT3_lilS8_lilPT5_i ; -- Begin function _ZL23rocblas_gemvt_sn_kernelILb0ELi256ELi4ElPK16rocblas_bfloat16PKffEviiT4_lPKT3_lilS8_lilPT5_i
	.p2align	8
	.type	_ZL23rocblas_gemvt_sn_kernelILb0ELi256ELi4ElPK16rocblas_bfloat16PKffEviiT4_lPKT3_lilS8_lilPT5_i,@function
_ZL23rocblas_gemvt_sn_kernelILb0ELi256ELi4ElPK16rocblas_bfloat16PKffEviiT4_lPKT3_lilS8_lilPT5_i: ; @_ZL23rocblas_gemvt_sn_kernelILb0ELi256ELi4ElPK16rocblas_bfloat16PKffEviiT4_lPKT3_lilS8_lilPT5_i
; %bb.0:
	s_load_b32 s33, s[0:1], 0x60
	s_lshr_b32 s10, ttmp7, 16
	s_wait_kmcnt 0x0
	s_cmp_ge_u32 s10, s33
	s_cbranch_scc1 .LBB601_87
; %bb.1:
	s_clause 0x6
	s_load_b32 s26, s[0:1], 0x28
	s_load_b32 s6, s[0:1], 0x48
	s_load_b64 s[28:29], s[0:1], 0x0
	s_load_b32 s30, s[0:1], 0x68
	s_load_b256 s[12:19], s[0:1], 0x8
	s_load_b128 s[20:23], s[0:1], 0x38
	s_load_b64 s[34:35], s[0:1], 0x58
	s_mov_b32 s25, 0
	v_cmp_eq_u32_e64 s0, 0, v0
	s_mov_b32 s31, s25
	v_and_b32_e32 v3, 31, v0
	v_cmp_gt_u32_e64 s5, 8, v0
	v_mbcnt_lo_u32_b32 v33, -1, 0
	s_mov_b32 s24, ttmp9
	s_delay_alu instid0(VALU_DEP_1)
	v_lshl_or_b32 v34, v33, 2, 64
	s_wait_kmcnt 0x0
	s_ashr_i32 s27, s26, 31
	s_ashr_i32 s7, s6, 31
	;; [unrolled: 1-line block ×3, first 2 shown]
	s_mov_b32 s2, s29
	s_cmp_gt_i32 s29, 0
	s_mul_u64 s[36:37], s[2:3], s[30:31]
	s_cselect_b32 s1, -1, 0
	s_lshl_b32 s2, ttmp9, 10
	s_ashr_i32 s4, s28, 31
	v_lshl_or_b32 v1, v0, 2, s2
	s_and_b32 s58, s0, s1
	s_lshr_b32 s1, s4, 30
	s_lshr_b32 s3, s3, 30
	s_add_co_i32 s1, s28, s1
	v_add_nc_u32_e32 v4, 4, v1
	s_and_b32 s1, s1, -4
	s_wait_alu 0xfffe
	s_add_co_i32 s2, s29, s3
	s_sub_co_i32 s60, s28, s1
	v_cmp_gt_u32_e64 s3, 32, v0
	v_add_nc_u32_e32 v5, s60, v1
	v_cmp_ge_i32_e64 s1, s28, v4
	v_lshrrev_b32_e32 v4, 3, v0
	v_or_b32_e32 v0, 1, v1
	s_wait_alu 0xfffe
	s_and_b32 s59, s2, -4
	v_cmp_ge_i32_e64 s2, s28, v5
	v_or_b32_e32 v5, 2, v1
	v_and_b32_e32 v32, 28, v4
	v_mad_co_i64_i32 v[9:10], null, s6, v0, 0
	v_or_b32_e32 v0, 3, v1
	s_delay_alu instid0(VALU_DEP_4) | instskip(SKIP_2) | instid1(VALU_DEP_3)
	v_mad_co_i64_i32 v[11:12], null, s6, v5, 0
	v_ashrrev_i32_e32 v2, 31, v1
	s_cmp_gt_i32 s59, 0
	v_mad_co_i64_i32 v[13:14], null, s6, v0, 0
	v_mov_b32_e32 v0, 0
	v_cmp_eq_u32_e64 s4, 0, v3
	v_lshlrev_b32_e32 v31, 2, v3
	v_mad_co_i64_i32 v[3:4], null, s6, v1, 0
	s_cselect_b32 s61, -1, 0
	s_cmp_gt_i32 s60, 0
	v_lshlrev_b64_e32 v[7:8], 1, v[1:2]
	v_lshlrev_b64_e32 v[9:10], 1, v[9:10]
	;; [unrolled: 1-line block ×5, first 2 shown]
	s_cselect_b32 s62, -1, 0
	s_lshl_b64 s[38:39], s[24:25], 2
	s_lshl_b64 s[42:43], s[36:37], 2
	s_add_nc_u64 s[40:41], s[34:35], s[38:39]
	s_lshl_b64 s[44:45], s[30:31], 2
	s_lshl_b64 s[46:47], s[6:7], 1
	s_mul_u64 s[48:49], s[26:27], 6
	s_lshl_b64 s[50:51], s[26:27], 3
	s_lshl_b64 s[52:53], s[26:27], 2
	;; [unrolled: 1-line block ×5, first 2 shown]
	s_branch .LBB601_3
.LBB601_2:                              ;   in Loop: Header=BB601_3 Depth=1
	s_add_co_i32 s10, s10, 0x10000
	s_delay_alu instid0(SALU_CYCLE_1)
	s_cmp_lt_u32 s10, s33
	s_cbranch_scc0 .LBB601_87
.LBB601_3:                              ; =>This Loop Header: Depth=1
                                        ;     Child Loop BB601_10 Depth 2
                                        ;     Child Loop BB601_16 Depth 2
                                        ;       Child Loop BB601_47 Depth 3
                                        ;       Child Loop BB601_50 Depth 3
                                        ;     Child Loop BB601_66 Depth 2
                                        ;       Child Loop BB601_79 Depth 3
                                        ;       Child Loop BB601_82 Depth 3
	s_mov_b32 s11, s25
	v_mov_b32_e32 v17, 0
	s_mul_u64 s[6:7], s[14:15], s[10:11]
	v_dual_mov_b32 v18, 0 :: v_dual_mov_b32 v1, 0
	s_wait_alu 0xfffe
	s_lshl_b64 s[6:7], s[6:7], 2
	v_mov_b32_e32 v2, 0
	s_wait_alu 0xfffe
	s_add_nc_u64 s[6:7], s[12:13], s[6:7]
	global_load_b32 v35, v0, s[6:7]
	s_wait_loadcnt 0x0
	v_cmp_eq_f32_e64 s6, 0, v35
	v_cmp_neq_f32_e64 s7, 0, v35
	s_wait_alu 0xfffe
	s_and_b32 vcc_lo, exec_lo, s6
	s_wait_alu 0xfffe
	s_cbranch_vccnz .LBB601_5
; %bb.4:                                ;   in Loop: Header=BB601_3 Depth=1
	s_lshl_b64 s[8:9], s[10:11], 3
	s_wait_alu 0xfffe
	s_add_nc_u64 s[8:9], s[16:17], s[8:9]
	global_load_b64 v[1:2], v0, s[8:9]
	s_wait_loadcnt 0x0
	v_add_co_u32 v1, vcc_lo, v1, s18
	s_wait_alu 0xfffd
	v_add_co_ci_u32_e64 v2, null, s19, v2, vcc_lo
.LBB601_5:                              ;   in Loop: Header=BB601_3 Depth=1
	s_and_not1_b32 vcc_lo, exec_lo, s7
	s_wait_alu 0xfffe
	s_cbranch_vccnz .LBB601_7
; %bb.6:                                ;   in Loop: Header=BB601_3 Depth=1
	s_lshl_b64 s[8:9], s[10:11], 3
	s_wait_alu 0xfffe
	s_add_nc_u64 s[8:9], s[20:21], s[8:9]
	global_load_b64 v[3:4], v0, s[8:9]
	s_wait_loadcnt 0x0
	v_add_co_u32 v17, vcc_lo, v3, s22
	s_wait_alu 0xfffd
	v_add_co_ci_u32_e64 v18, null, s23, v4, vcc_lo
.LBB601_7:                              ;   in Loop: Header=BB601_3 Depth=1
	s_and_not1_b32 vcc_lo, exec_lo, s6
	s_mov_b32 s6, -1
	s_wait_alu 0xfffe
	s_cbranch_vccnz .LBB601_12
; %bb.8:                                ;   in Loop: Header=BB601_3 Depth=1
	s_and_saveexec_b32 s8, s58
	s_cbranch_execz .LBB601_11
; %bb.9:                                ;   in Loop: Header=BB601_3 Depth=1
	s_mul_u64 s[6:7], s[42:43], s[10:11]
	s_mov_b32 s9, s29
	s_wait_alu 0xfffe
	s_add_nc_u64 s[6:7], s[40:41], s[6:7]
.LBB601_10:                             ;   Parent Loop BB601_3 Depth=1
                                        ; =>  This Inner Loop Header: Depth=2
	s_add_co_i32 s9, s9, -1
	global_store_b32 v0, v0, s[6:7]
	s_wait_alu 0xfffe
	s_cmp_eq_u32 s9, 0
	s_add_nc_u64 s[6:7], s[6:7], s[44:45]
	s_cbranch_scc0 .LBB601_10
.LBB601_11:                             ;   in Loop: Header=BB601_3 Depth=1
	s_wait_alu 0xfffe
	s_or_b32 exec_lo, exec_lo, s8
	s_mov_b32 s6, 0
.LBB601_12:                             ;   in Loop: Header=BB601_3 Depth=1
	s_wait_alu 0xfffe
	s_and_not1_b32 vcc_lo, exec_lo, s6
	s_wait_alu 0xfffe
	s_cbranch_vccnz .LBB601_2
; %bb.13:                               ;   in Loop: Header=BB601_3 Depth=1
	s_mul_u64 s[6:7], s[36:37], s[10:11]
	v_add_co_u32 v15, vcc_lo, v1, v7
	s_wait_alu 0xfffe
	s_lshl_b64 s[56:57], s[6:7], 2
	s_wait_alu 0xfffd
	v_add_co_ci_u32_e64 v16, null, v2, v8, vcc_lo
	v_cmp_gt_u32_e64 s9, 24, v33
	v_cmp_gt_u32_e64 s8, 28, v33
	;; [unrolled: 1-line block ×3, first 2 shown]
	v_cmp_ne_u32_e64 s6, 31, v33
	s_add_nc_u64 s[56:57], s[34:35], s[56:57]
	s_and_not1_b32 vcc_lo, exec_lo, s61
	s_add_nc_u64 s[56:57], s[56:57], s[38:39]
	s_wait_alu 0xfffe
	s_cbranch_vccnz .LBB601_62
; %bb.14:                               ;   in Loop: Header=BB601_3 Depth=1
	v_cndmask_b32_e64 v3, 0, 2, s7
	v_add_co_u32 v19, vcc_lo, v17, v5
	v_cndmask_b32_e64 v1, 0, 8, s9
	v_cndmask_b32_e64 v2, 0, 4, s8
	v_add_co_ci_u32_e64 v4, null, 0, v33, s6
	v_add_lshl_u32 v38, v3, v33, 2
	s_wait_alu 0xfffd
	v_add_co_ci_u32_e64 v20, null, v18, v6, vcc_lo
	v_add_co_u32 v21, vcc_lo, v17, v9
	v_mov_b32_e32 v3, v0
	s_wait_alu 0xfffd
	v_add_co_ci_u32_e64 v22, null, v18, v10, vcc_lo
	v_add_co_u32 v23, vcc_lo, v17, v11
	v_add_lshl_u32 v36, v1, v33, 2
	v_add_lshl_u32 v37, v2, v33, 2
	v_dual_mov_b32 v2, v0 :: v_dual_lshlrev_b32 v39, 2, v4
	s_wait_alu 0xfffd
	v_add_co_ci_u32_e64 v24, null, v18, v12, vcc_lo
	s_wait_dscnt 0x0
	v_dual_mov_b32 v1, v0 :: v_dual_mov_b32 v28, v16
	v_add_co_u32 v25, vcc_lo, v17, v13
	v_dual_mov_b32 v27, v15 :: v_dual_mov_b32 v4, v3
	s_wait_alu 0xfffd
	v_add_co_ci_u32_e64 v26, null, v18, v14, vcc_lo
	v_mov_b32_e32 v3, v2
	v_mov_b32_e32 v2, v1
	;; [unrolled: 1-line block ×3, first 2 shown]
	s_mov_b32 s24, 0
	s_branch .LBB601_16
.LBB601_15:                             ;   in Loop: Header=BB601_16 Depth=2
	s_wait_alu 0xfffe
	s_or_b32 exec_lo, exec_lo, s6
	v_add_co_u32 v27, vcc_lo, v27, s50
	s_wait_alu 0xfffd
	v_add_co_ci_u32_e64 v28, null, s51, v28, vcc_lo
	s_add_co_i32 s24, s24, 4
	s_wait_alu 0xfffe
	s_cmp_ge_i32 s24, s59
	s_cbranch_scc1 .LBB601_63
.LBB601_16:                             ;   Parent Loop BB601_3 Depth=1
                                        ; =>  This Loop Header: Depth=2
                                        ;       Child Loop BB601_47 Depth 3
                                        ;       Child Loop BB601_50 Depth 3
                                        ; implicit-def: $vgpr40
                                        ; implicit-def: $vgpr41
                                        ; implicit-def: $vgpr42
                                        ; implicit-def: $vgpr43
	s_and_saveexec_b32 s6, s1
	s_wait_alu 0xfffe
	s_xor_b32 s6, exec_lo, s6
	s_cbranch_execnz .LBB601_43
; %bb.17:                               ;   in Loop: Header=BB601_16 Depth=2
	s_wait_alu 0xfffe
	s_and_not1_saveexec_b32 s11, s6
	s_cbranch_execnz .LBB601_44
.LBB601_18:                             ;   in Loop: Header=BB601_16 Depth=2
	s_or_b32 exec_lo, exec_lo, s11
	s_and_saveexec_b32 s6, s3
.LBB601_19:                             ;   in Loop: Header=BB601_16 Depth=2
	ds_store_b32 v31, v0
.LBB601_20:                             ;   in Loop: Header=BB601_16 Depth=2
	s_wait_alu 0xfffe
	s_or_b32 exec_lo, exec_lo, s6
	ds_bpermute_b32 v29, v34, v43
	s_wait_storecnt_dscnt 0x0
	s_barrier_signal -1
	s_barrier_wait -1
	global_inv scope:SCOPE_SE
	v_add_f32_e32 v29, v43, v29
	ds_bpermute_b32 v30, v36, v29
	s_wait_dscnt 0x0
	v_add_f32_e32 v29, v29, v30
	ds_bpermute_b32 v30, v37, v29
	s_wait_dscnt 0x0
	;; [unrolled: 3-line block ×3, first 2 shown]
	v_add_f32_e32 v29, v29, v30
	ds_bpermute_b32 v30, v39, v29
	s_and_saveexec_b32 s6, s4
	s_cbranch_execz .LBB601_22
; %bb.21:                               ;   in Loop: Header=BB601_16 Depth=2
	s_wait_dscnt 0x0
	v_add_f32_e32 v29, v29, v30
	ds_store_b32 v32, v29
.LBB601_22:                             ;   in Loop: Header=BB601_16 Depth=2
	s_wait_alu 0xfffe
	s_or_b32 exec_lo, exec_lo, s6
	v_mov_b32_e32 v29, 0
	s_wait_loadcnt_dscnt 0x0
	s_barrier_signal -1
	s_barrier_wait -1
	global_inv scope:SCOPE_SE
	s_and_saveexec_b32 s6, s5
	s_cbranch_execnz .LBB601_51
; %bb.23:                               ;   in Loop: Header=BB601_16 Depth=2
	s_wait_alu 0xfffe
	s_or_b32 exec_lo, exec_lo, s6
	s_and_saveexec_b32 s6, s3
	s_cbranch_execnz .LBB601_52
.LBB601_24:                             ;   in Loop: Header=BB601_16 Depth=2
	s_wait_alu 0xfffe
	s_or_b32 exec_lo, exec_lo, s6
	s_and_saveexec_b32 s6, s3
.LBB601_25:                             ;   in Loop: Header=BB601_16 Depth=2
	ds_store_b32 v31, v0
.LBB601_26:                             ;   in Loop: Header=BB601_16 Depth=2
	s_wait_alu 0xfffe
	s_or_b32 exec_lo, exec_lo, s6
	ds_bpermute_b32 v30, v34, v42
	s_wait_loadcnt_dscnt 0x0
	s_barrier_signal -1
	s_barrier_wait -1
	global_inv scope:SCOPE_SE
	v_add_f32_e32 v30, v42, v30
	ds_bpermute_b32 v42, v36, v30
	s_wait_dscnt 0x0
	v_add_f32_e32 v30, v30, v42
	ds_bpermute_b32 v42, v37, v30
	s_wait_dscnt 0x0
	;; [unrolled: 3-line block ×3, first 2 shown]
	v_add_f32_e32 v30, v30, v42
	ds_bpermute_b32 v42, v39, v30
	s_and_saveexec_b32 s6, s4
	s_cbranch_execz .LBB601_28
; %bb.27:                               ;   in Loop: Header=BB601_16 Depth=2
	s_wait_dscnt 0x0
	v_add_f32_e32 v30, v30, v42
	ds_store_b32 v32, v30
.LBB601_28:                             ;   in Loop: Header=BB601_16 Depth=2
	s_wait_alu 0xfffe
	s_or_b32 exec_lo, exec_lo, s6
	v_mov_b32_e32 v30, 0
	s_wait_loadcnt_dscnt 0x0
	s_barrier_signal -1
	s_barrier_wait -1
	global_inv scope:SCOPE_SE
	s_and_saveexec_b32 s6, s5
	s_cbranch_execnz .LBB601_53
; %bb.29:                               ;   in Loop: Header=BB601_16 Depth=2
	s_wait_alu 0xfffe
	s_or_b32 exec_lo, exec_lo, s6
	s_and_saveexec_b32 s6, s3
	s_cbranch_execnz .LBB601_54
.LBB601_30:                             ;   in Loop: Header=BB601_16 Depth=2
	s_wait_alu 0xfffe
	s_or_b32 exec_lo, exec_lo, s6
	s_and_saveexec_b32 s6, s3
.LBB601_31:                             ;   in Loop: Header=BB601_16 Depth=2
	ds_store_b32 v31, v0
.LBB601_32:                             ;   in Loop: Header=BB601_16 Depth=2
	s_wait_alu 0xfffe
	s_or_b32 exec_lo, exec_lo, s6
	ds_bpermute_b32 v42, v34, v41
	s_wait_loadcnt_dscnt 0x0
	s_barrier_signal -1
	s_barrier_wait -1
	global_inv scope:SCOPE_SE
	v_add_f32_e32 v41, v41, v42
	ds_bpermute_b32 v42, v36, v41
	s_wait_dscnt 0x0
	v_add_f32_e32 v41, v41, v42
	ds_bpermute_b32 v42, v37, v41
	s_wait_dscnt 0x0
	;; [unrolled: 3-line block ×3, first 2 shown]
	v_add_f32_e32 v41, v41, v42
	ds_bpermute_b32 v42, v39, v41
	s_and_saveexec_b32 s6, s4
	s_cbranch_execz .LBB601_34
; %bb.33:                               ;   in Loop: Header=BB601_16 Depth=2
	s_wait_dscnt 0x0
	v_add_f32_e32 v41, v41, v42
	ds_store_b32 v32, v41
.LBB601_34:                             ;   in Loop: Header=BB601_16 Depth=2
	s_wait_alu 0xfffe
	s_or_b32 exec_lo, exec_lo, s6
	v_mov_b32_e32 v41, 0
	s_wait_loadcnt_dscnt 0x0
	s_barrier_signal -1
	s_barrier_wait -1
	global_inv scope:SCOPE_SE
	s_and_saveexec_b32 s6, s5
	s_cbranch_execnz .LBB601_55
; %bb.35:                               ;   in Loop: Header=BB601_16 Depth=2
	s_wait_alu 0xfffe
	s_or_b32 exec_lo, exec_lo, s6
	s_and_saveexec_b32 s6, s3
	s_cbranch_execnz .LBB601_56
.LBB601_36:                             ;   in Loop: Header=BB601_16 Depth=2
	s_wait_alu 0xfffe
	s_or_b32 exec_lo, exec_lo, s6
	s_and_saveexec_b32 s6, s3
.LBB601_37:                             ;   in Loop: Header=BB601_16 Depth=2
	ds_store_b32 v31, v0
.LBB601_38:                             ;   in Loop: Header=BB601_16 Depth=2
	s_wait_alu 0xfffe
	s_or_b32 exec_lo, exec_lo, s6
	ds_bpermute_b32 v42, v34, v40
	s_wait_loadcnt_dscnt 0x0
	s_barrier_signal -1
	s_barrier_wait -1
	global_inv scope:SCOPE_SE
	v_add_f32_e32 v40, v40, v42
	ds_bpermute_b32 v42, v36, v40
	s_wait_dscnt 0x0
	v_add_f32_e32 v40, v40, v42
	ds_bpermute_b32 v42, v37, v40
	s_wait_dscnt 0x0
	v_add_f32_e32 v40, v40, v42
	ds_bpermute_b32 v42, v38, v40
	s_wait_dscnt 0x0
	v_add_f32_e32 v40, v40, v42
	ds_bpermute_b32 v42, v39, v40
	s_and_saveexec_b32 s6, s4
	s_cbranch_execz .LBB601_40
; %bb.39:                               ;   in Loop: Header=BB601_16 Depth=2
	s_wait_dscnt 0x0
	v_add_f32_e32 v40, v40, v42
	ds_store_b32 v32, v40
.LBB601_40:                             ;   in Loop: Header=BB601_16 Depth=2
	s_wait_alu 0xfffe
	s_or_b32 exec_lo, exec_lo, s6
	v_mov_b32_e32 v40, 0
	s_wait_loadcnt_dscnt 0x0
	s_barrier_signal -1
	s_barrier_wait -1
	global_inv scope:SCOPE_SE
	s_and_saveexec_b32 s6, s5
	s_cbranch_execnz .LBB601_57
; %bb.41:                               ;   in Loop: Header=BB601_16 Depth=2
	s_wait_alu 0xfffe
	s_or_b32 exec_lo, exec_lo, s6
	s_and_saveexec_b32 s6, s3
	s_cbranch_execnz .LBB601_58
.LBB601_42:                             ;   in Loop: Header=BB601_16 Depth=2
	s_wait_alu 0xfffe
	s_or_b32 exec_lo, exec_lo, s6
	s_and_saveexec_b32 s6, s0
	s_cbranch_execz .LBB601_15
	s_branch .LBB601_59
.LBB601_43:                             ;   in Loop: Header=BB601_16 Depth=2
	s_mul_u64 s[8:9], s[24:25], s[26:27]
	s_or_b32 s64, s24, 2
	s_wait_alu 0xfffe
	s_lshl_b64 s[8:9], s[8:9], 1
	s_mov_b32 s65, s25
	s_wait_alu 0xfffe
	v_add_co_u32 v1, vcc_lo, v15, s8
	s_wait_alu 0xfffd
	v_add_co_ci_u32_e64 v2, null, s9, v16, vcc_lo
	s_or_b32 s8, s24, 1
	s_mov_b32 s9, s25
	s_wait_alu 0xfffe
	s_mul_u64 s[8:9], s[8:9], s[26:27]
	flat_load_b64 v[29:30], v[1:2]
	s_wait_alu 0xfffe
	s_lshl_b64 s[8:9], s[8:9], 1
	s_clause 0x3
	flat_load_u16 v48, v[19:20]
	flat_load_u16 v49, v[21:22]
	;; [unrolled: 1-line block ×4, first 2 shown]
	s_wait_alu 0xfffe
	v_add_co_u32 v1, vcc_lo, v15, s8
	s_wait_alu 0xfffd
	v_add_co_ci_u32_e64 v2, null, s9, v16, vcc_lo
	s_mul_u64 s[8:9], s[64:65], s[26:27]
	s_or_b32 s64, s24, 3
	s_wait_alu 0xfffe
	s_lshl_b64 s[8:9], s[8:9], 1
	s_mul_u64 s[64:65], s[64:65], s[26:27]
	s_wait_alu 0xfffe
	v_add_co_u32 v3, vcc_lo, v15, s8
	s_wait_alu 0xfffd
	v_add_co_ci_u32_e64 v4, null, s9, v16, vcc_lo
	s_lshl_b64 s[8:9], s[64:65], 1
	s_wait_dscnt 0x5
	s_wait_alu 0xfffe
	v_add_co_u32 v40, vcc_lo, v15, s8
	s_wait_alu 0xfffd
	v_add_co_ci_u32_e64 v41, null, s9, v16, vcc_lo
	s_clause 0x2
	flat_load_b64 v[42:43], v[1:2]
	flat_load_b64 v[44:45], v[3:4]
	;; [unrolled: 1-line block ×3, first 2 shown]
	s_wait_loadcnt_dscnt 0x707
	v_lshlrev_b32_e32 v40, 16, v29
	s_wait_loadcnt_dscnt 0x202
	v_lshlrev_b32_e32 v52, 16, v43
	v_and_b32_e32 v29, 0xffff0000, v29
	v_lshlrev_b32_e32 v4, 16, v51
	s_wait_loadcnt_dscnt 0x0
	v_and_b32_e32 v51, 0xffff0000, v46
	v_lshlrev_b32_e32 v3, 16, v50
	v_lshlrev_b32_e32 v2, 16, v49
	;; [unrolled: 1-line block ×3, first 2 shown]
	v_and_b32_e32 v50, 0xffff0000, v42
	v_lshlrev_b32_e32 v1, 16, v48
	v_lshlrev_b32_e32 v46, 16, v46
	v_and_b32_e32 v54, 0xffff0000, v43
	v_lshlrev_b32_e32 v53, 16, v45
	v_lshlrev_b32_e32 v48, 16, v30
	v_fma_f32 v42, v1, v41, 0
	s_delay_alu instid0(VALU_DEP_1) | instskip(SKIP_2) | instid1(VALU_DEP_2)
	v_dual_fmac_f32 v42, v2, v50 :: v_dual_and_b32 v45, 0xffff0000, v45
	v_fma_f32 v43, v1, v40, 0
	v_fma_f32 v40, v46, v1, 0
	v_dual_fmac_f32 v43, v2, v29 :: v_dual_lshlrev_b32 v46, 16, v47
	v_and_b32_e32 v29, 0xffff0000, v47
	s_delay_alu instid0(VALU_DEP_2) | instskip(SKIP_3) | instid1(VALU_DEP_4)
	v_dual_fmac_f32 v43, v3, v48 :: v_dual_fmac_f32 v40, v2, v51
	v_fmac_f32_e32 v42, v3, v52
	v_lshlrev_b32_e32 v49, 16, v44
	v_and_b32_e32 v44, 0xffff0000, v44
	v_fmac_f32_e32 v40, v46, v3
	s_delay_alu instid0(VALU_DEP_4) | instskip(NEXT) | instid1(VALU_DEP_4)
	v_fmac_f32_e32 v42, v4, v54
	v_fma_f32 v41, v1, v49, 0
	s_delay_alu instid0(VALU_DEP_1) | instskip(NEXT) | instid1(VALU_DEP_1)
	v_dual_fmac_f32 v40, v4, v29 :: v_dual_fmac_f32 v41, v2, v44
	v_dual_fmac_f32 v41, v3, v53 :: v_dual_and_b32 v30, 0xffff0000, v30
	s_delay_alu instid0(VALU_DEP_1) | instskip(NEXT) | instid1(VALU_DEP_2)
	v_fmac_f32_e32 v41, v4, v45
	v_fmac_f32_e32 v43, v4, v30
	s_and_not1_saveexec_b32 s11, s6
	s_cbranch_execz .LBB601_18
.LBB601_44:                             ;   in Loop: Header=BB601_16 Depth=2
	s_wait_dscnt 0x0
	v_dual_mov_b32 v40, 0 :: v_dual_mov_b32 v41, 0
	v_dual_mov_b32 v42, 0 :: v_dual_mov_b32 v43, 0
	s_and_saveexec_b32 s28, s2
	s_cbranch_execz .LBB601_61
; %bb.45:                               ;   in Loop: Header=BB601_16 Depth=2
	s_and_not1_b32 vcc_lo, exec_lo, s62
	s_wait_alu 0xfffe
	s_cbranch_vccnz .LBB601_48
; %bb.46:                               ;   in Loop: Header=BB601_16 Depth=2
	v_dual_mov_b32 v30, v20 :: v_dual_mov_b32 v29, v19
	s_mov_b64 s[8:9], 0
.LBB601_47:                             ;   Parent Loop BB601_3 Depth=1
                                        ;     Parent Loop BB601_16 Depth=2
                                        ; =>    This Inner Loop Header: Depth=3
	flat_load_u16 v40, v[29:30]
	s_wait_alu 0xfffe
	s_cmp_eq_u32 s8, 3
	v_add_co_u32 v29, vcc_lo, v29, s46
	s_wait_alu 0xfffd
	v_add_co_ci_u32_e64 v30, null, s47, v30, vcc_lo
	s_cselect_b32 vcc_lo, -1, 0
	s_cmp_eq_u32 s8, 2
	s_cselect_b32 s6, -1, 0
	s_cmp_eq_u32 s8, 1
	s_cselect_b32 s7, -1, 0
	s_cmp_eq_u32 s8, 0
	s_add_nc_u64 s[8:9], s[8:9], 1
	s_wait_loadcnt_dscnt 0x0
	v_lshlrev_b32_e32 v40, 16, v40
	s_wait_alu 0xfffe
	s_delay_alu instid0(VALU_DEP_1)
	v_cndmask_b32_e32 v4, v4, v40, vcc_lo
	s_cselect_b32 vcc_lo, -1, 0
	v_cndmask_b32_e64 v3, v3, v40, s6
	v_cndmask_b32_e64 v2, v2, v40, s7
	s_wait_alu 0xfffe
	v_cndmask_b32_e32 v1, v1, v40, vcc_lo
	s_cmp_eq_u32 s60, s8
	s_cbranch_scc0 .LBB601_47
.LBB601_48:                             ;   in Loop: Header=BB601_16 Depth=2
	s_and_not1_b32 vcc_lo, exec_lo, s62
	s_wait_alu 0xfffe
	s_cbranch_vccnz .LBB601_60
; %bb.49:                               ;   in Loop: Header=BB601_16 Depth=2
	v_dual_mov_b32 v43, 0 :: v_dual_mov_b32 v30, v28
	v_dual_mov_b32 v29, v27 :: v_dual_mov_b32 v42, 0
	;; [unrolled: 1-line block ×3, first 2 shown]
	s_mov_b64 s[8:9], 0
.LBB601_50:                             ;   Parent Loop BB601_3 Depth=1
                                        ;     Parent Loop BB601_16 Depth=2
                                        ; =>    This Inner Loop Header: Depth=3
	s_delay_alu instid0(VALU_DEP_2)
	v_add_co_u32 v44, vcc_lo, v29, s54
	s_wait_alu 0xfffd
	v_add_co_ci_u32_e64 v45, null, s55, v30, vcc_lo
	v_add_co_u32 v46, vcc_lo, v29, s52
	s_wait_alu 0xfffd
	v_add_co_ci_u32_e64 v47, null, s53, v30, vcc_lo
	;; [unrolled: 3-line block ×3, first 2 shown]
	s_clause 0x3
	flat_load_u16 v50, v[29:30]
	flat_load_u16 v44, v[44:45]
	;; [unrolled: 1-line block ×4, first 2 shown]
	s_wait_alu 0xfffe
	s_cmp_eq_u32 s8, 1
	v_add_co_u32 v29, s6, v29, 2
	s_cselect_b32 vcc_lo, -1, 0
	s_cmp_eq_u32 s8, 2
	s_wait_alu 0xfffe
	v_cndmask_b32_e32 v47, v1, v2, vcc_lo
	s_cselect_b32 vcc_lo, -1, 0
	s_cmp_eq_u32 s8, 3
	v_add_co_ci_u32_e64 v30, null, 0, v30, s6
	s_add_nc_u64 s[8:9], s[8:9], 1
	s_wait_loadcnt_dscnt 0x303
	v_lshlrev_b32_e32 v48, 16, v50
	s_wait_loadcnt_dscnt 0x202
	s_wait_alu 0xfffe
	v_dual_cndmask_b32 v47, v47, v3 :: v_dual_lshlrev_b32 v44, 16, v44
	s_cselect_b32 vcc_lo, -1, 0
	s_wait_loadcnt_dscnt 0x0
	v_lshlrev_b32_e32 v46, 16, v46
	s_cmp_lg_u32 s60, s8
	s_wait_alu 0xfffe
	v_cndmask_b32_e32 v47, v47, v4, vcc_lo
	s_delay_alu instid0(VALU_DEP_1) | instskip(SKIP_1) | instid1(VALU_DEP_2)
	v_dual_fmac_f32 v42, v47, v44 :: v_dual_lshlrev_b32 v45, 16, v45
	v_fmac_f32_e32 v43, v47, v48
	v_fmac_f32_e32 v41, v47, v45
	;; [unrolled: 1-line block ×3, first 2 shown]
	s_cbranch_scc1 .LBB601_50
	s_branch .LBB601_61
.LBB601_51:                             ;   in Loop: Header=BB601_16 Depth=2
	ds_load_b32 v29, v31
	s_wait_alu 0xfffe
	s_or_b32 exec_lo, exec_lo, s6
	s_and_saveexec_b32 s6, s3
	s_cbranch_execz .LBB601_24
.LBB601_52:                             ;   in Loop: Header=BB601_16 Depth=2
	s_wait_dscnt 0x0
	ds_bpermute_b32 v30, v37, v29
	s_wait_dscnt 0x0
	v_add_f32_e32 v29, v29, v30
	ds_bpermute_b32 v30, v38, v29
	s_wait_dscnt 0x0
	v_add_f32_e32 v29, v29, v30
	;; [unrolled: 3-line block ×3, first 2 shown]
	s_wait_alu 0xfffe
	s_or_b32 exec_lo, exec_lo, s6
	s_and_saveexec_b32 s6, s3
	s_cbranch_execnz .LBB601_25
	s_branch .LBB601_26
.LBB601_53:                             ;   in Loop: Header=BB601_16 Depth=2
	ds_load_b32 v30, v31
	s_wait_alu 0xfffe
	s_or_b32 exec_lo, exec_lo, s6
	s_and_saveexec_b32 s6, s3
	s_cbranch_execz .LBB601_30
.LBB601_54:                             ;   in Loop: Header=BB601_16 Depth=2
	s_wait_dscnt 0x0
	ds_bpermute_b32 v42, v37, v30
	s_wait_dscnt 0x0
	v_add_f32_e32 v30, v30, v42
	ds_bpermute_b32 v42, v38, v30
	s_wait_dscnt 0x0
	v_add_f32_e32 v30, v30, v42
	;; [unrolled: 3-line block ×3, first 2 shown]
	s_wait_alu 0xfffe
	s_or_b32 exec_lo, exec_lo, s6
	s_and_saveexec_b32 s6, s3
	s_cbranch_execnz .LBB601_31
	s_branch .LBB601_32
.LBB601_55:                             ;   in Loop: Header=BB601_16 Depth=2
	ds_load_b32 v41, v31
	s_wait_alu 0xfffe
	s_or_b32 exec_lo, exec_lo, s6
	s_and_saveexec_b32 s6, s3
	s_cbranch_execz .LBB601_36
.LBB601_56:                             ;   in Loop: Header=BB601_16 Depth=2
	s_wait_dscnt 0x0
	ds_bpermute_b32 v42, v37, v41
	s_wait_dscnt 0x0
	v_add_f32_e32 v41, v41, v42
	ds_bpermute_b32 v42, v38, v41
	s_wait_dscnt 0x0
	v_add_f32_e32 v41, v41, v42
	;; [unrolled: 3-line block ×3, first 2 shown]
	s_wait_alu 0xfffe
	s_or_b32 exec_lo, exec_lo, s6
	s_and_saveexec_b32 s6, s3
	s_cbranch_execnz .LBB601_37
	s_branch .LBB601_38
.LBB601_57:                             ;   in Loop: Header=BB601_16 Depth=2
	ds_load_b32 v40, v31
	s_wait_alu 0xfffe
	s_or_b32 exec_lo, exec_lo, s6
	s_and_saveexec_b32 s6, s3
	s_cbranch_execz .LBB601_42
.LBB601_58:                             ;   in Loop: Header=BB601_16 Depth=2
	s_wait_dscnt 0x0
	ds_bpermute_b32 v42, v37, v40
	s_wait_dscnt 0x0
	v_add_f32_e32 v40, v40, v42
	ds_bpermute_b32 v42, v38, v40
	s_wait_dscnt 0x0
	v_add_f32_e32 v40, v40, v42
	ds_bpermute_b32 v42, v39, v40
	s_wait_dscnt 0x0
	v_add_f32_e32 v40, v40, v42
	s_wait_alu 0xfffe
	s_or_b32 exec_lo, exec_lo, s6
	s_and_saveexec_b32 s6, s0
	s_cbranch_execz .LBB601_15
.LBB601_59:                             ;   in Loop: Header=BB601_16 Depth=2
	s_mul_u64 s[8:9], s[24:25], s[30:31]
	v_mul_f32_e32 v29, v35, v29
	s_or_b32 s64, s24, 1
	s_mov_b32 s65, s25
	s_wait_alu 0xfffe
	s_lshl_b64 s[8:9], s[8:9], 2
	s_mul_u64 s[64:65], s[64:65], s[30:31]
	s_wait_alu 0xfffe
	s_add_nc_u64 s[8:9], s[56:57], s[8:9]
	v_mul_f32_e32 v30, v35, v30
	s_or_b32 s66, s24, 2
	s_mov_b32 s67, s25
	global_store_b32 v0, v29, s[8:9]
	s_lshl_b64 s[8:9], s[64:65], 2
	s_mul_u64 s[64:65], s[66:67], s[30:31]
	s_or_b32 s66, s24, 3
	s_wait_alu 0xfffe
	s_add_nc_u64 s[8:9], s[56:57], s[8:9]
	s_mul_u64 s[66:67], s[66:67], s[30:31]
	v_mul_f32_e32 v29, v35, v41
	global_store_b32 v0, v30, s[8:9]
	s_lshl_b64 s[8:9], s[64:65], 2
	s_wait_dscnt 0x0
	v_mul_f32_e32 v30, v35, v40
	s_lshl_b64 s[64:65], s[66:67], 2
	s_wait_alu 0xfffe
	s_add_nc_u64 s[8:9], s[56:57], s[8:9]
	s_add_nc_u64 s[64:65], s[56:57], s[64:65]
	s_clause 0x1
	global_store_b32 v0, v29, s[8:9]
	global_store_b32 v0, v30, s[64:65]
	s_branch .LBB601_15
.LBB601_60:                             ;   in Loop: Header=BB601_16 Depth=2
	v_dual_mov_b32 v40, 0 :: v_dual_mov_b32 v41, 0
	v_dual_mov_b32 v42, 0 :: v_dual_mov_b32 v43, 0
.LBB601_61:                             ;   in Loop: Header=BB601_16 Depth=2
	s_wait_alu 0xfffe
	s_or_b32 exec_lo, exec_lo, s28
	s_delay_alu instid0(SALU_CYCLE_1)
	s_or_b32 exec_lo, exec_lo, s11
	s_and_saveexec_b32 s6, s3
	s_cbranch_execnz .LBB601_19
	s_branch .LBB601_20
.LBB601_62:                             ;   in Loop: Header=BB601_3 Depth=1
	v_mov_b32_e32 v3, v0
	v_dual_mov_b32 v1, v0 :: v_dual_mov_b32 v2, v0
	s_mov_b32 s24, 0
	s_delay_alu instid0(VALU_DEP_2) | instskip(NEXT) | instid1(VALU_DEP_2)
	v_mov_b32_e32 v4, v3
	v_mov_b32_e32 v3, v2
	s_delay_alu instid0(VALU_DEP_3)
	v_mov_b32_e32 v2, v1
	v_mov_b32_e32 v1, v0
.LBB601_63:                             ;   in Loop: Header=BB601_3 Depth=1
	s_wait_alu 0xfffe
	s_cmp_ge_i32 s24, s29
	s_cbranch_scc1 .LBB601_2
; %bb.64:                               ;   in Loop: Header=BB601_3 Depth=1
	v_cmp_gt_u32_e32 vcc_lo, 24, v33
	s_wait_alu 0xfffd
	v_cndmask_b32_e64 v19, 0, 8, vcc_lo
	v_cmp_gt_u32_e32 vcc_lo, 28, v33
	s_delay_alu instid0(VALU_DEP_2) | instskip(SKIP_4) | instid1(VALU_DEP_3)
	v_add_lshl_u32 v29, v19, v33, 2
	s_wait_alu 0xfffd
	v_cndmask_b32_e64 v21, 0, 4, vcc_lo
	v_cmp_gt_u32_e32 vcc_lo, 30, v33
	v_mad_co_u64_u32 v[19:20], null, s54, s24, v[15:16]
	v_add_lshl_u32 v30, v21, v33, 2
	s_wait_alu 0xfffd
	v_cndmask_b32_e64 v22, 0, 2, vcc_lo
	v_cmp_ne_u32_e32 vcc_lo, 31, v33
	s_delay_alu instid0(VALU_DEP_2)
	v_add_lshl_u32 v36, v22, v33, 2
	s_wait_alu 0xfffd
	v_add_co_ci_u32_e64 v23, null, 0, v33, vcc_lo
	v_add_co_u32 v21, vcc_lo, v17, v5
	s_wait_alu 0xfffd
	v_add_co_ci_u32_e64 v22, null, v18, v6, vcc_lo
	s_wait_dscnt 0x0
	s_delay_alu instid0(VALU_DEP_2)
	v_mad_co_u64_u32 v[27:28], null, s55, s24, v[20:21]
	v_lshlrev_b32_e32 v37, 2, v23
	v_add_co_u32 v23, vcc_lo, v17, v9
	s_wait_alu 0xfffd
	v_add_co_ci_u32_e64 v24, null, v18, v10, vcc_lo
	v_add_co_u32 v25, vcc_lo, v17, v11
	s_wait_alu 0xfffd
	v_add_co_ci_u32_e64 v26, null, v18, v12, vcc_lo
	;; [unrolled: 3-line block ×3, first 2 shown]
	v_mov_b32_e32 v20, v27
	s_branch .LBB601_66
.LBB601_65:                             ;   in Loop: Header=BB601_66 Depth=2
	s_wait_alu 0xfffe
	s_or_b32 exec_lo, exec_lo, s6
	v_add_co_u32 v19, vcc_lo, v19, s54
	s_wait_alu 0xfffd
	v_add_co_ci_u32_e64 v20, null, s55, v20, vcc_lo
	s_add_co_i32 s24, s24, 1
	s_wait_alu 0xfffe
	s_cmp_ge_i32 s24, s29
	s_cbranch_scc1 .LBB601_2
.LBB601_66:                             ;   Parent Loop BB601_3 Depth=1
                                        ; =>  This Loop Header: Depth=2
                                        ;       Child Loop BB601_79 Depth 3
                                        ;       Child Loop BB601_82 Depth 3
	v_mov_b32_e32 v38, s25
	s_and_saveexec_b32 s6, s1
	s_wait_alu 0xfffe
	s_xor_b32 s6, exec_lo, s6
	s_cbranch_execnz .LBB601_75
; %bb.67:                               ;   in Loop: Header=BB601_66 Depth=2
	s_wait_alu 0xfffe
	s_and_not1_saveexec_b32 s11, s6
	s_cbranch_execnz .LBB601_76
.LBB601_68:                             ;   in Loop: Header=BB601_66 Depth=2
	s_or_b32 exec_lo, exec_lo, s11
	s_and_saveexec_b32 s6, s3
.LBB601_69:                             ;   in Loop: Header=BB601_66 Depth=2
	ds_store_b32 v31, v0
.LBB601_70:                             ;   in Loop: Header=BB601_66 Depth=2
	s_wait_alu 0xfffe
	s_or_b32 exec_lo, exec_lo, s6
	s_wait_dscnt 0x0
	ds_bpermute_b32 v27, v34, v38
	s_wait_storecnt 0x0
	s_wait_loadcnt_dscnt 0x0
	s_barrier_signal -1
	s_barrier_wait -1
	global_inv scope:SCOPE_SE
	v_add_f32_e32 v27, v38, v27
	ds_bpermute_b32 v28, v29, v27
	s_wait_dscnt 0x0
	v_add_f32_e32 v27, v27, v28
	ds_bpermute_b32 v28, v30, v27
	s_wait_dscnt 0x0
	;; [unrolled: 3-line block ×3, first 2 shown]
	v_add_f32_e32 v27, v27, v28
	ds_bpermute_b32 v28, v37, v27
	s_and_saveexec_b32 s6, s4
	s_cbranch_execz .LBB601_72
; %bb.71:                               ;   in Loop: Header=BB601_66 Depth=2
	s_wait_dscnt 0x0
	v_add_f32_e32 v27, v27, v28
	ds_store_b32 v32, v27
.LBB601_72:                             ;   in Loop: Header=BB601_66 Depth=2
	s_wait_alu 0xfffe
	s_or_b32 exec_lo, exec_lo, s6
	v_mov_b32_e32 v27, 0
	s_wait_loadcnt_dscnt 0x0
	s_barrier_signal -1
	s_barrier_wait -1
	global_inv scope:SCOPE_SE
	s_and_saveexec_b32 s6, s5
	s_cbranch_execnz .LBB601_84
; %bb.73:                               ;   in Loop: Header=BB601_66 Depth=2
	s_wait_alu 0xfffe
	s_or_b32 exec_lo, exec_lo, s6
	s_and_saveexec_b32 s6, s3
	s_cbranch_execnz .LBB601_85
.LBB601_74:                             ;   in Loop: Header=BB601_66 Depth=2
	s_wait_alu 0xfffe
	s_or_b32 exec_lo, exec_lo, s6
	s_and_saveexec_b32 s6, s0
	s_cbranch_execz .LBB601_65
	s_branch .LBB601_86
.LBB601_75:                             ;   in Loop: Header=BB601_66 Depth=2
	s_mul_u64 s[8:9], s[24:25], s[26:27]
	s_wait_alu 0xfffe
	s_lshl_b64 s[8:9], s[8:9], 1
	s_wait_alu 0xfffe
	v_add_co_u32 v1, vcc_lo, v15, s8
	s_wait_alu 0xfffd
	v_add_co_ci_u32_e64 v2, null, s9, v16, vcc_lo
	flat_load_u16 v3, v[21:22]
	s_wait_dscnt 0x1
	flat_load_b64 v[27:28], v[1:2]
	s_clause 0x2
	flat_load_u16 v2, v[23:24]
	flat_load_u16 v4, v[25:26]
	;; [unrolled: 1-line block ×3, first 2 shown]
	s_wait_loadcnt_dscnt 0x404
	v_lshlrev_b32_e32 v1, 16, v3
	s_wait_loadcnt_dscnt 0x303
	v_lshlrev_b32_e32 v3, 16, v27
	;; [unrolled: 2-line block ×3, first 2 shown]
	v_and_b32_e32 v27, 0xffff0000, v27
	s_delay_alu instid0(VALU_DEP_3)
	v_fma_f32 v38, v1, v3, 0
	s_wait_loadcnt_dscnt 0x101
	v_lshlrev_b32_e32 v3, 16, v4
	s_wait_loadcnt_dscnt 0x0
	v_lshlrev_b32_e32 v4, 16, v39
	v_dual_fmac_f32 v38, v2, v27 :: v_dual_lshlrev_b32 v27, 16, v28
	v_and_b32_e32 v28, 0xffff0000, v28
	s_delay_alu instid0(VALU_DEP_2) | instskip(NEXT) | instid1(VALU_DEP_1)
	v_fmac_f32_e32 v38, v3, v27
	v_fmac_f32_e32 v38, v4, v28
	s_and_not1_saveexec_b32 s11, s6
	s_cbranch_execz .LBB601_68
.LBB601_76:                             ;   in Loop: Header=BB601_66 Depth=2
	s_and_saveexec_b32 s28, s2
	s_cbranch_execz .LBB601_83
; %bb.77:                               ;   in Loop: Header=BB601_66 Depth=2
	s_and_not1_b32 vcc_lo, exec_lo, s62
	s_wait_alu 0xfffe
	s_cbranch_vccnz .LBB601_80
; %bb.78:                               ;   in Loop: Header=BB601_66 Depth=2
	s_wait_dscnt 0x0
	v_dual_mov_b32 v28, v22 :: v_dual_mov_b32 v27, v21
	s_mov_b64 s[8:9], 0
.LBB601_79:                             ;   Parent Loop BB601_3 Depth=1
                                        ;     Parent Loop BB601_66 Depth=2
                                        ; =>    This Inner Loop Header: Depth=3
	flat_load_u16 v39, v[27:28]
	s_wait_alu 0xfffe
	s_cmp_eq_u32 s8, 3
	v_add_co_u32 v27, vcc_lo, v27, s46
	s_wait_alu 0xfffd
	v_add_co_ci_u32_e64 v28, null, s47, v28, vcc_lo
	s_cselect_b32 vcc_lo, -1, 0
	s_cmp_eq_u32 s8, 2
	s_cselect_b32 s6, -1, 0
	s_cmp_eq_u32 s8, 1
	s_cselect_b32 s7, -1, 0
	s_cmp_eq_u32 s8, 0
	s_add_nc_u64 s[8:9], s[8:9], 1
	s_wait_loadcnt_dscnt 0x0
	v_lshlrev_b32_e32 v39, 16, v39
	s_wait_alu 0xfffe
	s_delay_alu instid0(VALU_DEP_1)
	v_cndmask_b32_e32 v4, v4, v39, vcc_lo
	s_cselect_b32 vcc_lo, -1, 0
	v_cndmask_b32_e64 v3, v3, v39, s6
	v_cndmask_b32_e64 v2, v2, v39, s7
	s_wait_alu 0xfffe
	v_cndmask_b32_e32 v1, v1, v39, vcc_lo
	s_cmp_eq_u32 s60, s8
	s_cbranch_scc0 .LBB601_79
.LBB601_80:                             ;   in Loop: Header=BB601_66 Depth=2
	s_and_not1_b32 vcc_lo, exec_lo, s62
	s_wait_alu 0xfffe
	s_cbranch_vccnz .LBB601_83
; %bb.81:                               ;   in Loop: Header=BB601_66 Depth=2
	s_wait_dscnt 0x0
	v_dual_mov_b32 v28, v20 :: v_dual_mov_b32 v27, v19
	s_mov_b64 s[6:7], 0
.LBB601_82:                             ;   Parent Loop BB601_3 Depth=1
                                        ;     Parent Loop BB601_66 Depth=2
                                        ; =>    This Inner Loop Header: Depth=3
	flat_load_u16 v39, v[27:28]
	s_wait_alu 0xfffe
	s_cmp_eq_u32 s6, 1
	s_cselect_b32 vcc_lo, -1, 0
	s_cmp_eq_u32 s6, 2
	s_wait_dscnt 0x1
	s_wait_alu 0xfffe
	v_cndmask_b32_e32 v40, v1, v2, vcc_lo
	s_cselect_b32 vcc_lo, -1, 0
	s_cmp_eq_u32 s6, 3
	s_add_nc_u64 s[6:7], s[6:7], 1
	s_wait_loadcnt_dscnt 0x0
	v_lshlrev_b32_e32 v39, 16, v39
	s_wait_alu 0xfffe
	v_cndmask_b32_e32 v40, v40, v3, vcc_lo
	s_cselect_b32 vcc_lo, -1, 0
	s_cmp_lg_u32 s60, s6
	s_wait_alu 0xfffe
	s_delay_alu instid0(VALU_DEP_1) | instskip(SKIP_3) | instid1(VALU_DEP_3)
	v_cndmask_b32_e32 v40, v40, v4, vcc_lo
	v_add_co_u32 v27, vcc_lo, v27, 2
	s_wait_alu 0xfffd
	v_add_co_ci_u32_e64 v28, null, 0, v28, vcc_lo
	v_fmac_f32_e32 v38, v40, v39
	s_cbranch_scc1 .LBB601_82
.LBB601_83:                             ;   in Loop: Header=BB601_66 Depth=2
	s_wait_alu 0xfffe
	s_or_b32 exec_lo, exec_lo, s28
	s_delay_alu instid0(SALU_CYCLE_1)
	s_or_b32 exec_lo, exec_lo, s11
	s_and_saveexec_b32 s6, s3
	s_cbranch_execnz .LBB601_69
	s_branch .LBB601_70
.LBB601_84:                             ;   in Loop: Header=BB601_66 Depth=2
	ds_load_b32 v27, v31
	s_wait_alu 0xfffe
	s_or_b32 exec_lo, exec_lo, s6
	s_and_saveexec_b32 s6, s3
	s_cbranch_execz .LBB601_74
.LBB601_85:                             ;   in Loop: Header=BB601_66 Depth=2
	s_wait_dscnt 0x0
	ds_bpermute_b32 v28, v30, v27
	s_wait_dscnt 0x0
	v_add_f32_e32 v27, v27, v28
	ds_bpermute_b32 v28, v36, v27
	s_wait_dscnt 0x0
	v_add_f32_e32 v27, v27, v28
	;; [unrolled: 3-line block ×3, first 2 shown]
	s_wait_alu 0xfffe
	s_or_b32 exec_lo, exec_lo, s6
	s_and_saveexec_b32 s6, s0
	s_cbranch_execz .LBB601_65
.LBB601_86:                             ;   in Loop: Header=BB601_66 Depth=2
	s_mul_u64 s[8:9], s[24:25], s[30:31]
	s_wait_dscnt 0x0
	v_mul_f32_e32 v27, v35, v27
	s_wait_alu 0xfffe
	s_lshl_b64 s[8:9], s[8:9], 2
	s_wait_alu 0xfffe
	s_add_nc_u64 s[8:9], s[56:57], s[8:9]
	global_store_b32 v0, v27, s[8:9]
	s_branch .LBB601_65
.LBB601_87:
	s_endpgm
	.section	.rodata,"a",@progbits
	.p2align	6, 0x0
	.amdhsa_kernel _ZL23rocblas_gemvt_sn_kernelILb0ELi256ELi4ElPK16rocblas_bfloat16PKffEviiT4_lPKT3_lilS8_lilPT5_i
		.amdhsa_group_segment_fixed_size 128
		.amdhsa_private_segment_fixed_size 0
		.amdhsa_kernarg_size 360
		.amdhsa_user_sgpr_count 2
		.amdhsa_user_sgpr_dispatch_ptr 0
		.amdhsa_user_sgpr_queue_ptr 0
		.amdhsa_user_sgpr_kernarg_segment_ptr 1
		.amdhsa_user_sgpr_dispatch_id 0
		.amdhsa_user_sgpr_private_segment_size 0
		.amdhsa_wavefront_size32 1
		.amdhsa_uses_dynamic_stack 0
		.amdhsa_enable_private_segment 0
		.amdhsa_system_sgpr_workgroup_id_x 1
		.amdhsa_system_sgpr_workgroup_id_y 0
		.amdhsa_system_sgpr_workgroup_id_z 1
		.amdhsa_system_sgpr_workgroup_info 0
		.amdhsa_system_vgpr_workitem_id 0
		.amdhsa_next_free_vgpr 55
		.amdhsa_next_free_sgpr 68
		.amdhsa_reserve_vcc 1
		.amdhsa_float_round_mode_32 0
		.amdhsa_float_round_mode_16_64 0
		.amdhsa_float_denorm_mode_32 3
		.amdhsa_float_denorm_mode_16_64 3
		.amdhsa_fp16_overflow 0
		.amdhsa_workgroup_processor_mode 1
		.amdhsa_memory_ordered 1
		.amdhsa_forward_progress 1
		.amdhsa_inst_pref_size 37
		.amdhsa_round_robin_scheduling 0
		.amdhsa_exception_fp_ieee_invalid_op 0
		.amdhsa_exception_fp_denorm_src 0
		.amdhsa_exception_fp_ieee_div_zero 0
		.amdhsa_exception_fp_ieee_overflow 0
		.amdhsa_exception_fp_ieee_underflow 0
		.amdhsa_exception_fp_ieee_inexact 0
		.amdhsa_exception_int_div_zero 0
	.end_amdhsa_kernel
	.section	.text._ZL23rocblas_gemvt_sn_kernelILb0ELi256ELi4ElPK16rocblas_bfloat16PKffEviiT4_lPKT3_lilS8_lilPT5_i,"axG",@progbits,_ZL23rocblas_gemvt_sn_kernelILb0ELi256ELi4ElPK16rocblas_bfloat16PKffEviiT4_lPKT3_lilS8_lilPT5_i,comdat
.Lfunc_end601:
	.size	_ZL23rocblas_gemvt_sn_kernelILb0ELi256ELi4ElPK16rocblas_bfloat16PKffEviiT4_lPKT3_lilS8_lilPT5_i, .Lfunc_end601-_ZL23rocblas_gemvt_sn_kernelILb0ELi256ELi4ElPK16rocblas_bfloat16PKffEviiT4_lPKT3_lilS8_lilPT5_i
                                        ; -- End function
	.set _ZL23rocblas_gemvt_sn_kernelILb0ELi256ELi4ElPK16rocblas_bfloat16PKffEviiT4_lPKT3_lilS8_lilPT5_i.num_vgpr, 55
	.set _ZL23rocblas_gemvt_sn_kernelILb0ELi256ELi4ElPK16rocblas_bfloat16PKffEviiT4_lPKT3_lilS8_lilPT5_i.num_agpr, 0
	.set _ZL23rocblas_gemvt_sn_kernelILb0ELi256ELi4ElPK16rocblas_bfloat16PKffEviiT4_lPKT3_lilS8_lilPT5_i.numbered_sgpr, 68
	.set _ZL23rocblas_gemvt_sn_kernelILb0ELi256ELi4ElPK16rocblas_bfloat16PKffEviiT4_lPKT3_lilS8_lilPT5_i.num_named_barrier, 0
	.set _ZL23rocblas_gemvt_sn_kernelILb0ELi256ELi4ElPK16rocblas_bfloat16PKffEviiT4_lPKT3_lilS8_lilPT5_i.private_seg_size, 0
	.set _ZL23rocblas_gemvt_sn_kernelILb0ELi256ELi4ElPK16rocblas_bfloat16PKffEviiT4_lPKT3_lilS8_lilPT5_i.uses_vcc, 1
	.set _ZL23rocblas_gemvt_sn_kernelILb0ELi256ELi4ElPK16rocblas_bfloat16PKffEviiT4_lPKT3_lilS8_lilPT5_i.uses_flat_scratch, 1
	.set _ZL23rocblas_gemvt_sn_kernelILb0ELi256ELi4ElPK16rocblas_bfloat16PKffEviiT4_lPKT3_lilS8_lilPT5_i.has_dyn_sized_stack, 0
	.set _ZL23rocblas_gemvt_sn_kernelILb0ELi256ELi4ElPK16rocblas_bfloat16PKffEviiT4_lPKT3_lilS8_lilPT5_i.has_recursion, 0
	.set _ZL23rocblas_gemvt_sn_kernelILb0ELi256ELi4ElPK16rocblas_bfloat16PKffEviiT4_lPKT3_lilS8_lilPT5_i.has_indirect_call, 0
	.section	.AMDGPU.csdata,"",@progbits
; Kernel info:
; codeLenInByte = 4700
; TotalNumSgprs: 70
; NumVgprs: 55
; ScratchSize: 0
; MemoryBound: 0
; FloatMode: 240
; IeeeMode: 1
; LDSByteSize: 128 bytes/workgroup (compile time only)
; SGPRBlocks: 0
; VGPRBlocks: 6
; NumSGPRsForWavesPerEU: 70
; NumVGPRsForWavesPerEU: 55
; Occupancy: 16
; WaveLimiterHint : 0
; COMPUTE_PGM_RSRC2:SCRATCH_EN: 0
; COMPUTE_PGM_RSRC2:USER_SGPR: 2
; COMPUTE_PGM_RSRC2:TRAP_HANDLER: 0
; COMPUTE_PGM_RSRC2:TGID_X_EN: 1
; COMPUTE_PGM_RSRC2:TGID_Y_EN: 0
; COMPUTE_PGM_RSRC2:TGID_Z_EN: 1
; COMPUTE_PGM_RSRC2:TIDIG_COMP_CNT: 0
	.section	.text._ZL23rocblas_gemvt_sn_reduceILi256ELi8EfPKfKP16rocblas_bfloat16EviT2_lPT3_lilPT1_i,"axG",@progbits,_ZL23rocblas_gemvt_sn_reduceILi256ELi8EfPKfKP16rocblas_bfloat16EviT2_lPT3_lilPT1_i,comdat
	.globl	_ZL23rocblas_gemvt_sn_reduceILi256ELi8EfPKfKP16rocblas_bfloat16EviT2_lPT3_lilPT1_i ; -- Begin function _ZL23rocblas_gemvt_sn_reduceILi256ELi8EfPKfKP16rocblas_bfloat16EviT2_lPT3_lilPT1_i
	.p2align	8
	.type	_ZL23rocblas_gemvt_sn_reduceILi256ELi8EfPKfKP16rocblas_bfloat16EviT2_lPT3_lilPT1_i,@function
_ZL23rocblas_gemvt_sn_reduceILi256ELi8EfPKfKP16rocblas_bfloat16EviT2_lPT3_lilPT1_i: ; @_ZL23rocblas_gemvt_sn_reduceILi256ELi8EfPKfKP16rocblas_bfloat16EviT2_lPT3_lilPT1_i
; %bb.0:
	s_load_b32 s7, s[0:1], 0x40
	s_lshr_b32 s16, ttmp7, 16
	s_wait_kmcnt 0x0
	s_cmp_ge_u32 s16, s7
	s_cbranch_scc1 .LBB602_31
; %bb.1:
	s_clause 0x5
	s_load_b32 s18, s[0:1], 0x0
	s_load_b32 s28, s[0:1], 0x4c
	;; [unrolled: 1-line block ×4, first 2 shown]
	s_load_b64 s[20:21], s[0:1], 0x38
	s_load_b256 s[8:15], s[0:1], 0x8
	v_mbcnt_lo_u32_b32 v4, -1, 0
	v_and_b32_e32 v3, 31, v0
	v_dual_mov_b32 v2, 0 :: v_dual_lshlrev_b32 v9, 3, v0
	v_cmp_gt_u32_e64 s0, 32, v0
	s_delay_alu instid0(VALU_DEP_4) | instskip(NEXT) | instid1(VALU_DEP_4)
	v_cmp_gt_u32_e32 vcc_lo, 24, v4
	v_lshlrev_b32_e32 v10, 2, v3
	v_cmp_eq_u32_e64 s3, 0, v3
	v_lshlrev_b32_e32 v3, 5, v0
	v_cmp_gt_u32_e64 s4, 8, v0
	v_cndmask_b32_e64 v5, 0, 8, vcc_lo
	v_cmp_gt_u32_e32 vcc_lo, 28, v4
	v_cmp_eq_u32_e64 s5, 0, v0
	v_lshl_or_b32 v11, v4, 2, 64
	s_wait_kmcnt 0x0
	s_ashr_i32 s19, s18, 31
	v_xad_u32 v1, v0, -1, s18
	s_wait_alu 0xfffd
	v_cndmask_b32_e64 v6, 0, 4, vcc_lo
	s_lshr_b32 s1, s19, 29
	v_cmp_gt_u32_e32 vcc_lo, 30, v4
	s_add_co_i32 s1, s18, s1
	s_and_b32 s6, s2, 0xffff
	s_and_b32 s29, s1, -8
	v_add_lshl_u32 v12, v5, v4, 2
	s_wait_alu 0xfffd
	v_cndmask_b32_e64 v7, 0, 2, vcc_lo
	v_cmp_ne_u32_e32 vcc_lo, 31, v4
	s_sub_co_i32 s2, s18, s29
	v_lshrrev_b32_e32 v5, 3, v0
	v_cmp_gt_u32_e64 s2, s2, v0
	v_add_co_u32 v0, s26, s20, v3
	s_wait_alu 0xfffd
	v_add_co_ci_u32_e64 v8, null, 0, v4, vcc_lo
	v_add_lshl_u32 v13, v6, v4, 2
	v_add_lshl_u32 v14, v7, v4, 2
	v_add_co_ci_u32_e64 v4, null, s21, 0, s26
	s_mov_b32 s17, 0
	v_add_co_u32 v3, vcc_lo, v0, 28
	s_and_b32 s22, ttmp7, 0xffff
	s_ashr_i32 s25, s24, 31
	s_mov_b32 s23, s17
	v_lshlrev_b64_e32 v[0:1], 2, v[1:2]
	v_cmp_gt_i32_e64 s1, s29, v9
	v_lshlrev_b32_e32 v15, 2, v8
	v_and_b32_e32 v16, 28, v5
	s_wait_alu 0xfffd
	v_add_co_ci_u32_e64 v4, null, 0, v4, vcc_lo
	s_mul_u64 s[26:27], s[24:25], s[22:23]
	s_mul_i32 s23, s16, s28
	s_lshl_b32 s30, s6, 3
	s_lshl_b64 s[24:25], s[18:19], 2
	s_add_co_i32 s23, s22, s23
	s_lshl_b32 s31, s28, 16
	s_lshl_b32 s33, s6, 5
	s_lshl_b64 s[14:15], s[14:15], 1
	s_wait_alu 0xfffe
	s_lshl_b64 s[26:27], s[26:27], 1
	s_branch .LBB602_5
.LBB602_2:                              ;   in Loop: Header=BB602_5 Depth=1
	s_wait_alu 0xfffe
	s_or_b32 exec_lo, exec_lo, s34
.LBB602_3:                              ;   in Loop: Header=BB602_5 Depth=1
	v_add_co_u32 v5, vcc_lo, v5, s26
	s_wait_alu 0xfffd
	v_add_co_ci_u32_e64 v6, null, s27, v6, vcc_lo
	flat_store_d16_hi_b16 v[5:6], v8
.LBB602_4:                              ;   in Loop: Header=BB602_5 Depth=1
	s_or_b32 exec_lo, exec_lo, s6
	s_add_co_i32 s16, s16, 0x10000
	s_wait_alu 0xfffe
	s_add_co_i32 s23, s23, s31
	s_cmp_lt_u32 s16, s7
	s_cbranch_scc0 .LBB602_31
.LBB602_5:                              ; =>This Loop Header: Depth=1
                                        ;     Child Loop BB602_15 Depth 2
	s_mul_u64 s[34:35], s[10:11], s[16:17]
	s_lshl_b64 s[36:37], s[16:17], 3
	s_wait_alu 0xfffe
	s_lshl_b64 s[34:35], s[34:35], 2
	s_add_nc_u64 s[36:37], s[12:13], s[36:37]
	s_wait_alu 0xfffe
	s_add_nc_u64 s[34:35], s[8:9], s[34:35]
	s_clause 0x1
	global_load_b64 v[5:6], v2, s[36:37]
	global_load_b32 v17, v2, s[34:35]
	v_mov_b32_e32 v18, 0
	s_and_saveexec_b32 s34, s1
	s_cbranch_execnz .LBB602_14
; %bb.6:                                ;   in Loop: Header=BB602_5 Depth=1
	s_wait_alu 0xfffe
	s_or_b32 exec_lo, exec_lo, s34
	s_and_saveexec_b32 s6, s2
	s_cbranch_execnz .LBB602_17
.LBB602_7:                              ;   in Loop: Header=BB602_5 Depth=1
	s_or_b32 exec_lo, exec_lo, s6
	s_and_saveexec_b32 s6, s0
.LBB602_8:                              ;   in Loop: Header=BB602_5 Depth=1
	ds_store_b32 v10, v2
.LBB602_9:                              ;   in Loop: Header=BB602_5 Depth=1
	s_or_b32 exec_lo, exec_lo, s6
	s_wait_dscnt 0x0
	ds_bpermute_b32 v7, v11, v18
	s_wait_loadcnt_dscnt 0x0
	s_barrier_signal -1
	s_barrier_wait -1
	global_inv scope:SCOPE_SE
	v_add_f32_e32 v7, v18, v7
	ds_bpermute_b32 v8, v12, v7
	s_wait_dscnt 0x0
	v_add_f32_e32 v7, v7, v8
	ds_bpermute_b32 v8, v13, v7
	s_wait_dscnt 0x0
	;; [unrolled: 3-line block ×3, first 2 shown]
	v_add_f32_e32 v7, v7, v8
	ds_bpermute_b32 v8, v15, v7
	s_and_saveexec_b32 s6, s3
	s_cbranch_execz .LBB602_11
; %bb.10:                               ;   in Loop: Header=BB602_5 Depth=1
	s_wait_dscnt 0x0
	v_add_f32_e32 v7, v7, v8
	ds_store_b32 v16, v7
.LBB602_11:                             ;   in Loop: Header=BB602_5 Depth=1
	s_or_b32 exec_lo, exec_lo, s6
	v_mov_b32_e32 v7, 0
	s_wait_loadcnt_dscnt 0x0
	s_barrier_signal -1
	s_barrier_wait -1
	global_inv scope:SCOPE_SE
	s_and_saveexec_b32 s6, s4
	s_cbranch_execnz .LBB602_18
; %bb.12:                               ;   in Loop: Header=BB602_5 Depth=1
	s_or_b32 exec_lo, exec_lo, s6
	s_and_saveexec_b32 s6, s0
	s_cbranch_execnz .LBB602_19
.LBB602_13:                             ;   in Loop: Header=BB602_5 Depth=1
	s_or_b32 exec_lo, exec_lo, s6
	s_and_saveexec_b32 s6, s5
	s_cbranch_execz .LBB602_4
	s_branch .LBB602_20
.LBB602_14:                             ;   in Loop: Header=BB602_5 Depth=1
	s_wait_dscnt 0x0
	v_mad_co_u64_u32 v[7:8], null, s24, s23, v[3:4]
	v_mov_b32_e32 v18, 0
	s_mov_b32 s35, 0
	s_delay_alu instid0(VALU_DEP_2) | instskip(NEXT) | instid1(VALU_DEP_1)
	v_mad_co_u64_u32 v[19:20], null, s25, s23, v[8:9]
	v_dual_mov_b32 v8, v19 :: v_dual_mov_b32 v19, v9
.LBB602_15:                             ;   Parent Loop BB602_5 Depth=1
                                        ; =>  This Inner Loop Header: Depth=2
	s_clause 0x1
	global_load_b128 v[20:23], v[7:8], off offset:-28
	global_load_b128 v[24:27], v[7:8], off offset:-12
	v_add_co_u32 v7, vcc_lo, v7, s33
	s_wait_alu 0xfffd
	v_add_co_ci_u32_e64 v8, null, 0, v8, vcc_lo
	v_add_nc_u32_e32 v19, s30, v19
	s_delay_alu instid0(VALU_DEP_1) | instskip(SKIP_4) | instid1(VALU_DEP_1)
	v_cmp_le_i32_e64 s6, s29, v19
	s_wait_alu 0xfffe
	s_or_b32 s35, s6, s35
	s_wait_loadcnt 0x1
	v_add_f32_e32 v18, v18, v20
	v_add_f32_e32 v18, v18, v21
	s_delay_alu instid0(VALU_DEP_1) | instskip(NEXT) | instid1(VALU_DEP_1)
	v_add_f32_e32 v18, v18, v22
	v_add_f32_e32 v18, v18, v23
	s_wait_loadcnt 0x0
	s_delay_alu instid0(VALU_DEP_1) | instskip(NEXT) | instid1(VALU_DEP_1)
	v_add_f32_e32 v18, v18, v24
	v_add_f32_e32 v18, v18, v25
	s_delay_alu instid0(VALU_DEP_1) | instskip(NEXT) | instid1(VALU_DEP_1)
	v_add_f32_e32 v18, v18, v26
	v_add_f32_e32 v18, v18, v27
	s_wait_alu 0xfffe
	s_and_not1_b32 exec_lo, exec_lo, s35
	s_cbranch_execnz .LBB602_15
; %bb.16:                               ;   in Loop: Header=BB602_5 Depth=1
	s_or_b32 exec_lo, exec_lo, s35
	s_delay_alu instid0(SALU_CYCLE_1)
	s_or_b32 exec_lo, exec_lo, s34
	s_and_saveexec_b32 s6, s2
	s_cbranch_execz .LBB602_7
.LBB602_17:                             ;   in Loop: Header=BB602_5 Depth=1
	s_mul_i32 s34, s28, s16
	s_mov_b32 s35, s17
	s_wait_alu 0xfffe
	s_add_co_i32 s34, s34, s22
	s_wait_alu 0xfffe
	s_mul_u64 s[34:35], s[34:35], s[18:19]
	s_wait_alu 0xfffe
	s_lshl_b64 s[34:35], s[34:35], 2
	s_wait_alu 0xfffe
	s_add_nc_u64 s[34:35], s[20:21], s[34:35]
	s_wait_dscnt 0x0
	s_wait_alu 0xfffe
	v_add_co_u32 v7, vcc_lo, s34, v0
	s_wait_alu 0xfffd
	v_add_co_ci_u32_e64 v8, null, s35, v1, vcc_lo
	global_load_b32 v7, v[7:8], off
	s_wait_loadcnt 0x0
	v_add_f32_e32 v18, v18, v7
	s_or_b32 exec_lo, exec_lo, s6
	s_and_saveexec_b32 s6, s0
	s_cbranch_execnz .LBB602_8
	s_branch .LBB602_9
.LBB602_18:                             ;   in Loop: Header=BB602_5 Depth=1
	ds_load_b32 v7, v10
	s_or_b32 exec_lo, exec_lo, s6
	s_and_saveexec_b32 s6, s0
	s_cbranch_execz .LBB602_13
.LBB602_19:                             ;   in Loop: Header=BB602_5 Depth=1
	s_wait_dscnt 0x0
	ds_bpermute_b32 v8, v13, v7
	s_wait_dscnt 0x0
	v_add_f32_e32 v7, v7, v8
	ds_bpermute_b32 v8, v14, v7
	s_wait_dscnt 0x0
	v_add_f32_e32 v7, v7, v8
	;; [unrolled: 3-line block ×3, first 2 shown]
	s_or_b32 exec_lo, exec_lo, s6
	s_and_saveexec_b32 s6, s5
	s_cbranch_execz .LBB602_4
.LBB602_20:                             ;   in Loop: Header=BB602_5 Depth=1
	v_cmp_eq_f32_e32 vcc_lo, 0, v17
	s_cbranch_vccz .LBB602_26
; %bb.21:                               ;   in Loop: Header=BB602_5 Depth=1
	s_wait_dscnt 0x0
	v_and_b32_e32 v8, 0x7f800000, v7
	s_delay_alu instid0(VALU_DEP_1)
	v_cmp_ne_u32_e32 vcc_lo, 0x7f800000, v8
                                        ; implicit-def: $vgpr8
	s_and_saveexec_b32 s34, vcc_lo
	s_wait_alu 0xfffe
	s_xor_b32 s34, exec_lo, s34
; %bb.22:                               ;   in Loop: Header=BB602_5 Depth=1
	v_bfe_u32 v8, v7, 16, 1
	s_delay_alu instid0(VALU_DEP_1)
	v_add3_u32 v8, v7, v8, 0x7fff
; %bb.23:                               ;   in Loop: Header=BB602_5 Depth=1
	s_wait_alu 0xfffe
	s_and_not1_saveexec_b32 s34, s34
; %bb.24:                               ;   in Loop: Header=BB602_5 Depth=1
	v_and_b32_e32 v8, 0xffff, v7
	v_or_b32_e32 v18, 0x10000, v7
	s_delay_alu instid0(VALU_DEP_2) | instskip(SKIP_1) | instid1(VALU_DEP_2)
	v_cmp_eq_u32_e32 vcc_lo, 0, v8
	s_wait_alu 0xfffd
	v_cndmask_b32_e32 v8, v18, v7, vcc_lo
; %bb.25:                               ;   in Loop: Header=BB602_5 Depth=1
	s_wait_alu 0xfffe
	s_or_b32 exec_lo, exec_lo, s34
	v_add_co_u32 v5, vcc_lo, v5, s14
	s_wait_alu 0xfffd
	v_add_co_ci_u32_e64 v6, null, s15, v6, vcc_lo
	s_cbranch_execnz .LBB602_3
	s_branch .LBB602_27
.LBB602_26:                             ;   in Loop: Header=BB602_5 Depth=1
                                        ; implicit-def: $vgpr8
	v_add_co_u32 v5, vcc_lo, v5, s14
	s_wait_alu 0xfffd
	v_add_co_ci_u32_e64 v6, null, s15, v6, vcc_lo
.LBB602_27:                             ;   in Loop: Header=BB602_5 Depth=1
	s_wait_alu 0xfffe
	s_delay_alu instid0(VALU_DEP_2) | instskip(SKIP_1) | instid1(VALU_DEP_2)
	v_add_co_u32 v18, vcc_lo, v5, s26
	s_wait_alu 0xfffd
	v_add_co_ci_u32_e64 v19, null, s27, v6, vcc_lo
	flat_load_u16 v8, v[18:19]
	s_wait_loadcnt_dscnt 0x0
	v_lshlrev_b32_e32 v8, 16, v8
	s_delay_alu instid0(VALU_DEP_1) | instskip(NEXT) | instid1(VALU_DEP_1)
	v_fmac_f32_e32 v7, v17, v8
	v_and_b32_e32 v8, 0x7f800000, v7
	s_delay_alu instid0(VALU_DEP_1)
	v_cmp_ne_u32_e32 vcc_lo, 0x7f800000, v8
                                        ; implicit-def: $vgpr8
	s_and_saveexec_b32 s34, vcc_lo
	s_wait_alu 0xfffe
	s_xor_b32 s34, exec_lo, s34
; %bb.28:                               ;   in Loop: Header=BB602_5 Depth=1
	v_bfe_u32 v8, v7, 16, 1
	s_delay_alu instid0(VALU_DEP_1)
	v_add3_u32 v8, v7, v8, 0x7fff
                                        ; implicit-def: $vgpr7
; %bb.29:                               ;   in Loop: Header=BB602_5 Depth=1
	s_wait_alu 0xfffe
	s_and_not1_saveexec_b32 s34, s34
	s_cbranch_execz .LBB602_2
; %bb.30:                               ;   in Loop: Header=BB602_5 Depth=1
	v_and_b32_e32 v8, 0xffff, v7
	v_or_b32_e32 v17, 0x10000, v7
	s_delay_alu instid0(VALU_DEP_2) | instskip(SKIP_1) | instid1(VALU_DEP_2)
	v_cmp_eq_u32_e32 vcc_lo, 0, v8
	s_wait_alu 0xfffd
	v_cndmask_b32_e32 v8, v17, v7, vcc_lo
	s_branch .LBB602_2
.LBB602_31:
	s_endpgm
	.section	.rodata,"a",@progbits
	.p2align	6, 0x0
	.amdhsa_kernel _ZL23rocblas_gemvt_sn_reduceILi256ELi8EfPKfKP16rocblas_bfloat16EviT2_lPT3_lilPT1_i
		.amdhsa_group_segment_fixed_size 128
		.amdhsa_private_segment_fixed_size 0
		.amdhsa_kernarg_size 328
		.amdhsa_user_sgpr_count 2
		.amdhsa_user_sgpr_dispatch_ptr 0
		.amdhsa_user_sgpr_queue_ptr 0
		.amdhsa_user_sgpr_kernarg_segment_ptr 1
		.amdhsa_user_sgpr_dispatch_id 0
		.amdhsa_user_sgpr_private_segment_size 0
		.amdhsa_wavefront_size32 1
		.amdhsa_uses_dynamic_stack 0
		.amdhsa_enable_private_segment 0
		.amdhsa_system_sgpr_workgroup_id_x 1
		.amdhsa_system_sgpr_workgroup_id_y 1
		.amdhsa_system_sgpr_workgroup_id_z 1
		.amdhsa_system_sgpr_workgroup_info 0
		.amdhsa_system_vgpr_workitem_id 0
		.amdhsa_next_free_vgpr 28
		.amdhsa_next_free_sgpr 38
		.amdhsa_reserve_vcc 1
		.amdhsa_float_round_mode_32 0
		.amdhsa_float_round_mode_16_64 0
		.amdhsa_float_denorm_mode_32 3
		.amdhsa_float_denorm_mode_16_64 3
		.amdhsa_fp16_overflow 0
		.amdhsa_workgroup_processor_mode 1
		.amdhsa_memory_ordered 1
		.amdhsa_forward_progress 1
		.amdhsa_inst_pref_size 12
		.amdhsa_round_robin_scheduling 0
		.amdhsa_exception_fp_ieee_invalid_op 0
		.amdhsa_exception_fp_denorm_src 0
		.amdhsa_exception_fp_ieee_div_zero 0
		.amdhsa_exception_fp_ieee_overflow 0
		.amdhsa_exception_fp_ieee_underflow 0
		.amdhsa_exception_fp_ieee_inexact 0
		.amdhsa_exception_int_div_zero 0
	.end_amdhsa_kernel
	.section	.text._ZL23rocblas_gemvt_sn_reduceILi256ELi8EfPKfKP16rocblas_bfloat16EviT2_lPT3_lilPT1_i,"axG",@progbits,_ZL23rocblas_gemvt_sn_reduceILi256ELi8EfPKfKP16rocblas_bfloat16EviT2_lPT3_lilPT1_i,comdat
.Lfunc_end602:
	.size	_ZL23rocblas_gemvt_sn_reduceILi256ELi8EfPKfKP16rocblas_bfloat16EviT2_lPT3_lilPT1_i, .Lfunc_end602-_ZL23rocblas_gemvt_sn_reduceILi256ELi8EfPKfKP16rocblas_bfloat16EviT2_lPT3_lilPT1_i
                                        ; -- End function
	.set _ZL23rocblas_gemvt_sn_reduceILi256ELi8EfPKfKP16rocblas_bfloat16EviT2_lPT3_lilPT1_i.num_vgpr, 28
	.set _ZL23rocblas_gemvt_sn_reduceILi256ELi8EfPKfKP16rocblas_bfloat16EviT2_lPT3_lilPT1_i.num_agpr, 0
	.set _ZL23rocblas_gemvt_sn_reduceILi256ELi8EfPKfKP16rocblas_bfloat16EviT2_lPT3_lilPT1_i.numbered_sgpr, 38
	.set _ZL23rocblas_gemvt_sn_reduceILi256ELi8EfPKfKP16rocblas_bfloat16EviT2_lPT3_lilPT1_i.num_named_barrier, 0
	.set _ZL23rocblas_gemvt_sn_reduceILi256ELi8EfPKfKP16rocblas_bfloat16EviT2_lPT3_lilPT1_i.private_seg_size, 0
	.set _ZL23rocblas_gemvt_sn_reduceILi256ELi8EfPKfKP16rocblas_bfloat16EviT2_lPT3_lilPT1_i.uses_vcc, 1
	.set _ZL23rocblas_gemvt_sn_reduceILi256ELi8EfPKfKP16rocblas_bfloat16EviT2_lPT3_lilPT1_i.uses_flat_scratch, 0
	.set _ZL23rocblas_gemvt_sn_reduceILi256ELi8EfPKfKP16rocblas_bfloat16EviT2_lPT3_lilPT1_i.has_dyn_sized_stack, 0
	.set _ZL23rocblas_gemvt_sn_reduceILi256ELi8EfPKfKP16rocblas_bfloat16EviT2_lPT3_lilPT1_i.has_recursion, 0
	.set _ZL23rocblas_gemvt_sn_reduceILi256ELi8EfPKfKP16rocblas_bfloat16EviT2_lPT3_lilPT1_i.has_indirect_call, 0
	.section	.AMDGPU.csdata,"",@progbits
; Kernel info:
; codeLenInByte = 1476
; TotalNumSgprs: 40
; NumVgprs: 28
; ScratchSize: 0
; MemoryBound: 0
; FloatMode: 240
; IeeeMode: 1
; LDSByteSize: 128 bytes/workgroup (compile time only)
; SGPRBlocks: 0
; VGPRBlocks: 3
; NumSGPRsForWavesPerEU: 40
; NumVGPRsForWavesPerEU: 28
; Occupancy: 16
; WaveLimiterHint : 1
; COMPUTE_PGM_RSRC2:SCRATCH_EN: 0
; COMPUTE_PGM_RSRC2:USER_SGPR: 2
; COMPUTE_PGM_RSRC2:TRAP_HANDLER: 0
; COMPUTE_PGM_RSRC2:TGID_X_EN: 1
; COMPUTE_PGM_RSRC2:TGID_Y_EN: 1
; COMPUTE_PGM_RSRC2:TGID_Z_EN: 1
; COMPUTE_PGM_RSRC2:TIDIG_COMP_CNT: 0
	.section	.text._ZL23rocblas_gemvt_sn_kernelILb0ELi256ELi4EiPK16rocblas_bfloat16ffEviiT4_lPKT3_lilS6_lilPT5_i,"axG",@progbits,_ZL23rocblas_gemvt_sn_kernelILb0ELi256ELi4EiPK16rocblas_bfloat16ffEviiT4_lPKT3_lilS6_lilPT5_i,comdat
	.globl	_ZL23rocblas_gemvt_sn_kernelILb0ELi256ELi4EiPK16rocblas_bfloat16ffEviiT4_lPKT3_lilS6_lilPT5_i ; -- Begin function _ZL23rocblas_gemvt_sn_kernelILb0ELi256ELi4EiPK16rocblas_bfloat16ffEviiT4_lPKT3_lilS6_lilPT5_i
	.p2align	8
	.type	_ZL23rocblas_gemvt_sn_kernelILb0ELi256ELi4EiPK16rocblas_bfloat16ffEviiT4_lPKT3_lilS6_lilPT5_i,@function
_ZL23rocblas_gemvt_sn_kernelILb0ELi256ELi4EiPK16rocblas_bfloat16ffEviiT4_lPKT3_lilS6_lilPT5_i: ; @_ZL23rocblas_gemvt_sn_kernelILb0ELi256ELi4EiPK16rocblas_bfloat16ffEviiT4_lPKT3_lilS6_lilPT5_i
; %bb.0:
	s_load_b32 s23, s[0:1], 0x60
	s_lshr_b32 s10, ttmp7, 16
	s_wait_kmcnt 0x0
	s_cmp_ge_u32 s10, s23
	s_cbranch_scc1 .LBB603_89
; %bb.1:
	s_clause 0x6
	s_load_b96 s[20:22], s[0:1], 0x0
	s_load_b128 s[12:15], s[0:1], 0x18
	s_load_b32 s26, s[0:1], 0x28
	s_load_b128 s[16:19], s[0:1], 0x38
	s_load_b32 s33, s[0:1], 0x48
	s_load_b64 s[28:29], s[0:1], 0x58
	s_load_b32 s30, s[0:1], 0x68
	s_mov_b32 s35, 0
	v_cmp_eq_u32_e64 s0, 0, v0
	s_mov_b32 s31, s35
	v_and_b32_e32 v1, 31, v0
	v_cmp_gt_u32_e64 s1, 32, v0
	v_cmp_gt_u32_e64 s2, 8, v0
	v_lshrrev_b32_e32 v2, 3, v0
	v_mbcnt_lo_u32_b32 v31, -1, 0
	v_cmp_eq_u32_e64 s3, 0, v1
	v_lshlrev_b32_e32 v29, 2, v1
	s_mov_b32 s24, ttmp9
	v_and_b32_e32 v30, 28, v2
	s_mov_b32 s25, s35
	s_wait_kmcnt 0x0
	s_cmp_neq_f32 s22, 0
	s_mov_b32 s4, s21
	s_mov_b32 s27, s35
	;; [unrolled: 1-line block ×3, first 2 shown]
	s_cselect_b32 s58, -1, 0
	s_cmp_eq_f32 s22, 0
	s_cselect_b32 s59, -1, 0
	s_ashr_i32 s5, s21, 31
	s_cmp_gt_i32 s21, 0
	s_mul_u64 s[36:37], s[4:5], s[30:31]
	s_cselect_b32 s4, -1, 0
	s_lshl_b32 s6, ttmp9, 10
	s_lshr_b32 s5, s5, 30
	v_lshl_or_b32 v0, v0, 2, s6
	s_ashr_i32 s7, s20, 31
	s_and_b32 s60, s0, s4
	s_add_co_i32 s4, s21, s5
	s_wait_alu 0xfffe
	s_lshr_b32 s5, s7, 30
	v_mul_lo_u32 v5, s33, v0
	s_and_b32 s61, s4, -4
	s_add_co_i32 s4, s20, s5
	v_add_nc_u32_e32 v3, 4, v0
	s_and_b32 s4, s4, -4
	v_ashrrev_i32_e32 v1, 31, v0
	s_sub_co_i32 s62, s20, s4
	s_cmp_gt_i32 s61, 0
	v_add_nc_u32_e32 v2, s33, v5
	v_cmp_ge_i32_e64 s4, s20, v3
	v_ashrrev_i32_e32 v6, 31, v5
	v_add_nc_u32_e32 v4, s62, v0
	s_cselect_b32 s63, -1, 0
	v_add_nc_u32_e32 v13, s33, v2
	v_ashrrev_i32_e32 v3, 31, v2
	s_cmp_gt_i32 s62, 0
	v_lshlrev_b64_e32 v[7:8], 1, v[0:1]
	s_cselect_b32 s64, -1, 0
	v_add_nc_u32_e32 v15, s33, v13
	v_ashrrev_i32_e32 v14, 31, v13
	s_lshl_b32 s34, s26, 1
	v_lshlrev_b64_e32 v[9:10], 1, v[5:6]
	v_lshlrev_b64_e32 v[11:12], 1, v[2:3]
	v_ashrrev_i32_e32 v16, 31, v15
	v_lshlrev_b64_e32 v[13:14], 1, v[13:14]
	v_cmp_ge_i32_e64 s5, s20, v4
	v_mov_b32_e32 v0, 0
	v_lshl_or_b32 v6, v31, 2, 64
	v_lshlrev_b64_e32 v[15:16], 1, v[15:16]
	s_mov_b64 s[42:43], s[34:35]
	s_mul_i32 s34, s26, 3
	s_lshl_b64 s[38:39], s[30:31], 2
	s_lshl_b32 s40, s26, 2
	s_mov_b64 s[44:45], s[34:35]
	s_lshl_b64 s[14:15], s[14:15], 1
	s_lshl_b64 s[18:19], s[18:19], 1
	;; [unrolled: 1-line block ×3, first 2 shown]
	s_branch .LBB603_3
.LBB603_2:                              ;   in Loop: Header=BB603_3 Depth=1
	s_add_co_i32 s10, s10, 0x10000
	s_delay_alu instid0(SALU_CYCLE_1)
	s_cmp_lt_u32 s10, s23
	s_cbranch_scc0 .LBB603_89
.LBB603_3:                              ; =>This Loop Header: Depth=1
                                        ;     Child Loop BB603_12 Depth 2
                                        ;     Child Loop BB603_18 Depth 2
                                        ;       Child Loop BB603_49 Depth 3
                                        ;       Child Loop BB603_52 Depth 3
                                        ;     Child Loop BB603_68 Depth 2
                                        ;       Child Loop BB603_81 Depth 3
                                        ;       Child Loop BB603_84 Depth 3
	s_mov_b32 s11, s35
	s_and_not1_b32 vcc_lo, exec_lo, s59
	s_mov_b32 s6, -1
	s_wait_alu 0xfffe
	s_cbranch_vccnz .LBB603_5
; %bb.4:                                ;   in Loop: Header=BB603_3 Depth=1
	s_mov_b32 s6, 0
.LBB603_5:                              ;   in Loop: Header=BB603_3 Depth=1
	v_mov_b32_e32 v17, 0
	v_dual_mov_b32 v18, 0 :: v_dual_mov_b32 v1, 0
	v_mov_b32_e32 v2, 0
	s_wait_alu 0xfffe
	s_and_not1_b32 vcc_lo, exec_lo, s6
	s_wait_alu 0xfffe
	s_cbranch_vccnz .LBB603_7
; %bb.6:                                ;   in Loop: Header=BB603_3 Depth=1
	s_lshl_b64 s[6:7], s[10:11], 3
	s_wait_alu 0xfffe
	s_add_nc_u64 s[6:7], s[12:13], s[6:7]
	global_load_b64 v[1:2], v0, s[6:7]
	s_wait_loadcnt 0x0
	v_add_co_u32 v1, vcc_lo, v1, s14
	s_wait_alu 0xfffd
	v_add_co_ci_u32_e64 v2, null, s15, v2, vcc_lo
.LBB603_7:                              ;   in Loop: Header=BB603_3 Depth=1
	s_and_not1_b32 vcc_lo, exec_lo, s58
	s_wait_alu 0xfffe
	s_cbranch_vccnz .LBB603_9
; %bb.8:                                ;   in Loop: Header=BB603_3 Depth=1
	s_lshl_b64 s[6:7], s[10:11], 3
	s_wait_alu 0xfffe
	s_add_nc_u64 s[6:7], s[16:17], s[6:7]
	global_load_b64 v[3:4], v0, s[6:7]
	s_wait_loadcnt 0x0
	v_add_co_u32 v17, vcc_lo, v3, s18
	s_wait_alu 0xfffd
	v_add_co_ci_u32_e64 v18, null, s19, v4, vcc_lo
.LBB603_9:                              ;   in Loop: Header=BB603_3 Depth=1
	s_mul_u64 s[6:7], s[36:37], s[10:11]
	s_and_not1_b32 vcc_lo, exec_lo, s59
	s_wait_alu 0xfffe
	s_lshl_b64 s[6:7], s[6:7], 2
	s_wait_alu 0xfffe
	s_add_nc_u64 s[48:49], s[28:29], s[6:7]
	s_mov_b32 s6, -1
	s_cbranch_vccnz .LBB603_14
; %bb.10:                               ;   in Loop: Header=BB603_3 Depth=1
	s_and_saveexec_b32 s8, s60
	s_cbranch_execz .LBB603_13
; %bb.11:                               ;   in Loop: Header=BB603_3 Depth=1
	s_add_nc_u64 s[6:7], s[48:49], s[46:47]
	s_mov_b32 s9, s21
.LBB603_12:                             ;   Parent Loop BB603_3 Depth=1
                                        ; =>  This Inner Loop Header: Depth=2
	s_wait_alu 0xfffe
	s_add_co_i32 s9, s9, -1
	global_store_b32 v0, v0, s[6:7]
	s_wait_alu 0xfffe
	s_cmp_eq_u32 s9, 0
	s_add_nc_u64 s[6:7], s[6:7], s[38:39]
	s_cbranch_scc0 .LBB603_12
.LBB603_13:                             ;   in Loop: Header=BB603_3 Depth=1
	s_wait_alu 0xfffe
	s_or_b32 exec_lo, exec_lo, s8
	s_mov_b32 s6, 0
.LBB603_14:                             ;   in Loop: Header=BB603_3 Depth=1
	s_wait_alu 0xfffe
	s_and_not1_b32 vcc_lo, exec_lo, s6
	s_wait_alu 0xfffe
	s_cbranch_vccnz .LBB603_2
; %bb.15:                               ;   in Loop: Header=BB603_3 Depth=1
	v_add_co_u32 v32, vcc_lo, v1, v7
	s_wait_alu 0xfffd
	v_add_co_ci_u32_e64 v33, null, v2, v8, vcc_lo
	v_cmp_gt_u32_e64 s9, 24, v31
	v_cmp_gt_u32_e64 s8, 28, v31
	;; [unrolled: 1-line block ×3, first 2 shown]
	v_cmp_ne_u32_e64 s6, 31, v31
	s_and_not1_b32 vcc_lo, exec_lo, s63
	s_wait_alu 0xfffe
	s_cbranch_vccnz .LBB603_64
; %bb.16:                               ;   in Loop: Header=BB603_3 Depth=1
	v_cndmask_b32_e64 v3, 0, 2, s7
	v_add_co_u32 v19, vcc_lo, v17, v9
	v_cndmask_b32_e64 v1, 0, 8, s9
	v_cndmask_b32_e64 v2, 0, 4, s8
	v_add_co_ci_u32_e64 v4, null, 0, v31, s6
	v_add_lshl_u32 v36, v3, v31, 2
	s_wait_alu 0xfffd
	v_add_co_ci_u32_e64 v20, null, v18, v10, vcc_lo
	v_add_co_u32 v21, vcc_lo, v17, v11
	v_mov_b32_e32 v3, v0
	s_wait_alu 0xfffd
	v_add_co_ci_u32_e64 v22, null, v18, v12, vcc_lo
	v_add_co_u32 v23, vcc_lo, v17, v13
	v_add_lshl_u32 v34, v1, v31, 2
	v_add_lshl_u32 v35, v2, v31, 2
	v_dual_mov_b32 v2, v0 :: v_dual_lshlrev_b32 v37, 2, v4
	s_wait_alu 0xfffd
	v_add_co_ci_u32_e64 v24, null, v18, v14, vcc_lo
	v_mov_b32_e32 v1, v0
	v_add_co_u32 v25, vcc_lo, v17, v15
	v_mov_b32_e32 v4, v3
	s_wait_alu 0xfffd
	v_add_co_ci_u32_e64 v26, null, v18, v16, vcc_lo
	v_mov_b32_e32 v3, v2
	v_mov_b32_e32 v2, v1
	;; [unrolled: 1-line block ×3, first 2 shown]
	s_mov_b32 s8, 0
	s_mov_b64 s[50:51], s[44:45]
	s_mov_b64 s[52:53], s[42:43]
	;; [unrolled: 1-line block ×3, first 2 shown]
	s_mov_b32 s11, 0
	s_branch .LBB603_18
.LBB603_17:                             ;   in Loop: Header=BB603_18 Depth=2
	s_wait_alu 0xfffe
	s_or_b32 exec_lo, exec_lo, s6
	s_add_co_i32 s11, s11, 4
	s_add_co_i32 s8, s8, s40
	s_add_nc_u64 s[54:55], s[54:55], s[40:41]
	s_add_nc_u64 s[52:53], s[52:53], s[40:41]
	s_cmp_ge_i32 s11, s61
	s_add_nc_u64 s[50:51], s[50:51], s[40:41]
	s_cbranch_scc1 .LBB603_65
.LBB603_18:                             ;   Parent Loop BB603_3 Depth=1
                                        ; =>  This Loop Header: Depth=2
                                        ;       Child Loop BB603_49 Depth 3
                                        ;       Child Loop BB603_52 Depth 3
                                        ; implicit-def: $vgpr38
                                        ; implicit-def: $vgpr39
                                        ; implicit-def: $vgpr40
                                        ; implicit-def: $vgpr41
	s_and_saveexec_b32 s6, s4
	s_wait_alu 0xfffe
	s_xor_b32 s6, exec_lo, s6
	s_cbranch_execnz .LBB603_45
; %bb.19:                               ;   in Loop: Header=BB603_18 Depth=2
	s_wait_alu 0xfffe
	s_and_not1_saveexec_b32 s20, s6
	s_cbranch_execnz .LBB603_46
.LBB603_20:                             ;   in Loop: Header=BB603_18 Depth=2
	s_wait_alu 0xfffe
	s_or_b32 exec_lo, exec_lo, s20
	s_and_saveexec_b32 s6, s1
.LBB603_21:                             ;   in Loop: Header=BB603_18 Depth=2
	ds_store_b32 v29, v0
.LBB603_22:                             ;   in Loop: Header=BB603_18 Depth=2
	s_wait_alu 0xfffe
	s_or_b32 exec_lo, exec_lo, s6
	s_wait_dscnt 0x0
	ds_bpermute_b32 v27, v6, v41
	s_wait_storecnt_dscnt 0x0
	s_barrier_signal -1
	s_barrier_wait -1
	global_inv scope:SCOPE_SE
	v_add_f32_e32 v27, v41, v27
	ds_bpermute_b32 v28, v34, v27
	s_wait_dscnt 0x0
	v_add_f32_e32 v27, v27, v28
	ds_bpermute_b32 v28, v35, v27
	s_wait_dscnt 0x0
	;; [unrolled: 3-line block ×3, first 2 shown]
	v_add_f32_e32 v27, v27, v28
	ds_bpermute_b32 v28, v37, v27
	s_and_saveexec_b32 s6, s3
	s_cbranch_execz .LBB603_24
; %bb.23:                               ;   in Loop: Header=BB603_18 Depth=2
	s_wait_dscnt 0x0
	v_add_f32_e32 v27, v27, v28
	ds_store_b32 v30, v27
.LBB603_24:                             ;   in Loop: Header=BB603_18 Depth=2
	s_wait_alu 0xfffe
	s_or_b32 exec_lo, exec_lo, s6
	v_mov_b32_e32 v27, 0
	s_wait_loadcnt_dscnt 0x0
	s_barrier_signal -1
	s_barrier_wait -1
	global_inv scope:SCOPE_SE
	s_and_saveexec_b32 s6, s2
	s_cbranch_execnz .LBB603_53
; %bb.25:                               ;   in Loop: Header=BB603_18 Depth=2
	s_wait_alu 0xfffe
	s_or_b32 exec_lo, exec_lo, s6
	s_and_saveexec_b32 s6, s1
	s_cbranch_execnz .LBB603_54
.LBB603_26:                             ;   in Loop: Header=BB603_18 Depth=2
	s_wait_alu 0xfffe
	s_or_b32 exec_lo, exec_lo, s6
	s_and_saveexec_b32 s6, s1
.LBB603_27:                             ;   in Loop: Header=BB603_18 Depth=2
	ds_store_b32 v29, v0
.LBB603_28:                             ;   in Loop: Header=BB603_18 Depth=2
	s_wait_alu 0xfffe
	s_or_b32 exec_lo, exec_lo, s6
	ds_bpermute_b32 v28, v6, v40
	s_wait_loadcnt_dscnt 0x0
	s_barrier_signal -1
	s_barrier_wait -1
	global_inv scope:SCOPE_SE
	v_add_f32_e32 v28, v40, v28
	ds_bpermute_b32 v40, v34, v28
	s_wait_dscnt 0x0
	v_add_f32_e32 v28, v28, v40
	ds_bpermute_b32 v40, v35, v28
	s_wait_dscnt 0x0
	;; [unrolled: 3-line block ×3, first 2 shown]
	v_add_f32_e32 v28, v28, v40
	ds_bpermute_b32 v40, v37, v28
	s_and_saveexec_b32 s6, s3
	s_cbranch_execz .LBB603_30
; %bb.29:                               ;   in Loop: Header=BB603_18 Depth=2
	s_wait_dscnt 0x0
	v_add_f32_e32 v28, v28, v40
	ds_store_b32 v30, v28
.LBB603_30:                             ;   in Loop: Header=BB603_18 Depth=2
	s_wait_alu 0xfffe
	s_or_b32 exec_lo, exec_lo, s6
	v_mov_b32_e32 v28, 0
	s_wait_loadcnt_dscnt 0x0
	s_barrier_signal -1
	s_barrier_wait -1
	global_inv scope:SCOPE_SE
	s_and_saveexec_b32 s6, s2
	s_cbranch_execnz .LBB603_55
; %bb.31:                               ;   in Loop: Header=BB603_18 Depth=2
	s_wait_alu 0xfffe
	s_or_b32 exec_lo, exec_lo, s6
	s_and_saveexec_b32 s6, s1
	s_cbranch_execnz .LBB603_56
.LBB603_32:                             ;   in Loop: Header=BB603_18 Depth=2
	s_wait_alu 0xfffe
	s_or_b32 exec_lo, exec_lo, s6
	s_and_saveexec_b32 s6, s1
.LBB603_33:                             ;   in Loop: Header=BB603_18 Depth=2
	ds_store_b32 v29, v0
.LBB603_34:                             ;   in Loop: Header=BB603_18 Depth=2
	s_wait_alu 0xfffe
	s_or_b32 exec_lo, exec_lo, s6
	ds_bpermute_b32 v40, v6, v39
	s_wait_loadcnt_dscnt 0x0
	s_barrier_signal -1
	s_barrier_wait -1
	global_inv scope:SCOPE_SE
	v_add_f32_e32 v39, v39, v40
	ds_bpermute_b32 v40, v34, v39
	s_wait_dscnt 0x0
	v_add_f32_e32 v39, v39, v40
	ds_bpermute_b32 v40, v35, v39
	s_wait_dscnt 0x0
	;; [unrolled: 3-line block ×3, first 2 shown]
	v_add_f32_e32 v39, v39, v40
	ds_bpermute_b32 v40, v37, v39
	s_and_saveexec_b32 s6, s3
	s_cbranch_execz .LBB603_36
; %bb.35:                               ;   in Loop: Header=BB603_18 Depth=2
	s_wait_dscnt 0x0
	v_add_f32_e32 v39, v39, v40
	ds_store_b32 v30, v39
.LBB603_36:                             ;   in Loop: Header=BB603_18 Depth=2
	s_wait_alu 0xfffe
	s_or_b32 exec_lo, exec_lo, s6
	v_mov_b32_e32 v39, 0
	s_wait_loadcnt_dscnt 0x0
	s_barrier_signal -1
	s_barrier_wait -1
	global_inv scope:SCOPE_SE
	s_and_saveexec_b32 s6, s2
	s_cbranch_execnz .LBB603_57
; %bb.37:                               ;   in Loop: Header=BB603_18 Depth=2
	s_wait_alu 0xfffe
	s_or_b32 exec_lo, exec_lo, s6
	s_and_saveexec_b32 s6, s1
	s_cbranch_execnz .LBB603_58
.LBB603_38:                             ;   in Loop: Header=BB603_18 Depth=2
	s_wait_alu 0xfffe
	s_or_b32 exec_lo, exec_lo, s6
	s_and_saveexec_b32 s6, s1
.LBB603_39:                             ;   in Loop: Header=BB603_18 Depth=2
	ds_store_b32 v29, v0
.LBB603_40:                             ;   in Loop: Header=BB603_18 Depth=2
	s_wait_alu 0xfffe
	s_or_b32 exec_lo, exec_lo, s6
	ds_bpermute_b32 v40, v6, v38
	s_wait_loadcnt_dscnt 0x0
	s_barrier_signal -1
	s_barrier_wait -1
	global_inv scope:SCOPE_SE
	v_add_f32_e32 v38, v38, v40
	ds_bpermute_b32 v40, v34, v38
	s_wait_dscnt 0x0
	v_add_f32_e32 v38, v38, v40
	ds_bpermute_b32 v40, v35, v38
	s_wait_dscnt 0x0
	;; [unrolled: 3-line block ×3, first 2 shown]
	v_add_f32_e32 v38, v38, v40
	ds_bpermute_b32 v40, v37, v38
	s_and_saveexec_b32 s6, s3
	s_cbranch_execz .LBB603_42
; %bb.41:                               ;   in Loop: Header=BB603_18 Depth=2
	s_wait_dscnt 0x0
	v_add_f32_e32 v38, v38, v40
	ds_store_b32 v30, v38
.LBB603_42:                             ;   in Loop: Header=BB603_18 Depth=2
	s_wait_alu 0xfffe
	s_or_b32 exec_lo, exec_lo, s6
	v_mov_b32_e32 v38, 0
	s_wait_loadcnt_dscnt 0x0
	s_barrier_signal -1
	s_barrier_wait -1
	global_inv scope:SCOPE_SE
	s_and_saveexec_b32 s6, s2
	s_cbranch_execnz .LBB603_59
; %bb.43:                               ;   in Loop: Header=BB603_18 Depth=2
	s_wait_alu 0xfffe
	s_or_b32 exec_lo, exec_lo, s6
	s_and_saveexec_b32 s6, s1
	s_cbranch_execnz .LBB603_60
.LBB603_44:                             ;   in Loop: Header=BB603_18 Depth=2
	s_wait_alu 0xfffe
	s_or_b32 exec_lo, exec_lo, s6
	s_and_saveexec_b32 s6, s0
	s_cbranch_execz .LBB603_17
	s_branch .LBB603_61
.LBB603_45:                             ;   in Loop: Header=BB603_18 Depth=2
	s_mul_i32 s56, s11, s26
	s_wait_alu 0xfffe
	s_ashr_i32 s57, s56, 31
	s_add_co_i32 s66, s56, s26
	s_wait_alu 0xfffe
	s_lshl_b64 s[56:57], s[56:57], 1
	s_ashr_i32 s67, s66, 31
	s_wait_alu 0xfffe
	v_add_co_u32 v1, vcc_lo, v32, s56
	s_wait_alu 0xfffd
	v_add_co_ci_u32_e64 v2, null, s57, v33, vcc_lo
	s_lshl_b64 s[56:57], s[66:67], 1
	s_wait_alu 0xfffe
	v_add_co_u32 v3, vcc_lo, v32, s56
	s_add_co_i32 s56, s66, s26
	s_wait_alu 0xfffd
	v_add_co_ci_u32_e64 v4, null, s57, v33, vcc_lo
	s_wait_alu 0xfffe
	s_ashr_i32 s57, s56, 31
	s_add_co_i32 s66, s56, s26
	s_wait_alu 0xfffe
	s_lshl_b64 s[56:57], s[56:57], 1
	s_wait_dscnt 0x0
	s_clause 0x1
	flat_load_b64 v[27:28], v[1:2]
	flat_load_b64 v[38:39], v[3:4]
	s_ashr_i32 s67, s66, 31
	s_wait_alu 0xfffe
	v_add_co_u32 v1, vcc_lo, v32, s56
	s_wait_alu 0xfffd
	v_add_co_ci_u32_e64 v2, null, s57, v33, vcc_lo
	s_lshl_b64 s[56:57], s[66:67], 1
	s_clause 0x2
	flat_load_u16 v44, v[19:20]
	flat_load_u16 v45, v[21:22]
	flat_load_u16 v46, v[23:24]
	s_wait_alu 0xfffe
	v_add_co_u32 v3, vcc_lo, v32, s56
	s_wait_alu 0xfffd
	v_add_co_ci_u32_e64 v4, null, s57, v33, vcc_lo
	s_clause 0x1
	flat_load_b64 v[40:41], v[1:2]
	flat_load_b64 v[42:43], v[3:4]
	flat_load_u16 v4, v[25:26]
	s_wait_loadcnt_dscnt 0x202
	v_lshlrev_b32_e32 v51, 16, v41
	v_and_b32_e32 v50, 0xffff0000, v40
	s_wait_loadcnt_dscnt 0x0
	v_lshlrev_b32_e32 v4, 16, v4
	v_lshlrev_b32_e32 v48, 16, v39
	v_and_b32_e32 v49, 0xffff0000, v39
	v_lshlrev_b32_e32 v3, 16, v46
	v_lshlrev_b32_e32 v2, 16, v45
	;; [unrolled: 1-line block ×3, first 2 shown]
	v_and_b32_e32 v47, 0xffff0000, v38
	v_lshlrev_b32_e32 v1, 16, v44
	v_lshlrev_b32_e32 v38, 16, v40
	v_and_b32_e32 v52, 0xffff0000, v41
	v_lshlrev_b32_e32 v53, 16, v42
	s_delay_alu instid0(VALU_DEP_4) | instskip(NEXT) | instid1(VALU_DEP_1)
	v_fma_f32 v40, v1, v46, 0
	v_fmac_f32_e32 v40, v2, v47
	v_fma_f32 v39, v1, v38, 0
	v_lshlrev_b32_e32 v44, 16, v27
	v_fma_f32 v38, v53, v1, 0
	s_delay_alu instid0(VALU_DEP_3) | instskip(NEXT) | instid1(VALU_DEP_3)
	v_dual_fmac_f32 v40, v3, v48 :: v_dual_fmac_f32 v39, v2, v50
	v_fma_f32 v41, v1, v44, 0
	v_and_b32_e32 v44, 0xffff0000, v43
	s_delay_alu instid0(VALU_DEP_3) | instskip(NEXT) | instid1(VALU_DEP_1)
	v_dual_fmac_f32 v40, v4, v49 :: v_dual_fmac_f32 v39, v3, v51
	v_dual_fmac_f32 v39, v4, v52 :: v_dual_and_b32 v42, 0xffff0000, v42
	s_delay_alu instid0(VALU_DEP_1) | instskip(NEXT) | instid1(VALU_DEP_1)
	v_dual_fmac_f32 v38, v2, v42 :: v_dual_and_b32 v27, 0xffff0000, v27
	v_fmac_f32_e32 v41, v2, v27
	v_lshlrev_b32_e32 v27, 16, v43
	s_delay_alu instid0(VALU_DEP_1) | instskip(NEXT) | instid1(VALU_DEP_1)
	v_dual_fmac_f32 v38, v27, v3 :: v_dual_lshlrev_b32 v45, 16, v28
	v_dual_fmac_f32 v41, v3, v45 :: v_dual_and_b32 v28, 0xffff0000, v28
	s_delay_alu instid0(VALU_DEP_2) | instskip(NEXT) | instid1(VALU_DEP_2)
	v_fmac_f32_e32 v38, v4, v44
	v_fmac_f32_e32 v41, v4, v28
	s_and_not1_saveexec_b32 s20, s6
	s_cbranch_execz .LBB603_20
.LBB603_46:                             ;   in Loop: Header=BB603_18 Depth=2
	s_wait_dscnt 0x0
	v_dual_mov_b32 v38, 0 :: v_dual_mov_b32 v39, 0
	v_dual_mov_b32 v40, 0 :: v_dual_mov_b32 v41, 0
	s_and_saveexec_b32 s25, s5
	s_cbranch_execz .LBB603_63
; %bb.47:                               ;   in Loop: Header=BB603_18 Depth=2
	s_and_not1_b32 vcc_lo, exec_lo, s64
	s_wait_alu 0xfffe
	s_cbranch_vccnz .LBB603_50
; %bb.48:                               ;   in Loop: Header=BB603_18 Depth=2
	v_mov_b32_e32 v27, v5
	s_mov_b64 s[56:57], 0
.LBB603_49:                             ;   Parent Loop BB603_3 Depth=1
                                        ;     Parent Loop BB603_18 Depth=2
                                        ; =>    This Inner Loop Header: Depth=3
	s_delay_alu instid0(VALU_DEP_1) | instskip(SKIP_2) | instid1(VALU_DEP_1)
	v_ashrrev_i32_e32 v28, 31, v27
	s_wait_alu 0xfffe
	s_cmp_eq_u32 s56, 3
	v_lshlrev_b64_e32 v[38:39], 1, v[27:28]
	s_delay_alu instid0(VALU_DEP_1) | instskip(SKIP_1) | instid1(VALU_DEP_2)
	v_add_co_u32 v38, vcc_lo, v17, v38
	s_wait_alu 0xfffd
	v_add_co_ci_u32_e64 v39, null, v18, v39, vcc_lo
	s_cselect_b32 vcc_lo, -1, 0
	s_cmp_eq_u32 s56, 2
	s_cselect_b32 s6, -1, 0
	flat_load_u16 v28, v[38:39]
	s_cmp_eq_u32 s56, 1
	s_cselect_b32 s7, -1, 0
	s_cmp_eq_u32 s56, 0
	s_add_nc_u64 s[56:57], s[56:57], 1
	s_wait_loadcnt_dscnt 0x0
	v_lshlrev_b32_e32 v28, 16, v28
	s_wait_alu 0xfffe
	s_delay_alu instid0(VALU_DEP_1)
	v_dual_cndmask_b32 v4, v4, v28 :: v_dual_add_nc_u32 v27, s33, v27
	s_cselect_b32 vcc_lo, -1, 0
	v_cndmask_b32_e64 v3, v3, v28, s6
	v_cndmask_b32_e64 v2, v2, v28, s7
	s_wait_alu 0xfffe
	v_cndmask_b32_e32 v1, v1, v28, vcc_lo
	s_cmp_eq_u32 s62, s56
	s_cbranch_scc0 .LBB603_49
.LBB603_50:                             ;   in Loop: Header=BB603_18 Depth=2
	s_and_not1_b32 vcc_lo, exec_lo, s64
	s_wait_alu 0xfffe
	s_cbranch_vccnz .LBB603_62
; %bb.51:                               ;   in Loop: Header=BB603_18 Depth=2
	s_ashr_i32 s9, s8, 31
	v_dual_mov_b32 v41, 0 :: v_dual_mov_b32 v40, 0
	s_wait_alu 0xfffe
	s_lshl_b64 s[6:7], s[8:9], 1
	v_dual_mov_b32 v39, 0 :: v_dual_mov_b32 v38, 0
	s_wait_alu 0xfffe
	v_add_co_u32 v27, vcc_lo, v32, s6
	s_wait_alu 0xfffd
	v_add_co_ci_u32_e64 v28, null, s7, v33, vcc_lo
	s_mov_b64 s[56:57], 0
.LBB603_52:                             ;   Parent Loop BB603_3 Depth=1
                                        ;     Parent Loop BB603_18 Depth=2
                                        ; =>    This Inner Loop Header: Depth=3
	s_wait_alu 0xfffe
	s_cmp_eq_u32 s56, 1
	s_cselect_b32 vcc_lo, -1, 0
	s_cmp_eq_u32 s56, 2
	s_wait_alu 0xfffe
	v_cndmask_b32_e32 v42, v1, v2, vcc_lo
	s_cselect_b32 vcc_lo, -1, 0
	s_cmp_eq_u32 s56, 3
	s_wait_alu 0xfffe
	s_delay_alu instid0(VALU_DEP_1)
	v_cndmask_b32_e32 v48, v42, v3, vcc_lo
	s_cselect_b32 vcc_lo, -1, 0
	s_add_co_i32 s6, s54, s56
	s_add_co_i32 s66, s52, s56
	s_wait_alu 0xfffe
	s_ashr_i32 s7, s6, 31
	s_add_co_i32 s68, s50, s56
	s_ashr_i32 s67, s66, 31
	s_wait_alu 0xfffe
	s_lshl_b64 s[6:7], s[6:7], 1
	s_ashr_i32 s69, s68, 31
	s_lshl_b64 s[66:67], s[66:67], 1
	s_wait_alu 0xfffe
	v_add_co_u32 v42, s6, v32, s6
	s_lshl_b64 s[68:69], s[68:69], 1
	v_add_co_ci_u32_e64 v43, null, s7, v33, s6
	v_add_co_u32 v44, s6, v32, s66
	s_wait_alu 0xf1ff
	v_add_co_ci_u32_e64 v45, null, s67, v33, s6
	s_wait_alu 0xfffe
	v_add_co_u32 v46, s6, v32, s68
	s_wait_alu 0xf1ff
	v_add_co_ci_u32_e64 v47, null, s69, v33, s6
	flat_load_u16 v49, v[27:28]
	s_clause 0x2
	flat_load_u16 v42, v[42:43]
	flat_load_u16 v43, v[44:45]
	;; [unrolled: 1-line block ×3, first 2 shown]
	v_cndmask_b32_e32 v45, v48, v4, vcc_lo
	v_add_co_u32 v27, s6, v27, 2
	s_wait_alu 0xf1ff
	v_add_co_ci_u32_e64 v28, null, 0, v28, s6
	s_add_nc_u64 s[56:57], s[56:57], 1
	s_wait_alu 0xfffe
	s_cmp_lg_u32 s62, s56
	s_wait_loadcnt_dscnt 0x202
	v_lshlrev_b32_e32 v42, 16, v42
	s_wait_loadcnt_dscnt 0x101
	v_lshlrev_b32_e32 v43, 16, v43
	;; [unrolled: 2-line block ×3, first 2 shown]
	v_fmac_f32_e32 v40, v45, v42
	s_delay_alu instid0(VALU_DEP_3) | instskip(NEXT) | instid1(VALU_DEP_3)
	v_dual_fmac_f32 v39, v45, v43 :: v_dual_lshlrev_b32 v46, 16, v49
	v_fmac_f32_e32 v38, v45, v44
	s_delay_alu instid0(VALU_DEP_2)
	v_fmac_f32_e32 v41, v45, v46
	s_cbranch_scc1 .LBB603_52
	s_branch .LBB603_63
.LBB603_53:                             ;   in Loop: Header=BB603_18 Depth=2
	ds_load_b32 v27, v29
	s_wait_alu 0xfffe
	s_or_b32 exec_lo, exec_lo, s6
	s_and_saveexec_b32 s6, s1
	s_cbranch_execz .LBB603_26
.LBB603_54:                             ;   in Loop: Header=BB603_18 Depth=2
	s_wait_dscnt 0x0
	ds_bpermute_b32 v28, v35, v27
	s_wait_dscnt 0x0
	v_add_f32_e32 v27, v27, v28
	ds_bpermute_b32 v28, v36, v27
	s_wait_dscnt 0x0
	v_add_f32_e32 v27, v27, v28
	;; [unrolled: 3-line block ×3, first 2 shown]
	s_wait_alu 0xfffe
	s_or_b32 exec_lo, exec_lo, s6
	s_and_saveexec_b32 s6, s1
	s_cbranch_execnz .LBB603_27
	s_branch .LBB603_28
.LBB603_55:                             ;   in Loop: Header=BB603_18 Depth=2
	ds_load_b32 v28, v29
	s_wait_alu 0xfffe
	s_or_b32 exec_lo, exec_lo, s6
	s_and_saveexec_b32 s6, s1
	s_cbranch_execz .LBB603_32
.LBB603_56:                             ;   in Loop: Header=BB603_18 Depth=2
	s_wait_dscnt 0x0
	ds_bpermute_b32 v40, v35, v28
	s_wait_dscnt 0x0
	v_add_f32_e32 v28, v28, v40
	ds_bpermute_b32 v40, v36, v28
	s_wait_dscnt 0x0
	v_add_f32_e32 v28, v28, v40
	;; [unrolled: 3-line block ×3, first 2 shown]
	s_wait_alu 0xfffe
	s_or_b32 exec_lo, exec_lo, s6
	s_and_saveexec_b32 s6, s1
	s_cbranch_execnz .LBB603_33
	s_branch .LBB603_34
.LBB603_57:                             ;   in Loop: Header=BB603_18 Depth=2
	ds_load_b32 v39, v29
	s_wait_alu 0xfffe
	s_or_b32 exec_lo, exec_lo, s6
	s_and_saveexec_b32 s6, s1
	s_cbranch_execz .LBB603_38
.LBB603_58:                             ;   in Loop: Header=BB603_18 Depth=2
	s_wait_dscnt 0x0
	ds_bpermute_b32 v40, v35, v39
	s_wait_dscnt 0x0
	v_add_f32_e32 v39, v39, v40
	ds_bpermute_b32 v40, v36, v39
	s_wait_dscnt 0x0
	v_add_f32_e32 v39, v39, v40
	;; [unrolled: 3-line block ×3, first 2 shown]
	s_wait_alu 0xfffe
	s_or_b32 exec_lo, exec_lo, s6
	s_and_saveexec_b32 s6, s1
	s_cbranch_execnz .LBB603_39
	s_branch .LBB603_40
.LBB603_59:                             ;   in Loop: Header=BB603_18 Depth=2
	ds_load_b32 v38, v29
	s_wait_alu 0xfffe
	s_or_b32 exec_lo, exec_lo, s6
	s_and_saveexec_b32 s6, s1
	s_cbranch_execz .LBB603_44
.LBB603_60:                             ;   in Loop: Header=BB603_18 Depth=2
	s_wait_dscnt 0x0
	ds_bpermute_b32 v40, v35, v38
	s_wait_dscnt 0x0
	v_add_f32_e32 v38, v38, v40
	ds_bpermute_b32 v40, v36, v38
	s_wait_dscnt 0x0
	v_add_f32_e32 v38, v38, v40
	;; [unrolled: 3-line block ×3, first 2 shown]
	s_wait_alu 0xfffe
	s_or_b32 exec_lo, exec_lo, s6
	s_and_saveexec_b32 s6, s0
	s_cbranch_execz .LBB603_17
.LBB603_61:                             ;   in Loop: Header=BB603_18 Depth=2
	s_mul_i32 s7, s11, s30
	v_dual_mul_f32 v27, s22, v27 :: v_dual_mul_f32 v28, s22, v28
	s_wait_alu 0xfffe
	s_add_co_i32 s34, s7, s24
	s_wait_alu 0xfffe
	s_lshl_b64 s[56:57], s[34:35], 2
	s_add_co_i32 s34, s34, s30
	s_wait_alu 0xfffe
	s_add_nc_u64 s[56:57], s[48:49], s[56:57]
	s_lshl_b64 s[66:67], s[34:35], 2
	s_add_co_i32 s34, s34, s30
	s_wait_alu 0xfffe
	s_add_nc_u64 s[66:67], s[48:49], s[66:67]
	s_clause 0x1
	global_store_b32 v0, v27, s[56:57]
	global_store_b32 v0, v28, s[66:67]
	s_wait_dscnt 0x0
	v_dual_mul_f32 v27, s22, v39 :: v_dual_mul_f32 v28, s22, v38
	s_lshl_b64 s[56:57], s[34:35], 2
	s_add_co_i32 s34, s34, s30
	s_wait_alu 0xfffe
	s_add_nc_u64 s[56:57], s[48:49], s[56:57]
	s_lshl_b64 s[66:67], s[34:35], 2
	s_wait_alu 0xfffe
	s_add_nc_u64 s[66:67], s[48:49], s[66:67]
	s_clause 0x1
	global_store_b32 v0, v27, s[56:57]
	global_store_b32 v0, v28, s[66:67]
	s_branch .LBB603_17
.LBB603_62:                             ;   in Loop: Header=BB603_18 Depth=2
	v_dual_mov_b32 v38, 0 :: v_dual_mov_b32 v39, 0
	v_dual_mov_b32 v40, 0 :: v_dual_mov_b32 v41, 0
.LBB603_63:                             ;   in Loop: Header=BB603_18 Depth=2
	s_or_b32 exec_lo, exec_lo, s25
	s_wait_alu 0xfffe
	s_or_b32 exec_lo, exec_lo, s20
	s_and_saveexec_b32 s6, s1
	s_cbranch_execnz .LBB603_21
	s_branch .LBB603_22
.LBB603_64:                             ;   in Loop: Header=BB603_3 Depth=1
	v_mov_b32_e32 v3, v0
	v_dual_mov_b32 v1, v0 :: v_dual_mov_b32 v2, v0
	s_mov_b32 s11, 0
	s_delay_alu instid0(VALU_DEP_2) | instskip(NEXT) | instid1(VALU_DEP_2)
	v_mov_b32_e32 v4, v3
	v_mov_b32_e32 v3, v2
	s_delay_alu instid0(VALU_DEP_3)
	v_mov_b32_e32 v2, v1
	v_mov_b32_e32 v1, v0
.LBB603_65:                             ;   in Loop: Header=BB603_3 Depth=1
	s_cmp_ge_i32 s11, s21
	s_cbranch_scc1 .LBB603_2
; %bb.66:                               ;   in Loop: Header=BB603_3 Depth=1
	v_cmp_gt_u32_e32 vcc_lo, 24, v31
	s_add_nc_u64 s[8:9], s[48:49], s[46:47]
	s_mul_i32 s48, s26, s11
	s_mov_b32 s34, s11
	s_wait_alu 0xfffd
	v_cndmask_b32_e64 v19, 0, 8, vcc_lo
	v_cmp_gt_u32_e32 vcc_lo, 28, v31
	s_delay_alu instid0(VALU_DEP_2) | instskip(SKIP_3) | instid1(VALU_DEP_2)
	v_add_lshl_u32 v34, v19, v31, 2
	s_wait_alu 0xfffd
	v_cndmask_b32_e64 v20, 0, 4, vcc_lo
	v_cmp_gt_u32_e32 vcc_lo, 30, v31
	v_add_lshl_u32 v35, v20, v31, 2
	s_wait_alu 0xfffd
	v_cndmask_b32_e64 v21, 0, 2, vcc_lo
	v_cmp_ne_u32_e32 vcc_lo, 31, v31
	s_delay_alu instid0(VALU_DEP_2)
	v_add_lshl_u32 v36, v21, v31, 2
	s_wait_alu 0xfffd
	v_add_co_ci_u32_e64 v22, null, 0, v31, vcc_lo
	v_add_co_u32 v19, vcc_lo, v17, v9
	s_wait_alu 0xfffd
	v_add_co_ci_u32_e64 v20, null, v18, v10, vcc_lo
	v_add_co_u32 v21, vcc_lo, v17, v11
	v_lshlrev_b32_e32 v37, 2, v22
	s_wait_alu 0xfffd
	v_add_co_ci_u32_e64 v22, null, v18, v12, vcc_lo
	v_add_co_u32 v23, vcc_lo, v17, v13
	s_wait_alu 0xfffd
	v_add_co_ci_u32_e64 v24, null, v18, v14, vcc_lo
	v_add_co_u32 v25, vcc_lo, v17, v15
	s_wait_alu 0xfffd
	v_add_co_ci_u32_e64 v26, null, v18, v16, vcc_lo
	s_branch .LBB603_68
.LBB603_67:                             ;   in Loop: Header=BB603_68 Depth=2
	s_wait_alu 0xfffe
	s_or_b32 exec_lo, exec_lo, s6
	s_add_co_i32 s34, s34, 1
	s_add_co_i32 s48, s48, s26
	s_wait_alu 0xfffe
	s_cmp_ge_i32 s34, s21
	s_cbranch_scc1 .LBB603_2
.LBB603_68:                             ;   Parent Loop BB603_3 Depth=1
                                        ; =>  This Loop Header: Depth=2
                                        ;       Child Loop BB603_81 Depth 3
                                        ;       Child Loop BB603_84 Depth 3
	s_wait_dscnt 0x0
	v_mov_b32_e32 v38, s35
	s_and_saveexec_b32 s6, s4
	s_wait_alu 0xfffe
	s_xor_b32 s6, exec_lo, s6
	s_cbranch_execnz .LBB603_77
; %bb.69:                               ;   in Loop: Header=BB603_68 Depth=2
	s_wait_alu 0xfffe
	s_and_not1_saveexec_b32 s11, s6
	s_cbranch_execnz .LBB603_78
.LBB603_70:                             ;   in Loop: Header=BB603_68 Depth=2
	s_or_b32 exec_lo, exec_lo, s11
	s_and_saveexec_b32 s6, s1
.LBB603_71:                             ;   in Loop: Header=BB603_68 Depth=2
	ds_store_b32 v29, v0
.LBB603_72:                             ;   in Loop: Header=BB603_68 Depth=2
	s_wait_alu 0xfffe
	s_or_b32 exec_lo, exec_lo, s6
	ds_bpermute_b32 v27, v6, v38
	s_wait_storecnt 0x0
	s_wait_loadcnt_dscnt 0x0
	s_barrier_signal -1
	s_barrier_wait -1
	global_inv scope:SCOPE_SE
	v_add_f32_e32 v27, v38, v27
	ds_bpermute_b32 v28, v34, v27
	s_wait_dscnt 0x0
	v_add_f32_e32 v27, v27, v28
	ds_bpermute_b32 v28, v35, v27
	s_wait_dscnt 0x0
	;; [unrolled: 3-line block ×3, first 2 shown]
	v_add_f32_e32 v27, v27, v28
	ds_bpermute_b32 v28, v37, v27
	s_and_saveexec_b32 s6, s3
	s_cbranch_execz .LBB603_74
; %bb.73:                               ;   in Loop: Header=BB603_68 Depth=2
	s_wait_dscnt 0x0
	v_add_f32_e32 v27, v27, v28
	ds_store_b32 v30, v27
.LBB603_74:                             ;   in Loop: Header=BB603_68 Depth=2
	s_wait_alu 0xfffe
	s_or_b32 exec_lo, exec_lo, s6
	v_mov_b32_e32 v27, 0
	s_wait_loadcnt_dscnt 0x0
	s_barrier_signal -1
	s_barrier_wait -1
	global_inv scope:SCOPE_SE
	s_and_saveexec_b32 s6, s2
	s_cbranch_execnz .LBB603_86
; %bb.75:                               ;   in Loop: Header=BB603_68 Depth=2
	s_wait_alu 0xfffe
	s_or_b32 exec_lo, exec_lo, s6
	s_and_saveexec_b32 s6, s1
	s_cbranch_execnz .LBB603_87
.LBB603_76:                             ;   in Loop: Header=BB603_68 Depth=2
	s_wait_alu 0xfffe
	s_or_b32 exec_lo, exec_lo, s6
	s_and_saveexec_b32 s6, s0
	s_cbranch_execz .LBB603_67
	s_branch .LBB603_88
.LBB603_77:                             ;   in Loop: Header=BB603_68 Depth=2
	s_mul_i32 s50, s34, s26
	s_wait_alu 0xfffe
	s_ashr_i32 s51, s50, 31
	s_wait_alu 0xfffe
	s_lshl_b64 s[50:51], s[50:51], 1
	s_wait_alu 0xfffe
	v_add_co_u32 v1, vcc_lo, v32, s50
	s_wait_alu 0xfffd
	v_add_co_ci_u32_e64 v2, null, s51, v33, vcc_lo
	flat_load_u16 v3, v[19:20]
	flat_load_b64 v[27:28], v[1:2]
	s_clause 0x2
	flat_load_u16 v2, v[21:22]
	flat_load_u16 v4, v[23:24]
	;; [unrolled: 1-line block ×3, first 2 shown]
	s_wait_loadcnt_dscnt 0x404
	v_lshlrev_b32_e32 v1, 16, v3
	s_wait_loadcnt_dscnt 0x303
	v_lshlrev_b32_e32 v3, 16, v27
	;; [unrolled: 2-line block ×3, first 2 shown]
	v_and_b32_e32 v27, 0xffff0000, v27
	s_delay_alu instid0(VALU_DEP_3)
	v_fma_f32 v38, v1, v3, 0
	s_wait_loadcnt_dscnt 0x101
	v_lshlrev_b32_e32 v3, 16, v4
	s_wait_loadcnt_dscnt 0x0
	v_lshlrev_b32_e32 v4, 16, v39
	v_dual_fmac_f32 v38, v2, v27 :: v_dual_lshlrev_b32 v27, 16, v28
	v_and_b32_e32 v28, 0xffff0000, v28
	s_delay_alu instid0(VALU_DEP_2) | instskip(NEXT) | instid1(VALU_DEP_1)
	v_fmac_f32_e32 v38, v3, v27
	v_fmac_f32_e32 v38, v4, v28
	s_and_not1_saveexec_b32 s11, s6
	s_cbranch_execz .LBB603_70
.LBB603_78:                             ;   in Loop: Header=BB603_68 Depth=2
	s_and_saveexec_b32 s20, s5
	s_cbranch_execz .LBB603_85
; %bb.79:                               ;   in Loop: Header=BB603_68 Depth=2
	s_and_not1_b32 vcc_lo, exec_lo, s64
	s_wait_alu 0xfffe
	s_cbranch_vccnz .LBB603_82
; %bb.80:                               ;   in Loop: Header=BB603_68 Depth=2
	v_mov_b32_e32 v27, v5
	s_mov_b64 s[50:51], 0
.LBB603_81:                             ;   Parent Loop BB603_3 Depth=1
                                        ;     Parent Loop BB603_68 Depth=2
                                        ; =>    This Inner Loop Header: Depth=3
	s_delay_alu instid0(VALU_DEP_1) | instskip(SKIP_2) | instid1(VALU_DEP_1)
	v_ashrrev_i32_e32 v28, 31, v27
	s_wait_alu 0xfffe
	s_cmp_eq_u32 s50, 3
	v_lshlrev_b64_e32 v[39:40], 1, v[27:28]
	s_delay_alu instid0(VALU_DEP_1) | instskip(SKIP_1) | instid1(VALU_DEP_2)
	v_add_co_u32 v39, vcc_lo, v17, v39
	s_wait_alu 0xfffd
	v_add_co_ci_u32_e64 v40, null, v18, v40, vcc_lo
	s_cselect_b32 vcc_lo, -1, 0
	s_cmp_eq_u32 s50, 2
	s_cselect_b32 s6, -1, 0
	flat_load_u16 v28, v[39:40]
	s_cmp_eq_u32 s50, 1
	s_cselect_b32 s7, -1, 0
	s_cmp_eq_u32 s50, 0
	s_add_nc_u64 s[50:51], s[50:51], 1
	s_wait_loadcnt_dscnt 0x0
	v_lshlrev_b32_e32 v28, 16, v28
	s_wait_alu 0xfffe
	s_delay_alu instid0(VALU_DEP_1)
	v_dual_cndmask_b32 v4, v4, v28 :: v_dual_add_nc_u32 v27, s33, v27
	s_cselect_b32 vcc_lo, -1, 0
	v_cndmask_b32_e64 v3, v3, v28, s6
	v_cndmask_b32_e64 v2, v2, v28, s7
	s_wait_alu 0xfffe
	v_cndmask_b32_e32 v1, v1, v28, vcc_lo
	s_cmp_eq_u32 s62, s50
	s_cbranch_scc0 .LBB603_81
.LBB603_82:                             ;   in Loop: Header=BB603_68 Depth=2
	s_and_not1_b32 vcc_lo, exec_lo, s64
	s_wait_alu 0xfffe
	s_cbranch_vccnz .LBB603_85
; %bb.83:                               ;   in Loop: Header=BB603_68 Depth=2
	s_ashr_i32 s49, s48, 31
	s_delay_alu instid0(SALU_CYCLE_1)
	s_lshl_b64 s[6:7], s[48:49], 1
	s_wait_alu 0xfffe
	v_add_co_u32 v27, vcc_lo, v32, s6
	s_wait_alu 0xfffd
	v_add_co_ci_u32_e64 v28, null, s7, v33, vcc_lo
	s_mov_b64 s[6:7], 0
.LBB603_84:                             ;   Parent Loop BB603_3 Depth=1
                                        ;     Parent Loop BB603_68 Depth=2
                                        ; =>    This Inner Loop Header: Depth=3
	flat_load_u16 v39, v[27:28]
	s_wait_alu 0xfffe
	s_cmp_eq_u32 s6, 1
	s_cselect_b32 vcc_lo, -1, 0
	s_cmp_eq_u32 s6, 2
	s_wait_alu 0xfffe
	v_cndmask_b32_e32 v40, v1, v2, vcc_lo
	s_cselect_b32 vcc_lo, -1, 0
	s_cmp_eq_u32 s6, 3
	s_add_nc_u64 s[6:7], s[6:7], 1
	s_wait_loadcnt_dscnt 0x0
	v_lshlrev_b32_e32 v39, 16, v39
	s_wait_alu 0xfffe
	v_cndmask_b32_e32 v40, v40, v3, vcc_lo
	s_cselect_b32 vcc_lo, -1, 0
	s_cmp_lg_u32 s62, s6
	s_wait_alu 0xfffe
	s_delay_alu instid0(VALU_DEP_1) | instskip(SKIP_3) | instid1(VALU_DEP_3)
	v_cndmask_b32_e32 v40, v40, v4, vcc_lo
	v_add_co_u32 v27, vcc_lo, v27, 2
	s_wait_alu 0xfffd
	v_add_co_ci_u32_e64 v28, null, 0, v28, vcc_lo
	v_fmac_f32_e32 v38, v40, v39
	s_cbranch_scc1 .LBB603_84
.LBB603_85:                             ;   in Loop: Header=BB603_68 Depth=2
	s_wait_alu 0xfffe
	s_or_b32 exec_lo, exec_lo, s20
	s_delay_alu instid0(SALU_CYCLE_1)
	s_or_b32 exec_lo, exec_lo, s11
	s_and_saveexec_b32 s6, s1
	s_cbranch_execnz .LBB603_71
	s_branch .LBB603_72
.LBB603_86:                             ;   in Loop: Header=BB603_68 Depth=2
	ds_load_b32 v27, v29
	s_wait_alu 0xfffe
	s_or_b32 exec_lo, exec_lo, s6
	s_and_saveexec_b32 s6, s1
	s_cbranch_execz .LBB603_76
.LBB603_87:                             ;   in Loop: Header=BB603_68 Depth=2
	s_wait_dscnt 0x0
	ds_bpermute_b32 v28, v35, v27
	s_wait_dscnt 0x0
	v_add_f32_e32 v27, v27, v28
	ds_bpermute_b32 v28, v36, v27
	s_wait_dscnt 0x0
	v_add_f32_e32 v27, v27, v28
	;; [unrolled: 3-line block ×3, first 2 shown]
	s_wait_alu 0xfffe
	s_or_b32 exec_lo, exec_lo, s6
	s_and_saveexec_b32 s6, s0
	s_cbranch_execz .LBB603_67
.LBB603_88:                             ;   in Loop: Header=BB603_68 Depth=2
	s_mul_u64 s[50:51], s[34:35], s[30:31]
	s_wait_dscnt 0x0
	v_mul_f32_e32 v27, s22, v27
	s_wait_alu 0xfffe
	s_lshl_b64 s[50:51], s[50:51], 2
	s_wait_alu 0xfffe
	s_add_nc_u64 s[50:51], s[8:9], s[50:51]
	global_store_b32 v0, v27, s[50:51]
	s_branch .LBB603_67
.LBB603_89:
	s_endpgm
	.section	.rodata,"a",@progbits
	.p2align	6, 0x0
	.amdhsa_kernel _ZL23rocblas_gemvt_sn_kernelILb0ELi256ELi4EiPK16rocblas_bfloat16ffEviiT4_lPKT3_lilS6_lilPT5_i
		.amdhsa_group_segment_fixed_size 128
		.amdhsa_private_segment_fixed_size 0
		.amdhsa_kernarg_size 360
		.amdhsa_user_sgpr_count 2
		.amdhsa_user_sgpr_dispatch_ptr 0
		.amdhsa_user_sgpr_queue_ptr 0
		.amdhsa_user_sgpr_kernarg_segment_ptr 1
		.amdhsa_user_sgpr_dispatch_id 0
		.amdhsa_user_sgpr_private_segment_size 0
		.amdhsa_wavefront_size32 1
		.amdhsa_uses_dynamic_stack 0
		.amdhsa_enable_private_segment 0
		.amdhsa_system_sgpr_workgroup_id_x 1
		.amdhsa_system_sgpr_workgroup_id_y 0
		.amdhsa_system_sgpr_workgroup_id_z 1
		.amdhsa_system_sgpr_workgroup_info 0
		.amdhsa_system_vgpr_workitem_id 0
		.amdhsa_next_free_vgpr 54
		.amdhsa_next_free_sgpr 70
		.amdhsa_reserve_vcc 1
		.amdhsa_float_round_mode_32 0
		.amdhsa_float_round_mode_16_64 0
		.amdhsa_float_denorm_mode_32 3
		.amdhsa_float_denorm_mode_16_64 3
		.amdhsa_fp16_overflow 0
		.amdhsa_workgroup_processor_mode 1
		.amdhsa_memory_ordered 1
		.amdhsa_forward_progress 1
		.amdhsa_inst_pref_size 38
		.amdhsa_round_robin_scheduling 0
		.amdhsa_exception_fp_ieee_invalid_op 0
		.amdhsa_exception_fp_denorm_src 0
		.amdhsa_exception_fp_ieee_div_zero 0
		.amdhsa_exception_fp_ieee_overflow 0
		.amdhsa_exception_fp_ieee_underflow 0
		.amdhsa_exception_fp_ieee_inexact 0
		.amdhsa_exception_int_div_zero 0
	.end_amdhsa_kernel
	.section	.text._ZL23rocblas_gemvt_sn_kernelILb0ELi256ELi4EiPK16rocblas_bfloat16ffEviiT4_lPKT3_lilS6_lilPT5_i,"axG",@progbits,_ZL23rocblas_gemvt_sn_kernelILb0ELi256ELi4EiPK16rocblas_bfloat16ffEviiT4_lPKT3_lilS6_lilPT5_i,comdat
.Lfunc_end603:
	.size	_ZL23rocblas_gemvt_sn_kernelILb0ELi256ELi4EiPK16rocblas_bfloat16ffEviiT4_lPKT3_lilS6_lilPT5_i, .Lfunc_end603-_ZL23rocblas_gemvt_sn_kernelILb0ELi256ELi4EiPK16rocblas_bfloat16ffEviiT4_lPKT3_lilS6_lilPT5_i
                                        ; -- End function
	.set _ZL23rocblas_gemvt_sn_kernelILb0ELi256ELi4EiPK16rocblas_bfloat16ffEviiT4_lPKT3_lilS6_lilPT5_i.num_vgpr, 54
	.set _ZL23rocblas_gemvt_sn_kernelILb0ELi256ELi4EiPK16rocblas_bfloat16ffEviiT4_lPKT3_lilS6_lilPT5_i.num_agpr, 0
	.set _ZL23rocblas_gemvt_sn_kernelILb0ELi256ELi4EiPK16rocblas_bfloat16ffEviiT4_lPKT3_lilS6_lilPT5_i.numbered_sgpr, 70
	.set _ZL23rocblas_gemvt_sn_kernelILb0ELi256ELi4EiPK16rocblas_bfloat16ffEviiT4_lPKT3_lilS6_lilPT5_i.num_named_barrier, 0
	.set _ZL23rocblas_gemvt_sn_kernelILb0ELi256ELi4EiPK16rocblas_bfloat16ffEviiT4_lPKT3_lilS6_lilPT5_i.private_seg_size, 0
	.set _ZL23rocblas_gemvt_sn_kernelILb0ELi256ELi4EiPK16rocblas_bfloat16ffEviiT4_lPKT3_lilS6_lilPT5_i.uses_vcc, 1
	.set _ZL23rocblas_gemvt_sn_kernelILb0ELi256ELi4EiPK16rocblas_bfloat16ffEviiT4_lPKT3_lilS6_lilPT5_i.uses_flat_scratch, 1
	.set _ZL23rocblas_gemvt_sn_kernelILb0ELi256ELi4EiPK16rocblas_bfloat16ffEviiT4_lPKT3_lilS6_lilPT5_i.has_dyn_sized_stack, 0
	.set _ZL23rocblas_gemvt_sn_kernelILb0ELi256ELi4EiPK16rocblas_bfloat16ffEviiT4_lPKT3_lilS6_lilPT5_i.has_recursion, 0
	.set _ZL23rocblas_gemvt_sn_kernelILb0ELi256ELi4EiPK16rocblas_bfloat16ffEviiT4_lPKT3_lilS6_lilPT5_i.has_indirect_call, 0
	.section	.AMDGPU.csdata,"",@progbits
; Kernel info:
; codeLenInByte = 4748
; TotalNumSgprs: 72
; NumVgprs: 54
; ScratchSize: 0
; MemoryBound: 0
; FloatMode: 240
; IeeeMode: 1
; LDSByteSize: 128 bytes/workgroup (compile time only)
; SGPRBlocks: 0
; VGPRBlocks: 6
; NumSGPRsForWavesPerEU: 72
; NumVGPRsForWavesPerEU: 54
; Occupancy: 16
; WaveLimiterHint : 0
; COMPUTE_PGM_RSRC2:SCRATCH_EN: 0
; COMPUTE_PGM_RSRC2:USER_SGPR: 2
; COMPUTE_PGM_RSRC2:TRAP_HANDLER: 0
; COMPUTE_PGM_RSRC2:TGID_X_EN: 1
; COMPUTE_PGM_RSRC2:TGID_Y_EN: 0
; COMPUTE_PGM_RSRC2:TGID_Z_EN: 1
; COMPUTE_PGM_RSRC2:TIDIG_COMP_CNT: 0
	.section	.text._ZL23rocblas_gemvt_sn_kernelILb0ELi256ELi4ElPK16rocblas_bfloat16ffEviiT4_lPKT3_lilS6_lilPT5_i,"axG",@progbits,_ZL23rocblas_gemvt_sn_kernelILb0ELi256ELi4ElPK16rocblas_bfloat16ffEviiT4_lPKT3_lilS6_lilPT5_i,comdat
	.globl	_ZL23rocblas_gemvt_sn_kernelILb0ELi256ELi4ElPK16rocblas_bfloat16ffEviiT4_lPKT3_lilS6_lilPT5_i ; -- Begin function _ZL23rocblas_gemvt_sn_kernelILb0ELi256ELi4ElPK16rocblas_bfloat16ffEviiT4_lPKT3_lilS6_lilPT5_i
	.p2align	8
	.type	_ZL23rocblas_gemvt_sn_kernelILb0ELi256ELi4ElPK16rocblas_bfloat16ffEviiT4_lPKT3_lilS6_lilPT5_i,@function
_ZL23rocblas_gemvt_sn_kernelILb0ELi256ELi4ElPK16rocblas_bfloat16ffEviiT4_lPKT3_lilS6_lilPT5_i: ; @_ZL23rocblas_gemvt_sn_kernelILb0ELi256ELi4ElPK16rocblas_bfloat16ffEviiT4_lPKT3_lilS6_lilPT5_i
; %bb.0:
	s_load_b32 s23, s[0:1], 0x60
	s_lshr_b32 s10, ttmp7, 16
	s_wait_kmcnt 0x0
	s_cmp_ge_u32 s10, s23
	s_cbranch_scc1 .LBB604_89
; %bb.1:
	s_clause 0x6
	s_load_b32 s26, s[0:1], 0x28
	s_load_b32 s6, s[0:1], 0x48
	s_load_b96 s[20:22], s[0:1], 0x0
	s_load_b128 s[12:15], s[0:1], 0x18
	s_load_b32 s28, s[0:1], 0x68
	s_load_b128 s[16:19], s[0:1], 0x38
	s_load_b64 s[30:31], s[0:1], 0x58
	s_mov_b32 s25, 0
	v_cmp_eq_u32_e64 s0, 0, v0
	s_mov_b32 s29, s25
	v_and_b32_e32 v1, 31, v0
	v_cmp_gt_u32_e64 s1, 32, v0
	v_cmp_gt_u32_e64 s2, 8, v0
	v_lshrrev_b32_e32 v2, 3, v0
	v_mbcnt_lo_u32_b32 v33, -1, 0
	v_cmp_eq_u32_e64 s3, 0, v1
	v_lshlrev_b32_e32 v31, 2, v1
	s_mov_b32 s24, ttmp9
	v_and_b32_e32 v32, 28, v2
	v_lshl_or_b32 v34, v33, 2, 64
	s_wait_kmcnt 0x0
	s_ashr_i32 s27, s26, 31
	s_ashr_i32 s7, s6, 31
	s_cmp_neq_f32 s22, 0
	s_mov_b32 s4, s21
	s_mul_u64 s[40:41], s[26:27], 6
	s_cselect_b32 s33, -1, 0
	s_cmp_eq_f32 s22, 0
	s_cselect_b32 s52, -1, 0
	s_ashr_i32 s5, s21, 31
	s_cmp_gt_i32 s21, 0
	s_mul_u64 s[34:35], s[4:5], s[28:29]
	s_cselect_b32 s4, -1, 0
	s_ashr_i32 s9, s20, 31
	s_and_b32 s53, s0, s4
	s_lshr_b32 s4, s9, 30
	s_lshl_b32 s8, ttmp9, 10
	s_add_co_i32 s4, s20, s4
	v_lshl_or_b32 v0, v0, 2, s8
	s_and_b32 s4, s4, -4
	s_lshr_b32 s5, s5, 30
	s_sub_co_i32 s55, s20, s4
	s_add_co_i32 s5, s21, s5
	v_add_nc_u32_e32 v4, s55, v0
	s_and_b32 s54, s5, -4
	v_add_nc_u32_e32 v3, 4, v0
	v_or_b32_e32 v5, 2, v0
	v_or_b32_e32 v6, 3, v0
	v_cmp_ge_i32_e64 s5, s20, v4
	v_or_b32_e32 v4, 1, v0
	v_cmp_ge_i32_e64 s4, s20, v3
	v_mad_co_i64_i32 v[2:3], null, s6, v0, 0
	v_mad_co_i64_i32 v[11:12], null, s6, v5, 0
	s_delay_alu instid0(VALU_DEP_4)
	v_mad_co_i64_i32 v[9:10], null, s6, v4, 0
	v_mad_co_i64_i32 v[13:14], null, s6, v6, 0
	v_ashrrev_i32_e32 v1, 31, v0
	s_wait_alu 0xfffe
	s_cmp_gt_i32 s54, 0
	v_lshlrev_b64_e32 v[5:6], 1, v[2:3]
	v_lshlrev_b64_e32 v[11:12], 1, v[11:12]
	;; [unrolled: 1-line block ×5, first 2 shown]
	v_mov_b32_e32 v0, 0
	s_cselect_b32 s56, -1, 0
	s_cmp_gt_i32 s55, 0
	s_cselect_b32 s57, -1, 0
	s_lshl_b64 s[36:37], s[28:29], 2
	s_lshl_b64 s[38:39], s[6:7], 1
	s_lshl_b64 s[42:43], s[26:27], 3
	s_lshl_b64 s[44:45], s[26:27], 2
	s_lshl_b64 s[46:47], s[26:27], 1
	s_lshl_b64 s[14:15], s[14:15], 1
	s_lshl_b64 s[18:19], s[18:19], 1
	s_lshl_b64 s[48:49], s[24:25], 2
	s_branch .LBB604_3
.LBB604_2:                              ;   in Loop: Header=BB604_3 Depth=1
	s_add_co_i32 s10, s10, 0x10000
	s_delay_alu instid0(SALU_CYCLE_1)
	s_cmp_lt_u32 s10, s23
	s_cbranch_scc0 .LBB604_89
.LBB604_3:                              ; =>This Loop Header: Depth=1
                                        ;     Child Loop BB604_12 Depth 2
                                        ;     Child Loop BB604_18 Depth 2
                                        ;       Child Loop BB604_49 Depth 3
                                        ;       Child Loop BB604_52 Depth 3
                                        ;     Child Loop BB604_68 Depth 2
                                        ;       Child Loop BB604_81 Depth 3
                                        ;       Child Loop BB604_84 Depth 3
	s_mov_b32 s11, s25
	s_and_not1_b32 vcc_lo, exec_lo, s52
	s_mov_b32 s6, -1
	s_wait_alu 0xfffe
	s_cbranch_vccnz .LBB604_5
; %bb.4:                                ;   in Loop: Header=BB604_3 Depth=1
	s_mov_b32 s6, 0
.LBB604_5:                              ;   in Loop: Header=BB604_3 Depth=1
	v_mov_b32_e32 v17, 0
	v_dual_mov_b32 v18, 0 :: v_dual_mov_b32 v1, 0
	v_mov_b32_e32 v2, 0
	s_wait_alu 0xfffe
	s_and_not1_b32 vcc_lo, exec_lo, s6
	s_wait_alu 0xfffe
	s_cbranch_vccnz .LBB604_7
; %bb.6:                                ;   in Loop: Header=BB604_3 Depth=1
	s_lshl_b64 s[6:7], s[10:11], 3
	s_wait_alu 0xfffe
	s_add_nc_u64 s[6:7], s[12:13], s[6:7]
	global_load_b64 v[1:2], v0, s[6:7]
	s_wait_loadcnt 0x0
	v_add_co_u32 v1, vcc_lo, v1, s14
	s_wait_alu 0xfffd
	v_add_co_ci_u32_e64 v2, null, s15, v2, vcc_lo
.LBB604_7:                              ;   in Loop: Header=BB604_3 Depth=1
	s_and_not1_b32 vcc_lo, exec_lo, s33
	s_wait_alu 0xfffe
	s_cbranch_vccnz .LBB604_9
; %bb.8:                                ;   in Loop: Header=BB604_3 Depth=1
	s_lshl_b64 s[6:7], s[10:11], 3
	s_wait_alu 0xfffe
	s_add_nc_u64 s[6:7], s[16:17], s[6:7]
	global_load_b64 v[3:4], v0, s[6:7]
	s_wait_loadcnt 0x0
	v_add_co_u32 v17, vcc_lo, v3, s18
	s_wait_alu 0xfffd
	v_add_co_ci_u32_e64 v18, null, s19, v4, vcc_lo
.LBB604_9:                              ;   in Loop: Header=BB604_3 Depth=1
	s_mul_u64 s[6:7], s[34:35], s[10:11]
	s_and_not1_b32 vcc_lo, exec_lo, s52
	s_wait_alu 0xfffe
	s_lshl_b64 s[6:7], s[6:7], 2
	s_wait_alu 0xfffe
	s_add_nc_u64 s[50:51], s[30:31], s[6:7]
	s_mov_b32 s6, -1
	s_cbranch_vccnz .LBB604_14
; %bb.10:                               ;   in Loop: Header=BB604_3 Depth=1
	s_and_saveexec_b32 s8, s53
	s_cbranch_execz .LBB604_13
; %bb.11:                               ;   in Loop: Header=BB604_3 Depth=1
	s_add_nc_u64 s[6:7], s[50:51], s[48:49]
	s_mov_b32 s9, s21
.LBB604_12:                             ;   Parent Loop BB604_3 Depth=1
                                        ; =>  This Inner Loop Header: Depth=2
	s_wait_alu 0xfffe
	s_add_co_i32 s9, s9, -1
	global_store_b32 v0, v0, s[6:7]
	s_wait_alu 0xfffe
	s_cmp_eq_u32 s9, 0
	s_add_nc_u64 s[6:7], s[6:7], s[36:37]
	s_cbranch_scc0 .LBB604_12
.LBB604_13:                             ;   in Loop: Header=BB604_3 Depth=1
	s_wait_alu 0xfffe
	s_or_b32 exec_lo, exec_lo, s8
	s_mov_b32 s6, 0
.LBB604_14:                             ;   in Loop: Header=BB604_3 Depth=1
	s_wait_alu 0xfffe
	s_and_not1_b32 vcc_lo, exec_lo, s6
	s_wait_alu 0xfffe
	s_cbranch_vccnz .LBB604_2
; %bb.15:                               ;   in Loop: Header=BB604_3 Depth=1
	v_add_co_u32 v15, vcc_lo, v1, v7
	s_wait_alu 0xfffd
	v_add_co_ci_u32_e64 v16, null, v2, v8, vcc_lo
	v_cmp_gt_u32_e64 s9, 24, v33
	v_cmp_gt_u32_e64 s8, 28, v33
	;; [unrolled: 1-line block ×3, first 2 shown]
	v_cmp_ne_u32_e64 s6, 31, v33
	s_and_not1_b32 vcc_lo, exec_lo, s56
	s_add_nc_u64 s[50:51], s[50:51], s[48:49]
	s_wait_alu 0xfffe
	s_cbranch_vccnz .LBB604_64
; %bb.16:                               ;   in Loop: Header=BB604_3 Depth=1
	s_wait_alu 0xf1ff
	v_cndmask_b32_e64 v2, 0, 4, s8
	v_cndmask_b32_e64 v3, 0, 2, s7
	v_add_co_u32 v19, vcc_lo, v17, v5
	v_cndmask_b32_e64 v1, 0, 8, s9
	v_add_co_ci_u32_e64 v4, null, 0, v33, s6
	v_add_lshl_u32 v36, v2, v33, 2
	v_add_lshl_u32 v37, v3, v33, 2
	s_wait_alu 0xfffd
	v_add_co_ci_u32_e64 v20, null, v18, v6, vcc_lo
	v_add_co_u32 v21, vcc_lo, v17, v9
	v_dual_mov_b32 v2, v0 :: v_dual_mov_b32 v3, v0
	s_wait_alu 0xfffd
	v_add_co_ci_u32_e64 v22, null, v18, v10, vcc_lo
	v_add_co_u32 v23, vcc_lo, v17, v11
	v_add_lshl_u32 v35, v1, v33, 2
	v_dual_mov_b32 v1, v0 :: v_dual_lshlrev_b32 v38, 2, v4
	s_wait_alu 0xfffd
	v_add_co_ci_u32_e64 v24, null, v18, v12, vcc_lo
	v_add_co_u32 v25, vcc_lo, v17, v13
	v_mov_b32_e32 v4, v3
	s_wait_alu 0xfffd
	v_add_co_ci_u32_e64 v26, null, v18, v14, vcc_lo
	s_wait_dscnt 0x0
	v_dual_mov_b32 v28, v16 :: v_dual_mov_b32 v27, v15
	v_mov_b32_e32 v3, v2
	v_mov_b32_e32 v2, v1
	;; [unrolled: 1-line block ×3, first 2 shown]
	s_mov_b32 s24, 0
	s_branch .LBB604_18
.LBB604_17:                             ;   in Loop: Header=BB604_18 Depth=2
	s_wait_alu 0xfffe
	s_or_b32 exec_lo, exec_lo, s6
	v_add_co_u32 v27, vcc_lo, v27, s42
	s_wait_alu 0xfffd
	v_add_co_ci_u32_e64 v28, null, s43, v28, vcc_lo
	s_add_co_i32 s24, s24, 4
	s_wait_alu 0xfffe
	s_cmp_ge_i32 s24, s54
	s_cbranch_scc1 .LBB604_65
.LBB604_18:                             ;   Parent Loop BB604_3 Depth=1
                                        ; =>  This Loop Header: Depth=2
                                        ;       Child Loop BB604_49 Depth 3
                                        ;       Child Loop BB604_52 Depth 3
                                        ; implicit-def: $vgpr39
                                        ; implicit-def: $vgpr40
                                        ; implicit-def: $vgpr41
                                        ; implicit-def: $vgpr42
	s_and_saveexec_b32 s6, s4
	s_wait_alu 0xfffe
	s_xor_b32 s6, exec_lo, s6
	s_cbranch_execnz .LBB604_45
; %bb.19:                               ;   in Loop: Header=BB604_18 Depth=2
	s_wait_alu 0xfffe
	s_and_not1_saveexec_b32 s11, s6
	s_cbranch_execnz .LBB604_46
.LBB604_20:                             ;   in Loop: Header=BB604_18 Depth=2
	s_or_b32 exec_lo, exec_lo, s11
	s_and_saveexec_b32 s6, s1
.LBB604_21:                             ;   in Loop: Header=BB604_18 Depth=2
	ds_store_b32 v31, v0
.LBB604_22:                             ;   in Loop: Header=BB604_18 Depth=2
	s_wait_alu 0xfffe
	s_or_b32 exec_lo, exec_lo, s6
	ds_bpermute_b32 v29, v34, v42
	s_wait_storecnt_dscnt 0x0
	s_barrier_signal -1
	s_barrier_wait -1
	global_inv scope:SCOPE_SE
	v_add_f32_e32 v29, v42, v29
	ds_bpermute_b32 v30, v35, v29
	s_wait_dscnt 0x0
	v_add_f32_e32 v29, v29, v30
	ds_bpermute_b32 v30, v36, v29
	s_wait_dscnt 0x0
	;; [unrolled: 3-line block ×3, first 2 shown]
	v_add_f32_e32 v29, v29, v30
	ds_bpermute_b32 v30, v38, v29
	s_and_saveexec_b32 s6, s3
	s_cbranch_execz .LBB604_24
; %bb.23:                               ;   in Loop: Header=BB604_18 Depth=2
	s_wait_dscnt 0x0
	v_add_f32_e32 v29, v29, v30
	ds_store_b32 v32, v29
.LBB604_24:                             ;   in Loop: Header=BB604_18 Depth=2
	s_wait_alu 0xfffe
	s_or_b32 exec_lo, exec_lo, s6
	v_mov_b32_e32 v29, 0
	s_wait_loadcnt_dscnt 0x0
	s_barrier_signal -1
	s_barrier_wait -1
	global_inv scope:SCOPE_SE
	s_and_saveexec_b32 s6, s2
	s_cbranch_execnz .LBB604_53
; %bb.25:                               ;   in Loop: Header=BB604_18 Depth=2
	s_wait_alu 0xfffe
	s_or_b32 exec_lo, exec_lo, s6
	s_and_saveexec_b32 s6, s1
	s_cbranch_execnz .LBB604_54
.LBB604_26:                             ;   in Loop: Header=BB604_18 Depth=2
	s_wait_alu 0xfffe
	s_or_b32 exec_lo, exec_lo, s6
	s_and_saveexec_b32 s6, s1
.LBB604_27:                             ;   in Loop: Header=BB604_18 Depth=2
	ds_store_b32 v31, v0
.LBB604_28:                             ;   in Loop: Header=BB604_18 Depth=2
	s_wait_alu 0xfffe
	s_or_b32 exec_lo, exec_lo, s6
	ds_bpermute_b32 v30, v34, v41
	s_wait_loadcnt_dscnt 0x0
	s_barrier_signal -1
	s_barrier_wait -1
	global_inv scope:SCOPE_SE
	v_add_f32_e32 v30, v41, v30
	ds_bpermute_b32 v41, v35, v30
	s_wait_dscnt 0x0
	v_add_f32_e32 v30, v30, v41
	ds_bpermute_b32 v41, v36, v30
	s_wait_dscnt 0x0
	;; [unrolled: 3-line block ×3, first 2 shown]
	v_add_f32_e32 v30, v30, v41
	ds_bpermute_b32 v41, v38, v30
	s_and_saveexec_b32 s6, s3
	s_cbranch_execz .LBB604_30
; %bb.29:                               ;   in Loop: Header=BB604_18 Depth=2
	s_wait_dscnt 0x0
	v_add_f32_e32 v30, v30, v41
	ds_store_b32 v32, v30
.LBB604_30:                             ;   in Loop: Header=BB604_18 Depth=2
	s_wait_alu 0xfffe
	s_or_b32 exec_lo, exec_lo, s6
	v_mov_b32_e32 v30, 0
	s_wait_loadcnt_dscnt 0x0
	s_barrier_signal -1
	s_barrier_wait -1
	global_inv scope:SCOPE_SE
	s_and_saveexec_b32 s6, s2
	s_cbranch_execnz .LBB604_55
; %bb.31:                               ;   in Loop: Header=BB604_18 Depth=2
	s_wait_alu 0xfffe
	s_or_b32 exec_lo, exec_lo, s6
	s_and_saveexec_b32 s6, s1
	s_cbranch_execnz .LBB604_56
.LBB604_32:                             ;   in Loop: Header=BB604_18 Depth=2
	s_wait_alu 0xfffe
	s_or_b32 exec_lo, exec_lo, s6
	s_and_saveexec_b32 s6, s1
.LBB604_33:                             ;   in Loop: Header=BB604_18 Depth=2
	ds_store_b32 v31, v0
.LBB604_34:                             ;   in Loop: Header=BB604_18 Depth=2
	s_wait_alu 0xfffe
	s_or_b32 exec_lo, exec_lo, s6
	ds_bpermute_b32 v41, v34, v40
	s_wait_loadcnt_dscnt 0x0
	s_barrier_signal -1
	s_barrier_wait -1
	global_inv scope:SCOPE_SE
	v_add_f32_e32 v40, v40, v41
	ds_bpermute_b32 v41, v35, v40
	s_wait_dscnt 0x0
	v_add_f32_e32 v40, v40, v41
	ds_bpermute_b32 v41, v36, v40
	s_wait_dscnt 0x0
	;; [unrolled: 3-line block ×3, first 2 shown]
	v_add_f32_e32 v40, v40, v41
	ds_bpermute_b32 v41, v38, v40
	s_and_saveexec_b32 s6, s3
	s_cbranch_execz .LBB604_36
; %bb.35:                               ;   in Loop: Header=BB604_18 Depth=2
	s_wait_dscnt 0x0
	v_add_f32_e32 v40, v40, v41
	ds_store_b32 v32, v40
.LBB604_36:                             ;   in Loop: Header=BB604_18 Depth=2
	s_wait_alu 0xfffe
	s_or_b32 exec_lo, exec_lo, s6
	v_mov_b32_e32 v40, 0
	s_wait_loadcnt_dscnt 0x0
	s_barrier_signal -1
	s_barrier_wait -1
	global_inv scope:SCOPE_SE
	s_and_saveexec_b32 s6, s2
	s_cbranch_execnz .LBB604_57
; %bb.37:                               ;   in Loop: Header=BB604_18 Depth=2
	s_wait_alu 0xfffe
	s_or_b32 exec_lo, exec_lo, s6
	s_and_saveexec_b32 s6, s1
	s_cbranch_execnz .LBB604_58
.LBB604_38:                             ;   in Loop: Header=BB604_18 Depth=2
	s_wait_alu 0xfffe
	s_or_b32 exec_lo, exec_lo, s6
	s_and_saveexec_b32 s6, s1
.LBB604_39:                             ;   in Loop: Header=BB604_18 Depth=2
	ds_store_b32 v31, v0
.LBB604_40:                             ;   in Loop: Header=BB604_18 Depth=2
	s_wait_alu 0xfffe
	s_or_b32 exec_lo, exec_lo, s6
	ds_bpermute_b32 v41, v34, v39
	s_wait_loadcnt_dscnt 0x0
	s_barrier_signal -1
	s_barrier_wait -1
	global_inv scope:SCOPE_SE
	v_add_f32_e32 v39, v39, v41
	ds_bpermute_b32 v41, v35, v39
	s_wait_dscnt 0x0
	v_add_f32_e32 v39, v39, v41
	ds_bpermute_b32 v41, v36, v39
	s_wait_dscnt 0x0
	v_add_f32_e32 v39, v39, v41
	ds_bpermute_b32 v41, v37, v39
	s_wait_dscnt 0x0
	v_add_f32_e32 v39, v39, v41
	ds_bpermute_b32 v41, v38, v39
	s_and_saveexec_b32 s6, s3
	s_cbranch_execz .LBB604_42
; %bb.41:                               ;   in Loop: Header=BB604_18 Depth=2
	s_wait_dscnt 0x0
	v_add_f32_e32 v39, v39, v41
	ds_store_b32 v32, v39
.LBB604_42:                             ;   in Loop: Header=BB604_18 Depth=2
	s_wait_alu 0xfffe
	s_or_b32 exec_lo, exec_lo, s6
	v_mov_b32_e32 v39, 0
	s_wait_loadcnt_dscnt 0x0
	s_barrier_signal -1
	s_barrier_wait -1
	global_inv scope:SCOPE_SE
	s_and_saveexec_b32 s6, s2
	s_cbranch_execnz .LBB604_59
; %bb.43:                               ;   in Loop: Header=BB604_18 Depth=2
	s_wait_alu 0xfffe
	s_or_b32 exec_lo, exec_lo, s6
	s_and_saveexec_b32 s6, s1
	s_cbranch_execnz .LBB604_60
.LBB604_44:                             ;   in Loop: Header=BB604_18 Depth=2
	s_wait_alu 0xfffe
	s_or_b32 exec_lo, exec_lo, s6
	s_and_saveexec_b32 s6, s0
	s_cbranch_execz .LBB604_17
	s_branch .LBB604_61
.LBB604_45:                             ;   in Loop: Header=BB604_18 Depth=2
	s_mul_u64 s[8:9], s[24:25], s[26:27]
	s_or_b32 s58, s24, 2
	s_wait_alu 0xfffe
	s_lshl_b64 s[8:9], s[8:9], 1
	s_mov_b32 s59, s25
	s_wait_alu 0xfffe
	v_add_co_u32 v1, vcc_lo, v15, s8
	s_wait_alu 0xfffd
	v_add_co_ci_u32_e64 v2, null, s9, v16, vcc_lo
	s_or_b32 s8, s24, 1
	s_mov_b32 s9, s25
	s_wait_alu 0xfffe
	s_mul_u64 s[8:9], s[8:9], s[26:27]
	flat_load_b64 v[29:30], v[1:2]
	s_wait_alu 0xfffe
	s_lshl_b64 s[8:9], s[8:9], 1
	s_clause 0x3
	flat_load_u16 v47, v[19:20]
	flat_load_u16 v48, v[21:22]
	flat_load_u16 v49, v[23:24]
	flat_load_u16 v50, v[25:26]
	s_wait_alu 0xfffe
	v_add_co_u32 v1, vcc_lo, v15, s8
	s_wait_alu 0xfffd
	v_add_co_ci_u32_e64 v2, null, s9, v16, vcc_lo
	s_mul_u64 s[8:9], s[58:59], s[26:27]
	s_or_b32 s58, s24, 3
	s_wait_alu 0xfffe
	s_lshl_b64 s[8:9], s[8:9], 1
	s_mul_u64 s[58:59], s[58:59], s[26:27]
	s_wait_alu 0xfffe
	v_add_co_u32 v3, vcc_lo, v15, s8
	s_wait_alu 0xfffd
	v_add_co_ci_u32_e64 v4, null, s9, v16, vcc_lo
	s_lshl_b64 s[8:9], s[58:59], 1
	s_wait_dscnt 0x5
	s_wait_alu 0xfffe
	v_add_co_u32 v39, vcc_lo, v15, s8
	s_wait_alu 0xfffd
	v_add_co_ci_u32_e64 v40, null, s9, v16, vcc_lo
	s_clause 0x2
	flat_load_b64 v[41:42], v[1:2]
	flat_load_b64 v[43:44], v[3:4]
	;; [unrolled: 1-line block ×3, first 2 shown]
	s_wait_loadcnt_dscnt 0x404
	v_lshlrev_b32_e32 v3, 16, v49
	v_lshlrev_b32_e32 v39, 16, v29
	s_wait_loadcnt_dscnt 0x202
	v_lshlrev_b32_e32 v51, 16, v42
	v_lshlrev_b32_e32 v2, 16, v48
	s_wait_loadcnt_dscnt 0x101
	v_lshlrev_b32_e32 v52, 16, v44
	v_and_b32_e32 v29, 0xffff0000, v29
	v_lshlrev_b32_e32 v1, 16, v47
	v_lshlrev_b32_e32 v40, 16, v41
	v_and_b32_e32 v53, 0xffff0000, v42
	v_and_b32_e32 v49, 0xffff0000, v41
	;; [unrolled: 1-line block ×3, first 2 shown]
	v_fma_f32 v42, v1, v39, 0
	s_delay_alu instid0(VALU_DEP_1)
	v_fmac_f32_e32 v42, v2, v29
	v_fma_f32 v41, v1, v40, 0
	v_lshlrev_b32_e32 v4, 16, v50
	s_wait_loadcnt_dscnt 0x0
	v_and_b32_e32 v50, 0xffff0000, v45
	v_lshlrev_b32_e32 v45, 16, v45
	v_and_b32_e32 v29, 0xffff0000, v46
	v_fmac_f32_e32 v41, v2, v49
	s_delay_alu instid0(VALU_DEP_3) | instskip(SKIP_1) | instid1(VALU_DEP_3)
	v_fma_f32 v39, v45, v1, 0
	v_lshlrev_b32_e32 v45, 16, v46
	v_fmac_f32_e32 v41, v3, v51
	v_lshlrev_b32_e32 v48, 16, v43
	v_and_b32_e32 v43, 0xffff0000, v43
	v_fmac_f32_e32 v39, v2, v50
	s_delay_alu instid0(VALU_DEP_4) | instskip(NEXT) | instid1(VALU_DEP_4)
	v_fmac_f32_e32 v41, v4, v53
	v_fma_f32 v40, v1, v48, 0
	s_delay_alu instid0(VALU_DEP_1) | instskip(NEXT) | instid1(VALU_DEP_1)
	v_fmac_f32_e32 v40, v2, v43
	v_dual_fmac_f32 v39, v45, v3 :: v_dual_fmac_f32 v40, v3, v52
	v_lshlrev_b32_e32 v47, 16, v30
	s_delay_alu instid0(VALU_DEP_2) | instskip(NEXT) | instid1(VALU_DEP_3)
	v_dual_fmac_f32 v39, v4, v29 :: v_dual_and_b32 v30, 0xffff0000, v30
	v_fmac_f32_e32 v40, v4, v44
	s_delay_alu instid0(VALU_DEP_3) | instskip(NEXT) | instid1(VALU_DEP_1)
	v_fmac_f32_e32 v42, v3, v47
	v_fmac_f32_e32 v42, v4, v30
	s_and_not1_saveexec_b32 s11, s6
	s_cbranch_execz .LBB604_20
.LBB604_46:                             ;   in Loop: Header=BB604_18 Depth=2
	s_wait_dscnt 0x0
	v_dual_mov_b32 v39, 0 :: v_dual_mov_b32 v40, 0
	v_dual_mov_b32 v41, 0 :: v_dual_mov_b32 v42, 0
	s_and_saveexec_b32 s20, s5
	s_cbranch_execz .LBB604_63
; %bb.47:                               ;   in Loop: Header=BB604_18 Depth=2
	s_and_not1_b32 vcc_lo, exec_lo, s57
	s_wait_alu 0xfffe
	s_cbranch_vccnz .LBB604_50
; %bb.48:                               ;   in Loop: Header=BB604_18 Depth=2
	v_dual_mov_b32 v30, v20 :: v_dual_mov_b32 v29, v19
	s_mov_b64 s[8:9], 0
.LBB604_49:                             ;   Parent Loop BB604_3 Depth=1
                                        ;     Parent Loop BB604_18 Depth=2
                                        ; =>    This Inner Loop Header: Depth=3
	flat_load_u16 v39, v[29:30]
	s_wait_alu 0xfffe
	s_cmp_eq_u32 s8, 3
	v_add_co_u32 v29, vcc_lo, v29, s38
	s_wait_alu 0xfffd
	v_add_co_ci_u32_e64 v30, null, s39, v30, vcc_lo
	s_cselect_b32 vcc_lo, -1, 0
	s_cmp_eq_u32 s8, 2
	s_cselect_b32 s6, -1, 0
	s_cmp_eq_u32 s8, 1
	s_cselect_b32 s7, -1, 0
	s_cmp_eq_u32 s8, 0
	s_add_nc_u64 s[8:9], s[8:9], 1
	s_wait_loadcnt_dscnt 0x0
	v_lshlrev_b32_e32 v39, 16, v39
	s_wait_alu 0xfffe
	s_delay_alu instid0(VALU_DEP_1)
	v_cndmask_b32_e32 v4, v4, v39, vcc_lo
	s_cselect_b32 vcc_lo, -1, 0
	v_cndmask_b32_e64 v3, v3, v39, s6
	v_cndmask_b32_e64 v2, v2, v39, s7
	s_wait_alu 0xfffe
	v_cndmask_b32_e32 v1, v1, v39, vcc_lo
	s_cmp_eq_u32 s55, s8
	s_cbranch_scc0 .LBB604_49
.LBB604_50:                             ;   in Loop: Header=BB604_18 Depth=2
	s_and_not1_b32 vcc_lo, exec_lo, s57
	s_wait_alu 0xfffe
	s_cbranch_vccnz .LBB604_62
; %bb.51:                               ;   in Loop: Header=BB604_18 Depth=2
	v_dual_mov_b32 v30, v28 :: v_dual_mov_b32 v41, 0
	v_dual_mov_b32 v42, 0 :: v_dual_mov_b32 v29, v27
	;; [unrolled: 1-line block ×3, first 2 shown]
	s_mov_b64 s[8:9], 0
.LBB604_52:                             ;   Parent Loop BB604_3 Depth=1
                                        ;     Parent Loop BB604_18 Depth=2
                                        ; =>    This Inner Loop Header: Depth=3
	s_delay_alu instid0(VALU_DEP_2)
	v_add_co_u32 v43, vcc_lo, v29, s46
	s_wait_alu 0xfffd
	v_add_co_ci_u32_e64 v44, null, s47, v30, vcc_lo
	v_add_co_u32 v45, vcc_lo, v29, s44
	s_wait_alu 0xfffd
	v_add_co_ci_u32_e64 v46, null, s45, v30, vcc_lo
	;; [unrolled: 3-line block ×3, first 2 shown]
	s_clause 0x3
	flat_load_u16 v49, v[29:30]
	flat_load_u16 v43, v[43:44]
	;; [unrolled: 1-line block ×4, first 2 shown]
	s_wait_alu 0xfffe
	s_cmp_eq_u32 s8, 1
	v_add_co_u32 v29, s6, v29, 2
	s_cselect_b32 vcc_lo, -1, 0
	s_cmp_eq_u32 s8, 2
	s_wait_alu 0xfffe
	v_cndmask_b32_e32 v46, v1, v2, vcc_lo
	s_cselect_b32 vcc_lo, -1, 0
	s_cmp_eq_u32 s8, 3
	v_add_co_ci_u32_e64 v30, null, 0, v30, s6
	s_add_nc_u64 s[8:9], s[8:9], 1
	s_wait_loadcnt_dscnt 0x303
	s_wait_alu 0xfffe
	v_dual_cndmask_b32 v46, v46, v3 :: v_dual_lshlrev_b32 v47, 16, v49
	s_cselect_b32 vcc_lo, -1, 0
	s_wait_loadcnt_dscnt 0x202
	v_lshlrev_b32_e32 v43, 16, v43
	s_wait_loadcnt_dscnt 0x0
	v_lshlrev_b32_e32 v45, 16, v45
	s_cmp_lg_u32 s55, s8
	s_wait_alu 0xfffe
	v_cndmask_b32_e32 v46, v46, v4, vcc_lo
	s_delay_alu instid0(VALU_DEP_1) | instskip(SKIP_1) | instid1(VALU_DEP_2)
	v_dual_fmac_f32 v41, v46, v43 :: v_dual_lshlrev_b32 v44, 16, v44
	v_fmac_f32_e32 v42, v46, v47
	v_fmac_f32_e32 v40, v46, v44
	;; [unrolled: 1-line block ×3, first 2 shown]
	s_cbranch_scc1 .LBB604_52
	s_branch .LBB604_63
.LBB604_53:                             ;   in Loop: Header=BB604_18 Depth=2
	ds_load_b32 v29, v31
	s_wait_alu 0xfffe
	s_or_b32 exec_lo, exec_lo, s6
	s_and_saveexec_b32 s6, s1
	s_cbranch_execz .LBB604_26
.LBB604_54:                             ;   in Loop: Header=BB604_18 Depth=2
	s_wait_dscnt 0x0
	ds_bpermute_b32 v30, v36, v29
	s_wait_dscnt 0x0
	v_add_f32_e32 v29, v29, v30
	ds_bpermute_b32 v30, v37, v29
	s_wait_dscnt 0x0
	v_add_f32_e32 v29, v29, v30
	;; [unrolled: 3-line block ×3, first 2 shown]
	s_wait_alu 0xfffe
	s_or_b32 exec_lo, exec_lo, s6
	s_and_saveexec_b32 s6, s1
	s_cbranch_execnz .LBB604_27
	s_branch .LBB604_28
.LBB604_55:                             ;   in Loop: Header=BB604_18 Depth=2
	ds_load_b32 v30, v31
	s_wait_alu 0xfffe
	s_or_b32 exec_lo, exec_lo, s6
	s_and_saveexec_b32 s6, s1
	s_cbranch_execz .LBB604_32
.LBB604_56:                             ;   in Loop: Header=BB604_18 Depth=2
	s_wait_dscnt 0x0
	ds_bpermute_b32 v41, v36, v30
	s_wait_dscnt 0x0
	v_add_f32_e32 v30, v30, v41
	ds_bpermute_b32 v41, v37, v30
	s_wait_dscnt 0x0
	v_add_f32_e32 v30, v30, v41
	;; [unrolled: 3-line block ×3, first 2 shown]
	s_wait_alu 0xfffe
	s_or_b32 exec_lo, exec_lo, s6
	s_and_saveexec_b32 s6, s1
	s_cbranch_execnz .LBB604_33
	s_branch .LBB604_34
.LBB604_57:                             ;   in Loop: Header=BB604_18 Depth=2
	ds_load_b32 v40, v31
	s_wait_alu 0xfffe
	s_or_b32 exec_lo, exec_lo, s6
	s_and_saveexec_b32 s6, s1
	s_cbranch_execz .LBB604_38
.LBB604_58:                             ;   in Loop: Header=BB604_18 Depth=2
	s_wait_dscnt 0x0
	ds_bpermute_b32 v41, v36, v40
	s_wait_dscnt 0x0
	v_add_f32_e32 v40, v40, v41
	ds_bpermute_b32 v41, v37, v40
	s_wait_dscnt 0x0
	v_add_f32_e32 v40, v40, v41
	;; [unrolled: 3-line block ×3, first 2 shown]
	s_wait_alu 0xfffe
	s_or_b32 exec_lo, exec_lo, s6
	s_and_saveexec_b32 s6, s1
	s_cbranch_execnz .LBB604_39
	s_branch .LBB604_40
.LBB604_59:                             ;   in Loop: Header=BB604_18 Depth=2
	ds_load_b32 v39, v31
	s_wait_alu 0xfffe
	s_or_b32 exec_lo, exec_lo, s6
	s_and_saveexec_b32 s6, s1
	s_cbranch_execz .LBB604_44
.LBB604_60:                             ;   in Loop: Header=BB604_18 Depth=2
	s_wait_dscnt 0x0
	ds_bpermute_b32 v41, v36, v39
	s_wait_dscnt 0x0
	v_add_f32_e32 v39, v39, v41
	ds_bpermute_b32 v41, v37, v39
	s_wait_dscnt 0x0
	v_add_f32_e32 v39, v39, v41
	;; [unrolled: 3-line block ×3, first 2 shown]
	s_wait_alu 0xfffe
	s_or_b32 exec_lo, exec_lo, s6
	s_and_saveexec_b32 s6, s0
	s_cbranch_execz .LBB604_17
.LBB604_61:                             ;   in Loop: Header=BB604_18 Depth=2
	s_mul_u64 s[8:9], s[24:25], s[28:29]
	v_dual_mul_f32 v29, s22, v29 :: v_dual_mul_f32 v30, s22, v30
	s_or_b32 s58, s24, 1
	s_mov_b32 s59, s25
	s_wait_alu 0xfffe
	s_lshl_b64 s[8:9], s[8:9], 2
	s_mul_u64 s[58:59], s[58:59], s[28:29]
	s_wait_alu 0xfffe
	s_add_nc_u64 s[8:9], s[50:51], s[8:9]
	s_or_b32 s60, s24, 2
	s_mov_b32 s61, s25
	global_store_b32 v0, v29, s[8:9]
	s_lshl_b64 s[8:9], s[58:59], 2
	s_mul_u64 s[58:59], s[60:61], s[28:29]
	s_or_b32 s60, s24, 3
	s_wait_alu 0xfffe
	s_add_nc_u64 s[8:9], s[50:51], s[8:9]
	s_mul_u64 s[60:61], s[60:61], s[28:29]
	v_mul_f32_e32 v29, s22, v40
	global_store_b32 v0, v30, s[8:9]
	s_lshl_b64 s[8:9], s[58:59], 2
	s_wait_dscnt 0x0
	v_mul_f32_e32 v30, s22, v39
	s_lshl_b64 s[58:59], s[60:61], 2
	s_wait_alu 0xfffe
	s_add_nc_u64 s[8:9], s[50:51], s[8:9]
	s_add_nc_u64 s[58:59], s[50:51], s[58:59]
	s_clause 0x1
	global_store_b32 v0, v29, s[8:9]
	global_store_b32 v0, v30, s[58:59]
	s_branch .LBB604_17
.LBB604_62:                             ;   in Loop: Header=BB604_18 Depth=2
	v_dual_mov_b32 v39, 0 :: v_dual_mov_b32 v40, 0
	v_dual_mov_b32 v41, 0 :: v_dual_mov_b32 v42, 0
.LBB604_63:                             ;   in Loop: Header=BB604_18 Depth=2
	s_wait_alu 0xfffe
	s_or_b32 exec_lo, exec_lo, s20
	s_delay_alu instid0(SALU_CYCLE_1)
	s_or_b32 exec_lo, exec_lo, s11
	s_and_saveexec_b32 s6, s1
	s_cbranch_execnz .LBB604_21
	s_branch .LBB604_22
.LBB604_64:                             ;   in Loop: Header=BB604_3 Depth=1
	v_mov_b32_e32 v3, v0
	v_dual_mov_b32 v1, v0 :: v_dual_mov_b32 v2, v0
	s_mov_b32 s24, 0
	s_delay_alu instid0(VALU_DEP_2) | instskip(NEXT) | instid1(VALU_DEP_2)
	v_mov_b32_e32 v4, v3
	v_mov_b32_e32 v3, v2
	s_delay_alu instid0(VALU_DEP_3)
	v_mov_b32_e32 v2, v1
	v_mov_b32_e32 v1, v0
.LBB604_65:                             ;   in Loop: Header=BB604_3 Depth=1
	s_wait_alu 0xfffe
	s_cmp_ge_i32 s24, s21
	s_cbranch_scc1 .LBB604_2
; %bb.66:                               ;   in Loop: Header=BB604_3 Depth=1
	v_cmp_gt_u32_e32 vcc_lo, 24, v33
	s_wait_alu 0xfffd
	v_cndmask_b32_e64 v19, 0, 8, vcc_lo
	v_cmp_gt_u32_e32 vcc_lo, 28, v33
	s_delay_alu instid0(VALU_DEP_2) | instskip(SKIP_4) | instid1(VALU_DEP_3)
	v_add_lshl_u32 v29, v19, v33, 2
	s_wait_alu 0xfffd
	v_cndmask_b32_e64 v21, 0, 4, vcc_lo
	v_cmp_gt_u32_e32 vcc_lo, 30, v33
	v_mad_co_u64_u32 v[19:20], null, s46, s24, v[15:16]
	v_add_lshl_u32 v30, v21, v33, 2
	s_wait_alu 0xfffd
	v_cndmask_b32_e64 v22, 0, 2, vcc_lo
	v_cmp_ne_u32_e32 vcc_lo, 31, v33
	s_delay_alu instid0(VALU_DEP_2)
	v_add_lshl_u32 v35, v22, v33, 2
	s_wait_alu 0xfffd
	v_add_co_ci_u32_e64 v23, null, 0, v33, vcc_lo
	v_add_co_u32 v21, vcc_lo, v17, v5
	s_wait_alu 0xfffd
	v_add_co_ci_u32_e64 v22, null, v18, v6, vcc_lo
	s_delay_alu instid0(VALU_DEP_3)
	v_lshlrev_b32_e32 v36, 2, v23
	s_wait_dscnt 0x0
	v_mad_co_u64_u32 v[27:28], null, s47, s24, v[20:21]
	v_add_co_u32 v23, vcc_lo, v17, v9
	s_wait_alu 0xfffd
	v_add_co_ci_u32_e64 v24, null, v18, v10, vcc_lo
	v_add_co_u32 v25, vcc_lo, v17, v11
	s_wait_alu 0xfffd
	v_add_co_ci_u32_e64 v26, null, v18, v12, vcc_lo
	;; [unrolled: 3-line block ×3, first 2 shown]
	v_mov_b32_e32 v20, v27
	s_branch .LBB604_68
.LBB604_67:                             ;   in Loop: Header=BB604_68 Depth=2
	s_wait_alu 0xfffe
	s_or_b32 exec_lo, exec_lo, s6
	v_add_co_u32 v19, vcc_lo, v19, s46
	s_wait_alu 0xfffd
	v_add_co_ci_u32_e64 v20, null, s47, v20, vcc_lo
	s_add_co_i32 s24, s24, 1
	s_wait_alu 0xfffe
	s_cmp_ge_i32 s24, s21
	s_cbranch_scc1 .LBB604_2
.LBB604_68:                             ;   Parent Loop BB604_3 Depth=1
                                        ; =>  This Loop Header: Depth=2
                                        ;       Child Loop BB604_81 Depth 3
                                        ;       Child Loop BB604_84 Depth 3
	v_mov_b32_e32 v37, s25
	s_and_saveexec_b32 s6, s4
	s_wait_alu 0xfffe
	s_xor_b32 s6, exec_lo, s6
	s_cbranch_execnz .LBB604_77
; %bb.69:                               ;   in Loop: Header=BB604_68 Depth=2
	s_wait_alu 0xfffe
	s_and_not1_saveexec_b32 s11, s6
	s_cbranch_execnz .LBB604_78
.LBB604_70:                             ;   in Loop: Header=BB604_68 Depth=2
	s_or_b32 exec_lo, exec_lo, s11
	s_and_saveexec_b32 s6, s1
.LBB604_71:                             ;   in Loop: Header=BB604_68 Depth=2
	ds_store_b32 v31, v0
.LBB604_72:                             ;   in Loop: Header=BB604_68 Depth=2
	s_wait_alu 0xfffe
	s_or_b32 exec_lo, exec_lo, s6
	s_wait_dscnt 0x0
	ds_bpermute_b32 v27, v34, v37
	s_wait_storecnt 0x0
	s_wait_loadcnt_dscnt 0x0
	s_barrier_signal -1
	s_barrier_wait -1
	global_inv scope:SCOPE_SE
	v_add_f32_e32 v27, v37, v27
	ds_bpermute_b32 v28, v29, v27
	s_wait_dscnt 0x0
	v_add_f32_e32 v27, v27, v28
	ds_bpermute_b32 v28, v30, v27
	s_wait_dscnt 0x0
	;; [unrolled: 3-line block ×3, first 2 shown]
	v_add_f32_e32 v27, v27, v28
	ds_bpermute_b32 v28, v36, v27
	s_and_saveexec_b32 s6, s3
	s_cbranch_execz .LBB604_74
; %bb.73:                               ;   in Loop: Header=BB604_68 Depth=2
	s_wait_dscnt 0x0
	v_add_f32_e32 v27, v27, v28
	ds_store_b32 v32, v27
.LBB604_74:                             ;   in Loop: Header=BB604_68 Depth=2
	s_wait_alu 0xfffe
	s_or_b32 exec_lo, exec_lo, s6
	v_mov_b32_e32 v27, 0
	s_wait_loadcnt_dscnt 0x0
	s_barrier_signal -1
	s_barrier_wait -1
	global_inv scope:SCOPE_SE
	s_and_saveexec_b32 s6, s2
	s_cbranch_execnz .LBB604_86
; %bb.75:                               ;   in Loop: Header=BB604_68 Depth=2
	s_wait_alu 0xfffe
	s_or_b32 exec_lo, exec_lo, s6
	s_and_saveexec_b32 s6, s1
	s_cbranch_execnz .LBB604_87
.LBB604_76:                             ;   in Loop: Header=BB604_68 Depth=2
	s_wait_alu 0xfffe
	s_or_b32 exec_lo, exec_lo, s6
	s_and_saveexec_b32 s6, s0
	s_cbranch_execz .LBB604_67
	s_branch .LBB604_88
.LBB604_77:                             ;   in Loop: Header=BB604_68 Depth=2
	s_mul_u64 s[8:9], s[24:25], s[26:27]
	s_wait_alu 0xfffe
	s_lshl_b64 s[8:9], s[8:9], 1
	s_wait_alu 0xfffe
	v_add_co_u32 v1, vcc_lo, v15, s8
	s_wait_alu 0xfffd
	v_add_co_ci_u32_e64 v2, null, s9, v16, vcc_lo
	flat_load_u16 v3, v[21:22]
	s_wait_dscnt 0x1
	flat_load_b64 v[27:28], v[1:2]
	s_clause 0x2
	flat_load_u16 v2, v[23:24]
	flat_load_u16 v4, v[25:26]
	;; [unrolled: 1-line block ×3, first 2 shown]
	s_wait_loadcnt_dscnt 0x404
	v_lshlrev_b32_e32 v1, 16, v3
	s_wait_loadcnt_dscnt 0x303
	v_lshlrev_b32_e32 v3, 16, v27
	v_and_b32_e32 v27, 0xffff0000, v27
	s_delay_alu instid0(VALU_DEP_2) | instskip(SKIP_4) | instid1(VALU_DEP_1)
	v_fma_f32 v37, v1, v3, 0
	s_wait_loadcnt_dscnt 0x101
	v_lshlrev_b32_e32 v3, 16, v4
	v_lshlrev_b32_e32 v2, 16, v2
	s_wait_loadcnt_dscnt 0x0
	v_dual_fmac_f32 v37, v2, v27 :: v_dual_lshlrev_b32 v4, 16, v38
	v_lshlrev_b32_e32 v27, 16, v28
	s_delay_alu instid0(VALU_DEP_1) | instskip(NEXT) | instid1(VALU_DEP_1)
	v_dual_fmac_f32 v37, v3, v27 :: v_dual_and_b32 v28, 0xffff0000, v28
	v_fmac_f32_e32 v37, v4, v28
	s_and_not1_saveexec_b32 s11, s6
	s_cbranch_execz .LBB604_70
.LBB604_78:                             ;   in Loop: Header=BB604_68 Depth=2
	s_and_saveexec_b32 s20, s5
	s_cbranch_execz .LBB604_85
; %bb.79:                               ;   in Loop: Header=BB604_68 Depth=2
	s_and_not1_b32 vcc_lo, exec_lo, s57
	s_wait_alu 0xfffe
	s_cbranch_vccnz .LBB604_82
; %bb.80:                               ;   in Loop: Header=BB604_68 Depth=2
	s_wait_dscnt 0x0
	v_dual_mov_b32 v28, v22 :: v_dual_mov_b32 v27, v21
	s_mov_b64 s[8:9], 0
.LBB604_81:                             ;   Parent Loop BB604_3 Depth=1
                                        ;     Parent Loop BB604_68 Depth=2
                                        ; =>    This Inner Loop Header: Depth=3
	flat_load_u16 v38, v[27:28]
	s_wait_alu 0xfffe
	s_cmp_eq_u32 s8, 3
	v_add_co_u32 v27, vcc_lo, v27, s38
	s_wait_alu 0xfffd
	v_add_co_ci_u32_e64 v28, null, s39, v28, vcc_lo
	s_cselect_b32 vcc_lo, -1, 0
	s_cmp_eq_u32 s8, 2
	s_cselect_b32 s6, -1, 0
	s_cmp_eq_u32 s8, 1
	s_cselect_b32 s7, -1, 0
	s_cmp_eq_u32 s8, 0
	s_add_nc_u64 s[8:9], s[8:9], 1
	s_wait_loadcnt_dscnt 0x0
	v_lshlrev_b32_e32 v38, 16, v38
	s_wait_alu 0xfffe
	s_delay_alu instid0(VALU_DEP_1)
	v_cndmask_b32_e32 v4, v4, v38, vcc_lo
	s_cselect_b32 vcc_lo, -1, 0
	v_cndmask_b32_e64 v3, v3, v38, s6
	v_cndmask_b32_e64 v2, v2, v38, s7
	s_wait_alu 0xfffe
	v_cndmask_b32_e32 v1, v1, v38, vcc_lo
	s_cmp_eq_u32 s55, s8
	s_cbranch_scc0 .LBB604_81
.LBB604_82:                             ;   in Loop: Header=BB604_68 Depth=2
	s_and_not1_b32 vcc_lo, exec_lo, s57
	s_wait_alu 0xfffe
	s_cbranch_vccnz .LBB604_85
; %bb.83:                               ;   in Loop: Header=BB604_68 Depth=2
	s_wait_dscnt 0x0
	v_dual_mov_b32 v28, v20 :: v_dual_mov_b32 v27, v19
	s_mov_b64 s[6:7], 0
.LBB604_84:                             ;   Parent Loop BB604_3 Depth=1
                                        ;     Parent Loop BB604_68 Depth=2
                                        ; =>    This Inner Loop Header: Depth=3
	flat_load_u16 v38, v[27:28]
	s_wait_alu 0xfffe
	s_cmp_eq_u32 s6, 1
	s_cselect_b32 vcc_lo, -1, 0
	s_cmp_eq_u32 s6, 2
	s_wait_dscnt 0x1
	s_wait_alu 0xfffe
	v_cndmask_b32_e32 v39, v1, v2, vcc_lo
	s_cselect_b32 vcc_lo, -1, 0
	s_cmp_eq_u32 s6, 3
	s_add_nc_u64 s[6:7], s[6:7], 1
	s_wait_alu 0xfffe
	v_cndmask_b32_e32 v39, v39, v3, vcc_lo
	s_cselect_b32 vcc_lo, -1, 0
	s_cmp_lg_u32 s55, s6
	s_wait_loadcnt_dscnt 0x0
	s_wait_alu 0xfffe
	v_dual_cndmask_b32 v39, v39, v4 :: v_dual_lshlrev_b32 v38, 16, v38
	v_add_co_u32 v27, vcc_lo, v27, 2
	s_wait_alu 0xfffd
	v_add_co_ci_u32_e64 v28, null, 0, v28, vcc_lo
	s_delay_alu instid0(VALU_DEP_3)
	v_fmac_f32_e32 v37, v39, v38
	s_cbranch_scc1 .LBB604_84
.LBB604_85:                             ;   in Loop: Header=BB604_68 Depth=2
	s_wait_alu 0xfffe
	s_or_b32 exec_lo, exec_lo, s20
	s_delay_alu instid0(SALU_CYCLE_1)
	s_or_b32 exec_lo, exec_lo, s11
	s_and_saveexec_b32 s6, s1
	s_cbranch_execnz .LBB604_71
	s_branch .LBB604_72
.LBB604_86:                             ;   in Loop: Header=BB604_68 Depth=2
	ds_load_b32 v27, v31
	s_wait_alu 0xfffe
	s_or_b32 exec_lo, exec_lo, s6
	s_and_saveexec_b32 s6, s1
	s_cbranch_execz .LBB604_76
.LBB604_87:                             ;   in Loop: Header=BB604_68 Depth=2
	s_wait_dscnt 0x0
	ds_bpermute_b32 v28, v30, v27
	s_wait_dscnt 0x0
	v_add_f32_e32 v27, v27, v28
	ds_bpermute_b32 v28, v35, v27
	s_wait_dscnt 0x0
	v_add_f32_e32 v27, v27, v28
	;; [unrolled: 3-line block ×3, first 2 shown]
	s_wait_alu 0xfffe
	s_or_b32 exec_lo, exec_lo, s6
	s_and_saveexec_b32 s6, s0
	s_cbranch_execz .LBB604_67
.LBB604_88:                             ;   in Loop: Header=BB604_68 Depth=2
	s_mul_u64 s[8:9], s[24:25], s[28:29]
	s_wait_dscnt 0x0
	v_mul_f32_e32 v27, s22, v27
	s_wait_alu 0xfffe
	s_lshl_b64 s[8:9], s[8:9], 2
	s_wait_alu 0xfffe
	s_add_nc_u64 s[8:9], s[50:51], s[8:9]
	global_store_b32 v0, v27, s[8:9]
	s_branch .LBB604_67
.LBB604_89:
	s_endpgm
	.section	.rodata,"a",@progbits
	.p2align	6, 0x0
	.amdhsa_kernel _ZL23rocblas_gemvt_sn_kernelILb0ELi256ELi4ElPK16rocblas_bfloat16ffEviiT4_lPKT3_lilS6_lilPT5_i
		.amdhsa_group_segment_fixed_size 128
		.amdhsa_private_segment_fixed_size 0
		.amdhsa_kernarg_size 360
		.amdhsa_user_sgpr_count 2
		.amdhsa_user_sgpr_dispatch_ptr 0
		.amdhsa_user_sgpr_queue_ptr 0
		.amdhsa_user_sgpr_kernarg_segment_ptr 1
		.amdhsa_user_sgpr_dispatch_id 0
		.amdhsa_user_sgpr_private_segment_size 0
		.amdhsa_wavefront_size32 1
		.amdhsa_uses_dynamic_stack 0
		.amdhsa_enable_private_segment 0
		.amdhsa_system_sgpr_workgroup_id_x 1
		.amdhsa_system_sgpr_workgroup_id_y 0
		.amdhsa_system_sgpr_workgroup_id_z 1
		.amdhsa_system_sgpr_workgroup_info 0
		.amdhsa_system_vgpr_workitem_id 0
		.amdhsa_next_free_vgpr 54
		.amdhsa_next_free_sgpr 62
		.amdhsa_reserve_vcc 1
		.amdhsa_float_round_mode_32 0
		.amdhsa_float_round_mode_16_64 0
		.amdhsa_float_denorm_mode_32 3
		.amdhsa_float_denorm_mode_16_64 3
		.amdhsa_fp16_overflow 0
		.amdhsa_workgroup_processor_mode 1
		.amdhsa_memory_ordered 1
		.amdhsa_forward_progress 1
		.amdhsa_inst_pref_size 37
		.amdhsa_round_robin_scheduling 0
		.amdhsa_exception_fp_ieee_invalid_op 0
		.amdhsa_exception_fp_denorm_src 0
		.amdhsa_exception_fp_ieee_div_zero 0
		.amdhsa_exception_fp_ieee_overflow 0
		.amdhsa_exception_fp_ieee_underflow 0
		.amdhsa_exception_fp_ieee_inexact 0
		.amdhsa_exception_int_div_zero 0
	.end_amdhsa_kernel
	.section	.text._ZL23rocblas_gemvt_sn_kernelILb0ELi256ELi4ElPK16rocblas_bfloat16ffEviiT4_lPKT3_lilS6_lilPT5_i,"axG",@progbits,_ZL23rocblas_gemvt_sn_kernelILb0ELi256ELi4ElPK16rocblas_bfloat16ffEviiT4_lPKT3_lilS6_lilPT5_i,comdat
.Lfunc_end604:
	.size	_ZL23rocblas_gemvt_sn_kernelILb0ELi256ELi4ElPK16rocblas_bfloat16ffEviiT4_lPKT3_lilS6_lilPT5_i, .Lfunc_end604-_ZL23rocblas_gemvt_sn_kernelILb0ELi256ELi4ElPK16rocblas_bfloat16ffEviiT4_lPKT3_lilS6_lilPT5_i
                                        ; -- End function
	.set _ZL23rocblas_gemvt_sn_kernelILb0ELi256ELi4ElPK16rocblas_bfloat16ffEviiT4_lPKT3_lilS6_lilPT5_i.num_vgpr, 54
	.set _ZL23rocblas_gemvt_sn_kernelILb0ELi256ELi4ElPK16rocblas_bfloat16ffEviiT4_lPKT3_lilS6_lilPT5_i.num_agpr, 0
	.set _ZL23rocblas_gemvt_sn_kernelILb0ELi256ELi4ElPK16rocblas_bfloat16ffEviiT4_lPKT3_lilS6_lilPT5_i.numbered_sgpr, 62
	.set _ZL23rocblas_gemvt_sn_kernelILb0ELi256ELi4ElPK16rocblas_bfloat16ffEviiT4_lPKT3_lilS6_lilPT5_i.num_named_barrier, 0
	.set _ZL23rocblas_gemvt_sn_kernelILb0ELi256ELi4ElPK16rocblas_bfloat16ffEviiT4_lPKT3_lilS6_lilPT5_i.private_seg_size, 0
	.set _ZL23rocblas_gemvt_sn_kernelILb0ELi256ELi4ElPK16rocblas_bfloat16ffEviiT4_lPKT3_lilS6_lilPT5_i.uses_vcc, 1
	.set _ZL23rocblas_gemvt_sn_kernelILb0ELi256ELi4ElPK16rocblas_bfloat16ffEviiT4_lPKT3_lilS6_lilPT5_i.uses_flat_scratch, 1
	.set _ZL23rocblas_gemvt_sn_kernelILb0ELi256ELi4ElPK16rocblas_bfloat16ffEviiT4_lPKT3_lilS6_lilPT5_i.has_dyn_sized_stack, 0
	.set _ZL23rocblas_gemvt_sn_kernelILb0ELi256ELi4ElPK16rocblas_bfloat16ffEviiT4_lPKT3_lilS6_lilPT5_i.has_recursion, 0
	.set _ZL23rocblas_gemvt_sn_kernelILb0ELi256ELi4ElPK16rocblas_bfloat16ffEviiT4_lPKT3_lilS6_lilPT5_i.has_indirect_call, 0
	.section	.AMDGPU.csdata,"",@progbits
; Kernel info:
; codeLenInByte = 4672
; TotalNumSgprs: 64
; NumVgprs: 54
; ScratchSize: 0
; MemoryBound: 0
; FloatMode: 240
; IeeeMode: 1
; LDSByteSize: 128 bytes/workgroup (compile time only)
; SGPRBlocks: 0
; VGPRBlocks: 6
; NumSGPRsForWavesPerEU: 64
; NumVGPRsForWavesPerEU: 54
; Occupancy: 16
; WaveLimiterHint : 0
; COMPUTE_PGM_RSRC2:SCRATCH_EN: 0
; COMPUTE_PGM_RSRC2:USER_SGPR: 2
; COMPUTE_PGM_RSRC2:TRAP_HANDLER: 0
; COMPUTE_PGM_RSRC2:TGID_X_EN: 1
; COMPUTE_PGM_RSRC2:TGID_Y_EN: 0
; COMPUTE_PGM_RSRC2:TGID_Z_EN: 1
; COMPUTE_PGM_RSRC2:TIDIG_COMP_CNT: 0
	.section	.text._ZL23rocblas_gemvt_sn_reduceILi256ELi8EffKP16rocblas_bfloat16EviT2_lPT3_lilPT1_i,"axG",@progbits,_ZL23rocblas_gemvt_sn_reduceILi256ELi8EffKP16rocblas_bfloat16EviT2_lPT3_lilPT1_i,comdat
	.globl	_ZL23rocblas_gemvt_sn_reduceILi256ELi8EffKP16rocblas_bfloat16EviT2_lPT3_lilPT1_i ; -- Begin function _ZL23rocblas_gemvt_sn_reduceILi256ELi8EffKP16rocblas_bfloat16EviT2_lPT3_lilPT1_i
	.p2align	8
	.type	_ZL23rocblas_gemvt_sn_reduceILi256ELi8EffKP16rocblas_bfloat16EviT2_lPT3_lilPT1_i,@function
_ZL23rocblas_gemvt_sn_reduceILi256ELi8EffKP16rocblas_bfloat16EviT2_lPT3_lilPT1_i: ; @_ZL23rocblas_gemvt_sn_reduceILi256ELi8EffKP16rocblas_bfloat16EviT2_lPT3_lilPT1_i
; %bb.0:
	s_load_b32 s24, s[0:1], 0x38
	s_lshr_b32 s12, ttmp7, 16
	s_wait_kmcnt 0x0
	s_cmp_ge_u32 s12, s24
	s_cbranch_scc1 .LBB605_31
; %bb.1:
	s_clause 0x5
	s_load_b32 s25, s[0:1], 0x44
	s_load_b32 s2, s[0:1], 0x4c
	s_load_b32 s20, s[0:1], 0x20
	s_load_b64 s[6:7], s[0:1], 0x0
	s_load_b64 s[14:15], s[0:1], 0x30
	s_load_b128 s[8:11], s[0:1], 0x10
	v_mbcnt_lo_u32_b32 v4, -1, 0
	v_and_b32_e32 v3, 31, v0
	v_dual_mov_b32 v2, 0 :: v_dual_lshlrev_b32 v9, 3, v0
	v_cmp_gt_u32_e64 s0, 32, v0
	s_delay_alu instid0(VALU_DEP_4) | instskip(NEXT) | instid1(VALU_DEP_4)
	v_cmp_gt_u32_e32 vcc_lo, 24, v4
	v_lshlrev_b32_e32 v10, 2, v3
	v_cmp_eq_u32_e64 s3, 0, v3
	v_lshlrev_b32_e32 v3, 5, v0
	v_cmp_gt_u32_e64 s4, 8, v0
	v_cndmask_b32_e64 v5, 0, 8, vcc_lo
	v_cmp_gt_u32_e32 vcc_lo, 28, v4
	v_cmp_eq_u32_e64 s5, 0, v0
	v_lshl_or_b32 v11, v4, 2, 64
	s_mov_b32 s13, 0
	s_wait_kmcnt 0x0
	s_and_b32 s30, s2, 0xffff
	s_wait_alu 0xfffd
	v_cndmask_b32_e64 v6, 0, 4, vcc_lo
	s_ashr_i32 s19, s6, 31
	v_cmp_gt_u32_e32 vcc_lo, 30, v4
	s_lshr_b32 s1, s19, 29
	s_mov_b32 s18, s6
	s_add_co_i32 s1, s6, s1
	v_xad_u32 v1, v0, -1, s6
	s_and_b32 s26, s1, -8
	s_wait_alu 0xfffd
	v_cndmask_b32_e64 v7, 0, 2, vcc_lo
	v_cmp_ne_u32_e32 vcc_lo, 31, v4
	s_sub_co_i32 s2, s6, s26
	v_add_lshl_u32 v12, v5, v4, 2
	v_cmp_gt_u32_e64 s2, s2, v0
	v_lshrrev_b32_e32 v5, 3, v0
	v_add_co_u32 v0, s6, s14, v3
	s_wait_alu 0xfffd
	v_add_co_ci_u32_e64 v8, null, 0, v4, vcc_lo
	v_add_lshl_u32 v13, v6, v4, 2
	v_add_lshl_u32 v14, v7, v4, 2
	s_wait_alu 0xf1ff
	v_add_co_ci_u32_e64 v4, null, s15, 0, s6
	s_and_b32 s16, ttmp7, 0xffff
	s_ashr_i32 s21, s20, 31
	s_lshl_b32 s27, s30, 3
	v_add_co_u32 v3, vcc_lo, v0, 28
	s_cmp_eq_f32 s7, 0
	s_mov_b32 s17, s13
	v_lshlrev_b64_e32 v[0:1], 2, v[1:2]
	v_cmp_gt_i32_e64 s1, s26, v9
	v_lshlrev_b32_e32 v15, 2, v8
	v_and_b32_e32 v16, 28, v5
	s_wait_alu 0xfffd
	v_add_co_ci_u32_e64 v4, null, 0, v4, vcc_lo
	s_mul_u64 s[22:23], s[20:21], s[16:17]
	s_mul_i32 s6, s12, s25
	s_cselect_b32 s28, -1, 0
	s_lshl_b64 s[20:21], s[18:19], 2
	s_wait_alu 0xfffe
	s_add_co_i32 s17, s16, s6
	s_lshl_b32 s29, s25, 16
	s_lshl_b32 s30, s30, 5
	s_lshl_b64 s[10:11], s[10:11], 1
	s_lshl_b64 s[22:23], s[22:23], 1
	s_branch .LBB605_5
.LBB605_2:                              ;   in Loop: Header=BB605_5 Depth=1
	s_wait_alu 0xfffe
	s_or_b32 exec_lo, exec_lo, s31
.LBB605_3:                              ;   in Loop: Header=BB605_5 Depth=1
	v_add_co_u32 v5, vcc_lo, v5, s22
	s_wait_alu 0xfffd
	v_add_co_ci_u32_e64 v6, null, s23, v6, vcc_lo
	flat_store_d16_hi_b16 v[5:6], v8
.LBB605_4:                              ;   in Loop: Header=BB605_5 Depth=1
	s_wait_alu 0xfffe
	s_or_b32 exec_lo, exec_lo, s6
	s_add_co_i32 s12, s12, 0x10000
	s_add_co_i32 s17, s17, s29
	s_cmp_lt_u32 s12, s24
	s_cbranch_scc0 .LBB605_31
.LBB605_5:                              ; =>This Loop Header: Depth=1
                                        ;     Child Loop BB605_15 Depth 2
	s_lshl_b64 s[34:35], s[12:13], 3
	v_mov_b32_e32 v17, 0
	s_wait_alu 0xfffe
	s_add_nc_u64 s[34:35], s[8:9], s[34:35]
	global_load_b64 v[5:6], v2, s[34:35]
	s_and_saveexec_b32 s31, s1
	s_cbranch_execnz .LBB605_14
; %bb.6:                                ;   in Loop: Header=BB605_5 Depth=1
	s_wait_alu 0xfffe
	s_or_b32 exec_lo, exec_lo, s31
	s_and_saveexec_b32 s6, s2
	s_cbranch_execnz .LBB605_17
.LBB605_7:                              ;   in Loop: Header=BB605_5 Depth=1
	s_wait_alu 0xfffe
	s_or_b32 exec_lo, exec_lo, s6
	s_and_saveexec_b32 s6, s0
.LBB605_8:                              ;   in Loop: Header=BB605_5 Depth=1
	ds_store_b32 v10, v2
.LBB605_9:                              ;   in Loop: Header=BB605_5 Depth=1
	s_wait_alu 0xfffe
	s_or_b32 exec_lo, exec_lo, s6
	s_wait_dscnt 0x0
	ds_bpermute_b32 v7, v11, v17
	s_wait_loadcnt_dscnt 0x0
	s_barrier_signal -1
	s_barrier_wait -1
	global_inv scope:SCOPE_SE
	v_add_f32_e32 v7, v17, v7
	ds_bpermute_b32 v8, v12, v7
	s_wait_dscnt 0x0
	v_add_f32_e32 v7, v7, v8
	ds_bpermute_b32 v8, v13, v7
	s_wait_dscnt 0x0
	;; [unrolled: 3-line block ×3, first 2 shown]
	v_add_f32_e32 v7, v7, v8
	ds_bpermute_b32 v8, v15, v7
	s_and_saveexec_b32 s6, s3
	s_cbranch_execz .LBB605_11
; %bb.10:                               ;   in Loop: Header=BB605_5 Depth=1
	s_wait_dscnt 0x0
	v_add_f32_e32 v7, v7, v8
	ds_store_b32 v16, v7
.LBB605_11:                             ;   in Loop: Header=BB605_5 Depth=1
	s_wait_alu 0xfffe
	s_or_b32 exec_lo, exec_lo, s6
	v_mov_b32_e32 v7, 0
	s_wait_loadcnt_dscnt 0x0
	s_barrier_signal -1
	s_barrier_wait -1
	global_inv scope:SCOPE_SE
	s_and_saveexec_b32 s6, s4
	s_cbranch_execnz .LBB605_18
; %bb.12:                               ;   in Loop: Header=BB605_5 Depth=1
	s_wait_alu 0xfffe
	s_or_b32 exec_lo, exec_lo, s6
	s_and_saveexec_b32 s6, s0
	s_cbranch_execnz .LBB605_19
.LBB605_13:                             ;   in Loop: Header=BB605_5 Depth=1
	s_wait_alu 0xfffe
	s_or_b32 exec_lo, exec_lo, s6
	s_and_saveexec_b32 s6, s5
	s_cbranch_execz .LBB605_4
	s_branch .LBB605_20
.LBB605_14:                             ;   in Loop: Header=BB605_5 Depth=1
	s_wait_dscnt 0x0
	v_mad_co_u64_u32 v[7:8], null, s20, s17, v[3:4]
	s_mov_b32 s33, 0
	v_mad_co_u64_u32 v[18:19], null, s21, s17, v[8:9]
	s_delay_alu instid0(VALU_DEP_1)
	v_dual_mov_b32 v17, 0 :: v_dual_mov_b32 v8, v18
	v_mov_b32_e32 v18, v9
.LBB605_15:                             ;   Parent Loop BB605_5 Depth=1
                                        ; =>  This Inner Loop Header: Depth=2
	s_clause 0x1
	global_load_b128 v[19:22], v[7:8], off offset:-28
	global_load_b128 v[23:26], v[7:8], off offset:-12
	v_add_co_u32 v7, vcc_lo, v7, s30
	s_wait_alu 0xfffd
	v_add_co_ci_u32_e64 v8, null, 0, v8, vcc_lo
	v_add_nc_u32_e32 v18, s27, v18
	s_delay_alu instid0(VALU_DEP_1) | instskip(SKIP_3) | instid1(VALU_DEP_1)
	v_cmp_le_i32_e64 s6, s26, v18
	s_or_b32 s33, s6, s33
	s_wait_loadcnt 0x1
	v_add_f32_e32 v17, v17, v19
	v_add_f32_e32 v17, v17, v20
	s_delay_alu instid0(VALU_DEP_1) | instskip(NEXT) | instid1(VALU_DEP_1)
	v_add_f32_e32 v17, v17, v21
	v_add_f32_e32 v17, v17, v22
	s_wait_loadcnt 0x0
	s_delay_alu instid0(VALU_DEP_1) | instskip(NEXT) | instid1(VALU_DEP_1)
	v_add_f32_e32 v17, v17, v23
	v_add_f32_e32 v17, v17, v24
	s_delay_alu instid0(VALU_DEP_1) | instskip(NEXT) | instid1(VALU_DEP_1)
	v_add_f32_e32 v17, v17, v25
	v_add_f32_e32 v17, v17, v26
	s_and_not1_b32 exec_lo, exec_lo, s33
	s_cbranch_execnz .LBB605_15
; %bb.16:                               ;   in Loop: Header=BB605_5 Depth=1
	s_or_b32 exec_lo, exec_lo, s33
	s_wait_alu 0xfffe
	s_or_b32 exec_lo, exec_lo, s31
	s_and_saveexec_b32 s6, s2
	s_cbranch_execz .LBB605_7
.LBB605_17:                             ;   in Loop: Header=BB605_5 Depth=1
	s_mul_i32 s31, s25, s12
	s_mov_b32 s35, s13
	s_wait_alu 0xfffe
	s_add_co_i32 s34, s31, s16
	s_wait_alu 0xfffe
	s_mul_u64 s[34:35], s[34:35], s[18:19]
	s_wait_alu 0xfffe
	s_lshl_b64 s[34:35], s[34:35], 2
	s_wait_alu 0xfffe
	s_add_nc_u64 s[34:35], s[14:15], s[34:35]
	s_wait_dscnt 0x0
	s_wait_alu 0xfffe
	v_add_co_u32 v7, vcc_lo, s34, v0
	s_wait_alu 0xfffd
	v_add_co_ci_u32_e64 v8, null, s35, v1, vcc_lo
	global_load_b32 v7, v[7:8], off
	s_wait_loadcnt 0x0
	v_add_f32_e32 v17, v17, v7
	s_or_b32 exec_lo, exec_lo, s6
	s_and_saveexec_b32 s6, s0
	s_cbranch_execnz .LBB605_8
	s_branch .LBB605_9
.LBB605_18:                             ;   in Loop: Header=BB605_5 Depth=1
	ds_load_b32 v7, v10
	s_wait_alu 0xfffe
	s_or_b32 exec_lo, exec_lo, s6
	s_and_saveexec_b32 s6, s0
	s_cbranch_execz .LBB605_13
.LBB605_19:                             ;   in Loop: Header=BB605_5 Depth=1
	s_wait_dscnt 0x0
	ds_bpermute_b32 v8, v13, v7
	s_wait_dscnt 0x0
	v_add_f32_e32 v7, v7, v8
	ds_bpermute_b32 v8, v14, v7
	s_wait_dscnt 0x0
	v_add_f32_e32 v7, v7, v8
	;; [unrolled: 3-line block ×3, first 2 shown]
	s_wait_alu 0xfffe
	s_or_b32 exec_lo, exec_lo, s6
	s_and_saveexec_b32 s6, s5
	s_cbranch_execz .LBB605_4
.LBB605_20:                             ;   in Loop: Header=BB605_5 Depth=1
	s_and_b32 vcc_lo, exec_lo, s28
	s_wait_alu 0xfffe
	s_cbranch_vccz .LBB605_26
; %bb.21:                               ;   in Loop: Header=BB605_5 Depth=1
	s_wait_dscnt 0x0
	v_and_b32_e32 v8, 0x7f800000, v7
	s_delay_alu instid0(VALU_DEP_1)
	v_cmp_ne_u32_e32 vcc_lo, 0x7f800000, v8
                                        ; implicit-def: $vgpr8
	s_and_saveexec_b32 s31, vcc_lo
	s_wait_alu 0xfffe
	s_xor_b32 s31, exec_lo, s31
; %bb.22:                               ;   in Loop: Header=BB605_5 Depth=1
	v_bfe_u32 v8, v7, 16, 1
	s_delay_alu instid0(VALU_DEP_1)
	v_add3_u32 v8, v7, v8, 0x7fff
; %bb.23:                               ;   in Loop: Header=BB605_5 Depth=1
	s_wait_alu 0xfffe
	s_and_not1_saveexec_b32 s31, s31
; %bb.24:                               ;   in Loop: Header=BB605_5 Depth=1
	v_and_b32_e32 v8, 0xffff, v7
	v_or_b32_e32 v17, 0x10000, v7
	s_delay_alu instid0(VALU_DEP_2) | instskip(SKIP_1) | instid1(VALU_DEP_2)
	v_cmp_eq_u32_e32 vcc_lo, 0, v8
	s_wait_alu 0xfffd
	v_cndmask_b32_e32 v8, v17, v7, vcc_lo
; %bb.25:                               ;   in Loop: Header=BB605_5 Depth=1
	s_wait_alu 0xfffe
	s_or_b32 exec_lo, exec_lo, s31
	v_add_co_u32 v5, vcc_lo, v5, s10
	s_wait_alu 0xfffd
	v_add_co_ci_u32_e64 v6, null, s11, v6, vcc_lo
	s_cbranch_execnz .LBB605_3
	s_branch .LBB605_27
.LBB605_26:                             ;   in Loop: Header=BB605_5 Depth=1
                                        ; implicit-def: $vgpr8
	v_add_co_u32 v5, vcc_lo, v5, s10
	s_wait_alu 0xfffd
	v_add_co_ci_u32_e64 v6, null, s11, v6, vcc_lo
.LBB605_27:                             ;   in Loop: Header=BB605_5 Depth=1
	s_delay_alu instid0(VALU_DEP_2) | instskip(SKIP_1) | instid1(VALU_DEP_2)
	v_add_co_u32 v17, vcc_lo, v5, s22
	s_wait_alu 0xfffd
	v_add_co_ci_u32_e64 v18, null, s23, v6, vcc_lo
	flat_load_u16 v8, v[17:18]
	s_wait_loadcnt_dscnt 0x0
	v_lshlrev_b32_e32 v8, 16, v8
	s_delay_alu instid0(VALU_DEP_1) | instskip(NEXT) | instid1(VALU_DEP_1)
	v_fmac_f32_e32 v7, s7, v8
	v_and_b32_e32 v8, 0x7f800000, v7
	s_delay_alu instid0(VALU_DEP_1)
	v_cmp_ne_u32_e32 vcc_lo, 0x7f800000, v8
                                        ; implicit-def: $vgpr8
	s_and_saveexec_b32 s31, vcc_lo
	s_wait_alu 0xfffe
	s_xor_b32 s31, exec_lo, s31
; %bb.28:                               ;   in Loop: Header=BB605_5 Depth=1
	v_bfe_u32 v8, v7, 16, 1
	s_delay_alu instid0(VALU_DEP_1)
	v_add3_u32 v8, v7, v8, 0x7fff
                                        ; implicit-def: $vgpr7
; %bb.29:                               ;   in Loop: Header=BB605_5 Depth=1
	s_wait_alu 0xfffe
	s_and_not1_saveexec_b32 s31, s31
	s_cbranch_execz .LBB605_2
; %bb.30:                               ;   in Loop: Header=BB605_5 Depth=1
	v_and_b32_e32 v8, 0xffff, v7
	v_or_b32_e32 v17, 0x10000, v7
	s_delay_alu instid0(VALU_DEP_2) | instskip(SKIP_1) | instid1(VALU_DEP_2)
	v_cmp_eq_u32_e32 vcc_lo, 0, v8
	s_wait_alu 0xfffd
	v_cndmask_b32_e32 v8, v17, v7, vcc_lo
	s_branch .LBB605_2
.LBB605_31:
	s_endpgm
	.section	.rodata,"a",@progbits
	.p2align	6, 0x0
	.amdhsa_kernel _ZL23rocblas_gemvt_sn_reduceILi256ELi8EffKP16rocblas_bfloat16EviT2_lPT3_lilPT1_i
		.amdhsa_group_segment_fixed_size 128
		.amdhsa_private_segment_fixed_size 0
		.amdhsa_kernarg_size 320
		.amdhsa_user_sgpr_count 2
		.amdhsa_user_sgpr_dispatch_ptr 0
		.amdhsa_user_sgpr_queue_ptr 0
		.amdhsa_user_sgpr_kernarg_segment_ptr 1
		.amdhsa_user_sgpr_dispatch_id 0
		.amdhsa_user_sgpr_private_segment_size 0
		.amdhsa_wavefront_size32 1
		.amdhsa_uses_dynamic_stack 0
		.amdhsa_enable_private_segment 0
		.amdhsa_system_sgpr_workgroup_id_x 1
		.amdhsa_system_sgpr_workgroup_id_y 1
		.amdhsa_system_sgpr_workgroup_id_z 1
		.amdhsa_system_sgpr_workgroup_info 0
		.amdhsa_system_vgpr_workitem_id 0
		.amdhsa_next_free_vgpr 27
		.amdhsa_next_free_sgpr 36
		.amdhsa_reserve_vcc 1
		.amdhsa_float_round_mode_32 0
		.amdhsa_float_round_mode_16_64 0
		.amdhsa_float_denorm_mode_32 3
		.amdhsa_float_denorm_mode_16_64 3
		.amdhsa_fp16_overflow 0
		.amdhsa_workgroup_processor_mode 1
		.amdhsa_memory_ordered 1
		.amdhsa_forward_progress 1
		.amdhsa_inst_pref_size 12
		.amdhsa_round_robin_scheduling 0
		.amdhsa_exception_fp_ieee_invalid_op 0
		.amdhsa_exception_fp_denorm_src 0
		.amdhsa_exception_fp_ieee_div_zero 0
		.amdhsa_exception_fp_ieee_overflow 0
		.amdhsa_exception_fp_ieee_underflow 0
		.amdhsa_exception_fp_ieee_inexact 0
		.amdhsa_exception_int_div_zero 0
	.end_amdhsa_kernel
	.section	.text._ZL23rocblas_gemvt_sn_reduceILi256ELi8EffKP16rocblas_bfloat16EviT2_lPT3_lilPT1_i,"axG",@progbits,_ZL23rocblas_gemvt_sn_reduceILi256ELi8EffKP16rocblas_bfloat16EviT2_lPT3_lilPT1_i,comdat
.Lfunc_end605:
	.size	_ZL23rocblas_gemvt_sn_reduceILi256ELi8EffKP16rocblas_bfloat16EviT2_lPT3_lilPT1_i, .Lfunc_end605-_ZL23rocblas_gemvt_sn_reduceILi256ELi8EffKP16rocblas_bfloat16EviT2_lPT3_lilPT1_i
                                        ; -- End function
	.set _ZL23rocblas_gemvt_sn_reduceILi256ELi8EffKP16rocblas_bfloat16EviT2_lPT3_lilPT1_i.num_vgpr, 27
	.set _ZL23rocblas_gemvt_sn_reduceILi256ELi8EffKP16rocblas_bfloat16EviT2_lPT3_lilPT1_i.num_agpr, 0
	.set _ZL23rocblas_gemvt_sn_reduceILi256ELi8EffKP16rocblas_bfloat16EviT2_lPT3_lilPT1_i.numbered_sgpr, 36
	.set _ZL23rocblas_gemvt_sn_reduceILi256ELi8EffKP16rocblas_bfloat16EviT2_lPT3_lilPT1_i.num_named_barrier, 0
	.set _ZL23rocblas_gemvt_sn_reduceILi256ELi8EffKP16rocblas_bfloat16EviT2_lPT3_lilPT1_i.private_seg_size, 0
	.set _ZL23rocblas_gemvt_sn_reduceILi256ELi8EffKP16rocblas_bfloat16EviT2_lPT3_lilPT1_i.uses_vcc, 1
	.set _ZL23rocblas_gemvt_sn_reduceILi256ELi8EffKP16rocblas_bfloat16EviT2_lPT3_lilPT1_i.uses_flat_scratch, 0
	.set _ZL23rocblas_gemvt_sn_reduceILi256ELi8EffKP16rocblas_bfloat16EviT2_lPT3_lilPT1_i.has_dyn_sized_stack, 0
	.set _ZL23rocblas_gemvt_sn_reduceILi256ELi8EffKP16rocblas_bfloat16EviT2_lPT3_lilPT1_i.has_recursion, 0
	.set _ZL23rocblas_gemvt_sn_reduceILi256ELi8EffKP16rocblas_bfloat16EviT2_lPT3_lilPT1_i.has_indirect_call, 0
	.section	.AMDGPU.csdata,"",@progbits
; Kernel info:
; codeLenInByte = 1480
; TotalNumSgprs: 38
; NumVgprs: 27
; ScratchSize: 0
; MemoryBound: 0
; FloatMode: 240
; IeeeMode: 1
; LDSByteSize: 128 bytes/workgroup (compile time only)
; SGPRBlocks: 0
; VGPRBlocks: 3
; NumSGPRsForWavesPerEU: 38
; NumVGPRsForWavesPerEU: 27
; Occupancy: 16
; WaveLimiterHint : 1
; COMPUTE_PGM_RSRC2:SCRATCH_EN: 0
; COMPUTE_PGM_RSRC2:USER_SGPR: 2
; COMPUTE_PGM_RSRC2:TRAP_HANDLER: 0
; COMPUTE_PGM_RSRC2:TGID_X_EN: 1
; COMPUTE_PGM_RSRC2:TGID_Y_EN: 1
; COMPUTE_PGM_RSRC2:TGID_Z_EN: 1
; COMPUTE_PGM_RSRC2:TIDIG_COMP_CNT: 0
	.section	.text._ZL32rocblas_gemvt_warp_reduce_kernelILb0ELi256EiPK16rocblas_bfloat16PKfKPS0_EviiT3_lPKT2_lT1_lSA_lSB_lS7_lPT4_lSB_li,"axG",@progbits,_ZL32rocblas_gemvt_warp_reduce_kernelILb0ELi256EiPK16rocblas_bfloat16PKfKPS0_EviiT3_lPKT2_lT1_lSA_lSB_lS7_lPT4_lSB_li,comdat
	.globl	_ZL32rocblas_gemvt_warp_reduce_kernelILb0ELi256EiPK16rocblas_bfloat16PKfKPS0_EviiT3_lPKT2_lT1_lSA_lSB_lS7_lPT4_lSB_li ; -- Begin function _ZL32rocblas_gemvt_warp_reduce_kernelILb0ELi256EiPK16rocblas_bfloat16PKfKPS0_EviiT3_lPKT2_lT1_lSA_lSB_lS7_lPT4_lSB_li
	.p2align	8
	.type	_ZL32rocblas_gemvt_warp_reduce_kernelILb0ELi256EiPK16rocblas_bfloat16PKfKPS0_EviiT3_lPKT2_lT1_lSA_lSB_lS7_lPT4_lSB_li,@function
_ZL32rocblas_gemvt_warp_reduce_kernelILb0ELi256EiPK16rocblas_bfloat16PKfKPS0_EviiT3_lPKT2_lT1_lSA_lSB_lS7_lPT4_lSB_li: ; @_ZL32rocblas_gemvt_warp_reduce_kernelILb0ELi256EiPK16rocblas_bfloat16PKfKPS0_EviiT3_lPKT2_lT1_lSA_lSB_lS7_lPT4_lSB_li
; %bb.0:
	s_load_b32 s33, s[0:1], 0x88
	s_lshr_b32 s28, ttmp7, 16
	s_wait_kmcnt 0x0
	s_cmp_ge_u32 s28, s33
	s_cbranch_scc1 .LBB606_63
; %bb.1:
	s_clause 0x6
	s_load_b32 s5, s[0:1], 0x0
	s_load_b256 s[8:15], s[0:1], 0x8
	s_load_b32 s4, s[0:1], 0x78
	s_load_b32 s7, s[0:1], 0x28
	s_load_b128 s[24:27], s[0:1], 0x38
	s_load_b32 s31, s[0:1], 0x48
	s_load_b256 s[16:23], s[0:1], 0x58
	v_lshrrev_b32_e32 v2, 3, v0
	v_and_b32_e32 v1, 31, v0
	v_mov_b32_e32 v11, 0
	v_mbcnt_lo_u32_b32 v15, -1, 0
	v_cmp_eq_u32_e64 s0, 0, v0
	v_and_b32_e32 v13, 28, v2
	v_lshlrev_b32_e32 v12, 2, v1
	v_cmp_gt_u32_e64 s1, 32, v0
	v_cmp_gt_u32_e64 s2, 8, v0
	v_lshl_or_b32 v17, v15, 2, 64
	s_mov_b32 s29, 0
	s_wait_kmcnt 0x0
	s_ashr_i32 s3, s5, 31
	v_cmp_gt_i32_e32 vcc_lo, s5, v0
	s_lshr_b32 s3, s3, 24
	s_mul_i32 s36, s7, ttmp9
	s_add_co_i32 s6, s5, s3
	v_cmp_eq_u32_e64 s3, 0, v1
	s_and_b32 s30, s6, 0xffffff00
	v_cndmask_b32_e32 v3, 0, v0, vcc_lo
	v_or_b32_e32 v2, s30, v0
	v_mul_lo_u32 v14, v0, s31
	s_mul_i32 s6, s4, ttmp9
	v_cmp_gt_i32_e64 s4, s30, v0
	v_lshlrev_b32_e32 v16, 1, v3
	v_mul_lo_u32 v1, s31, v2
	v_cmp_gt_i32_e64 s5, s5, v2
	s_lshl_b32 s40, s31, 8
	s_ashr_i32 s7, s6, 31
	s_ashr_i32 s37, s36, 31
	;; [unrolled: 1-line block ×3, first 2 shown]
	s_lshl_b64 s[14:15], s[14:15], 1
	s_lshl_b64 s[26:27], s[26:27], 1
	v_ashrrev_i32_e32 v2, 31, v1
	s_lshl_b64 s[22:23], s[22:23], 1
	s_lshl_b64 s[34:35], s[6:7], 1
	;; [unrolled: 1-line block ×3, first 2 shown]
	s_wait_alu 0xfffe
	s_lshl_b64 s[38:39], s[30:31], 1
	v_lshlrev_b64_e32 v[1:2], 1, v[1:2]
	s_branch .LBB606_4
.LBB606_2:                              ;   in Loop: Header=BB606_4 Depth=1
	s_wait_alu 0xfffe
	s_or_b32 exec_lo, exec_lo, s6
.LBB606_3:                              ;   in Loop: Header=BB606_4 Depth=1
	s_add_co_i32 s28, s28, 0x10000
	s_delay_alu instid0(SALU_CYCLE_1)
	s_cmp_lt_u32 s28, s33
	s_cbranch_scc0 .LBB606_63
.LBB606_4:                              ; =>This Loop Header: Depth=1
                                        ;     Child Loop BB606_31 Depth 2
	s_mul_u64 s[6:7], s[10:11], s[28:29]
	s_mul_u64 s[42:43], s[18:19], s[28:29]
	s_wait_alu 0xfffe
	s_lshl_b64 s[6:7], s[6:7], 2
	s_lshl_b64 s[42:43], s[42:43], 2
	s_wait_alu 0xfffe
	s_add_nc_u64 s[6:7], s[8:9], s[6:7]
	s_add_nc_u64 s[42:43], s[16:17], s[42:43]
	s_clause 0x1
	global_load_b32 v20, v11, s[6:7]
	global_load_b32 v3, v11, s[42:43]
	s_wait_loadcnt 0x1
	v_cmp_eq_f32_e64 s6, 0, v20
	s_wait_loadcnt 0x0
	v_cmp_eq_f32_e32 vcc_lo, 1.0, v3
	v_readfirstlane_b32 s31, v3
	s_wait_alu 0xfffe
	s_and_b32 s7, s6, vcc_lo
	s_wait_alu 0xfffe
	s_and_b32 vcc_lo, exec_lo, s7
	s_wait_alu 0xfffe
	s_cbranch_vccnz .LBB606_3
; %bb.5:                                ;   in Loop: Header=BB606_4 Depth=1
	v_mov_b32_e32 v3, 0
	s_wait_dscnt 0x0
	v_dual_mov_b32 v4, 0 :: v_dual_mov_b32 v5, 0
	v_cmp_neq_f32_e64 s7, 0, v20
	v_mov_b32_e32 v6, 0
	s_and_b32 vcc_lo, exec_lo, s6
	s_wait_alu 0xfffe
	s_cbranch_vccnz .LBB606_7
; %bb.6:                                ;   in Loop: Header=BB606_4 Depth=1
	s_lshl_b64 s[42:43], s[28:29], 3
	s_delay_alu instid0(SALU_CYCLE_1)
	s_add_nc_u64 s[42:43], s[12:13], s[42:43]
	global_load_b64 v[5:6], v11, s[42:43]
	s_wait_loadcnt 0x0
	v_add_co_u32 v5, vcc_lo, v5, s14
	s_wait_alu 0xfffd
	v_add_co_ci_u32_e64 v6, null, s15, v6, vcc_lo
.LBB606_7:                              ;   in Loop: Header=BB606_4 Depth=1
	s_and_not1_b32 vcc_lo, exec_lo, s7
	s_wait_alu 0xfffe
	s_cbranch_vccnz .LBB606_9
; %bb.8:                                ;   in Loop: Header=BB606_4 Depth=1
	s_lshl_b64 s[42:43], s[28:29], 3
	s_delay_alu instid0(SALU_CYCLE_1)
	s_add_nc_u64 s[42:43], s[24:25], s[42:43]
	global_load_b64 v[3:4], v11, s[42:43]
	s_wait_loadcnt 0x0
	v_add_co_u32 v3, vcc_lo, v3, s26
	s_wait_alu 0xfffd
	v_add_co_ci_u32_e64 v4, null, s27, v4, vcc_lo
.LBB606_9:                              ;   in Loop: Header=BB606_4 Depth=1
	s_lshl_b64 s[42:43], s[28:29], 3
	s_delay_alu instid0(SALU_CYCLE_1)
	s_add_nc_u64 s[42:43], s[20:21], s[42:43]
	global_load_b64 v[7:8], v11, s[42:43]
	s_wait_loadcnt 0x0
	v_add_co_u32 v18, vcc_lo, v7, s22
	s_wait_alu 0xfffd
	v_add_co_ci_u32_e64 v19, null, s23, v8, vcc_lo
	s_and_not1_b32 vcc_lo, exec_lo, s6
	s_wait_alu 0xfffe
	s_cbranch_vccnz .LBB606_17
; %bb.10:                               ;   in Loop: Header=BB606_4 Depth=1
	s_mov_b32 s6, 0
	s_mov_b32 s7, 0
                                        ; implicit-def: $vgpr7
	s_and_saveexec_b32 s41, s0
	s_cbranch_execz .LBB606_18
; %bb.11:                               ;   in Loop: Header=BB606_4 Depth=1
	s_cmp_eq_f32 s31, 0
	s_cbranch_scc1 .LBB606_19
; %bb.12:                               ;   in Loop: Header=BB606_4 Depth=1
	v_add_co_u32 v7, vcc_lo, v18, s34
	s_wait_alu 0xfffd
	v_add_co_ci_u32_e64 v8, null, s35, v19, vcc_lo
	flat_load_u16 v7, v[7:8]
	s_wait_loadcnt_dscnt 0x0
	v_lshlrev_b32_e32 v7, 16, v7
	s_delay_alu instid0(VALU_DEP_1) | instskip(NEXT) | instid1(VALU_DEP_1)
	v_mul_f32_e32 v7, s31, v7
	v_and_b32_e32 v8, 0x7f800000, v7
	s_delay_alu instid0(VALU_DEP_1)
	v_cmp_ne_u32_e32 vcc_lo, 0x7f800000, v8
                                        ; implicit-def: $vgpr8
	s_and_saveexec_b32 s7, vcc_lo
	s_wait_alu 0xfffe
	s_xor_b32 s7, exec_lo, s7
; %bb.13:                               ;   in Loop: Header=BB606_4 Depth=1
	v_bfe_u32 v8, v7, 16, 1
	s_delay_alu instid0(VALU_DEP_1)
	v_add3_u32 v8, v7, v8, 0x7fff
                                        ; implicit-def: $vgpr7
; %bb.14:                               ;   in Loop: Header=BB606_4 Depth=1
	s_wait_alu 0xfffe
	s_and_not1_saveexec_b32 s7, s7
; %bb.15:                               ;   in Loop: Header=BB606_4 Depth=1
	v_and_b32_e32 v8, 0xffff, v7
	v_or_b32_e32 v9, 0x10000, v7
	s_delay_alu instid0(VALU_DEP_2) | instskip(SKIP_1) | instid1(VALU_DEP_2)
	v_cmp_eq_u32_e32 vcc_lo, 0, v8
	s_wait_alu 0xfffd
	v_cndmask_b32_e32 v8, v9, v7, vcc_lo
; %bb.16:                               ;   in Loop: Header=BB606_4 Depth=1
	s_wait_alu 0xfffe
	s_or_b32 exec_lo, exec_lo, s7
	s_delay_alu instid0(VALU_DEP_1) | instskip(SKIP_2) | instid1(SALU_CYCLE_1)
	v_lshrrev_b32_e32 v7, 16, v8
	s_mov_b32 s7, exec_lo
	s_or_b32 exec_lo, exec_lo, s41
	s_and_b32 vcc_lo, exec_lo, s6
	s_wait_alu 0xfffe
	s_cbranch_vccnz .LBB606_20
	s_branch .LBB606_61
.LBB606_17:                             ;   in Loop: Header=BB606_4 Depth=1
	s_mov_b32 s7, 0
                                        ; implicit-def: $vgpr7
	s_cbranch_execnz .LBB606_20
	s_branch .LBB606_61
.LBB606_18:                             ;   in Loop: Header=BB606_4 Depth=1
	s_wait_alu 0xfffe
	s_or_b32 exec_lo, exec_lo, s41
	s_delay_alu instid0(SALU_CYCLE_1)
	s_and_b32 vcc_lo, exec_lo, s6
	s_wait_alu 0xfffe
	s_cbranch_vccnz .LBB606_20
	s_branch .LBB606_61
.LBB606_19:                             ;   in Loop: Header=BB606_4 Depth=1
	v_mov_b32_e32 v7, 0
	s_mov_b32 s7, exec_lo
	s_wait_alu 0xfffe
	s_or_b32 exec_lo, exec_lo, s41
	s_delay_alu instid0(SALU_CYCLE_1)
	s_and_b32 vcc_lo, exec_lo, s6
	s_wait_alu 0xfffe
	s_cbranch_vccz .LBB606_61
.LBB606_20:                             ;   in Loop: Header=BB606_4 Depth=1
	v_add_co_u32 v5, vcc_lo, v5, v16
	s_wait_alu 0xfffd
	v_add_co_ci_u32_e64 v6, null, 0, v6, vcc_lo
	v_mov_b32_e32 v21, 0
	s_delay_alu instid0(VALU_DEP_3) | instskip(SKIP_1) | instid1(VALU_DEP_3)
	v_add_co_u32 v5, vcc_lo, v5, s36
	s_wait_alu 0xfffd
	v_add_co_ci_u32_e64 v6, null, s37, v6, vcc_lo
	s_and_saveexec_b32 s41, s4
	s_cbranch_execnz .LBB606_29
; %bb.21:                               ;   in Loop: Header=BB606_4 Depth=1
	s_wait_alu 0xfffe
	s_or_b32 exec_lo, exec_lo, s41
	s_and_saveexec_b32 s6, s5
	s_cbranch_execnz .LBB606_44
.LBB606_22:                             ;   in Loop: Header=BB606_4 Depth=1
	s_wait_alu 0xfffe
	s_or_b32 exec_lo, exec_lo, s6
	s_and_saveexec_b32 s6, s1
.LBB606_23:                             ;   in Loop: Header=BB606_4 Depth=1
	ds_store_b32 v12, v11
.LBB606_24:                             ;   in Loop: Header=BB606_4 Depth=1
	s_wait_alu 0xfffe
	s_or_b32 exec_lo, exec_lo, s6
	ds_bpermute_b32 v3, v17, v21
	v_cmp_gt_u32_e32 vcc_lo, 24, v15
	s_wait_dscnt 0x0
	s_barrier_signal -1
	s_barrier_wait -1
	global_inv scope:SCOPE_SE
	s_wait_alu 0xfffd
	v_cndmask_b32_e64 v4, 0, 8, vcc_lo
	v_cmp_gt_u32_e32 vcc_lo, 28, v15
	s_delay_alu instid0(VALU_DEP_2)
	v_add_lshl_u32 v4, v4, v15, 2
	v_add_f32_e32 v5, v21, v3
	s_wait_alu 0xfffd
	v_cndmask_b32_e64 v3, 0, 4, vcc_lo
	v_cmp_gt_u32_e32 vcc_lo, 30, v15
	ds_bpermute_b32 v4, v4, v5
	v_add_lshl_u32 v3, v3, v15, 2
	s_wait_dscnt 0x0
	v_add_f32_e32 v5, v5, v4
	s_wait_alu 0xfffd
	v_cndmask_b32_e64 v4, 0, 2, vcc_lo
	v_cmp_ne_u32_e32 vcc_lo, 31, v15
	ds_bpermute_b32 v6, v3, v5
	v_add_lshl_u32 v4, v4, v15, 2
	s_wait_alu 0xfffd
	v_add_co_ci_u32_e64 v7, null, 0, v15, vcc_lo
	s_wait_dscnt 0x0
	v_add_f32_e32 v5, v5, v6
	ds_bpermute_b32 v6, v4, v5
	s_wait_dscnt 0x0
	v_dual_add_f32 v6, v5, v6 :: v_dual_lshlrev_b32 v5, 2, v7
	ds_bpermute_b32 v7, v5, v6
	s_and_saveexec_b32 s6, s3
	s_cbranch_execz .LBB606_26
; %bb.25:                               ;   in Loop: Header=BB606_4 Depth=1
	s_wait_dscnt 0x0
	v_add_f32_e32 v6, v6, v7
	ds_store_b32 v13, v6
.LBB606_26:                             ;   in Loop: Header=BB606_4 Depth=1
	s_wait_alu 0xfffe
	s_or_b32 exec_lo, exec_lo, s6
	v_mov_b32_e32 v6, 0
	s_wait_loadcnt_dscnt 0x0
	s_barrier_signal -1
	s_barrier_wait -1
	global_inv scope:SCOPE_SE
	s_and_saveexec_b32 s6, s2
	s_cbranch_execnz .LBB606_35
; %bb.27:                               ;   in Loop: Header=BB606_4 Depth=1
	s_wait_alu 0xfffe
	s_or_b32 exec_lo, exec_lo, s6
	s_and_saveexec_b32 s6, s1
	s_cbranch_execnz .LBB606_36
.LBB606_28:                             ;   in Loop: Header=BB606_4 Depth=1
	s_wait_alu 0xfffe
	s_or_b32 exec_lo, exec_lo, s6
                                        ; implicit-def: $vgpr7
	s_and_saveexec_b32 s6, s0
	s_cbranch_execnz .LBB606_37
	s_branch .LBB606_60
.LBB606_29:                             ;   in Loop: Header=BB606_4 Depth=1
	v_dual_mov_b32 v21, 0 :: v_dual_mov_b32 v10, v6
	v_dual_mov_b32 v7, v14 :: v_dual_mov_b32 v22, v0
	v_mov_b32_e32 v9, v5
	s_mov_b32 s42, 0
	s_branch .LBB606_31
.LBB606_30:                             ;   in Loop: Header=BB606_31 Depth=2
	s_wait_alu 0xfffe
	s_or_b32 exec_lo, exec_lo, s6
	s_delay_alu instid0(VALU_DEP_1)
	v_and_b32_e32 v8, 0xffff0000, v23
	v_add_nc_u32_e32 v22, 0x100, v22
	v_add_co_u32 v9, s6, 0x200, v9
	s_wait_alu 0xf1ff
	v_add_co_ci_u32_e64 v10, null, 0, v10, s6
	v_add_f32_e32 v21, v21, v8
	v_cmp_le_i32_e32 vcc_lo, s30, v22
	v_add_nc_u32_e32 v7, s40, v7
	s_or_b32 s42, vcc_lo, s42
	s_delay_alu instid0(SALU_CYCLE_1)
	s_and_not1_b32 exec_lo, exec_lo, s42
	s_cbranch_execz .LBB606_43
.LBB606_31:                             ;   Parent Loop BB606_4 Depth=1
                                        ; =>  This Inner Loop Header: Depth=2
	s_delay_alu instid0(VALU_DEP_1) | instskip(NEXT) | instid1(VALU_DEP_1)
	v_ashrrev_i32_e32 v8, 31, v7
	v_lshlrev_b64_e32 v[23:24], 1, v[7:8]
	s_delay_alu instid0(VALU_DEP_1) | instskip(SKIP_1) | instid1(VALU_DEP_2)
	v_add_co_u32 v23, vcc_lo, v3, v23
	s_wait_alu 0xfffd
	v_add_co_ci_u32_e64 v24, null, v4, v24, vcc_lo
	flat_load_u16 v8, v[9:10]
	flat_load_u16 v23, v[23:24]
	s_wait_loadcnt_dscnt 0x101
	v_lshlrev_b32_e32 v8, 16, v8
	s_wait_loadcnt_dscnt 0x0
	v_lshlrev_b32_e32 v23, 16, v23
	s_delay_alu instid0(VALU_DEP_1) | instskip(NEXT) | instid1(VALU_DEP_1)
	v_mul_f32_e32 v8, v8, v23
	v_and_b32_e32 v23, 0x7f800000, v8
	s_delay_alu instid0(VALU_DEP_1)
	v_cmp_ne_u32_e32 vcc_lo, 0x7f800000, v23
                                        ; implicit-def: $vgpr23
	s_and_saveexec_b32 s6, vcc_lo
	s_wait_alu 0xfffe
	s_xor_b32 s6, exec_lo, s6
; %bb.32:                               ;   in Loop: Header=BB606_31 Depth=2
	v_bfe_u32 v23, v8, 16, 1
	s_delay_alu instid0(VALU_DEP_1)
	v_add3_u32 v23, v8, v23, 0x7fff
                                        ; implicit-def: $vgpr8
; %bb.33:                               ;   in Loop: Header=BB606_31 Depth=2
	s_wait_alu 0xfffe
	s_and_not1_saveexec_b32 s6, s6
	s_cbranch_execz .LBB606_30
; %bb.34:                               ;   in Loop: Header=BB606_31 Depth=2
	v_and_b32_e32 v23, 0xffff, v8
	v_or_b32_e32 v24, 0x10000, v8
	s_delay_alu instid0(VALU_DEP_2) | instskip(SKIP_1) | instid1(VALU_DEP_2)
	v_cmp_eq_u32_e32 vcc_lo, 0, v23
	s_wait_alu 0xfffd
	v_cndmask_b32_e32 v23, v24, v8, vcc_lo
	s_branch .LBB606_30
.LBB606_35:                             ;   in Loop: Header=BB606_4 Depth=1
	ds_load_b32 v6, v12
	s_wait_alu 0xfffe
	s_or_b32 exec_lo, exec_lo, s6
	s_and_saveexec_b32 s6, s1
	s_cbranch_execz .LBB606_28
.LBB606_36:                             ;   in Loop: Header=BB606_4 Depth=1
	s_wait_dscnt 0x0
	ds_bpermute_b32 v3, v3, v6
	s_wait_dscnt 0x0
	v_add_f32_e32 v3, v6, v3
	ds_bpermute_b32 v4, v4, v3
	s_wait_dscnt 0x0
	v_add_f32_e32 v3, v3, v4
	;; [unrolled: 3-line block ×3, first 2 shown]
	s_wait_alu 0xfffe
	s_or_b32 exec_lo, exec_lo, s6
                                        ; implicit-def: $vgpr7
	s_and_saveexec_b32 s6, s0
	s_cbranch_execz .LBB606_60
.LBB606_37:                             ;   in Loop: Header=BB606_4 Depth=1
	s_wait_dscnt 0x0
	v_mul_f32_e32 v3, v20, v6
	s_cmp_eq_f32 s31, 0
	s_cbranch_scc0 .LBB606_49
; %bb.38:                               ;   in Loop: Header=BB606_4 Depth=1
	s_delay_alu instid0(VALU_DEP_1) | instskip(NEXT) | instid1(VALU_DEP_1)
	v_and_b32_e32 v4, 0x7f800000, v3
	v_cmp_ne_u32_e32 vcc_lo, 0x7f800000, v4
                                        ; implicit-def: $vgpr4
	s_and_saveexec_b32 s41, vcc_lo
	s_wait_alu 0xfffe
	s_xor_b32 s41, exec_lo, s41
; %bb.39:                               ;   in Loop: Header=BB606_4 Depth=1
	v_bfe_u32 v4, v3, 16, 1
	s_delay_alu instid0(VALU_DEP_1)
	v_add3_u32 v4, v3, v4, 0x7fff
; %bb.40:                               ;   in Loop: Header=BB606_4 Depth=1
	s_wait_alu 0xfffe
	s_and_not1_saveexec_b32 s41, s41
; %bb.41:                               ;   in Loop: Header=BB606_4 Depth=1
	v_and_b32_e32 v4, 0xffff, v3
	v_or_b32_e32 v5, 0x10000, v3
	s_delay_alu instid0(VALU_DEP_2) | instskip(SKIP_1) | instid1(VALU_DEP_2)
	v_cmp_eq_u32_e32 vcc_lo, 0, v4
	s_wait_alu 0xfffd
	v_cndmask_b32_e32 v4, v5, v3, vcc_lo
; %bb.42:                               ;   in Loop: Header=BB606_4 Depth=1
	s_wait_alu 0xfffe
	s_or_b32 exec_lo, exec_lo, s41
	s_cbranch_execz .LBB606_50
	s_branch .LBB606_59
.LBB606_43:                             ;   in Loop: Header=BB606_4 Depth=1
	s_or_b32 exec_lo, exec_lo, s42
	s_delay_alu instid0(SALU_CYCLE_1)
	s_or_b32 exec_lo, exec_lo, s41
	s_and_saveexec_b32 s6, s5
	s_cbranch_execz .LBB606_22
.LBB606_44:                             ;   in Loop: Header=BB606_4 Depth=1
	v_add_co_u32 v3, vcc_lo, v3, v1
	s_wait_alu 0xfffd
	v_add_co_ci_u32_e64 v4, null, v4, v2, vcc_lo
	v_add_co_u32 v5, vcc_lo, v5, s38
	s_wait_alu 0xfffd
	v_add_co_ci_u32_e64 v6, null, s39, v6, vcc_lo
	flat_load_u16 v3, v[3:4]
	flat_load_u16 v4, v[5:6]
	s_wait_loadcnt_dscnt 0x101
	v_lshlrev_b32_e32 v3, 16, v3
	s_wait_loadcnt_dscnt 0x0
	v_lshlrev_b32_e32 v4, 16, v4
	s_delay_alu instid0(VALU_DEP_1) | instskip(NEXT) | instid1(VALU_DEP_1)
	v_mul_f32_e32 v3, v4, v3
	v_and_b32_e32 v4, 0x7f800000, v3
	s_delay_alu instid0(VALU_DEP_1)
	v_cmp_ne_u32_e32 vcc_lo, 0x7f800000, v4
                                        ; implicit-def: $vgpr4
	s_and_saveexec_b32 s41, vcc_lo
	s_wait_alu 0xfffe
	s_xor_b32 s41, exec_lo, s41
; %bb.45:                               ;   in Loop: Header=BB606_4 Depth=1
	v_bfe_u32 v4, v3, 16, 1
	s_delay_alu instid0(VALU_DEP_1)
	v_add3_u32 v4, v3, v4, 0x7fff
                                        ; implicit-def: $vgpr3
; %bb.46:                               ;   in Loop: Header=BB606_4 Depth=1
	s_wait_alu 0xfffe
	s_and_not1_saveexec_b32 s41, s41
; %bb.47:                               ;   in Loop: Header=BB606_4 Depth=1
	v_and_b32_e32 v4, 0xffff, v3
	v_or_b32_e32 v5, 0x10000, v3
	s_delay_alu instid0(VALU_DEP_2) | instskip(SKIP_1) | instid1(VALU_DEP_2)
	v_cmp_eq_u32_e32 vcc_lo, 0, v4
	s_wait_alu 0xfffd
	v_cndmask_b32_e32 v4, v5, v3, vcc_lo
; %bb.48:                               ;   in Loop: Header=BB606_4 Depth=1
	s_wait_alu 0xfffe
	s_or_b32 exec_lo, exec_lo, s41
	s_delay_alu instid0(VALU_DEP_1) | instskip(NEXT) | instid1(VALU_DEP_1)
	v_and_b32_e32 v3, 0xffff0000, v4
	v_add_f32_e32 v21, v21, v3
	s_or_b32 exec_lo, exec_lo, s6
	s_and_saveexec_b32 s6, s1
	s_cbranch_execnz .LBB606_23
	s_branch .LBB606_24
.LBB606_49:                             ;   in Loop: Header=BB606_4 Depth=1
                                        ; implicit-def: $vgpr4
.LBB606_50:                             ;   in Loop: Header=BB606_4 Depth=1
	v_add_co_u32 v4, vcc_lo, v18, s34
	s_wait_alu 0xfffd
	v_add_co_ci_u32_e64 v5, null, s35, v19, vcc_lo
	flat_load_u16 v4, v[4:5]
	s_wait_loadcnt_dscnt 0x0
	v_lshlrev_b32_e32 v4, 16, v4
	s_delay_alu instid0(VALU_DEP_1) | instskip(NEXT) | instid1(VALU_DEP_1)
	v_mul_f32_e32 v4, s31, v4
	v_and_b32_e32 v5, 0x7f800000, v4
	s_delay_alu instid0(VALU_DEP_1)
	v_cmp_ne_u32_e32 vcc_lo, 0x7f800000, v5
                                        ; implicit-def: $vgpr5
	s_and_saveexec_b32 s31, vcc_lo
	s_wait_alu 0xfffe
	s_xor_b32 s31, exec_lo, s31
; %bb.51:                               ;   in Loop: Header=BB606_4 Depth=1
	v_bfe_u32 v5, v4, 16, 1
	s_delay_alu instid0(VALU_DEP_1)
	v_add3_u32 v5, v4, v5, 0x7fff
                                        ; implicit-def: $vgpr4
; %bb.52:                               ;   in Loop: Header=BB606_4 Depth=1
	s_wait_alu 0xfffe
	s_and_not1_saveexec_b32 s31, s31
; %bb.53:                               ;   in Loop: Header=BB606_4 Depth=1
	v_and_b32_e32 v5, 0xffff, v4
	v_or_b32_e32 v6, 0x10000, v4
	s_delay_alu instid0(VALU_DEP_2) | instskip(SKIP_1) | instid1(VALU_DEP_2)
	v_cmp_eq_u32_e32 vcc_lo, 0, v5
	s_wait_alu 0xfffd
	v_cndmask_b32_e32 v5, v6, v4, vcc_lo
; %bb.54:                               ;   in Loop: Header=BB606_4 Depth=1
	s_wait_alu 0xfffe
	s_or_b32 exec_lo, exec_lo, s31
	s_delay_alu instid0(VALU_DEP_1) | instskip(NEXT) | instid1(VALU_DEP_1)
	v_and_b32_e32 v4, 0xffff0000, v5
	v_add_f32_e32 v3, v3, v4
	s_delay_alu instid0(VALU_DEP_1) | instskip(NEXT) | instid1(VALU_DEP_1)
	v_and_b32_e32 v4, 0x7f800000, v3
	v_cmp_ne_u32_e32 vcc_lo, 0x7f800000, v4
                                        ; implicit-def: $vgpr4
	s_and_saveexec_b32 s31, vcc_lo
	s_wait_alu 0xfffe
	s_xor_b32 s31, exec_lo, s31
; %bb.55:                               ;   in Loop: Header=BB606_4 Depth=1
	v_bfe_u32 v4, v3, 16, 1
	s_delay_alu instid0(VALU_DEP_1)
	v_add3_u32 v4, v3, v4, 0x7fff
                                        ; implicit-def: $vgpr3
; %bb.56:                               ;   in Loop: Header=BB606_4 Depth=1
	s_wait_alu 0xfffe
	s_and_not1_saveexec_b32 s31, s31
; %bb.57:                               ;   in Loop: Header=BB606_4 Depth=1
	v_and_b32_e32 v4, 0xffff, v3
	v_or_b32_e32 v5, 0x10000, v3
	s_delay_alu instid0(VALU_DEP_2) | instskip(SKIP_1) | instid1(VALU_DEP_2)
	v_cmp_eq_u32_e32 vcc_lo, 0, v4
	s_wait_alu 0xfffd
	v_cndmask_b32_e32 v4, v5, v3, vcc_lo
; %bb.58:                               ;   in Loop: Header=BB606_4 Depth=1
	s_wait_alu 0xfffe
	s_or_b32 exec_lo, exec_lo, s31
.LBB606_59:                             ;   in Loop: Header=BB606_4 Depth=1
	s_delay_alu instid0(VALU_DEP_1)
	v_lshrrev_b32_e32 v7, 16, v4
	s_or_b32 s7, s7, exec_lo
.LBB606_60:                             ;   in Loop: Header=BB606_4 Depth=1
	s_wait_alu 0xfffe
	s_or_b32 exec_lo, exec_lo, s6
.LBB606_61:                             ;   in Loop: Header=BB606_4 Depth=1
	s_wait_alu 0xfffe
	s_and_saveexec_b32 s6, s7
	s_cbranch_execz .LBB606_2
; %bb.62:                               ;   in Loop: Header=BB606_4 Depth=1
	v_add_co_u32 v3, vcc_lo, v18, s34
	s_wait_alu 0xfffd
	v_add_co_ci_u32_e64 v4, null, s35, v19, vcc_lo
	flat_store_b16 v[3:4], v7
	s_branch .LBB606_2
.LBB606_63:
	s_endpgm
	.section	.rodata,"a",@progbits
	.p2align	6, 0x0
	.amdhsa_kernel _ZL32rocblas_gemvt_warp_reduce_kernelILb0ELi256EiPK16rocblas_bfloat16PKfKPS0_EviiT3_lPKT2_lT1_lSA_lSB_lS7_lPT4_lSB_li
		.amdhsa_group_segment_fixed_size 128
		.amdhsa_private_segment_fixed_size 0
		.amdhsa_kernarg_size 140
		.amdhsa_user_sgpr_count 2
		.amdhsa_user_sgpr_dispatch_ptr 0
		.amdhsa_user_sgpr_queue_ptr 0
		.amdhsa_user_sgpr_kernarg_segment_ptr 1
		.amdhsa_user_sgpr_dispatch_id 0
		.amdhsa_user_sgpr_private_segment_size 0
		.amdhsa_wavefront_size32 1
		.amdhsa_uses_dynamic_stack 0
		.amdhsa_enable_private_segment 0
		.amdhsa_system_sgpr_workgroup_id_x 1
		.amdhsa_system_sgpr_workgroup_id_y 0
		.amdhsa_system_sgpr_workgroup_id_z 1
		.amdhsa_system_sgpr_workgroup_info 0
		.amdhsa_system_vgpr_workitem_id 0
		.amdhsa_next_free_vgpr 25
		.amdhsa_next_free_sgpr 44
		.amdhsa_reserve_vcc 1
		.amdhsa_float_round_mode_32 0
		.amdhsa_float_round_mode_16_64 0
		.amdhsa_float_denorm_mode_32 3
		.amdhsa_float_denorm_mode_16_64 3
		.amdhsa_fp16_overflow 0
		.amdhsa_workgroup_processor_mode 1
		.amdhsa_memory_ordered 1
		.amdhsa_forward_progress 1
		.amdhsa_inst_pref_size 19
		.amdhsa_round_robin_scheduling 0
		.amdhsa_exception_fp_ieee_invalid_op 0
		.amdhsa_exception_fp_denorm_src 0
		.amdhsa_exception_fp_ieee_div_zero 0
		.amdhsa_exception_fp_ieee_overflow 0
		.amdhsa_exception_fp_ieee_underflow 0
		.amdhsa_exception_fp_ieee_inexact 0
		.amdhsa_exception_int_div_zero 0
	.end_amdhsa_kernel
	.section	.text._ZL32rocblas_gemvt_warp_reduce_kernelILb0ELi256EiPK16rocblas_bfloat16PKfKPS0_EviiT3_lPKT2_lT1_lSA_lSB_lS7_lPT4_lSB_li,"axG",@progbits,_ZL32rocblas_gemvt_warp_reduce_kernelILb0ELi256EiPK16rocblas_bfloat16PKfKPS0_EviiT3_lPKT2_lT1_lSA_lSB_lS7_lPT4_lSB_li,comdat
.Lfunc_end606:
	.size	_ZL32rocblas_gemvt_warp_reduce_kernelILb0ELi256EiPK16rocblas_bfloat16PKfKPS0_EviiT3_lPKT2_lT1_lSA_lSB_lS7_lPT4_lSB_li, .Lfunc_end606-_ZL32rocblas_gemvt_warp_reduce_kernelILb0ELi256EiPK16rocblas_bfloat16PKfKPS0_EviiT3_lPKT2_lT1_lSA_lSB_lS7_lPT4_lSB_li
                                        ; -- End function
	.set _ZL32rocblas_gemvt_warp_reduce_kernelILb0ELi256EiPK16rocblas_bfloat16PKfKPS0_EviiT3_lPKT2_lT1_lSA_lSB_lS7_lPT4_lSB_li.num_vgpr, 25
	.set _ZL32rocblas_gemvt_warp_reduce_kernelILb0ELi256EiPK16rocblas_bfloat16PKfKPS0_EviiT3_lPKT2_lT1_lSA_lSB_lS7_lPT4_lSB_li.num_agpr, 0
	.set _ZL32rocblas_gemvt_warp_reduce_kernelILb0ELi256EiPK16rocblas_bfloat16PKfKPS0_EviiT3_lPKT2_lT1_lSA_lSB_lS7_lPT4_lSB_li.numbered_sgpr, 44
	.set _ZL32rocblas_gemvt_warp_reduce_kernelILb0ELi256EiPK16rocblas_bfloat16PKfKPS0_EviiT3_lPKT2_lT1_lSA_lSB_lS7_lPT4_lSB_li.num_named_barrier, 0
	.set _ZL32rocblas_gemvt_warp_reduce_kernelILb0ELi256EiPK16rocblas_bfloat16PKfKPS0_EviiT3_lPKT2_lT1_lSA_lSB_lS7_lPT4_lSB_li.private_seg_size, 0
	.set _ZL32rocblas_gemvt_warp_reduce_kernelILb0ELi256EiPK16rocblas_bfloat16PKfKPS0_EviiT3_lPKT2_lT1_lSA_lSB_lS7_lPT4_lSB_li.uses_vcc, 1
	.set _ZL32rocblas_gemvt_warp_reduce_kernelILb0ELi256EiPK16rocblas_bfloat16PKfKPS0_EviiT3_lPKT2_lT1_lSA_lSB_lS7_lPT4_lSB_li.uses_flat_scratch, 0
	.set _ZL32rocblas_gemvt_warp_reduce_kernelILb0ELi256EiPK16rocblas_bfloat16PKfKPS0_EviiT3_lPKT2_lT1_lSA_lSB_lS7_lPT4_lSB_li.has_dyn_sized_stack, 0
	.set _ZL32rocblas_gemvt_warp_reduce_kernelILb0ELi256EiPK16rocblas_bfloat16PKfKPS0_EviiT3_lPKT2_lT1_lSA_lSB_lS7_lPT4_lSB_li.has_recursion, 0
	.set _ZL32rocblas_gemvt_warp_reduce_kernelILb0ELi256EiPK16rocblas_bfloat16PKfKPS0_EviiT3_lPKT2_lT1_lSA_lSB_lS7_lPT4_lSB_li.has_indirect_call, 0
	.section	.AMDGPU.csdata,"",@progbits
; Kernel info:
; codeLenInByte = 2412
; TotalNumSgprs: 46
; NumVgprs: 25
; ScratchSize: 0
; MemoryBound: 0
; FloatMode: 240
; IeeeMode: 1
; LDSByteSize: 128 bytes/workgroup (compile time only)
; SGPRBlocks: 0
; VGPRBlocks: 3
; NumSGPRsForWavesPerEU: 46
; NumVGPRsForWavesPerEU: 25
; Occupancy: 16
; WaveLimiterHint : 1
; COMPUTE_PGM_RSRC2:SCRATCH_EN: 0
; COMPUTE_PGM_RSRC2:USER_SGPR: 2
; COMPUTE_PGM_RSRC2:TRAP_HANDLER: 0
; COMPUTE_PGM_RSRC2:TGID_X_EN: 1
; COMPUTE_PGM_RSRC2:TGID_Y_EN: 0
; COMPUTE_PGM_RSRC2:TGID_Z_EN: 1
; COMPUTE_PGM_RSRC2:TIDIG_COMP_CNT: 0
	.section	.text._ZL32rocblas_gemvt_warp_reduce_kernelILb0ELi256ElPK16rocblas_bfloat16PKfKPS0_EviiT3_lPKT2_lT1_lSA_lSB_lS7_lPT4_lSB_li,"axG",@progbits,_ZL32rocblas_gemvt_warp_reduce_kernelILb0ELi256ElPK16rocblas_bfloat16PKfKPS0_EviiT3_lPKT2_lT1_lSA_lSB_lS7_lPT4_lSB_li,comdat
	.globl	_ZL32rocblas_gemvt_warp_reduce_kernelILb0ELi256ElPK16rocblas_bfloat16PKfKPS0_EviiT3_lPKT2_lT1_lSA_lSB_lS7_lPT4_lSB_li ; -- Begin function _ZL32rocblas_gemvt_warp_reduce_kernelILb0ELi256ElPK16rocblas_bfloat16PKfKPS0_EviiT3_lPKT2_lT1_lSA_lSB_lS7_lPT4_lSB_li
	.p2align	8
	.type	_ZL32rocblas_gemvt_warp_reduce_kernelILb0ELi256ElPK16rocblas_bfloat16PKfKPS0_EviiT3_lPKT2_lT1_lSA_lSB_lS7_lPT4_lSB_li,@function
_ZL32rocblas_gemvt_warp_reduce_kernelILb0ELi256ElPK16rocblas_bfloat16PKfKPS0_EviiT3_lPKT2_lT1_lSA_lSB_lS7_lPT4_lSB_li: ; @_ZL32rocblas_gemvt_warp_reduce_kernelILb0ELi256ElPK16rocblas_bfloat16PKfKPS0_EviiT3_lPKT2_lT1_lSA_lSB_lS7_lPT4_lSB_li
; %bb.0:
	s_load_b32 s33, s[0:1], 0x88
	s_lshr_b32 s28, ttmp7, 16
	s_wait_kmcnt 0x0
	s_cmp_ge_u32 s28, s33
	s_cbranch_scc1 .LBB607_63
; %bb.1:
	s_clause 0x6
	s_load_b32 s40, s[0:1], 0x0
	s_load_b64 s[6:7], s[0:1], 0x48
	s_load_b256 s[8:15], s[0:1], 0x8
	s_load_b64 s[34:35], s[0:1], 0x28
	s_load_b128 s[24:27], s[0:1], 0x38
	s_load_b64 s[36:37], s[0:1], 0x78
	s_load_b256 s[16:23], s[0:1], 0x58
	v_and_b32_e32 v3, 31, v0
	v_lshrrev_b32_e32 v4, 3, v0
	v_mov_b32_e32 v13, 0
	s_mov_b32 s4, ttmp9
	s_ashr_i32 s5, ttmp9, 31
	v_mbcnt_lo_u32_b32 v14, -1, 0
	v_and_b32_e32 v16, 28, v4
	v_cmp_eq_u32_e64 s0, 0, v0
	v_cmp_gt_u32_e64 s1, 32, v0
	v_cmp_gt_u32_e64 s2, 8, v0
	v_lshl_or_b32 v18, v14, 2, 64
	s_mov_b32 s29, 0
	s_wait_kmcnt 0x0
	s_ashr_i32 s3, s40, 31
	v_mad_co_u64_u32 v[1:2], null, s6, v0, 0
	s_lshr_b32 s30, s3, 24
	v_cmp_eq_u32_e64 s3, 0, v3
	s_add_co_i32 s30, s40, s30
	v_cmp_gt_i32_e32 vcc_lo, s40, v0
	s_and_b32 s30, s30, 0xffffff00
	v_lshlrev_b32_e32 v15, 2, v3
	v_or_b32_e32 v5, s30, v0
	v_mad_co_u64_u32 v[2:3], null, s7, v0, v[2:3]
	s_ashr_i32 s31, s30, 31
	s_mul_u64 s[36:37], s[36:37], s[4:5]
	v_mul_lo_u32 v7, s7, v5
	v_mad_co_u64_u32 v[3:4], null, s6, v5, 0
	s_mul_u64 s[38:39], s[34:35], s[4:5]
	s_wait_alu 0xfffe
	s_mul_i32 s5, s6, s31
	v_cndmask_b32_e32 v6, 0, v0, vcc_lo
	v_lshlrev_b64_e32 v[1:2], 1, v[1:2]
	v_cmp_gt_i32_e64 s4, s30, v0
	s_lshl_b64 s[34:35], s[6:7], 9
	v_add3_u32 v4, v4, s5, v7
	v_cmp_gt_i32_e64 s5, s40, v5
	v_lshlrev_b32_e32 v17, 1, v6
	s_lshl_b64 s[14:15], s[14:15], 1
	s_lshl_b64 s[26:27], s[26:27], 1
	v_lshlrev_b64_e32 v[3:4], 1, v[3:4]
	s_lshl_b64 s[22:23], s[22:23], 1
	s_lshl_b64 s[36:37], s[36:37], 1
	;; [unrolled: 1-line block ×4, first 2 shown]
	s_branch .LBB607_4
.LBB607_2:                              ;   in Loop: Header=BB607_4 Depth=1
	s_wait_alu 0xfffe
	s_or_b32 exec_lo, exec_lo, s6
.LBB607_3:                              ;   in Loop: Header=BB607_4 Depth=1
	s_add_co_i32 s28, s28, 0x10000
	s_delay_alu instid0(SALU_CYCLE_1)
	s_cmp_lt_u32 s28, s33
	s_cbranch_scc0 .LBB607_63
.LBB607_4:                              ; =>This Loop Header: Depth=1
                                        ;     Child Loop BB607_31 Depth 2
	s_mul_u64 s[6:7], s[10:11], s[28:29]
	s_mul_u64 s[42:43], s[18:19], s[28:29]
	s_wait_alu 0xfffe
	s_lshl_b64 s[6:7], s[6:7], 2
	s_lshl_b64 s[42:43], s[42:43], 2
	s_wait_alu 0xfffe
	s_add_nc_u64 s[6:7], s[8:9], s[6:7]
	s_add_nc_u64 s[42:43], s[16:17], s[42:43]
	s_clause 0x1
	global_load_b32 v21, v13, s[6:7]
	global_load_b32 v5, v13, s[42:43]
	s_wait_loadcnt 0x1
	v_cmp_eq_f32_e64 s6, 0, v21
	s_wait_loadcnt 0x0
	v_cmp_eq_f32_e32 vcc_lo, 1.0, v5
	v_readfirstlane_b32 s31, v5
	s_wait_alu 0xfffe
	s_and_b32 s7, s6, vcc_lo
	s_wait_alu 0xfffe
	s_and_b32 vcc_lo, exec_lo, s7
	s_wait_alu 0xfffe
	s_cbranch_vccnz .LBB607_3
; %bb.5:                                ;   in Loop: Header=BB607_4 Depth=1
	v_mov_b32_e32 v5, 0
	s_wait_dscnt 0x0
	v_dual_mov_b32 v6, 0 :: v_dual_mov_b32 v7, 0
	v_cmp_neq_f32_e64 s7, 0, v21
	v_mov_b32_e32 v8, 0
	s_and_b32 vcc_lo, exec_lo, s6
	s_wait_alu 0xfffe
	s_cbranch_vccnz .LBB607_7
; %bb.6:                                ;   in Loop: Header=BB607_4 Depth=1
	s_lshl_b64 s[42:43], s[28:29], 3
	s_delay_alu instid0(SALU_CYCLE_1)
	s_add_nc_u64 s[42:43], s[12:13], s[42:43]
	global_load_b64 v[7:8], v13, s[42:43]
	s_wait_loadcnt 0x0
	v_add_co_u32 v7, vcc_lo, v7, s14
	s_wait_alu 0xfffd
	v_add_co_ci_u32_e64 v8, null, s15, v8, vcc_lo
.LBB607_7:                              ;   in Loop: Header=BB607_4 Depth=1
	s_and_not1_b32 vcc_lo, exec_lo, s7
	s_wait_alu 0xfffe
	s_cbranch_vccnz .LBB607_9
; %bb.8:                                ;   in Loop: Header=BB607_4 Depth=1
	s_lshl_b64 s[42:43], s[28:29], 3
	s_delay_alu instid0(SALU_CYCLE_1)
	s_add_nc_u64 s[42:43], s[24:25], s[42:43]
	global_load_b64 v[5:6], v13, s[42:43]
	s_wait_loadcnt 0x0
	v_add_co_u32 v5, vcc_lo, v5, s26
	s_wait_alu 0xfffd
	v_add_co_ci_u32_e64 v6, null, s27, v6, vcc_lo
.LBB607_9:                              ;   in Loop: Header=BB607_4 Depth=1
	s_lshl_b64 s[42:43], s[28:29], 3
	s_delay_alu instid0(SALU_CYCLE_1)
	s_add_nc_u64 s[42:43], s[20:21], s[42:43]
	global_load_b64 v[9:10], v13, s[42:43]
	s_wait_loadcnt 0x0
	v_add_co_u32 v19, vcc_lo, v9, s22
	s_wait_alu 0xfffd
	v_add_co_ci_u32_e64 v20, null, s23, v10, vcc_lo
	s_and_not1_b32 vcc_lo, exec_lo, s6
	s_wait_alu 0xfffe
	s_cbranch_vccnz .LBB607_17
; %bb.10:                               ;   in Loop: Header=BB607_4 Depth=1
	s_mov_b32 s6, 0
	s_mov_b32 s7, 0
                                        ; implicit-def: $vgpr9
	s_and_saveexec_b32 s42, s0
	s_cbranch_execz .LBB607_18
; %bb.11:                               ;   in Loop: Header=BB607_4 Depth=1
	s_cmp_eq_f32 s31, 0
	s_cbranch_scc1 .LBB607_19
; %bb.12:                               ;   in Loop: Header=BB607_4 Depth=1
	v_add_co_u32 v9, vcc_lo, v19, s36
	s_wait_alu 0xfffd
	v_add_co_ci_u32_e64 v10, null, s37, v20, vcc_lo
	flat_load_u16 v9, v[9:10]
	s_wait_loadcnt_dscnt 0x0
	v_lshlrev_b32_e32 v9, 16, v9
	s_delay_alu instid0(VALU_DEP_1) | instskip(NEXT) | instid1(VALU_DEP_1)
	v_mul_f32_e32 v9, s31, v9
	v_and_b32_e32 v10, 0x7f800000, v9
	s_delay_alu instid0(VALU_DEP_1)
	v_cmp_ne_u32_e32 vcc_lo, 0x7f800000, v10
                                        ; implicit-def: $vgpr10
	s_and_saveexec_b32 s7, vcc_lo
	s_wait_alu 0xfffe
	s_xor_b32 s7, exec_lo, s7
; %bb.13:                               ;   in Loop: Header=BB607_4 Depth=1
	v_bfe_u32 v10, v9, 16, 1
	s_delay_alu instid0(VALU_DEP_1)
	v_add3_u32 v10, v9, v10, 0x7fff
                                        ; implicit-def: $vgpr9
; %bb.14:                               ;   in Loop: Header=BB607_4 Depth=1
	s_wait_alu 0xfffe
	s_and_not1_saveexec_b32 s7, s7
; %bb.15:                               ;   in Loop: Header=BB607_4 Depth=1
	v_and_b32_e32 v10, 0xffff, v9
	v_or_b32_e32 v11, 0x10000, v9
	s_delay_alu instid0(VALU_DEP_2) | instskip(SKIP_1) | instid1(VALU_DEP_2)
	v_cmp_eq_u32_e32 vcc_lo, 0, v10
	s_wait_alu 0xfffd
	v_cndmask_b32_e32 v10, v11, v9, vcc_lo
; %bb.16:                               ;   in Loop: Header=BB607_4 Depth=1
	s_wait_alu 0xfffe
	s_or_b32 exec_lo, exec_lo, s7
	s_delay_alu instid0(VALU_DEP_1) | instskip(SKIP_2) | instid1(SALU_CYCLE_1)
	v_lshrrev_b32_e32 v9, 16, v10
	s_mov_b32 s7, exec_lo
	s_or_b32 exec_lo, exec_lo, s42
	s_and_b32 vcc_lo, exec_lo, s6
	s_wait_alu 0xfffe
	s_cbranch_vccnz .LBB607_20
	s_branch .LBB607_61
.LBB607_17:                             ;   in Loop: Header=BB607_4 Depth=1
	s_mov_b32 s7, 0
                                        ; implicit-def: $vgpr9
	s_cbranch_execnz .LBB607_20
	s_branch .LBB607_61
.LBB607_18:                             ;   in Loop: Header=BB607_4 Depth=1
	s_or_b32 exec_lo, exec_lo, s42
	s_wait_alu 0xfffe
	s_and_b32 vcc_lo, exec_lo, s6
	s_wait_alu 0xfffe
	s_cbranch_vccnz .LBB607_20
	s_branch .LBB607_61
.LBB607_19:                             ;   in Loop: Header=BB607_4 Depth=1
	v_mov_b32_e32 v9, 0
	s_mov_b32 s7, exec_lo
	s_or_b32 exec_lo, exec_lo, s42
	s_wait_alu 0xfffe
	s_and_b32 vcc_lo, exec_lo, s6
	s_wait_alu 0xfffe
	s_cbranch_vccz .LBB607_61
.LBB607_20:                             ;   in Loop: Header=BB607_4 Depth=1
	v_add_co_u32 v7, vcc_lo, v7, v17
	s_wait_alu 0xfffd
	v_add_co_ci_u32_e64 v8, null, 0, v8, vcc_lo
	v_mov_b32_e32 v22, 0
	s_delay_alu instid0(VALU_DEP_3) | instskip(SKIP_1) | instid1(VALU_DEP_3)
	v_add_co_u32 v7, vcc_lo, v7, s38
	s_wait_alu 0xfffd
	v_add_co_ci_u32_e64 v8, null, s39, v8, vcc_lo
	s_and_saveexec_b32 s42, s4
	s_cbranch_execnz .LBB607_29
; %bb.21:                               ;   in Loop: Header=BB607_4 Depth=1
	s_or_b32 exec_lo, exec_lo, s42
	s_and_saveexec_b32 s6, s5
	s_cbranch_execnz .LBB607_44
.LBB607_22:                             ;   in Loop: Header=BB607_4 Depth=1
	s_wait_alu 0xfffe
	s_or_b32 exec_lo, exec_lo, s6
	s_and_saveexec_b32 s6, s1
.LBB607_23:                             ;   in Loop: Header=BB607_4 Depth=1
	ds_store_b32 v15, v13
.LBB607_24:                             ;   in Loop: Header=BB607_4 Depth=1
	s_wait_alu 0xfffe
	s_or_b32 exec_lo, exec_lo, s6
	ds_bpermute_b32 v5, v18, v22
	v_cmp_gt_u32_e32 vcc_lo, 24, v14
	s_wait_dscnt 0x0
	s_barrier_signal -1
	s_barrier_wait -1
	global_inv scope:SCOPE_SE
	s_wait_alu 0xfffd
	v_cndmask_b32_e64 v6, 0, 8, vcc_lo
	v_cmp_gt_u32_e32 vcc_lo, 28, v14
	s_delay_alu instid0(VALU_DEP_2)
	v_add_lshl_u32 v6, v6, v14, 2
	v_add_f32_e32 v7, v22, v5
	s_wait_alu 0xfffd
	v_cndmask_b32_e64 v5, 0, 4, vcc_lo
	v_cmp_gt_u32_e32 vcc_lo, 30, v14
	ds_bpermute_b32 v6, v6, v7
	v_add_lshl_u32 v5, v5, v14, 2
	s_wait_dscnt 0x0
	v_add_f32_e32 v7, v7, v6
	s_wait_alu 0xfffd
	v_cndmask_b32_e64 v6, 0, 2, vcc_lo
	v_cmp_ne_u32_e32 vcc_lo, 31, v14
	ds_bpermute_b32 v8, v5, v7
	v_add_lshl_u32 v6, v6, v14, 2
	s_wait_alu 0xfffd
	v_add_co_ci_u32_e64 v9, null, 0, v14, vcc_lo
	s_wait_dscnt 0x0
	v_add_f32_e32 v7, v7, v8
	ds_bpermute_b32 v8, v6, v7
	s_wait_dscnt 0x0
	v_dual_add_f32 v8, v7, v8 :: v_dual_lshlrev_b32 v7, 2, v9
	ds_bpermute_b32 v9, v7, v8
	s_and_saveexec_b32 s6, s3
	s_cbranch_execz .LBB607_26
; %bb.25:                               ;   in Loop: Header=BB607_4 Depth=1
	s_wait_dscnt 0x0
	v_add_f32_e32 v8, v8, v9
	ds_store_b32 v16, v8
.LBB607_26:                             ;   in Loop: Header=BB607_4 Depth=1
	s_wait_alu 0xfffe
	s_or_b32 exec_lo, exec_lo, s6
	v_mov_b32_e32 v8, 0
	s_wait_loadcnt_dscnt 0x0
	s_barrier_signal -1
	s_barrier_wait -1
	global_inv scope:SCOPE_SE
	s_and_saveexec_b32 s6, s2
	s_cbranch_execnz .LBB607_35
; %bb.27:                               ;   in Loop: Header=BB607_4 Depth=1
	s_wait_alu 0xfffe
	s_or_b32 exec_lo, exec_lo, s6
	s_and_saveexec_b32 s6, s1
	s_cbranch_execnz .LBB607_36
.LBB607_28:                             ;   in Loop: Header=BB607_4 Depth=1
	s_wait_alu 0xfffe
	s_or_b32 exec_lo, exec_lo, s6
                                        ; implicit-def: $vgpr9
	s_and_saveexec_b32 s6, s0
	s_cbranch_execnz .LBB607_37
	s_branch .LBB607_60
.LBB607_29:                             ;   in Loop: Header=BB607_4 Depth=1
	v_add_co_u32 v9, vcc_lo, v5, v1
	v_dual_mov_b32 v12, v8 :: v_dual_mov_b32 v23, v0
	s_wait_alu 0xfffd
	v_add_co_ci_u32_e64 v10, null, v6, v2, vcc_lo
	v_dual_mov_b32 v22, 0 :: v_dual_mov_b32 v11, v7
	s_mov_b32 s43, 0
	s_branch .LBB607_31
.LBB607_30:                             ;   in Loop: Header=BB607_31 Depth=2
	s_wait_alu 0xfffe
	s_or_b32 exec_lo, exec_lo, s6
	s_delay_alu instid0(VALU_DEP_1)
	v_and_b32_e32 v24, 0xffff0000, v25
	v_add_nc_u32_e32 v23, 0x100, v23
	v_add_co_u32 v11, vcc_lo, 0x200, v11
	s_wait_alu 0xfffd
	v_add_co_ci_u32_e64 v12, null, 0, v12, vcc_lo
	v_add_f32_e32 v22, v22, v24
	v_cmp_le_i32_e32 vcc_lo, s30, v23
	v_add_co_u32 v9, s6, v9, s34
	s_wait_alu 0xf1ff
	v_add_co_ci_u32_e64 v10, null, s35, v10, s6
	s_or_b32 s43, vcc_lo, s43
	s_delay_alu instid0(SALU_CYCLE_1)
	s_and_not1_b32 exec_lo, exec_lo, s43
	s_cbranch_execz .LBB607_43
.LBB607_31:                             ;   Parent Loop BB607_4 Depth=1
                                        ; =>  This Inner Loop Header: Depth=2
	flat_load_u16 v24, v[9:10]
	flat_load_u16 v25, v[11:12]
	s_wait_loadcnt_dscnt 0x101
	v_lshlrev_b32_e32 v24, 16, v24
	s_wait_loadcnt_dscnt 0x0
	v_lshlrev_b32_e32 v25, 16, v25
	s_delay_alu instid0(VALU_DEP_1) | instskip(NEXT) | instid1(VALU_DEP_1)
	v_mul_f32_e32 v24, v25, v24
	v_and_b32_e32 v25, 0x7f800000, v24
	s_delay_alu instid0(VALU_DEP_1)
	v_cmp_ne_u32_e32 vcc_lo, 0x7f800000, v25
                                        ; implicit-def: $vgpr25
	s_and_saveexec_b32 s6, vcc_lo
	s_wait_alu 0xfffe
	s_xor_b32 s6, exec_lo, s6
; %bb.32:                               ;   in Loop: Header=BB607_31 Depth=2
	v_bfe_u32 v25, v24, 16, 1
	s_delay_alu instid0(VALU_DEP_1)
	v_add3_u32 v25, v24, v25, 0x7fff
                                        ; implicit-def: $vgpr24
; %bb.33:                               ;   in Loop: Header=BB607_31 Depth=2
	s_wait_alu 0xfffe
	s_and_not1_saveexec_b32 s6, s6
	s_cbranch_execz .LBB607_30
; %bb.34:                               ;   in Loop: Header=BB607_31 Depth=2
	v_and_b32_e32 v25, 0xffff, v24
	v_or_b32_e32 v26, 0x10000, v24
	s_delay_alu instid0(VALU_DEP_2) | instskip(SKIP_1) | instid1(VALU_DEP_2)
	v_cmp_eq_u32_e32 vcc_lo, 0, v25
	s_wait_alu 0xfffd
	v_cndmask_b32_e32 v25, v26, v24, vcc_lo
	s_branch .LBB607_30
.LBB607_35:                             ;   in Loop: Header=BB607_4 Depth=1
	ds_load_b32 v8, v15
	s_wait_alu 0xfffe
	s_or_b32 exec_lo, exec_lo, s6
	s_and_saveexec_b32 s6, s1
	s_cbranch_execz .LBB607_28
.LBB607_36:                             ;   in Loop: Header=BB607_4 Depth=1
	s_wait_dscnt 0x0
	ds_bpermute_b32 v5, v5, v8
	s_wait_dscnt 0x0
	v_add_f32_e32 v5, v8, v5
	ds_bpermute_b32 v6, v6, v5
	s_wait_dscnt 0x0
	v_add_f32_e32 v5, v5, v6
	;; [unrolled: 3-line block ×3, first 2 shown]
	s_wait_alu 0xfffe
	s_or_b32 exec_lo, exec_lo, s6
                                        ; implicit-def: $vgpr9
	s_and_saveexec_b32 s6, s0
	s_cbranch_execz .LBB607_60
.LBB607_37:                             ;   in Loop: Header=BB607_4 Depth=1
	s_wait_dscnt 0x0
	v_mul_f32_e32 v5, v21, v8
	s_cmp_eq_f32 s31, 0
	s_cbranch_scc0 .LBB607_49
; %bb.38:                               ;   in Loop: Header=BB607_4 Depth=1
	s_delay_alu instid0(VALU_DEP_1) | instskip(NEXT) | instid1(VALU_DEP_1)
	v_and_b32_e32 v6, 0x7f800000, v5
	v_cmp_ne_u32_e32 vcc_lo, 0x7f800000, v6
                                        ; implicit-def: $vgpr6
	s_and_saveexec_b32 s42, vcc_lo
	s_delay_alu instid0(SALU_CYCLE_1)
	s_xor_b32 s42, exec_lo, s42
; %bb.39:                               ;   in Loop: Header=BB607_4 Depth=1
	v_bfe_u32 v6, v5, 16, 1
	s_delay_alu instid0(VALU_DEP_1)
	v_add3_u32 v6, v5, v6, 0x7fff
; %bb.40:                               ;   in Loop: Header=BB607_4 Depth=1
	s_and_not1_saveexec_b32 s42, s42
; %bb.41:                               ;   in Loop: Header=BB607_4 Depth=1
	v_and_b32_e32 v6, 0xffff, v5
	v_or_b32_e32 v7, 0x10000, v5
	s_delay_alu instid0(VALU_DEP_2) | instskip(SKIP_1) | instid1(VALU_DEP_2)
	v_cmp_eq_u32_e32 vcc_lo, 0, v6
	s_wait_alu 0xfffd
	v_cndmask_b32_e32 v6, v7, v5, vcc_lo
; %bb.42:                               ;   in Loop: Header=BB607_4 Depth=1
	s_or_b32 exec_lo, exec_lo, s42
	s_cbranch_execz .LBB607_50
	s_branch .LBB607_59
.LBB607_43:                             ;   in Loop: Header=BB607_4 Depth=1
	s_or_b32 exec_lo, exec_lo, s43
	s_delay_alu instid0(SALU_CYCLE_1)
	s_or_b32 exec_lo, exec_lo, s42
	s_and_saveexec_b32 s6, s5
	s_cbranch_execz .LBB607_22
.LBB607_44:                             ;   in Loop: Header=BB607_4 Depth=1
	v_add_co_u32 v5, vcc_lo, v5, v3
	s_wait_alu 0xfffd
	v_add_co_ci_u32_e64 v6, null, v6, v4, vcc_lo
	v_add_co_u32 v7, vcc_lo, v7, s40
	s_wait_alu 0xfffd
	v_add_co_ci_u32_e64 v8, null, s41, v8, vcc_lo
	flat_load_u16 v5, v[5:6]
	flat_load_u16 v6, v[7:8]
	s_wait_loadcnt_dscnt 0x101
	v_lshlrev_b32_e32 v5, 16, v5
	s_wait_loadcnt_dscnt 0x0
	v_lshlrev_b32_e32 v6, 16, v6
	s_delay_alu instid0(VALU_DEP_1) | instskip(NEXT) | instid1(VALU_DEP_1)
	v_mul_f32_e32 v5, v6, v5
	v_and_b32_e32 v6, 0x7f800000, v5
	s_delay_alu instid0(VALU_DEP_1) | instskip(SKIP_1) | instid1(SALU_CYCLE_1)
	v_cmp_ne_u32_e32 vcc_lo, 0x7f800000, v6
                                        ; implicit-def: $vgpr6
	s_and_saveexec_b32 s42, vcc_lo
	s_xor_b32 s42, exec_lo, s42
; %bb.45:                               ;   in Loop: Header=BB607_4 Depth=1
	v_bfe_u32 v6, v5, 16, 1
	s_delay_alu instid0(VALU_DEP_1)
	v_add3_u32 v6, v5, v6, 0x7fff
                                        ; implicit-def: $vgpr5
; %bb.46:                               ;   in Loop: Header=BB607_4 Depth=1
	s_and_not1_saveexec_b32 s42, s42
; %bb.47:                               ;   in Loop: Header=BB607_4 Depth=1
	v_and_b32_e32 v6, 0xffff, v5
	v_or_b32_e32 v7, 0x10000, v5
	s_delay_alu instid0(VALU_DEP_2) | instskip(SKIP_1) | instid1(VALU_DEP_2)
	v_cmp_eq_u32_e32 vcc_lo, 0, v6
	s_wait_alu 0xfffd
	v_cndmask_b32_e32 v6, v7, v5, vcc_lo
; %bb.48:                               ;   in Loop: Header=BB607_4 Depth=1
	s_or_b32 exec_lo, exec_lo, s42
	s_delay_alu instid0(VALU_DEP_1) | instskip(NEXT) | instid1(VALU_DEP_1)
	v_and_b32_e32 v5, 0xffff0000, v6
	v_add_f32_e32 v22, v22, v5
	s_wait_alu 0xfffe
	s_or_b32 exec_lo, exec_lo, s6
	s_and_saveexec_b32 s6, s1
	s_cbranch_execnz .LBB607_23
	s_branch .LBB607_24
.LBB607_49:                             ;   in Loop: Header=BB607_4 Depth=1
                                        ; implicit-def: $vgpr6
.LBB607_50:                             ;   in Loop: Header=BB607_4 Depth=1
	v_add_co_u32 v6, vcc_lo, v19, s36
	s_wait_alu 0xfffd
	v_add_co_ci_u32_e64 v7, null, s37, v20, vcc_lo
	flat_load_u16 v6, v[6:7]
	s_wait_loadcnt_dscnt 0x0
	v_lshlrev_b32_e32 v6, 16, v6
	s_delay_alu instid0(VALU_DEP_1) | instskip(NEXT) | instid1(VALU_DEP_1)
	v_mul_f32_e32 v6, s31, v6
	v_and_b32_e32 v7, 0x7f800000, v6
	s_delay_alu instid0(VALU_DEP_1)
	v_cmp_ne_u32_e32 vcc_lo, 0x7f800000, v7
                                        ; implicit-def: $vgpr7
	s_and_saveexec_b32 s31, vcc_lo
	s_wait_alu 0xfffe
	s_xor_b32 s31, exec_lo, s31
; %bb.51:                               ;   in Loop: Header=BB607_4 Depth=1
	v_bfe_u32 v7, v6, 16, 1
	s_delay_alu instid0(VALU_DEP_1)
	v_add3_u32 v7, v6, v7, 0x7fff
                                        ; implicit-def: $vgpr6
; %bb.52:                               ;   in Loop: Header=BB607_4 Depth=1
	s_wait_alu 0xfffe
	s_and_not1_saveexec_b32 s31, s31
; %bb.53:                               ;   in Loop: Header=BB607_4 Depth=1
	v_and_b32_e32 v7, 0xffff, v6
	v_or_b32_e32 v8, 0x10000, v6
	s_delay_alu instid0(VALU_DEP_2) | instskip(SKIP_1) | instid1(VALU_DEP_2)
	v_cmp_eq_u32_e32 vcc_lo, 0, v7
	s_wait_alu 0xfffd
	v_cndmask_b32_e32 v7, v8, v6, vcc_lo
; %bb.54:                               ;   in Loop: Header=BB607_4 Depth=1
	s_wait_alu 0xfffe
	s_or_b32 exec_lo, exec_lo, s31
	s_delay_alu instid0(VALU_DEP_1) | instskip(NEXT) | instid1(VALU_DEP_1)
	v_and_b32_e32 v6, 0xffff0000, v7
	v_add_f32_e32 v5, v5, v6
	s_delay_alu instid0(VALU_DEP_1) | instskip(NEXT) | instid1(VALU_DEP_1)
	v_and_b32_e32 v6, 0x7f800000, v5
	v_cmp_ne_u32_e32 vcc_lo, 0x7f800000, v6
                                        ; implicit-def: $vgpr6
	s_and_saveexec_b32 s31, vcc_lo
	s_wait_alu 0xfffe
	s_xor_b32 s31, exec_lo, s31
; %bb.55:                               ;   in Loop: Header=BB607_4 Depth=1
	v_bfe_u32 v6, v5, 16, 1
	s_delay_alu instid0(VALU_DEP_1)
	v_add3_u32 v6, v5, v6, 0x7fff
                                        ; implicit-def: $vgpr5
; %bb.56:                               ;   in Loop: Header=BB607_4 Depth=1
	s_wait_alu 0xfffe
	s_and_not1_saveexec_b32 s31, s31
; %bb.57:                               ;   in Loop: Header=BB607_4 Depth=1
	v_and_b32_e32 v6, 0xffff, v5
	v_or_b32_e32 v7, 0x10000, v5
	s_delay_alu instid0(VALU_DEP_2) | instskip(SKIP_1) | instid1(VALU_DEP_2)
	v_cmp_eq_u32_e32 vcc_lo, 0, v6
	s_wait_alu 0xfffd
	v_cndmask_b32_e32 v6, v7, v5, vcc_lo
; %bb.58:                               ;   in Loop: Header=BB607_4 Depth=1
	s_wait_alu 0xfffe
	s_or_b32 exec_lo, exec_lo, s31
.LBB607_59:                             ;   in Loop: Header=BB607_4 Depth=1
	s_delay_alu instid0(VALU_DEP_1)
	v_lshrrev_b32_e32 v9, 16, v6
	s_or_b32 s7, s7, exec_lo
.LBB607_60:                             ;   in Loop: Header=BB607_4 Depth=1
	s_wait_alu 0xfffe
	s_or_b32 exec_lo, exec_lo, s6
.LBB607_61:                             ;   in Loop: Header=BB607_4 Depth=1
	s_wait_alu 0xfffe
	s_and_saveexec_b32 s6, s7
	s_cbranch_execz .LBB607_2
; %bb.62:                               ;   in Loop: Header=BB607_4 Depth=1
	v_add_co_u32 v5, vcc_lo, v19, s36
	s_wait_alu 0xfffd
	v_add_co_ci_u32_e64 v6, null, s37, v20, vcc_lo
	flat_store_b16 v[5:6], v9
	s_branch .LBB607_2
.LBB607_63:
	s_endpgm
	.section	.rodata,"a",@progbits
	.p2align	6, 0x0
	.amdhsa_kernel _ZL32rocblas_gemvt_warp_reduce_kernelILb0ELi256ElPK16rocblas_bfloat16PKfKPS0_EviiT3_lPKT2_lT1_lSA_lSB_lS7_lPT4_lSB_li
		.amdhsa_group_segment_fixed_size 128
		.amdhsa_private_segment_fixed_size 0
		.amdhsa_kernarg_size 140
		.amdhsa_user_sgpr_count 2
		.amdhsa_user_sgpr_dispatch_ptr 0
		.amdhsa_user_sgpr_queue_ptr 0
		.amdhsa_user_sgpr_kernarg_segment_ptr 1
		.amdhsa_user_sgpr_dispatch_id 0
		.amdhsa_user_sgpr_private_segment_size 0
		.amdhsa_wavefront_size32 1
		.amdhsa_uses_dynamic_stack 0
		.amdhsa_enable_private_segment 0
		.amdhsa_system_sgpr_workgroup_id_x 1
		.amdhsa_system_sgpr_workgroup_id_y 0
		.amdhsa_system_sgpr_workgroup_id_z 1
		.amdhsa_system_sgpr_workgroup_info 0
		.amdhsa_system_vgpr_workitem_id 0
		.amdhsa_next_free_vgpr 27
		.amdhsa_next_free_sgpr 44
		.amdhsa_reserve_vcc 1
		.amdhsa_float_round_mode_32 0
		.amdhsa_float_round_mode_16_64 0
		.amdhsa_float_denorm_mode_32 3
		.amdhsa_float_denorm_mode_16_64 3
		.amdhsa_fp16_overflow 0
		.amdhsa_workgroup_processor_mode 1
		.amdhsa_memory_ordered 1
		.amdhsa_forward_progress 1
		.amdhsa_inst_pref_size 19
		.amdhsa_round_robin_scheduling 0
		.amdhsa_exception_fp_ieee_invalid_op 0
		.amdhsa_exception_fp_denorm_src 0
		.amdhsa_exception_fp_ieee_div_zero 0
		.amdhsa_exception_fp_ieee_overflow 0
		.amdhsa_exception_fp_ieee_underflow 0
		.amdhsa_exception_fp_ieee_inexact 0
		.amdhsa_exception_int_div_zero 0
	.end_amdhsa_kernel
	.section	.text._ZL32rocblas_gemvt_warp_reduce_kernelILb0ELi256ElPK16rocblas_bfloat16PKfKPS0_EviiT3_lPKT2_lT1_lSA_lSB_lS7_lPT4_lSB_li,"axG",@progbits,_ZL32rocblas_gemvt_warp_reduce_kernelILb0ELi256ElPK16rocblas_bfloat16PKfKPS0_EviiT3_lPKT2_lT1_lSA_lSB_lS7_lPT4_lSB_li,comdat
.Lfunc_end607:
	.size	_ZL32rocblas_gemvt_warp_reduce_kernelILb0ELi256ElPK16rocblas_bfloat16PKfKPS0_EviiT3_lPKT2_lT1_lSA_lSB_lS7_lPT4_lSB_li, .Lfunc_end607-_ZL32rocblas_gemvt_warp_reduce_kernelILb0ELi256ElPK16rocblas_bfloat16PKfKPS0_EviiT3_lPKT2_lT1_lSA_lSB_lS7_lPT4_lSB_li
                                        ; -- End function
	.set _ZL32rocblas_gemvt_warp_reduce_kernelILb0ELi256ElPK16rocblas_bfloat16PKfKPS0_EviiT3_lPKT2_lT1_lSA_lSB_lS7_lPT4_lSB_li.num_vgpr, 27
	.set _ZL32rocblas_gemvt_warp_reduce_kernelILb0ELi256ElPK16rocblas_bfloat16PKfKPS0_EviiT3_lPKT2_lT1_lSA_lSB_lS7_lPT4_lSB_li.num_agpr, 0
	.set _ZL32rocblas_gemvt_warp_reduce_kernelILb0ELi256ElPK16rocblas_bfloat16PKfKPS0_EviiT3_lPKT2_lT1_lSA_lSB_lS7_lPT4_lSB_li.numbered_sgpr, 44
	.set _ZL32rocblas_gemvt_warp_reduce_kernelILb0ELi256ElPK16rocblas_bfloat16PKfKPS0_EviiT3_lPKT2_lT1_lSA_lSB_lS7_lPT4_lSB_li.num_named_barrier, 0
	.set _ZL32rocblas_gemvt_warp_reduce_kernelILb0ELi256ElPK16rocblas_bfloat16PKfKPS0_EviiT3_lPKT2_lT1_lSA_lSB_lS7_lPT4_lSB_li.private_seg_size, 0
	.set _ZL32rocblas_gemvt_warp_reduce_kernelILb0ELi256ElPK16rocblas_bfloat16PKfKPS0_EviiT3_lPKT2_lT1_lSA_lSB_lS7_lPT4_lSB_li.uses_vcc, 1
	.set _ZL32rocblas_gemvt_warp_reduce_kernelILb0ELi256ElPK16rocblas_bfloat16PKfKPS0_EviiT3_lPKT2_lT1_lSA_lSB_lS7_lPT4_lSB_li.uses_flat_scratch, 0
	.set _ZL32rocblas_gemvt_warp_reduce_kernelILb0ELi256ElPK16rocblas_bfloat16PKfKPS0_EviiT3_lPKT2_lT1_lSA_lSB_lS7_lPT4_lSB_li.has_dyn_sized_stack, 0
	.set _ZL32rocblas_gemvt_warp_reduce_kernelILb0ELi256ElPK16rocblas_bfloat16PKfKPS0_EviiT3_lPKT2_lT1_lSA_lSB_lS7_lPT4_lSB_li.has_recursion, 0
	.set _ZL32rocblas_gemvt_warp_reduce_kernelILb0ELi256ElPK16rocblas_bfloat16PKfKPS0_EviiT3_lPKT2_lT1_lSA_lSB_lS7_lPT4_lSB_li.has_indirect_call, 0
	.section	.AMDGPU.csdata,"",@progbits
; Kernel info:
; codeLenInByte = 2408
; TotalNumSgprs: 46
; NumVgprs: 27
; ScratchSize: 0
; MemoryBound: 0
; FloatMode: 240
; IeeeMode: 1
; LDSByteSize: 128 bytes/workgroup (compile time only)
; SGPRBlocks: 0
; VGPRBlocks: 3
; NumSGPRsForWavesPerEU: 46
; NumVGPRsForWavesPerEU: 27
; Occupancy: 16
; WaveLimiterHint : 1
; COMPUTE_PGM_RSRC2:SCRATCH_EN: 0
; COMPUTE_PGM_RSRC2:USER_SGPR: 2
; COMPUTE_PGM_RSRC2:TRAP_HANDLER: 0
; COMPUTE_PGM_RSRC2:TGID_X_EN: 1
; COMPUTE_PGM_RSRC2:TGID_Y_EN: 0
; COMPUTE_PGM_RSRC2:TGID_Z_EN: 1
; COMPUTE_PGM_RSRC2:TIDIG_COMP_CNT: 0
	.section	.text._ZL32rocblas_gemvt_warp_reduce_kernelILb0ELi256EiPK16rocblas_bfloat16fKPS0_EviiT3_lPKT2_lT1_lS8_lS9_lS5_lPT4_lS9_li,"axG",@progbits,_ZL32rocblas_gemvt_warp_reduce_kernelILb0ELi256EiPK16rocblas_bfloat16fKPS0_EviiT3_lPKT2_lT1_lS8_lS9_lS5_lPT4_lS9_li,comdat
	.globl	_ZL32rocblas_gemvt_warp_reduce_kernelILb0ELi256EiPK16rocblas_bfloat16fKPS0_EviiT3_lPKT2_lT1_lS8_lS9_lS5_lPT4_lS9_li ; -- Begin function _ZL32rocblas_gemvt_warp_reduce_kernelILb0ELi256EiPK16rocblas_bfloat16fKPS0_EviiT3_lPKT2_lT1_lS8_lS9_lS5_lPT4_lS9_li
	.p2align	8
	.type	_ZL32rocblas_gemvt_warp_reduce_kernelILb0ELi256EiPK16rocblas_bfloat16fKPS0_EviiT3_lPKT2_lT1_lS8_lS9_lS5_lPT4_lS9_li,@function
_ZL32rocblas_gemvt_warp_reduce_kernelILb0ELi256EiPK16rocblas_bfloat16fKPS0_EviiT3_lPKT2_lT1_lS8_lS9_lS5_lPT4_lS9_li: ; @_ZL32rocblas_gemvt_warp_reduce_kernelILb0ELi256EiPK16rocblas_bfloat16fKPS0_EviiT3_lPKT2_lT1_lS8_lS9_lS5_lPT4_lS9_li
; %bb.0:
	s_load_b32 s7, s[0:1], 0x88
	s_lshr_b32 s20, ttmp7, 16
	s_wait_kmcnt 0x0
	s_cmp_ge_u32 s20, s7
	s_cbranch_scc1 .LBB608_66
; %bb.1:
	s_clause 0x8
	s_load_b32 s30, s[0:1], 0x8
	s_load_b32 s31, s[0:1], 0x58
	s_load_b128 s[8:11], s[0:1], 0x18
	s_load_b32 s4, s[0:1], 0x28
	s_load_b32 s5, s[0:1], 0x0
	s_load_b128 s[12:15], s[0:1], 0x38
	s_load_b32 s6, s[0:1], 0x48
	s_load_b128 s[16:19], s[0:1], 0x68
	s_load_b32 s22, s[0:1], 0x78
	v_lshrrev_b32_e32 v2, 3, v0
	v_dual_mov_b32 v12, 0 :: v_dual_and_b32 v1, 31, v0
	v_mbcnt_lo_u32_b32 v16, -1, 0
	v_cmp_eq_u32_e64 s0, 0, v0
	s_mov_b32 s21, 0
	v_lshlrev_b32_e32 v13, 2, v1
	v_cmp_eq_u32_e64 s3, 0, v1
	v_lshl_or_b32 v18, v16, 2, 64
	s_wait_kmcnt 0x0
	s_cmp_eq_f32 s30, 0
	v_cmp_gt_i32_e32 vcc_lo, s5, v0
	v_and_b32_e32 v14, 28, v2
	s_cselect_b32 s33, -1, 0
	s_cmp_neq_f32 s31, 1.0
	s_mul_i32 s24, s22, ttmp9
	v_cndmask_b32_e32 v3, 0, v0, vcc_lo
	v_mul_lo_u32 v15, v0, s6
	s_cselect_b32 s2, -1, 0
	s_cmp_neq_f32 s30, 0
	s_mul_i32 s26, s4, ttmp9
	v_lshlrev_b32_e32 v17, 1, v3
	s_cselect_b32 s1, -1, 0
	s_delay_alu instid0(SALU_CYCLE_1)
	s_or_b32 s34, s1, s2
	s_cmp_neq_f32 s31, 0
	v_cndmask_b32_e64 v11, 0, 1, s1
	v_cmp_gt_u32_e64 s1, 32, v0
	v_cmp_gt_u32_e64 s2, 8, v0
	s_cselect_b32 s35, -1, 0
	s_cmp_eq_f32 s31, 0
	s_cselect_b32 s36, -1, 0
	s_ashr_i32 s23, s5, 31
	s_ashr_i32 s25, s24, 31
	s_lshr_b32 s23, s23, 24
	s_ashr_i32 s27, s26, 31
	s_add_co_i32 s23, s5, s23
	s_lshl_b32 s37, s6, 8
	s_and_b32 s22, s23, 0xffffff00
	s_lshl_b64 s[10:11], s[10:11], 1
	v_or_b32_e32 v2, s22, v0
	v_cmp_gt_i32_e64 s4, s22, v0
	s_ashr_i32 s23, s22, 31
	s_lshl_b64 s[14:15], s[14:15], 1
	s_lshl_b64 s[18:19], s[18:19], 1
	v_mul_lo_u32 v1, s6, v2
	v_cmp_gt_i32_e64 s5, s5, v2
	s_lshl_b64 s[24:25], s[24:25], 1
	s_lshl_b64 s[26:27], s[26:27], 1
	s_wait_alu 0xfffe
	s_lshl_b64 s[28:29], s[22:23], 1
	v_ashrrev_i32_e32 v2, 31, v1
	s_delay_alu instid0(VALU_DEP_1)
	v_lshlrev_b64_e32 v[1:2], 1, v[1:2]
	s_branch .LBB608_4
.LBB608_2:                              ;   in Loop: Header=BB608_4 Depth=1
	s_wait_alu 0xfffe
	s_or_b32 exec_lo, exec_lo, s6
.LBB608_3:                              ;   in Loop: Header=BB608_4 Depth=1
	s_add_co_i32 s20, s20, 0x10000
	s_delay_alu instid0(SALU_CYCLE_1)
	s_cmp_lt_u32 s20, s7
	s_cbranch_scc0 .LBB608_66
.LBB608_4:                              ; =>This Loop Header: Depth=1
                                        ;     Child Loop BB608_34 Depth 2
	s_and_not1_b32 vcc_lo, exec_lo, s34
	s_wait_alu 0xfffe
	s_cbranch_vccnz .LBB608_3
; %bb.5:                                ;   in Loop: Header=BB608_4 Depth=1
	s_and_not1_b32 vcc_lo, exec_lo, s33
	s_wait_alu 0xfffe
	s_cbranch_vccnz .LBB608_7
; %bb.6:                                ;   in Loop: Header=BB608_4 Depth=1
	s_mov_b32 s6, 0
	s_branch .LBB608_8
.LBB608_7:                              ;   in Loop: Header=BB608_4 Depth=1
	s_mov_b32 s6, -1
.LBB608_8:                              ;   in Loop: Header=BB608_4 Depth=1
	v_mov_b32_e32 v3, 0
	s_wait_dscnt 0x0
	v_dual_mov_b32 v4, 0 :: v_dual_mov_b32 v5, 0
	v_mov_b32_e32 v6, 0
	s_wait_alu 0xfffe
	s_and_not1_b32 vcc_lo, exec_lo, s6
	s_wait_alu 0xfffe
	s_cbranch_vccnz .LBB608_10
; %bb.9:                                ;   in Loop: Header=BB608_4 Depth=1
	s_lshl_b64 s[38:39], s[20:21], 3
	s_delay_alu instid0(SALU_CYCLE_1)
	s_add_nc_u64 s[38:39], s[8:9], s[38:39]
	global_load_b64 v[5:6], v12, s[38:39]
	s_wait_loadcnt 0x0
	v_add_co_u32 v5, vcc_lo, v5, s10
	s_wait_alu 0xfffd
	v_add_co_ci_u32_e64 v6, null, s11, v6, vcc_lo
.LBB608_10:                             ;   in Loop: Header=BB608_4 Depth=1
	v_cmp_ne_u32_e32 vcc_lo, 1, v11
	s_cbranch_vccnz .LBB608_12
; %bb.11:                               ;   in Loop: Header=BB608_4 Depth=1
	s_lshl_b64 s[38:39], s[20:21], 3
	s_delay_alu instid0(SALU_CYCLE_1)
	s_add_nc_u64 s[38:39], s[12:13], s[38:39]
	global_load_b64 v[3:4], v12, s[38:39]
	s_wait_loadcnt 0x0
	v_add_co_u32 v3, vcc_lo, v3, s14
	s_wait_alu 0xfffd
	v_add_co_ci_u32_e64 v4, null, s15, v4, vcc_lo
.LBB608_12:                             ;   in Loop: Header=BB608_4 Depth=1
	s_lshl_b64 s[38:39], s[20:21], 3
	s_delay_alu instid0(SALU_CYCLE_1)
	s_add_nc_u64 s[38:39], s[16:17], s[38:39]
	global_load_b64 v[7:8], v12, s[38:39]
	s_wait_loadcnt 0x0
	v_add_co_u32 v19, vcc_lo, v7, s18
	s_wait_alu 0xfffd
	v_add_co_ci_u32_e64 v20, null, s19, v8, vcc_lo
	s_and_not1_b32 vcc_lo, exec_lo, s33
	s_wait_alu 0xfffe
	s_cbranch_vccnz .LBB608_20
; %bb.13:                               ;   in Loop: Header=BB608_4 Depth=1
	s_mov_b32 s6, 0
	s_mov_b32 s23, 0
                                        ; implicit-def: $vgpr7
	s_and_saveexec_b32 s38, s0
	s_cbranch_execz .LBB608_21
; %bb.14:                               ;   in Loop: Header=BB608_4 Depth=1
	s_and_not1_b32 vcc_lo, exec_lo, s35
	s_wait_alu 0xfffe
	s_cbranch_vccnz .LBB608_22
; %bb.15:                               ;   in Loop: Header=BB608_4 Depth=1
	v_add_co_u32 v7, vcc_lo, v19, s24
	s_wait_alu 0xfffd
	v_add_co_ci_u32_e64 v8, null, s25, v20, vcc_lo
	flat_load_u16 v7, v[7:8]
	s_wait_loadcnt_dscnt 0x0
	v_lshlrev_b32_e32 v7, 16, v7
	s_delay_alu instid0(VALU_DEP_1) | instskip(NEXT) | instid1(VALU_DEP_1)
	v_mul_f32_e32 v7, s31, v7
	v_and_b32_e32 v8, 0x7f800000, v7
	s_delay_alu instid0(VALU_DEP_1)
	v_cmp_ne_u32_e32 vcc_lo, 0x7f800000, v8
                                        ; implicit-def: $vgpr8
	s_and_saveexec_b32 s23, vcc_lo
	s_wait_alu 0xfffe
	s_xor_b32 s23, exec_lo, s23
; %bb.16:                               ;   in Loop: Header=BB608_4 Depth=1
	v_bfe_u32 v8, v7, 16, 1
	s_delay_alu instid0(VALU_DEP_1)
	v_add3_u32 v8, v7, v8, 0x7fff
                                        ; implicit-def: $vgpr7
; %bb.17:                               ;   in Loop: Header=BB608_4 Depth=1
	s_wait_alu 0xfffe
	s_and_not1_saveexec_b32 s23, s23
; %bb.18:                               ;   in Loop: Header=BB608_4 Depth=1
	v_and_b32_e32 v8, 0xffff, v7
	v_or_b32_e32 v9, 0x10000, v7
	s_delay_alu instid0(VALU_DEP_2) | instskip(SKIP_1) | instid1(VALU_DEP_2)
	v_cmp_eq_u32_e32 vcc_lo, 0, v8
	s_wait_alu 0xfffd
	v_cndmask_b32_e32 v8, v9, v7, vcc_lo
; %bb.19:                               ;   in Loop: Header=BB608_4 Depth=1
	s_wait_alu 0xfffe
	s_or_b32 exec_lo, exec_lo, s23
	s_delay_alu instid0(VALU_DEP_1) | instskip(SKIP_2) | instid1(SALU_CYCLE_1)
	v_lshrrev_b32_e32 v7, 16, v8
	s_mov_b32 s23, exec_lo
	s_or_b32 exec_lo, exec_lo, s38
	s_and_b32 vcc_lo, exec_lo, s6
	s_wait_alu 0xfffe
	s_cbranch_vccnz .LBB608_23
	s_branch .LBB608_58
.LBB608_20:                             ;   in Loop: Header=BB608_4 Depth=1
	s_mov_b32 s23, 0
                                        ; implicit-def: $vgpr7
	s_cbranch_execnz .LBB608_23
	s_branch .LBB608_58
.LBB608_21:                             ;   in Loop: Header=BB608_4 Depth=1
	s_or_b32 exec_lo, exec_lo, s38
	s_wait_alu 0xfffe
	s_and_b32 vcc_lo, exec_lo, s6
	s_wait_alu 0xfffe
	s_cbranch_vccnz .LBB608_23
	s_branch .LBB608_58
.LBB608_22:                             ;   in Loop: Header=BB608_4 Depth=1
	v_mov_b32_e32 v7, 0
	s_mov_b32 s23, exec_lo
	s_or_b32 exec_lo, exec_lo, s38
	s_delay_alu instid0(SALU_CYCLE_1)
	s_and_b32 vcc_lo, exec_lo, s6
	s_wait_alu 0xfffe
	s_cbranch_vccz .LBB608_58
.LBB608_23:                             ;   in Loop: Header=BB608_4 Depth=1
	v_add_co_u32 v5, vcc_lo, v5, v17
	s_wait_alu 0xfffd
	v_add_co_ci_u32_e64 v6, null, 0, v6, vcc_lo
	v_mov_b32_e32 v21, 0
	s_delay_alu instid0(VALU_DEP_3) | instskip(SKIP_1) | instid1(VALU_DEP_3)
	v_add_co_u32 v5, vcc_lo, v5, s26
	s_wait_alu 0xfffd
	v_add_co_ci_u32_e64 v6, null, s27, v6, vcc_lo
	s_and_saveexec_b32 s38, s4
	s_cbranch_execnz .LBB608_32
; %bb.24:                               ;   in Loop: Header=BB608_4 Depth=1
	s_or_b32 exec_lo, exec_lo, s38
	s_and_saveexec_b32 s6, s5
	s_cbranch_execnz .LBB608_61
.LBB608_25:                             ;   in Loop: Header=BB608_4 Depth=1
	s_wait_alu 0xfffe
	s_or_b32 exec_lo, exec_lo, s6
	s_and_saveexec_b32 s6, s1
.LBB608_26:                             ;   in Loop: Header=BB608_4 Depth=1
	ds_store_b32 v13, v12
.LBB608_27:                             ;   in Loop: Header=BB608_4 Depth=1
	s_wait_alu 0xfffe
	s_or_b32 exec_lo, exec_lo, s6
	ds_bpermute_b32 v3, v18, v21
	v_cmp_gt_u32_e32 vcc_lo, 24, v16
	s_wait_dscnt 0x0
	s_barrier_signal -1
	s_barrier_wait -1
	global_inv scope:SCOPE_SE
	s_wait_alu 0xfffd
	v_cndmask_b32_e64 v4, 0, 8, vcc_lo
	v_cmp_gt_u32_e32 vcc_lo, 28, v16
	s_delay_alu instid0(VALU_DEP_2)
	v_add_lshl_u32 v4, v4, v16, 2
	v_add_f32_e32 v5, v21, v3
	s_wait_alu 0xfffd
	v_cndmask_b32_e64 v3, 0, 4, vcc_lo
	v_cmp_gt_u32_e32 vcc_lo, 30, v16
	ds_bpermute_b32 v4, v4, v5
	v_add_lshl_u32 v3, v3, v16, 2
	s_wait_dscnt 0x0
	v_add_f32_e32 v5, v5, v4
	s_wait_alu 0xfffd
	v_cndmask_b32_e64 v4, 0, 2, vcc_lo
	v_cmp_ne_u32_e32 vcc_lo, 31, v16
	ds_bpermute_b32 v6, v3, v5
	v_add_lshl_u32 v4, v4, v16, 2
	s_wait_alu 0xfffd
	v_add_co_ci_u32_e64 v7, null, 0, v16, vcc_lo
	s_wait_dscnt 0x0
	v_add_f32_e32 v5, v5, v6
	ds_bpermute_b32 v6, v4, v5
	s_wait_dscnt 0x0
	v_dual_add_f32 v6, v5, v6 :: v_dual_lshlrev_b32 v5, 2, v7
	ds_bpermute_b32 v7, v5, v6
	s_and_saveexec_b32 s6, s3
	s_cbranch_execz .LBB608_29
; %bb.28:                               ;   in Loop: Header=BB608_4 Depth=1
	s_wait_dscnt 0x0
	v_add_f32_e32 v6, v6, v7
	ds_store_b32 v14, v6
.LBB608_29:                             ;   in Loop: Header=BB608_4 Depth=1
	s_wait_alu 0xfffe
	s_or_b32 exec_lo, exec_lo, s6
	v_mov_b32_e32 v6, 0
	s_wait_loadcnt_dscnt 0x0
	s_barrier_signal -1
	s_barrier_wait -1
	global_inv scope:SCOPE_SE
	s_and_saveexec_b32 s6, s2
	s_cbranch_execnz .LBB608_38
; %bb.30:                               ;   in Loop: Header=BB608_4 Depth=1
	s_wait_alu 0xfffe
	s_or_b32 exec_lo, exec_lo, s6
	s_and_saveexec_b32 s6, s1
	s_cbranch_execnz .LBB608_39
.LBB608_31:                             ;   in Loop: Header=BB608_4 Depth=1
	s_wait_alu 0xfffe
	s_or_b32 exec_lo, exec_lo, s6
                                        ; implicit-def: $vgpr7
	s_and_saveexec_b32 s6, s0
	s_cbranch_execnz .LBB608_40
	s_branch .LBB608_57
.LBB608_32:                             ;   in Loop: Header=BB608_4 Depth=1
	v_dual_mov_b32 v21, 0 :: v_dual_mov_b32 v10, v6
	v_dual_mov_b32 v7, v15 :: v_dual_mov_b32 v22, v0
	v_mov_b32_e32 v9, v5
	s_mov_b32 s39, 0
	s_branch .LBB608_34
.LBB608_33:                             ;   in Loop: Header=BB608_34 Depth=2
	s_wait_alu 0xfffe
	s_or_b32 exec_lo, exec_lo, s6
	s_delay_alu instid0(VALU_DEP_1)
	v_and_b32_e32 v8, 0xffff0000, v23
	v_add_nc_u32_e32 v22, 0x100, v22
	v_add_co_u32 v9, s6, 0x200, v9
	s_wait_alu 0xf1ff
	v_add_co_ci_u32_e64 v10, null, 0, v10, s6
	v_add_f32_e32 v21, v21, v8
	v_cmp_le_i32_e32 vcc_lo, s22, v22
	v_add_nc_u32_e32 v7, s37, v7
	s_or_b32 s39, vcc_lo, s39
	s_delay_alu instid0(SALU_CYCLE_1)
	s_and_not1_b32 exec_lo, exec_lo, s39
	s_cbranch_execz .LBB608_60
.LBB608_34:                             ;   Parent Loop BB608_4 Depth=1
                                        ; =>  This Inner Loop Header: Depth=2
	s_delay_alu instid0(VALU_DEP_1) | instskip(NEXT) | instid1(VALU_DEP_1)
	v_ashrrev_i32_e32 v8, 31, v7
	v_lshlrev_b64_e32 v[23:24], 1, v[7:8]
	s_delay_alu instid0(VALU_DEP_1) | instskip(SKIP_1) | instid1(VALU_DEP_2)
	v_add_co_u32 v23, vcc_lo, v3, v23
	s_wait_alu 0xfffd
	v_add_co_ci_u32_e64 v24, null, v4, v24, vcc_lo
	flat_load_u16 v8, v[9:10]
	flat_load_u16 v23, v[23:24]
	s_wait_loadcnt_dscnt 0x101
	v_lshlrev_b32_e32 v8, 16, v8
	s_wait_loadcnt_dscnt 0x0
	v_lshlrev_b32_e32 v23, 16, v23
	s_delay_alu instid0(VALU_DEP_1) | instskip(NEXT) | instid1(VALU_DEP_1)
	v_mul_f32_e32 v8, v8, v23
	v_and_b32_e32 v23, 0x7f800000, v8
	s_delay_alu instid0(VALU_DEP_1)
	v_cmp_ne_u32_e32 vcc_lo, 0x7f800000, v23
                                        ; implicit-def: $vgpr23
	s_and_saveexec_b32 s6, vcc_lo
	s_wait_alu 0xfffe
	s_xor_b32 s6, exec_lo, s6
; %bb.35:                               ;   in Loop: Header=BB608_34 Depth=2
	v_bfe_u32 v23, v8, 16, 1
	s_delay_alu instid0(VALU_DEP_1)
	v_add3_u32 v23, v8, v23, 0x7fff
                                        ; implicit-def: $vgpr8
; %bb.36:                               ;   in Loop: Header=BB608_34 Depth=2
	s_wait_alu 0xfffe
	s_and_not1_saveexec_b32 s6, s6
	s_cbranch_execz .LBB608_33
; %bb.37:                               ;   in Loop: Header=BB608_34 Depth=2
	v_and_b32_e32 v23, 0xffff, v8
	v_or_b32_e32 v24, 0x10000, v8
	s_delay_alu instid0(VALU_DEP_2) | instskip(SKIP_1) | instid1(VALU_DEP_2)
	v_cmp_eq_u32_e32 vcc_lo, 0, v23
	s_wait_alu 0xfffd
	v_cndmask_b32_e32 v23, v24, v8, vcc_lo
	s_branch .LBB608_33
.LBB608_38:                             ;   in Loop: Header=BB608_4 Depth=1
	ds_load_b32 v6, v13
	s_wait_alu 0xfffe
	s_or_b32 exec_lo, exec_lo, s6
	s_and_saveexec_b32 s6, s1
	s_cbranch_execz .LBB608_31
.LBB608_39:                             ;   in Loop: Header=BB608_4 Depth=1
	s_wait_dscnt 0x0
	ds_bpermute_b32 v3, v3, v6
	s_wait_dscnt 0x0
	v_add_f32_e32 v3, v6, v3
	ds_bpermute_b32 v4, v4, v3
	s_wait_dscnt 0x0
	v_add_f32_e32 v3, v3, v4
	;; [unrolled: 3-line block ×3, first 2 shown]
	s_wait_alu 0xfffe
	s_or_b32 exec_lo, exec_lo, s6
                                        ; implicit-def: $vgpr7
	s_and_saveexec_b32 s6, s0
	s_cbranch_execz .LBB608_57
.LBB608_40:                             ;   in Loop: Header=BB608_4 Depth=1
	s_wait_dscnt 0x0
	v_mul_f32_e32 v3, s30, v6
	s_and_b32 vcc_lo, exec_lo, s36
	s_mov_b32 s38, -1
                                        ; implicit-def: $vgpr4
	s_wait_alu 0xfffe
	s_cbranch_vccz .LBB608_46
; %bb.41:                               ;   in Loop: Header=BB608_4 Depth=1
	v_and_b32_e32 v4, 0x7f800000, v3
	s_delay_alu instid0(VALU_DEP_1) | instskip(SKIP_1) | instid1(SALU_CYCLE_1)
	v_cmp_ne_u32_e32 vcc_lo, 0x7f800000, v4
                                        ; implicit-def: $vgpr4
	s_and_saveexec_b32 s38, vcc_lo
	s_xor_b32 s38, exec_lo, s38
; %bb.42:                               ;   in Loop: Header=BB608_4 Depth=1
	v_bfe_u32 v4, v3, 16, 1
	s_delay_alu instid0(VALU_DEP_1)
	v_add3_u32 v4, v3, v4, 0x7fff
; %bb.43:                               ;   in Loop: Header=BB608_4 Depth=1
	s_and_not1_saveexec_b32 s38, s38
; %bb.44:                               ;   in Loop: Header=BB608_4 Depth=1
	v_and_b32_e32 v4, 0xffff, v3
	v_or_b32_e32 v5, 0x10000, v3
	s_delay_alu instid0(VALU_DEP_2) | instskip(SKIP_1) | instid1(VALU_DEP_2)
	v_cmp_eq_u32_e32 vcc_lo, 0, v4
	s_wait_alu 0xfffd
	v_cndmask_b32_e32 v4, v5, v3, vcc_lo
; %bb.45:                               ;   in Loop: Header=BB608_4 Depth=1
	s_or_b32 exec_lo, exec_lo, s38
	s_mov_b32 s38, 0
.LBB608_46:                             ;   in Loop: Header=BB608_4 Depth=1
	s_delay_alu instid0(SALU_CYCLE_1)
	s_and_not1_b32 vcc_lo, exec_lo, s38
	s_wait_alu 0xfffe
	s_cbranch_vccnz .LBB608_56
; %bb.47:                               ;   in Loop: Header=BB608_4 Depth=1
	v_add_co_u32 v4, vcc_lo, v19, s24
	s_wait_alu 0xfffd
	v_add_co_ci_u32_e64 v5, null, s25, v20, vcc_lo
	flat_load_u16 v4, v[4:5]
	s_wait_loadcnt_dscnt 0x0
	v_lshlrev_b32_e32 v4, 16, v4
	s_delay_alu instid0(VALU_DEP_1) | instskip(NEXT) | instid1(VALU_DEP_1)
	v_mul_f32_e32 v4, s31, v4
	v_and_b32_e32 v5, 0x7f800000, v4
	s_delay_alu instid0(VALU_DEP_1) | instskip(SKIP_1) | instid1(SALU_CYCLE_1)
	v_cmp_ne_u32_e32 vcc_lo, 0x7f800000, v5
                                        ; implicit-def: $vgpr5
	s_and_saveexec_b32 s38, vcc_lo
	s_xor_b32 s38, exec_lo, s38
; %bb.48:                               ;   in Loop: Header=BB608_4 Depth=1
	v_bfe_u32 v5, v4, 16, 1
	s_delay_alu instid0(VALU_DEP_1)
	v_add3_u32 v5, v4, v5, 0x7fff
                                        ; implicit-def: $vgpr4
; %bb.49:                               ;   in Loop: Header=BB608_4 Depth=1
	s_and_not1_saveexec_b32 s38, s38
; %bb.50:                               ;   in Loop: Header=BB608_4 Depth=1
	v_and_b32_e32 v5, 0xffff, v4
	v_or_b32_e32 v6, 0x10000, v4
	s_delay_alu instid0(VALU_DEP_2) | instskip(SKIP_1) | instid1(VALU_DEP_2)
	v_cmp_eq_u32_e32 vcc_lo, 0, v5
	s_wait_alu 0xfffd
	v_cndmask_b32_e32 v5, v6, v4, vcc_lo
; %bb.51:                               ;   in Loop: Header=BB608_4 Depth=1
	s_or_b32 exec_lo, exec_lo, s38
	s_delay_alu instid0(VALU_DEP_1) | instskip(NEXT) | instid1(VALU_DEP_1)
	v_and_b32_e32 v4, 0xffff0000, v5
	v_add_f32_e32 v3, v3, v4
	s_delay_alu instid0(VALU_DEP_1) | instskip(NEXT) | instid1(VALU_DEP_1)
	v_and_b32_e32 v4, 0x7f800000, v3
	v_cmp_ne_u32_e32 vcc_lo, 0x7f800000, v4
                                        ; implicit-def: $vgpr4
	s_and_saveexec_b32 s38, vcc_lo
	s_delay_alu instid0(SALU_CYCLE_1)
	s_xor_b32 s38, exec_lo, s38
; %bb.52:                               ;   in Loop: Header=BB608_4 Depth=1
	v_bfe_u32 v4, v3, 16, 1
	s_delay_alu instid0(VALU_DEP_1)
	v_add3_u32 v4, v3, v4, 0x7fff
                                        ; implicit-def: $vgpr3
; %bb.53:                               ;   in Loop: Header=BB608_4 Depth=1
	s_and_not1_saveexec_b32 s38, s38
; %bb.54:                               ;   in Loop: Header=BB608_4 Depth=1
	v_and_b32_e32 v4, 0xffff, v3
	v_or_b32_e32 v5, 0x10000, v3
	s_delay_alu instid0(VALU_DEP_2) | instskip(SKIP_1) | instid1(VALU_DEP_2)
	v_cmp_eq_u32_e32 vcc_lo, 0, v4
	s_wait_alu 0xfffd
	v_cndmask_b32_e32 v4, v5, v3, vcc_lo
; %bb.55:                               ;   in Loop: Header=BB608_4 Depth=1
	s_or_b32 exec_lo, exec_lo, s38
.LBB608_56:                             ;   in Loop: Header=BB608_4 Depth=1
	s_delay_alu instid0(VALU_DEP_1)
	v_lshrrev_b32_e32 v7, 16, v4
	s_or_b32 s23, s23, exec_lo
.LBB608_57:                             ;   in Loop: Header=BB608_4 Depth=1
	s_wait_alu 0xfffe
	s_or_b32 exec_lo, exec_lo, s6
.LBB608_58:                             ;   in Loop: Header=BB608_4 Depth=1
	s_wait_alu 0xfffe
	s_and_saveexec_b32 s6, s23
	s_cbranch_execz .LBB608_2
; %bb.59:                               ;   in Loop: Header=BB608_4 Depth=1
	v_add_co_u32 v3, vcc_lo, v19, s24
	s_wait_alu 0xfffd
	v_add_co_ci_u32_e64 v4, null, s25, v20, vcc_lo
	flat_store_b16 v[3:4], v7
	s_branch .LBB608_2
.LBB608_60:                             ;   in Loop: Header=BB608_4 Depth=1
	s_or_b32 exec_lo, exec_lo, s39
	s_delay_alu instid0(SALU_CYCLE_1)
	s_or_b32 exec_lo, exec_lo, s38
	s_and_saveexec_b32 s6, s5
	s_cbranch_execz .LBB608_25
.LBB608_61:                             ;   in Loop: Header=BB608_4 Depth=1
	v_add_co_u32 v3, vcc_lo, v3, v1
	s_wait_alu 0xfffd
	v_add_co_ci_u32_e64 v4, null, v4, v2, vcc_lo
	v_add_co_u32 v5, vcc_lo, v5, s28
	s_wait_alu 0xfffd
	v_add_co_ci_u32_e64 v6, null, s29, v6, vcc_lo
	flat_load_u16 v3, v[3:4]
	flat_load_u16 v4, v[5:6]
	s_wait_loadcnt_dscnt 0x101
	v_lshlrev_b32_e32 v3, 16, v3
	s_wait_loadcnt_dscnt 0x0
	v_lshlrev_b32_e32 v4, 16, v4
	s_delay_alu instid0(VALU_DEP_1) | instskip(NEXT) | instid1(VALU_DEP_1)
	v_mul_f32_e32 v3, v4, v3
	v_and_b32_e32 v4, 0x7f800000, v3
	s_delay_alu instid0(VALU_DEP_1) | instskip(SKIP_1) | instid1(SALU_CYCLE_1)
	v_cmp_ne_u32_e32 vcc_lo, 0x7f800000, v4
                                        ; implicit-def: $vgpr4
	s_and_saveexec_b32 s38, vcc_lo
	s_xor_b32 s38, exec_lo, s38
; %bb.62:                               ;   in Loop: Header=BB608_4 Depth=1
	v_bfe_u32 v4, v3, 16, 1
	s_delay_alu instid0(VALU_DEP_1)
	v_add3_u32 v4, v3, v4, 0x7fff
                                        ; implicit-def: $vgpr3
; %bb.63:                               ;   in Loop: Header=BB608_4 Depth=1
	s_and_not1_saveexec_b32 s38, s38
; %bb.64:                               ;   in Loop: Header=BB608_4 Depth=1
	v_and_b32_e32 v4, 0xffff, v3
	v_or_b32_e32 v5, 0x10000, v3
	s_delay_alu instid0(VALU_DEP_2) | instskip(SKIP_1) | instid1(VALU_DEP_2)
	v_cmp_eq_u32_e32 vcc_lo, 0, v4
	s_wait_alu 0xfffd
	v_cndmask_b32_e32 v4, v5, v3, vcc_lo
; %bb.65:                               ;   in Loop: Header=BB608_4 Depth=1
	s_or_b32 exec_lo, exec_lo, s38
	s_delay_alu instid0(VALU_DEP_1) | instskip(NEXT) | instid1(VALU_DEP_1)
	v_and_b32_e32 v3, 0xffff0000, v4
	v_add_f32_e32 v21, v21, v3
	s_wait_alu 0xfffe
	s_or_b32 exec_lo, exec_lo, s6
	s_and_saveexec_b32 s6, s1
	s_cbranch_execnz .LBB608_26
	s_branch .LBB608_27
.LBB608_66:
	s_endpgm
	.section	.rodata,"a",@progbits
	.p2align	6, 0x0
	.amdhsa_kernel _ZL32rocblas_gemvt_warp_reduce_kernelILb0ELi256EiPK16rocblas_bfloat16fKPS0_EviiT3_lPKT2_lT1_lS8_lS9_lS5_lPT4_lS9_li
		.amdhsa_group_segment_fixed_size 128
		.amdhsa_private_segment_fixed_size 0
		.amdhsa_kernarg_size 140
		.amdhsa_user_sgpr_count 2
		.amdhsa_user_sgpr_dispatch_ptr 0
		.amdhsa_user_sgpr_queue_ptr 0
		.amdhsa_user_sgpr_kernarg_segment_ptr 1
		.amdhsa_user_sgpr_dispatch_id 0
		.amdhsa_user_sgpr_private_segment_size 0
		.amdhsa_wavefront_size32 1
		.amdhsa_uses_dynamic_stack 0
		.amdhsa_enable_private_segment 0
		.amdhsa_system_sgpr_workgroup_id_x 1
		.amdhsa_system_sgpr_workgroup_id_y 0
		.amdhsa_system_sgpr_workgroup_id_z 1
		.amdhsa_system_sgpr_workgroup_info 0
		.amdhsa_system_vgpr_workitem_id 0
		.amdhsa_next_free_vgpr 25
		.amdhsa_next_free_sgpr 40
		.amdhsa_reserve_vcc 1
		.amdhsa_float_round_mode_32 0
		.amdhsa_float_round_mode_16_64 0
		.amdhsa_float_denorm_mode_32 3
		.amdhsa_float_denorm_mode_16_64 3
		.amdhsa_fp16_overflow 0
		.amdhsa_workgroup_processor_mode 1
		.amdhsa_memory_ordered 1
		.amdhsa_forward_progress 1
		.amdhsa_inst_pref_size 19
		.amdhsa_round_robin_scheduling 0
		.amdhsa_exception_fp_ieee_invalid_op 0
		.amdhsa_exception_fp_denorm_src 0
		.amdhsa_exception_fp_ieee_div_zero 0
		.amdhsa_exception_fp_ieee_overflow 0
		.amdhsa_exception_fp_ieee_underflow 0
		.amdhsa_exception_fp_ieee_inexact 0
		.amdhsa_exception_int_div_zero 0
	.end_amdhsa_kernel
	.section	.text._ZL32rocblas_gemvt_warp_reduce_kernelILb0ELi256EiPK16rocblas_bfloat16fKPS0_EviiT3_lPKT2_lT1_lS8_lS9_lS5_lPT4_lS9_li,"axG",@progbits,_ZL32rocblas_gemvt_warp_reduce_kernelILb0ELi256EiPK16rocblas_bfloat16fKPS0_EviiT3_lPKT2_lT1_lS8_lS9_lS5_lPT4_lS9_li,comdat
.Lfunc_end608:
	.size	_ZL32rocblas_gemvt_warp_reduce_kernelILb0ELi256EiPK16rocblas_bfloat16fKPS0_EviiT3_lPKT2_lT1_lS8_lS9_lS5_lPT4_lS9_li, .Lfunc_end608-_ZL32rocblas_gemvt_warp_reduce_kernelILb0ELi256EiPK16rocblas_bfloat16fKPS0_EviiT3_lPKT2_lT1_lS8_lS9_lS5_lPT4_lS9_li
                                        ; -- End function
	.set _ZL32rocblas_gemvt_warp_reduce_kernelILb0ELi256EiPK16rocblas_bfloat16fKPS0_EviiT3_lPKT2_lT1_lS8_lS9_lS5_lPT4_lS9_li.num_vgpr, 25
	.set _ZL32rocblas_gemvt_warp_reduce_kernelILb0ELi256EiPK16rocblas_bfloat16fKPS0_EviiT3_lPKT2_lT1_lS8_lS9_lS5_lPT4_lS9_li.num_agpr, 0
	.set _ZL32rocblas_gemvt_warp_reduce_kernelILb0ELi256EiPK16rocblas_bfloat16fKPS0_EviiT3_lPKT2_lT1_lS8_lS9_lS5_lPT4_lS9_li.numbered_sgpr, 40
	.set _ZL32rocblas_gemvt_warp_reduce_kernelILb0ELi256EiPK16rocblas_bfloat16fKPS0_EviiT3_lPKT2_lT1_lS8_lS9_lS5_lPT4_lS9_li.num_named_barrier, 0
	.set _ZL32rocblas_gemvt_warp_reduce_kernelILb0ELi256EiPK16rocblas_bfloat16fKPS0_EviiT3_lPKT2_lT1_lS8_lS9_lS5_lPT4_lS9_li.private_seg_size, 0
	.set _ZL32rocblas_gemvt_warp_reduce_kernelILb0ELi256EiPK16rocblas_bfloat16fKPS0_EviiT3_lPKT2_lT1_lS8_lS9_lS5_lPT4_lS9_li.uses_vcc, 1
	.set _ZL32rocblas_gemvt_warp_reduce_kernelILb0ELi256EiPK16rocblas_bfloat16fKPS0_EviiT3_lPKT2_lT1_lS8_lS9_lS5_lPT4_lS9_li.uses_flat_scratch, 0
	.set _ZL32rocblas_gemvt_warp_reduce_kernelILb0ELi256EiPK16rocblas_bfloat16fKPS0_EviiT3_lPKT2_lT1_lS8_lS9_lS5_lPT4_lS9_li.has_dyn_sized_stack, 0
	.set _ZL32rocblas_gemvt_warp_reduce_kernelILb0ELi256EiPK16rocblas_bfloat16fKPS0_EviiT3_lPKT2_lT1_lS8_lS9_lS5_lPT4_lS9_li.has_recursion, 0
	.set _ZL32rocblas_gemvt_warp_reduce_kernelILb0ELi256EiPK16rocblas_bfloat16fKPS0_EviiT3_lPKT2_lT1_lS8_lS9_lS5_lPT4_lS9_li.has_indirect_call, 0
	.section	.AMDGPU.csdata,"",@progbits
; Kernel info:
; codeLenInByte = 2380
; TotalNumSgprs: 42
; NumVgprs: 25
; ScratchSize: 0
; MemoryBound: 0
; FloatMode: 240
; IeeeMode: 1
; LDSByteSize: 128 bytes/workgroup (compile time only)
; SGPRBlocks: 0
; VGPRBlocks: 3
; NumSGPRsForWavesPerEU: 42
; NumVGPRsForWavesPerEU: 25
; Occupancy: 16
; WaveLimiterHint : 1
; COMPUTE_PGM_RSRC2:SCRATCH_EN: 0
; COMPUTE_PGM_RSRC2:USER_SGPR: 2
; COMPUTE_PGM_RSRC2:TRAP_HANDLER: 0
; COMPUTE_PGM_RSRC2:TGID_X_EN: 1
; COMPUTE_PGM_RSRC2:TGID_Y_EN: 0
; COMPUTE_PGM_RSRC2:TGID_Z_EN: 1
; COMPUTE_PGM_RSRC2:TIDIG_COMP_CNT: 0
	.section	.text._ZL32rocblas_gemvt_warp_reduce_kernelILb0ELi256ElPK16rocblas_bfloat16fKPS0_EviiT3_lPKT2_lT1_lS8_lS9_lS5_lPT4_lS9_li,"axG",@progbits,_ZL32rocblas_gemvt_warp_reduce_kernelILb0ELi256ElPK16rocblas_bfloat16fKPS0_EviiT3_lPKT2_lT1_lS8_lS9_lS5_lPT4_lS9_li,comdat
	.globl	_ZL32rocblas_gemvt_warp_reduce_kernelILb0ELi256ElPK16rocblas_bfloat16fKPS0_EviiT3_lPKT2_lT1_lS8_lS9_lS5_lPT4_lS9_li ; -- Begin function _ZL32rocblas_gemvt_warp_reduce_kernelILb0ELi256ElPK16rocblas_bfloat16fKPS0_EviiT3_lPKT2_lT1_lS8_lS9_lS5_lPT4_lS9_li
	.p2align	8
	.type	_ZL32rocblas_gemvt_warp_reduce_kernelILb0ELi256ElPK16rocblas_bfloat16fKPS0_EviiT3_lPKT2_lT1_lS8_lS9_lS5_lPT4_lS9_li,@function
_ZL32rocblas_gemvt_warp_reduce_kernelILb0ELi256ElPK16rocblas_bfloat16fKPS0_EviiT3_lPKT2_lT1_lS8_lS9_lS5_lPT4_lS9_li: ; @_ZL32rocblas_gemvt_warp_reduce_kernelILb0ELi256ElPK16rocblas_bfloat16fKPS0_EviiT3_lPKT2_lT1_lS8_lS9_lS5_lPT4_lS9_li
; %bb.0:
	s_load_b32 s33, s[0:1], 0x88
	s_lshr_b32 s20, ttmp7, 16
	s_wait_kmcnt 0x0
	s_cmp_ge_u32 s20, s33
	s_cbranch_scc1 .LBB609_66
; %bb.1:
	s_clause 0x6
	s_load_b32 s34, s[0:1], 0x8
	s_load_b32 s35, s[0:1], 0x58
	s_load_b64 s[6:7], s[0:1], 0x48
	s_load_b128 s[8:11], s[0:1], 0x38
	s_load_b32 s40, s[0:1], 0x0
	s_load_b128 s[12:15], s[0:1], 0x18
	s_load_b64 s[26:27], s[0:1], 0x28
	v_and_b32_e32 v3, 31, v0
	s_clause 0x1
	s_load_b64 s[28:29], s[0:1], 0x78
	s_load_b128 s[16:19], s[0:1], 0x68
	v_lshrrev_b32_e32 v4, 3, v0
	v_mov_b32_e32 v13, 0
	v_mbcnt_lo_u32_b32 v17, -1, 0
	v_lshlrev_b32_e32 v15, 2, v3
	s_mov_b32 s4, ttmp9
	v_and_b32_e32 v16, 28, v4
	v_cmp_eq_u32_e64 s0, 0, v0
	v_cmp_gt_u32_e64 s1, 32, v0
	v_lshl_or_b32 v19, v17, 2, 64
	s_mov_b32 s21, 0
	s_wait_kmcnt 0x0
	s_cmp_eq_f32 s34, 0
	v_mad_co_u64_u32 v[1:2], null, s6, v0, 0
	s_cselect_b32 s36, -1, 0
	s_cmp_neq_f32 s35, 1.0
	v_cmp_gt_i32_e32 vcc_lo, s40, v0
	s_cselect_b32 s2, -1, 0
	s_cmp_neq_f32 s34, 0
	v_cndmask_b32_e32 v5, 0, v0, vcc_lo
	s_cselect_b32 s3, -1, 0
	s_delay_alu instid0(SALU_CYCLE_1)
	s_or_b32 s37, s3, s2
	s_cmp_neq_f32 s35, 0
	v_cndmask_b32_e64 v14, 0, 1, s3
	v_cmp_eq_u32_e64 s3, 0, v3
	v_mad_co_u64_u32 v[2:3], null, s7, v0, v[2:3]
	s_cselect_b32 s38, -1, 0
	s_cmp_eq_f32 s35, 0
	v_cmp_gt_u32_e64 s2, 8, v0
	v_lshlrev_b32_e32 v18, 1, v5
	s_cselect_b32 s39, -1, 0
	s_ashr_i32 s5, s40, 31
	s_lshl_b64 s[24:25], s[6:7], 9
	s_lshr_b32 s5, s5, 24
	v_lshlrev_b64_e32 v[1:2], 1, v[1:2]
	s_add_co_i32 s5, s40, s5
	s_lshl_b64 s[14:15], s[14:15], 1
	s_and_b32 s22, s5, 0xffffff00
	s_ashr_i32 s5, ttmp9, 31
	v_or_b32_e32 v6, s22, v0
	s_ashr_i32 s23, s22, 31
	s_mul_u64 s[28:29], s[28:29], s[4:5]
	s_mul_u64 s[30:31], s[26:27], s[4:5]
	v_cmp_gt_i32_e64 s4, s22, v0
	v_mul_lo_u32 v7, s7, v6
	v_mad_co_u64_u32 v[3:4], null, s6, v6, 0
	s_wait_alu 0xfffe
	s_mul_i32 s6, s6, s23
	v_cmp_gt_i32_e64 s5, s40, v6
	s_lshl_b64 s[10:11], s[10:11], 1
	s_lshl_b64 s[18:19], s[18:19], 1
	;; [unrolled: 1-line block ×4, first 2 shown]
	s_wait_alu 0xfffe
	v_add3_u32 v4, v4, s6, v7
	s_lshl_b64 s[30:31], s[22:23], 1
	s_delay_alu instid0(VALU_DEP_1)
	v_lshlrev_b64_e32 v[3:4], 1, v[3:4]
	s_branch .LBB609_4
.LBB609_2:                              ;   in Loop: Header=BB609_4 Depth=1
	s_wait_alu 0xfffe
	s_or_b32 exec_lo, exec_lo, s6
.LBB609_3:                              ;   in Loop: Header=BB609_4 Depth=1
	s_add_co_i32 s20, s20, 0x10000
	s_delay_alu instid0(SALU_CYCLE_1)
	s_cmp_lt_u32 s20, s33
	s_cbranch_scc0 .LBB609_66
.LBB609_4:                              ; =>This Loop Header: Depth=1
                                        ;     Child Loop BB609_34 Depth 2
	s_and_not1_b32 vcc_lo, exec_lo, s37
	s_wait_alu 0xfffe
	s_cbranch_vccnz .LBB609_3
; %bb.5:                                ;   in Loop: Header=BB609_4 Depth=1
	s_and_not1_b32 vcc_lo, exec_lo, s36
	s_wait_alu 0xfffe
	s_cbranch_vccnz .LBB609_7
; %bb.6:                                ;   in Loop: Header=BB609_4 Depth=1
	s_mov_b32 s6, 0
	s_branch .LBB609_8
.LBB609_7:                              ;   in Loop: Header=BB609_4 Depth=1
	s_mov_b32 s6, -1
.LBB609_8:                              ;   in Loop: Header=BB609_4 Depth=1
	v_mov_b32_e32 v5, 0
	s_wait_dscnt 0x0
	v_dual_mov_b32 v6, 0 :: v_dual_mov_b32 v7, 0
	v_mov_b32_e32 v8, 0
	s_wait_alu 0xfffe
	s_and_not1_b32 vcc_lo, exec_lo, s6
	s_wait_alu 0xfffe
	s_cbranch_vccnz .LBB609_10
; %bb.9:                                ;   in Loop: Header=BB609_4 Depth=1
	s_lshl_b64 s[6:7], s[20:21], 3
	s_wait_alu 0xfffe
	s_add_nc_u64 s[6:7], s[12:13], s[6:7]
	global_load_b64 v[7:8], v13, s[6:7]
	s_wait_loadcnt 0x0
	v_add_co_u32 v7, vcc_lo, v7, s14
	s_wait_alu 0xfffd
	v_add_co_ci_u32_e64 v8, null, s15, v8, vcc_lo
.LBB609_10:                             ;   in Loop: Header=BB609_4 Depth=1
	v_cmp_ne_u32_e32 vcc_lo, 1, v14
	s_cbranch_vccnz .LBB609_12
; %bb.11:                               ;   in Loop: Header=BB609_4 Depth=1
	s_lshl_b64 s[6:7], s[20:21], 3
	s_wait_alu 0xfffe
	s_add_nc_u64 s[6:7], s[8:9], s[6:7]
	global_load_b64 v[5:6], v13, s[6:7]
	s_wait_loadcnt 0x0
	v_add_co_u32 v5, vcc_lo, v5, s10
	s_wait_alu 0xfffd
	v_add_co_ci_u32_e64 v6, null, s11, v6, vcc_lo
.LBB609_12:                             ;   in Loop: Header=BB609_4 Depth=1
	s_lshl_b64 s[6:7], s[20:21], 3
	s_wait_alu 0xfffe
	s_add_nc_u64 s[6:7], s[16:17], s[6:7]
	global_load_b64 v[9:10], v13, s[6:7]
	s_wait_loadcnt 0x0
	v_add_co_u32 v20, vcc_lo, v9, s18
	s_wait_alu 0xfffd
	v_add_co_ci_u32_e64 v21, null, s19, v10, vcc_lo
	s_and_not1_b32 vcc_lo, exec_lo, s36
	s_wait_alu 0xfffe
	s_cbranch_vccnz .LBB609_20
; %bb.13:                               ;   in Loop: Header=BB609_4 Depth=1
	s_mov_b32 s6, 0
	s_mov_b32 s7, 0
                                        ; implicit-def: $vgpr9
	s_and_saveexec_b32 s23, s0
	s_cbranch_execz .LBB609_21
; %bb.14:                               ;   in Loop: Header=BB609_4 Depth=1
	s_and_not1_b32 vcc_lo, exec_lo, s38
	s_wait_alu 0xfffe
	s_cbranch_vccnz .LBB609_22
; %bb.15:                               ;   in Loop: Header=BB609_4 Depth=1
	v_add_co_u32 v9, vcc_lo, v20, s26
	s_wait_alu 0xfffd
	v_add_co_ci_u32_e64 v10, null, s27, v21, vcc_lo
	flat_load_u16 v9, v[9:10]
	s_wait_loadcnt_dscnt 0x0
	v_lshlrev_b32_e32 v9, 16, v9
	s_delay_alu instid0(VALU_DEP_1) | instskip(NEXT) | instid1(VALU_DEP_1)
	v_mul_f32_e32 v9, s35, v9
	v_and_b32_e32 v10, 0x7f800000, v9
	s_delay_alu instid0(VALU_DEP_1)
	v_cmp_ne_u32_e32 vcc_lo, 0x7f800000, v10
                                        ; implicit-def: $vgpr10
	s_and_saveexec_b32 s7, vcc_lo
	s_wait_alu 0xfffe
	s_xor_b32 s7, exec_lo, s7
; %bb.16:                               ;   in Loop: Header=BB609_4 Depth=1
	v_bfe_u32 v10, v9, 16, 1
	s_delay_alu instid0(VALU_DEP_1)
	v_add3_u32 v10, v9, v10, 0x7fff
                                        ; implicit-def: $vgpr9
; %bb.17:                               ;   in Loop: Header=BB609_4 Depth=1
	s_wait_alu 0xfffe
	s_and_not1_saveexec_b32 s7, s7
; %bb.18:                               ;   in Loop: Header=BB609_4 Depth=1
	v_and_b32_e32 v10, 0xffff, v9
	v_or_b32_e32 v11, 0x10000, v9
	s_delay_alu instid0(VALU_DEP_2) | instskip(SKIP_1) | instid1(VALU_DEP_2)
	v_cmp_eq_u32_e32 vcc_lo, 0, v10
	s_wait_alu 0xfffd
	v_cndmask_b32_e32 v10, v11, v9, vcc_lo
; %bb.19:                               ;   in Loop: Header=BB609_4 Depth=1
	s_wait_alu 0xfffe
	s_or_b32 exec_lo, exec_lo, s7
	s_delay_alu instid0(VALU_DEP_1) | instskip(SKIP_2) | instid1(SALU_CYCLE_1)
	v_lshrrev_b32_e32 v9, 16, v10
	s_mov_b32 s7, exec_lo
	s_or_b32 exec_lo, exec_lo, s23
	s_and_b32 vcc_lo, exec_lo, s6
	s_wait_alu 0xfffe
	s_cbranch_vccnz .LBB609_23
	s_branch .LBB609_58
.LBB609_20:                             ;   in Loop: Header=BB609_4 Depth=1
	s_mov_b32 s7, 0
                                        ; implicit-def: $vgpr9
	s_cbranch_execnz .LBB609_23
	s_branch .LBB609_58
.LBB609_21:                             ;   in Loop: Header=BB609_4 Depth=1
	s_wait_alu 0xfffe
	s_or_b32 exec_lo, exec_lo, s23
	s_delay_alu instid0(SALU_CYCLE_1)
	s_and_b32 vcc_lo, exec_lo, s6
	s_wait_alu 0xfffe
	s_cbranch_vccnz .LBB609_23
	s_branch .LBB609_58
.LBB609_22:                             ;   in Loop: Header=BB609_4 Depth=1
	v_mov_b32_e32 v9, 0
	s_mov_b32 s7, exec_lo
	s_or_b32 exec_lo, exec_lo, s23
	s_delay_alu instid0(SALU_CYCLE_1)
	s_and_b32 vcc_lo, exec_lo, s6
	s_wait_alu 0xfffe
	s_cbranch_vccz .LBB609_58
.LBB609_23:                             ;   in Loop: Header=BB609_4 Depth=1
	v_add_co_u32 v7, vcc_lo, v7, v18
	s_wait_alu 0xfffd
	v_add_co_ci_u32_e64 v8, null, 0, v8, vcc_lo
	v_mov_b32_e32 v22, 0
	s_delay_alu instid0(VALU_DEP_3) | instskip(SKIP_1) | instid1(VALU_DEP_3)
	v_add_co_u32 v7, vcc_lo, v7, s28
	s_wait_alu 0xfffd
	v_add_co_ci_u32_e64 v8, null, s29, v8, vcc_lo
	s_and_saveexec_b32 s23, s4
	s_cbranch_execnz .LBB609_32
; %bb.24:                               ;   in Loop: Header=BB609_4 Depth=1
	s_wait_alu 0xfffe
	s_or_b32 exec_lo, exec_lo, s23
	s_and_saveexec_b32 s6, s5
	s_cbranch_execnz .LBB609_61
.LBB609_25:                             ;   in Loop: Header=BB609_4 Depth=1
	s_wait_alu 0xfffe
	s_or_b32 exec_lo, exec_lo, s6
	s_and_saveexec_b32 s6, s1
.LBB609_26:                             ;   in Loop: Header=BB609_4 Depth=1
	ds_store_b32 v15, v13
.LBB609_27:                             ;   in Loop: Header=BB609_4 Depth=1
	s_wait_alu 0xfffe
	s_or_b32 exec_lo, exec_lo, s6
	ds_bpermute_b32 v5, v19, v22
	v_cmp_gt_u32_e32 vcc_lo, 24, v17
	s_wait_dscnt 0x0
	s_barrier_signal -1
	s_barrier_wait -1
	global_inv scope:SCOPE_SE
	s_wait_alu 0xfffd
	v_cndmask_b32_e64 v6, 0, 8, vcc_lo
	v_cmp_gt_u32_e32 vcc_lo, 28, v17
	s_delay_alu instid0(VALU_DEP_2)
	v_add_lshl_u32 v6, v6, v17, 2
	v_add_f32_e32 v7, v22, v5
	s_wait_alu 0xfffd
	v_cndmask_b32_e64 v5, 0, 4, vcc_lo
	v_cmp_gt_u32_e32 vcc_lo, 30, v17
	ds_bpermute_b32 v6, v6, v7
	v_add_lshl_u32 v5, v5, v17, 2
	s_wait_dscnt 0x0
	v_add_f32_e32 v7, v7, v6
	s_wait_alu 0xfffd
	v_cndmask_b32_e64 v6, 0, 2, vcc_lo
	v_cmp_ne_u32_e32 vcc_lo, 31, v17
	ds_bpermute_b32 v8, v5, v7
	v_add_lshl_u32 v6, v6, v17, 2
	s_wait_alu 0xfffd
	v_add_co_ci_u32_e64 v9, null, 0, v17, vcc_lo
	s_wait_dscnt 0x0
	v_add_f32_e32 v7, v7, v8
	ds_bpermute_b32 v8, v6, v7
	s_wait_dscnt 0x0
	v_dual_add_f32 v8, v7, v8 :: v_dual_lshlrev_b32 v7, 2, v9
	ds_bpermute_b32 v9, v7, v8
	s_and_saveexec_b32 s6, s3
	s_cbranch_execz .LBB609_29
; %bb.28:                               ;   in Loop: Header=BB609_4 Depth=1
	s_wait_dscnt 0x0
	v_add_f32_e32 v8, v8, v9
	ds_store_b32 v16, v8
.LBB609_29:                             ;   in Loop: Header=BB609_4 Depth=1
	s_wait_alu 0xfffe
	s_or_b32 exec_lo, exec_lo, s6
	v_mov_b32_e32 v8, 0
	s_wait_loadcnt_dscnt 0x0
	s_barrier_signal -1
	s_barrier_wait -1
	global_inv scope:SCOPE_SE
	s_and_saveexec_b32 s6, s2
	s_cbranch_execnz .LBB609_38
; %bb.30:                               ;   in Loop: Header=BB609_4 Depth=1
	s_wait_alu 0xfffe
	s_or_b32 exec_lo, exec_lo, s6
	s_and_saveexec_b32 s6, s1
	s_cbranch_execnz .LBB609_39
.LBB609_31:                             ;   in Loop: Header=BB609_4 Depth=1
	s_wait_alu 0xfffe
	s_or_b32 exec_lo, exec_lo, s6
                                        ; implicit-def: $vgpr9
	s_and_saveexec_b32 s6, s0
	s_cbranch_execnz .LBB609_40
	s_branch .LBB609_57
.LBB609_32:                             ;   in Loop: Header=BB609_4 Depth=1
	v_add_co_u32 v9, vcc_lo, v5, v1
	v_dual_mov_b32 v12, v8 :: v_dual_mov_b32 v23, v0
	s_wait_alu 0xfffd
	v_add_co_ci_u32_e64 v10, null, v6, v2, vcc_lo
	v_dual_mov_b32 v22, 0 :: v_dual_mov_b32 v11, v7
	s_mov_b32 s40, 0
	s_branch .LBB609_34
.LBB609_33:                             ;   in Loop: Header=BB609_34 Depth=2
	s_wait_alu 0xfffe
	s_or_b32 exec_lo, exec_lo, s6
	s_delay_alu instid0(VALU_DEP_1)
	v_and_b32_e32 v24, 0xffff0000, v25
	v_add_nc_u32_e32 v23, 0x100, v23
	v_add_co_u32 v11, vcc_lo, 0x200, v11
	s_wait_alu 0xfffd
	v_add_co_ci_u32_e64 v12, null, 0, v12, vcc_lo
	v_add_f32_e32 v22, v22, v24
	v_cmp_le_i32_e32 vcc_lo, s22, v23
	v_add_co_u32 v9, s6, v9, s24
	s_wait_alu 0xf1ff
	v_add_co_ci_u32_e64 v10, null, s25, v10, s6
	s_or_b32 s40, vcc_lo, s40
	s_wait_alu 0xfffe
	s_and_not1_b32 exec_lo, exec_lo, s40
	s_cbranch_execz .LBB609_60
.LBB609_34:                             ;   Parent Loop BB609_4 Depth=1
                                        ; =>  This Inner Loop Header: Depth=2
	flat_load_u16 v24, v[9:10]
	flat_load_u16 v25, v[11:12]
	s_wait_loadcnt_dscnt 0x101
	v_lshlrev_b32_e32 v24, 16, v24
	s_wait_loadcnt_dscnt 0x0
	v_lshlrev_b32_e32 v25, 16, v25
	s_delay_alu instid0(VALU_DEP_1) | instskip(NEXT) | instid1(VALU_DEP_1)
	v_mul_f32_e32 v24, v25, v24
	v_and_b32_e32 v25, 0x7f800000, v24
	s_delay_alu instid0(VALU_DEP_1)
	v_cmp_ne_u32_e32 vcc_lo, 0x7f800000, v25
                                        ; implicit-def: $vgpr25
	s_and_saveexec_b32 s6, vcc_lo
	s_wait_alu 0xfffe
	s_xor_b32 s6, exec_lo, s6
; %bb.35:                               ;   in Loop: Header=BB609_34 Depth=2
	v_bfe_u32 v25, v24, 16, 1
	s_delay_alu instid0(VALU_DEP_1)
	v_add3_u32 v25, v24, v25, 0x7fff
                                        ; implicit-def: $vgpr24
; %bb.36:                               ;   in Loop: Header=BB609_34 Depth=2
	s_wait_alu 0xfffe
	s_and_not1_saveexec_b32 s6, s6
	s_cbranch_execz .LBB609_33
; %bb.37:                               ;   in Loop: Header=BB609_34 Depth=2
	v_and_b32_e32 v25, 0xffff, v24
	v_or_b32_e32 v26, 0x10000, v24
	s_delay_alu instid0(VALU_DEP_2) | instskip(SKIP_1) | instid1(VALU_DEP_2)
	v_cmp_eq_u32_e32 vcc_lo, 0, v25
	s_wait_alu 0xfffd
	v_cndmask_b32_e32 v25, v26, v24, vcc_lo
	s_branch .LBB609_33
.LBB609_38:                             ;   in Loop: Header=BB609_4 Depth=1
	ds_load_b32 v8, v15
	s_wait_alu 0xfffe
	s_or_b32 exec_lo, exec_lo, s6
	s_and_saveexec_b32 s6, s1
	s_cbranch_execz .LBB609_31
.LBB609_39:                             ;   in Loop: Header=BB609_4 Depth=1
	s_wait_dscnt 0x0
	ds_bpermute_b32 v5, v5, v8
	s_wait_dscnt 0x0
	v_add_f32_e32 v5, v8, v5
	ds_bpermute_b32 v6, v6, v5
	s_wait_dscnt 0x0
	v_add_f32_e32 v5, v5, v6
	;; [unrolled: 3-line block ×3, first 2 shown]
	s_wait_alu 0xfffe
	s_or_b32 exec_lo, exec_lo, s6
                                        ; implicit-def: $vgpr9
	s_and_saveexec_b32 s6, s0
	s_cbranch_execz .LBB609_57
.LBB609_40:                             ;   in Loop: Header=BB609_4 Depth=1
	s_wait_dscnt 0x0
	v_mul_f32_e32 v5, s34, v8
	s_and_b32 vcc_lo, exec_lo, s39
	s_mov_b32 s23, -1
                                        ; implicit-def: $vgpr6
	s_wait_alu 0xfffe
	s_cbranch_vccz .LBB609_46
; %bb.41:                               ;   in Loop: Header=BB609_4 Depth=1
	v_and_b32_e32 v6, 0x7f800000, v5
	s_delay_alu instid0(VALU_DEP_1)
	v_cmp_ne_u32_e32 vcc_lo, 0x7f800000, v6
                                        ; implicit-def: $vgpr6
	s_and_saveexec_b32 s23, vcc_lo
	s_wait_alu 0xfffe
	s_xor_b32 s23, exec_lo, s23
; %bb.42:                               ;   in Loop: Header=BB609_4 Depth=1
	v_bfe_u32 v6, v5, 16, 1
	s_delay_alu instid0(VALU_DEP_1)
	v_add3_u32 v6, v5, v6, 0x7fff
; %bb.43:                               ;   in Loop: Header=BB609_4 Depth=1
	s_wait_alu 0xfffe
	s_and_not1_saveexec_b32 s23, s23
; %bb.44:                               ;   in Loop: Header=BB609_4 Depth=1
	v_and_b32_e32 v6, 0xffff, v5
	v_or_b32_e32 v7, 0x10000, v5
	s_delay_alu instid0(VALU_DEP_2) | instskip(SKIP_1) | instid1(VALU_DEP_2)
	v_cmp_eq_u32_e32 vcc_lo, 0, v6
	s_wait_alu 0xfffd
	v_cndmask_b32_e32 v6, v7, v5, vcc_lo
; %bb.45:                               ;   in Loop: Header=BB609_4 Depth=1
	s_wait_alu 0xfffe
	s_or_b32 exec_lo, exec_lo, s23
	s_mov_b32 s23, 0
.LBB609_46:                             ;   in Loop: Header=BB609_4 Depth=1
	s_wait_alu 0xfffe
	s_and_not1_b32 vcc_lo, exec_lo, s23
	s_wait_alu 0xfffe
	s_cbranch_vccnz .LBB609_56
; %bb.47:                               ;   in Loop: Header=BB609_4 Depth=1
	v_add_co_u32 v6, vcc_lo, v20, s26
	s_wait_alu 0xfffd
	v_add_co_ci_u32_e64 v7, null, s27, v21, vcc_lo
	flat_load_u16 v6, v[6:7]
	s_wait_loadcnt_dscnt 0x0
	v_lshlrev_b32_e32 v6, 16, v6
	s_delay_alu instid0(VALU_DEP_1) | instskip(NEXT) | instid1(VALU_DEP_1)
	v_mul_f32_e32 v6, s35, v6
	v_and_b32_e32 v7, 0x7f800000, v6
	s_delay_alu instid0(VALU_DEP_1)
	v_cmp_ne_u32_e32 vcc_lo, 0x7f800000, v7
                                        ; implicit-def: $vgpr7
	s_and_saveexec_b32 s23, vcc_lo
	s_wait_alu 0xfffe
	s_xor_b32 s23, exec_lo, s23
; %bb.48:                               ;   in Loop: Header=BB609_4 Depth=1
	v_bfe_u32 v7, v6, 16, 1
	s_delay_alu instid0(VALU_DEP_1)
	v_add3_u32 v7, v6, v7, 0x7fff
                                        ; implicit-def: $vgpr6
; %bb.49:                               ;   in Loop: Header=BB609_4 Depth=1
	s_wait_alu 0xfffe
	s_and_not1_saveexec_b32 s23, s23
; %bb.50:                               ;   in Loop: Header=BB609_4 Depth=1
	v_and_b32_e32 v7, 0xffff, v6
	v_or_b32_e32 v8, 0x10000, v6
	s_delay_alu instid0(VALU_DEP_2) | instskip(SKIP_1) | instid1(VALU_DEP_2)
	v_cmp_eq_u32_e32 vcc_lo, 0, v7
	s_wait_alu 0xfffd
	v_cndmask_b32_e32 v7, v8, v6, vcc_lo
; %bb.51:                               ;   in Loop: Header=BB609_4 Depth=1
	s_wait_alu 0xfffe
	s_or_b32 exec_lo, exec_lo, s23
	s_delay_alu instid0(VALU_DEP_1) | instskip(NEXT) | instid1(VALU_DEP_1)
	v_and_b32_e32 v6, 0xffff0000, v7
	v_add_f32_e32 v5, v5, v6
	s_delay_alu instid0(VALU_DEP_1) | instskip(NEXT) | instid1(VALU_DEP_1)
	v_and_b32_e32 v6, 0x7f800000, v5
	v_cmp_ne_u32_e32 vcc_lo, 0x7f800000, v6
                                        ; implicit-def: $vgpr6
	s_and_saveexec_b32 s23, vcc_lo
	s_wait_alu 0xfffe
	s_xor_b32 s23, exec_lo, s23
; %bb.52:                               ;   in Loop: Header=BB609_4 Depth=1
	v_bfe_u32 v6, v5, 16, 1
	s_delay_alu instid0(VALU_DEP_1)
	v_add3_u32 v6, v5, v6, 0x7fff
                                        ; implicit-def: $vgpr5
; %bb.53:                               ;   in Loop: Header=BB609_4 Depth=1
	s_wait_alu 0xfffe
	s_and_not1_saveexec_b32 s23, s23
; %bb.54:                               ;   in Loop: Header=BB609_4 Depth=1
	v_and_b32_e32 v6, 0xffff, v5
	v_or_b32_e32 v7, 0x10000, v5
	s_delay_alu instid0(VALU_DEP_2) | instskip(SKIP_1) | instid1(VALU_DEP_2)
	v_cmp_eq_u32_e32 vcc_lo, 0, v6
	s_wait_alu 0xfffd
	v_cndmask_b32_e32 v6, v7, v5, vcc_lo
; %bb.55:                               ;   in Loop: Header=BB609_4 Depth=1
	s_wait_alu 0xfffe
	s_or_b32 exec_lo, exec_lo, s23
.LBB609_56:                             ;   in Loop: Header=BB609_4 Depth=1
	s_delay_alu instid0(VALU_DEP_1)
	v_lshrrev_b32_e32 v9, 16, v6
	s_or_b32 s7, s7, exec_lo
.LBB609_57:                             ;   in Loop: Header=BB609_4 Depth=1
	s_wait_alu 0xfffe
	s_or_b32 exec_lo, exec_lo, s6
.LBB609_58:                             ;   in Loop: Header=BB609_4 Depth=1
	s_wait_alu 0xfffe
	s_and_saveexec_b32 s6, s7
	s_cbranch_execz .LBB609_2
; %bb.59:                               ;   in Loop: Header=BB609_4 Depth=1
	v_add_co_u32 v5, vcc_lo, v20, s26
	s_wait_alu 0xfffd
	v_add_co_ci_u32_e64 v6, null, s27, v21, vcc_lo
	flat_store_b16 v[5:6], v9
	s_branch .LBB609_2
.LBB609_60:                             ;   in Loop: Header=BB609_4 Depth=1
	s_or_b32 exec_lo, exec_lo, s40
	s_delay_alu instid0(SALU_CYCLE_1)
	s_or_b32 exec_lo, exec_lo, s23
	s_and_saveexec_b32 s6, s5
	s_cbranch_execz .LBB609_25
.LBB609_61:                             ;   in Loop: Header=BB609_4 Depth=1
	v_add_co_u32 v5, vcc_lo, v5, v3
	s_wait_alu 0xfffd
	v_add_co_ci_u32_e64 v6, null, v6, v4, vcc_lo
	v_add_co_u32 v7, vcc_lo, v7, s30
	s_wait_alu 0xfffd
	v_add_co_ci_u32_e64 v8, null, s31, v8, vcc_lo
	flat_load_u16 v5, v[5:6]
	flat_load_u16 v6, v[7:8]
	s_wait_loadcnt_dscnt 0x101
	v_lshlrev_b32_e32 v5, 16, v5
	s_wait_loadcnt_dscnt 0x0
	v_lshlrev_b32_e32 v6, 16, v6
	s_delay_alu instid0(VALU_DEP_1) | instskip(NEXT) | instid1(VALU_DEP_1)
	v_mul_f32_e32 v5, v6, v5
	v_and_b32_e32 v6, 0x7f800000, v5
	s_delay_alu instid0(VALU_DEP_1)
	v_cmp_ne_u32_e32 vcc_lo, 0x7f800000, v6
                                        ; implicit-def: $vgpr6
	s_and_saveexec_b32 s23, vcc_lo
	s_wait_alu 0xfffe
	s_xor_b32 s23, exec_lo, s23
; %bb.62:                               ;   in Loop: Header=BB609_4 Depth=1
	v_bfe_u32 v6, v5, 16, 1
	s_delay_alu instid0(VALU_DEP_1)
	v_add3_u32 v6, v5, v6, 0x7fff
                                        ; implicit-def: $vgpr5
; %bb.63:                               ;   in Loop: Header=BB609_4 Depth=1
	s_wait_alu 0xfffe
	s_and_not1_saveexec_b32 s23, s23
; %bb.64:                               ;   in Loop: Header=BB609_4 Depth=1
	v_and_b32_e32 v6, 0xffff, v5
	v_or_b32_e32 v7, 0x10000, v5
	s_delay_alu instid0(VALU_DEP_2) | instskip(SKIP_1) | instid1(VALU_DEP_2)
	v_cmp_eq_u32_e32 vcc_lo, 0, v6
	s_wait_alu 0xfffd
	v_cndmask_b32_e32 v6, v7, v5, vcc_lo
; %bb.65:                               ;   in Loop: Header=BB609_4 Depth=1
	s_wait_alu 0xfffe
	s_or_b32 exec_lo, exec_lo, s23
	s_delay_alu instid0(VALU_DEP_1) | instskip(NEXT) | instid1(VALU_DEP_1)
	v_and_b32_e32 v5, 0xffff0000, v6
	v_add_f32_e32 v22, v22, v5
	s_or_b32 exec_lo, exec_lo, s6
	s_and_saveexec_b32 s6, s1
	s_cbranch_execnz .LBB609_26
	s_branch .LBB609_27
.LBB609_66:
	s_endpgm
	.section	.rodata,"a",@progbits
	.p2align	6, 0x0
	.amdhsa_kernel _ZL32rocblas_gemvt_warp_reduce_kernelILb0ELi256ElPK16rocblas_bfloat16fKPS0_EviiT3_lPKT2_lT1_lS8_lS9_lS5_lPT4_lS9_li
		.amdhsa_group_segment_fixed_size 128
		.amdhsa_private_segment_fixed_size 0
		.amdhsa_kernarg_size 140
		.amdhsa_user_sgpr_count 2
		.amdhsa_user_sgpr_dispatch_ptr 0
		.amdhsa_user_sgpr_queue_ptr 0
		.amdhsa_user_sgpr_kernarg_segment_ptr 1
		.amdhsa_user_sgpr_dispatch_id 0
		.amdhsa_user_sgpr_private_segment_size 0
		.amdhsa_wavefront_size32 1
		.amdhsa_uses_dynamic_stack 0
		.amdhsa_enable_private_segment 0
		.amdhsa_system_sgpr_workgroup_id_x 1
		.amdhsa_system_sgpr_workgroup_id_y 0
		.amdhsa_system_sgpr_workgroup_id_z 1
		.amdhsa_system_sgpr_workgroup_info 0
		.amdhsa_system_vgpr_workitem_id 0
		.amdhsa_next_free_vgpr 27
		.amdhsa_next_free_sgpr 41
		.amdhsa_reserve_vcc 1
		.amdhsa_float_round_mode_32 0
		.amdhsa_float_round_mode_16_64 0
		.amdhsa_float_denorm_mode_32 3
		.amdhsa_float_denorm_mode_16_64 3
		.amdhsa_fp16_overflow 0
		.amdhsa_workgroup_processor_mode 1
		.amdhsa_memory_ordered 1
		.amdhsa_forward_progress 1
		.amdhsa_inst_pref_size 20
		.amdhsa_round_robin_scheduling 0
		.amdhsa_exception_fp_ieee_invalid_op 0
		.amdhsa_exception_fp_denorm_src 0
		.amdhsa_exception_fp_ieee_div_zero 0
		.amdhsa_exception_fp_ieee_overflow 0
		.amdhsa_exception_fp_ieee_underflow 0
		.amdhsa_exception_fp_ieee_inexact 0
		.amdhsa_exception_int_div_zero 0
	.end_amdhsa_kernel
	.section	.text._ZL32rocblas_gemvt_warp_reduce_kernelILb0ELi256ElPK16rocblas_bfloat16fKPS0_EviiT3_lPKT2_lT1_lS8_lS9_lS5_lPT4_lS9_li,"axG",@progbits,_ZL32rocblas_gemvt_warp_reduce_kernelILb0ELi256ElPK16rocblas_bfloat16fKPS0_EviiT3_lPKT2_lT1_lS8_lS9_lS5_lPT4_lS9_li,comdat
.Lfunc_end609:
	.size	_ZL32rocblas_gemvt_warp_reduce_kernelILb0ELi256ElPK16rocblas_bfloat16fKPS0_EviiT3_lPKT2_lT1_lS8_lS9_lS5_lPT4_lS9_li, .Lfunc_end609-_ZL32rocblas_gemvt_warp_reduce_kernelILb0ELi256ElPK16rocblas_bfloat16fKPS0_EviiT3_lPKT2_lT1_lS8_lS9_lS5_lPT4_lS9_li
                                        ; -- End function
	.set _ZL32rocblas_gemvt_warp_reduce_kernelILb0ELi256ElPK16rocblas_bfloat16fKPS0_EviiT3_lPKT2_lT1_lS8_lS9_lS5_lPT4_lS9_li.num_vgpr, 27
	.set _ZL32rocblas_gemvt_warp_reduce_kernelILb0ELi256ElPK16rocblas_bfloat16fKPS0_EviiT3_lPKT2_lT1_lS8_lS9_lS5_lPT4_lS9_li.num_agpr, 0
	.set _ZL32rocblas_gemvt_warp_reduce_kernelILb0ELi256ElPK16rocblas_bfloat16fKPS0_EviiT3_lPKT2_lT1_lS8_lS9_lS5_lPT4_lS9_li.numbered_sgpr, 41
	.set _ZL32rocblas_gemvt_warp_reduce_kernelILb0ELi256ElPK16rocblas_bfloat16fKPS0_EviiT3_lPKT2_lT1_lS8_lS9_lS5_lPT4_lS9_li.num_named_barrier, 0
	.set _ZL32rocblas_gemvt_warp_reduce_kernelILb0ELi256ElPK16rocblas_bfloat16fKPS0_EviiT3_lPKT2_lT1_lS8_lS9_lS5_lPT4_lS9_li.private_seg_size, 0
	.set _ZL32rocblas_gemvt_warp_reduce_kernelILb0ELi256ElPK16rocblas_bfloat16fKPS0_EviiT3_lPKT2_lT1_lS8_lS9_lS5_lPT4_lS9_li.uses_vcc, 1
	.set _ZL32rocblas_gemvt_warp_reduce_kernelILb0ELi256ElPK16rocblas_bfloat16fKPS0_EviiT3_lPKT2_lT1_lS8_lS9_lS5_lPT4_lS9_li.uses_flat_scratch, 0
	.set _ZL32rocblas_gemvt_warp_reduce_kernelILb0ELi256ElPK16rocblas_bfloat16fKPS0_EviiT3_lPKT2_lT1_lS8_lS9_lS5_lPT4_lS9_li.has_dyn_sized_stack, 0
	.set _ZL32rocblas_gemvt_warp_reduce_kernelILb0ELi256ElPK16rocblas_bfloat16fKPS0_EviiT3_lPKT2_lT1_lS8_lS9_lS5_lPT4_lS9_li.has_recursion, 0
	.set _ZL32rocblas_gemvt_warp_reduce_kernelILb0ELi256ElPK16rocblas_bfloat16fKPS0_EviiT3_lPKT2_lT1_lS8_lS9_lS5_lPT4_lS9_li.has_indirect_call, 0
	.section	.AMDGPU.csdata,"",@progbits
; Kernel info:
; codeLenInByte = 2460
; TotalNumSgprs: 43
; NumVgprs: 27
; ScratchSize: 0
; MemoryBound: 0
; FloatMode: 240
; IeeeMode: 1
; LDSByteSize: 128 bytes/workgroup (compile time only)
; SGPRBlocks: 0
; VGPRBlocks: 3
; NumSGPRsForWavesPerEU: 43
; NumVGPRsForWavesPerEU: 27
; Occupancy: 16
; WaveLimiterHint : 1
; COMPUTE_PGM_RSRC2:SCRATCH_EN: 0
; COMPUTE_PGM_RSRC2:USER_SGPR: 2
; COMPUTE_PGM_RSRC2:TRAP_HANDLER: 0
; COMPUTE_PGM_RSRC2:TGID_X_EN: 1
; COMPUTE_PGM_RSRC2:TGID_Y_EN: 0
; COMPUTE_PGM_RSRC2:TGID_Z_EN: 1
; COMPUTE_PGM_RSRC2:TIDIG_COMP_CNT: 0
	.section	.text._ZL20rocblas_gemvt_kernelILb0ELi256EPK16rocblas_bfloat16PKfKPS0_EviiT2_lPKT1_lilSA_lilS7_lPT3_lili,"axG",@progbits,_ZL20rocblas_gemvt_kernelILb0ELi256EPK16rocblas_bfloat16PKfKPS0_EviiT2_lPKT1_lilSA_lilS7_lPT3_lili,comdat
	.globl	_ZL20rocblas_gemvt_kernelILb0ELi256EPK16rocblas_bfloat16PKfKPS0_EviiT2_lPKT1_lilSA_lilS7_lPT3_lili ; -- Begin function _ZL20rocblas_gemvt_kernelILb0ELi256EPK16rocblas_bfloat16PKfKPS0_EviiT2_lPKT1_lilSA_lilS7_lPT3_lili
	.p2align	8
	.type	_ZL20rocblas_gemvt_kernelILb0ELi256EPK16rocblas_bfloat16PKfKPS0_EviiT2_lPKT1_lilSA_lilS7_lPT3_lili,@function
_ZL20rocblas_gemvt_kernelILb0ELi256EPK16rocblas_bfloat16PKfKPS0_EviiT2_lPKT1_lilSA_lilS7_lPT3_lili: ; @_ZL20rocblas_gemvt_kernelILb0ELi256EPK16rocblas_bfloat16PKfKPS0_EviiT2_lPKT1_lilSA_lilS7_lPT3_lili
; %bb.0:
	s_load_b32 s33, s[0:1], 0x88
	s_lshr_b32 s10, ttmp7, 16
	s_wait_kmcnt 0x0
	s_cmp_ge_u32 s10, s33
	s_cbranch_scc1 .LBB610_70
; %bb.1:
	s_clause 0x6
	s_load_b32 s4, s[0:1], 0x28
	s_load_b32 s36, s[0:1], 0x48
	;; [unrolled: 1-line block ×4, first 2 shown]
	s_load_b128 s[28:31], s[0:1], 0x38
	s_load_b256 s[12:19], s[0:1], 0x8
	s_load_b256 s[20:27], s[0:1], 0x58
	s_mov_b32 s2, ttmp9
	s_ashr_i32 s3, ttmp9, 31
	v_cmp_eq_u32_e64 s0, 0, v0
	v_dual_mov_b32 v12, 0 :: v_dual_lshlrev_b32 v13, 2, v0
	v_cmp_gt_u32_e64 s1, 0x80, v0
	s_mov_b32 s11, 0
	s_wait_kmcnt 0x0
	s_ashr_i32 s5, s4, 31
	v_mad_co_i64_i32 v[1:2], null, s36, v0, 0
	s_ashr_i32 s9, s8, 31
	s_ashr_i32 s7, s6, 31
	s_lshr_b32 s9, s9, 24
	v_cmp_gt_i32_e32 vcc_lo, s8, v0
	s_add_co_i32 s9, s8, s9
	s_mul_u64 s[38:39], s[6:7], s[2:3]
	s_wait_alu 0xfffe
	s_and_b32 s34, s9, 0xffffff00
	s_mul_u64 s[40:41], s[4:5], s[2:3]
	v_or_b32_e32 v3, s34, v0
	v_cndmask_b32_e32 v5, 0, v0, vcc_lo
	s_ashr_i32 s37, s36, 31
	s_cmp_gt_i32 s8, 0xff
	v_cmp_gt_u32_e64 s3, 64, v0
	v_cmp_gt_i32_e64 s2, s8, v3
	v_mad_co_i64_i32 v[3:4], null, s36, v3, 0
	v_cmp_gt_u32_e64 s4, 32, v0
	v_cmp_gt_u32_e64 s5, 16, v0
	;; [unrolled: 1-line block ×5, first 2 shown]
	v_lshlrev_b64_e32 v[0:1], 1, v[1:2]
	v_lshlrev_b64_e32 v[2:3], 1, v[3:4]
	v_lshlrev_b32_e32 v14, 1, v5
	s_cselect_b32 s44, -1, 0
	s_ashr_i32 s35, s34, 31
	s_wait_alu 0xfffe
	s_lshl_b64 s[36:37], s[36:37], 9
	s_lshl_b64 s[18:19], s[18:19], 1
	;; [unrolled: 1-line block ×7, first 2 shown]
	s_branch .LBB610_4
.LBB610_2:                              ;   in Loop: Header=BB610_4 Depth=1
	s_wait_alu 0xfffe
	s_or_b32 exec_lo, exec_lo, s9
.LBB610_3:                              ;   in Loop: Header=BB610_4 Depth=1
	s_add_co_i32 s10, s10, 0x10000
	s_delay_alu instid0(SALU_CYCLE_1)
	s_cmp_lt_u32 s10, s33
	s_cbranch_scc0 .LBB610_70
.LBB610_4:                              ; =>This Loop Header: Depth=1
                                        ;     Child Loop BB610_23 Depth 2
	s_mul_u64 s[46:47], s[14:15], s[10:11]
	s_mul_u64 s[48:49], s[22:23], s[10:11]
	s_wait_alu 0xfffe
	s_lshl_b64 s[46:47], s[46:47], 2
	s_lshl_b64 s[48:49], s[48:49], 2
	s_wait_alu 0xfffe
	s_add_nc_u64 s[46:47], s[12:13], s[46:47]
	s_add_nc_u64 s[48:49], s[20:21], s[48:49]
	s_clause 0x1
	global_load_b32 v4, v12, s[46:47]
	global_load_b32 v5, v12, s[48:49]
	s_wait_loadcnt 0x1
	v_cmp_eq_f32_e32 vcc_lo, 0, v4
	s_wait_loadcnt 0x0
	v_cmp_eq_f32_e64 s9, 1.0, v5
	v_readfirstlane_b32 s45, v4
	s_and_b32 s35, vcc_lo, s9
	v_readfirstlane_b32 s9, v5
	s_wait_alu 0xfffe
	s_and_b32 vcc_lo, exec_lo, s35
	s_wait_alu 0xfffe
	s_cbranch_vccnz .LBB610_3
; %bb.5:                                ;   in Loop: Header=BB610_4 Depth=1
	s_cmp_neq_f32 s45, 0
	v_mov_b32_e32 v4, 0
	v_dual_mov_b32 v5, 0 :: v_dual_mov_b32 v6, 0
	s_cselect_b32 s46, -1, 0
	s_cmp_eq_f32 s45, 0
	v_mov_b32_e32 v7, 0
	s_cselect_b32 s35, -1, 0
	s_wait_alu 0xfffe
	s_and_b32 vcc_lo, exec_lo, s35
	s_wait_alu 0xfffe
	s_cbranch_vccnz .LBB610_7
; %bb.6:                                ;   in Loop: Header=BB610_4 Depth=1
	s_lshl_b64 s[48:49], s[10:11], 3
	s_delay_alu instid0(SALU_CYCLE_1)
	s_add_nc_u64 s[48:49], s[16:17], s[48:49]
	global_load_b64 v[6:7], v12, s[48:49]
	s_wait_loadcnt 0x0
	v_add_co_u32 v6, vcc_lo, v6, s18
	s_wait_alu 0xfffd
	v_add_co_ci_u32_e64 v7, null, s19, v7, vcc_lo
.LBB610_7:                              ;   in Loop: Header=BB610_4 Depth=1
	s_and_not1_b32 vcc_lo, exec_lo, s46
	s_wait_alu 0xfffe
	s_cbranch_vccnz .LBB610_9
; %bb.8:                                ;   in Loop: Header=BB610_4 Depth=1
	s_lshl_b64 s[46:47], s[10:11], 3
	s_wait_alu 0xfffe
	s_add_nc_u64 s[46:47], s[28:29], s[46:47]
	global_load_b64 v[4:5], v12, s[46:47]
	s_wait_loadcnt 0x0
	v_add_co_u32 v4, vcc_lo, v4, s30
	s_wait_alu 0xfffd
	v_add_co_ci_u32_e64 v5, null, s31, v5, vcc_lo
.LBB610_9:                              ;   in Loop: Header=BB610_4 Depth=1
	s_lshl_b64 s[46:47], s[10:11], 3
	s_wait_alu 0xfffe
	s_add_nc_u64 s[46:47], s[24:25], s[46:47]
	global_load_b64 v[8:9], v12, s[46:47]
	s_wait_loadcnt 0x0
	v_add_co_u32 v15, vcc_lo, v8, s26
	s_wait_alu 0xfffd
	v_add_co_ci_u32_e64 v16, null, s27, v9, vcc_lo
	s_and_not1_b32 vcc_lo, exec_lo, s35
	s_wait_alu 0xfffe
	s_cbranch_vccnz .LBB610_17
; %bb.10:                               ;   in Loop: Header=BB610_4 Depth=1
	s_mov_b32 s46, 0
	s_mov_b32 s35, 0
                                        ; implicit-def: $vgpr8
	s_and_saveexec_b32 s47, s0
	s_cbranch_execz .LBB610_18
; %bb.11:                               ;   in Loop: Header=BB610_4 Depth=1
	s_cmp_eq_f32 s9, 0
	s_cbranch_scc1 .LBB610_19
; %bb.12:                               ;   in Loop: Header=BB610_4 Depth=1
	v_add_co_u32 v8, vcc_lo, v15, s38
	s_wait_alu 0xfffd
	v_add_co_ci_u32_e64 v9, null, s39, v16, vcc_lo
	flat_load_u16 v8, v[8:9]
	s_wait_loadcnt_dscnt 0x0
	v_lshlrev_b32_e32 v8, 16, v8
	s_delay_alu instid0(VALU_DEP_1) | instskip(NEXT) | instid1(VALU_DEP_1)
	v_mul_f32_e32 v8, s9, v8
	v_and_b32_e32 v9, 0x7f800000, v8
	s_delay_alu instid0(VALU_DEP_1)
	v_cmp_ne_u32_e32 vcc_lo, 0x7f800000, v9
                                        ; implicit-def: $vgpr9
	s_and_saveexec_b32 s35, vcc_lo
	s_wait_alu 0xfffe
	s_xor_b32 s35, exec_lo, s35
; %bb.13:                               ;   in Loop: Header=BB610_4 Depth=1
	v_bfe_u32 v9, v8, 16, 1
	s_delay_alu instid0(VALU_DEP_1)
	v_add3_u32 v9, v8, v9, 0x7fff
                                        ; implicit-def: $vgpr8
; %bb.14:                               ;   in Loop: Header=BB610_4 Depth=1
	s_wait_alu 0xfffe
	s_and_not1_saveexec_b32 s35, s35
; %bb.15:                               ;   in Loop: Header=BB610_4 Depth=1
	v_and_b32_e32 v9, 0xffff, v8
	v_or_b32_e32 v10, 0x10000, v8
	s_delay_alu instid0(VALU_DEP_2) | instskip(SKIP_1) | instid1(VALU_DEP_2)
	v_cmp_eq_u32_e32 vcc_lo, 0, v9
	s_wait_alu 0xfffd
	v_cndmask_b32_e32 v9, v10, v8, vcc_lo
; %bb.16:                               ;   in Loop: Header=BB610_4 Depth=1
	s_wait_alu 0xfffe
	s_or_b32 exec_lo, exec_lo, s35
	s_delay_alu instid0(VALU_DEP_1) | instskip(SKIP_2) | instid1(SALU_CYCLE_1)
	v_lshrrev_b32_e32 v8, 16, v9
	s_mov_b32 s35, exec_lo
	s_or_b32 exec_lo, exec_lo, s47
	s_and_b32 vcc_lo, exec_lo, s46
	s_wait_alu 0xfffe
	s_cbranch_vccnz .LBB610_20
	s_branch .LBB610_68
.LBB610_17:                             ;   in Loop: Header=BB610_4 Depth=1
	s_mov_b32 s35, 0
                                        ; implicit-def: $vgpr8
	s_cbranch_execnz .LBB610_20
	s_branch .LBB610_68
.LBB610_18:                             ;   in Loop: Header=BB610_4 Depth=1
	s_wait_alu 0xfffe
	s_or_b32 exec_lo, exec_lo, s47
	s_delay_alu instid0(SALU_CYCLE_1)
	s_and_b32 vcc_lo, exec_lo, s46
	s_wait_alu 0xfffe
	s_cbranch_vccnz .LBB610_20
	s_branch .LBB610_68
.LBB610_19:                             ;   in Loop: Header=BB610_4 Depth=1
	v_mov_b32_e32 v8, 0
	s_mov_b32 s35, exec_lo
	s_wait_alu 0xfffe
	s_or_b32 exec_lo, exec_lo, s47
	s_delay_alu instid0(SALU_CYCLE_1)
	s_and_b32 vcc_lo, exec_lo, s46
	s_wait_alu 0xfffe
	s_cbranch_vccz .LBB610_68
.LBB610_20:                             ;   in Loop: Header=BB610_4 Depth=1
	v_add_co_u32 v6, vcc_lo, v6, v14
	s_wait_alu 0xfffd
	v_add_co_ci_u32_e64 v7, null, 0, v7, vcc_lo
	v_mov_b32_e32 v17, 0
	s_delay_alu instid0(VALU_DEP_3) | instskip(SKIP_1) | instid1(VALU_DEP_3)
	v_add_co_u32 v6, vcc_lo, v6, s40
	s_wait_alu 0xfffd
	v_add_co_ci_u32_e64 v7, null, s41, v7, vcc_lo
	s_and_not1_b32 vcc_lo, exec_lo, s44
	s_wait_alu 0xfffe
	s_cbranch_vccnz .LBB610_27
; %bb.21:                               ;   in Loop: Header=BB610_4 Depth=1
	v_add_co_u32 v8, vcc_lo, v4, v0
	v_mov_b32_e32 v11, v7
	s_wait_alu 0xfffd
	v_add_co_ci_u32_e64 v9, null, v5, v1, vcc_lo
	v_dual_mov_b32 v17, 0 :: v_dual_mov_b32 v10, v6
	s_mov_b32 s46, 0
	s_branch .LBB610_23
.LBB610_22:                             ;   in Loop: Header=BB610_23 Depth=2
	s_wait_alu 0xfffe
	s_or_b32 exec_lo, exec_lo, s47
	s_delay_alu instid0(VALU_DEP_1)
	v_and_b32_e32 v18, 0xffff0000, v19
	v_add_co_u32 v8, vcc_lo, v8, s36
	s_wait_alu 0xfffd
	v_add_co_ci_u32_e64 v9, null, s37, v9, vcc_lo
	v_add_co_u32 v10, vcc_lo, 0x200, v10
	v_add_f32_e32 v17, v17, v18
	s_wait_alu 0xfffd
	v_add_co_ci_u32_e64 v11, null, 0, v11, vcc_lo
	s_addk_co_i32 s46, 0x100
	s_wait_alu 0xfffe
	s_cmp_ge_i32 s46, s34
	s_cbranch_scc1 .LBB610_27
.LBB610_23:                             ;   Parent Loop BB610_4 Depth=1
                                        ; =>  This Inner Loop Header: Depth=2
	flat_load_u16 v18, v[8:9]
	flat_load_u16 v19, v[10:11]
	s_wait_loadcnt_dscnt 0x101
	v_lshlrev_b32_e32 v18, 16, v18
	s_wait_loadcnt_dscnt 0x0
	v_lshlrev_b32_e32 v19, 16, v19
	s_delay_alu instid0(VALU_DEP_1) | instskip(NEXT) | instid1(VALU_DEP_1)
	v_mul_f32_e32 v18, v19, v18
	v_and_b32_e32 v19, 0x7f800000, v18
	s_delay_alu instid0(VALU_DEP_1)
	v_cmp_ne_u32_e32 vcc_lo, 0x7f800000, v19
                                        ; implicit-def: $vgpr19
	s_and_saveexec_b32 s47, vcc_lo
	s_wait_alu 0xfffe
	s_xor_b32 s47, exec_lo, s47
; %bb.24:                               ;   in Loop: Header=BB610_23 Depth=2
	v_bfe_u32 v19, v18, 16, 1
	s_delay_alu instid0(VALU_DEP_1)
	v_add3_u32 v19, v18, v19, 0x7fff
                                        ; implicit-def: $vgpr18
; %bb.25:                               ;   in Loop: Header=BB610_23 Depth=2
	s_wait_alu 0xfffe
	s_and_not1_saveexec_b32 s47, s47
	s_cbranch_execz .LBB610_22
; %bb.26:                               ;   in Loop: Header=BB610_23 Depth=2
	v_and_b32_e32 v19, 0xffff, v18
	v_or_b32_e32 v20, 0x10000, v18
	s_delay_alu instid0(VALU_DEP_2) | instskip(SKIP_1) | instid1(VALU_DEP_2)
	v_cmp_eq_u32_e32 vcc_lo, 0, v19
	s_wait_alu 0xfffd
	v_cndmask_b32_e32 v19, v20, v18, vcc_lo
	s_branch .LBB610_22
.LBB610_27:                             ;   in Loop: Header=BB610_4 Depth=1
	s_and_saveexec_b32 s46, s2
	s_cbranch_execz .LBB610_33
; %bb.28:                               ;   in Loop: Header=BB610_4 Depth=1
	v_add_co_u32 v4, vcc_lo, v4, v2
	s_wait_alu 0xfffd
	v_add_co_ci_u32_e64 v5, null, v5, v3, vcc_lo
	v_add_co_u32 v6, vcc_lo, v6, s42
	s_wait_alu 0xfffd
	v_add_co_ci_u32_e64 v7, null, s43, v7, vcc_lo
	flat_load_u16 v4, v[4:5]
	flat_load_u16 v5, v[6:7]
	s_wait_loadcnt_dscnt 0x101
	v_lshlrev_b32_e32 v4, 16, v4
	s_wait_loadcnt_dscnt 0x0
	v_lshlrev_b32_e32 v5, 16, v5
	s_delay_alu instid0(VALU_DEP_1) | instskip(NEXT) | instid1(VALU_DEP_1)
	v_mul_f32_e32 v4, v5, v4
	v_and_b32_e32 v5, 0x7f800000, v4
	s_delay_alu instid0(VALU_DEP_1)
	v_cmp_ne_u32_e32 vcc_lo, 0x7f800000, v5
                                        ; implicit-def: $vgpr5
	s_and_saveexec_b32 s47, vcc_lo
	s_wait_alu 0xfffe
	s_xor_b32 s47, exec_lo, s47
; %bb.29:                               ;   in Loop: Header=BB610_4 Depth=1
	v_bfe_u32 v5, v4, 16, 1
	s_delay_alu instid0(VALU_DEP_1)
	v_add3_u32 v5, v4, v5, 0x7fff
                                        ; implicit-def: $vgpr4
; %bb.30:                               ;   in Loop: Header=BB610_4 Depth=1
	s_wait_alu 0xfffe
	s_and_not1_saveexec_b32 s47, s47
; %bb.31:                               ;   in Loop: Header=BB610_4 Depth=1
	v_and_b32_e32 v5, 0xffff, v4
	v_or_b32_e32 v6, 0x10000, v4
	s_delay_alu instid0(VALU_DEP_2) | instskip(SKIP_1) | instid1(VALU_DEP_2)
	v_cmp_eq_u32_e32 vcc_lo, 0, v5
	s_wait_alu 0xfffd
	v_cndmask_b32_e32 v5, v6, v4, vcc_lo
; %bb.32:                               ;   in Loop: Header=BB610_4 Depth=1
	s_wait_alu 0xfffe
	s_or_b32 exec_lo, exec_lo, s47
	s_delay_alu instid0(VALU_DEP_1) | instskip(NEXT) | instid1(VALU_DEP_1)
	v_and_b32_e32 v4, 0xffff0000, v5
	v_add_f32_e32 v17, v17, v4
.LBB610_33:                             ;   in Loop: Header=BB610_4 Depth=1
	s_wait_alu 0xfffe
	s_or_b32 exec_lo, exec_lo, s46
	ds_store_b32 v13, v17
	s_wait_dscnt 0x0
	s_barrier_signal -1
	s_barrier_wait -1
	global_inv scope:SCOPE_SE
	s_and_saveexec_b32 s46, s1
	s_cbranch_execz .LBB610_35
; %bb.34:                               ;   in Loop: Header=BB610_4 Depth=1
	ds_load_2addr_stride64_b32 v[4:5], v13 offset1:2
	s_wait_dscnt 0x0
	v_add_f32_e32 v4, v5, v4
	ds_store_b32 v13, v4
.LBB610_35:                             ;   in Loop: Header=BB610_4 Depth=1
	s_wait_alu 0xfffe
	s_or_b32 exec_lo, exec_lo, s46
	s_wait_loadcnt_dscnt 0x0
	s_barrier_signal -1
	s_barrier_wait -1
	global_inv scope:SCOPE_SE
	s_and_saveexec_b32 s46, s3
	s_cbranch_execz .LBB610_37
; %bb.36:                               ;   in Loop: Header=BB610_4 Depth=1
	ds_load_2addr_stride64_b32 v[4:5], v13 offset1:1
	s_wait_dscnt 0x0
	v_add_f32_e32 v4, v5, v4
	ds_store_b32 v13, v4
.LBB610_37:                             ;   in Loop: Header=BB610_4 Depth=1
	s_wait_alu 0xfffe
	s_or_b32 exec_lo, exec_lo, s46
	s_wait_loadcnt_dscnt 0x0
	s_barrier_signal -1
	s_barrier_wait -1
	global_inv scope:SCOPE_SE
	s_and_saveexec_b32 s46, s4
	s_cbranch_execz .LBB610_39
; %bb.38:                               ;   in Loop: Header=BB610_4 Depth=1
	ds_load_2addr_b32 v[4:5], v13 offset1:32
	s_wait_dscnt 0x0
	v_add_f32_e32 v4, v5, v4
	ds_store_b32 v13, v4
.LBB610_39:                             ;   in Loop: Header=BB610_4 Depth=1
	s_wait_alu 0xfffe
	s_or_b32 exec_lo, exec_lo, s46
	s_wait_loadcnt_dscnt 0x0
	s_barrier_signal -1
	s_barrier_wait -1
	global_inv scope:SCOPE_SE
	s_and_saveexec_b32 s46, s5
	s_cbranch_execz .LBB610_41
; %bb.40:                               ;   in Loop: Header=BB610_4 Depth=1
	ds_load_2addr_b32 v[4:5], v13 offset1:16
	s_wait_dscnt 0x0
	v_add_f32_e32 v4, v5, v4
	ds_store_b32 v13, v4
.LBB610_41:                             ;   in Loop: Header=BB610_4 Depth=1
	;; [unrolled: 14-line block ×5, first 2 shown]
	s_wait_alu 0xfffe
	s_or_b32 exec_lo, exec_lo, s46
	s_wait_loadcnt_dscnt 0x0
	s_barrier_signal -1
	s_barrier_wait -1
	global_inv scope:SCOPE_SE
	s_and_saveexec_b32 s46, s0
	s_cbranch_execz .LBB610_49
; %bb.48:                               ;   in Loop: Header=BB610_4 Depth=1
	ds_load_b64 v[4:5], v12
	s_wait_dscnt 0x0
	v_add_f32_e32 v4, v5, v4
	ds_store_b32 v12, v4
.LBB610_49:                             ;   in Loop: Header=BB610_4 Depth=1
	s_wait_alu 0xfffe
	s_or_b32 exec_lo, exec_lo, s46
	s_wait_loadcnt_dscnt 0x0
	s_barrier_signal -1
	s_barrier_wait -1
	global_inv scope:SCOPE_SE
                                        ; implicit-def: $vgpr8
	s_and_saveexec_b32 s46, s0
	s_cbranch_execz .LBB610_67
; %bb.50:                               ;   in Loop: Header=BB610_4 Depth=1
	ds_load_b32 v4, v12
	s_cmp_eq_f32 s9, 0
	s_wait_dscnt 0x0
	v_readfirstlane_b32 s47, v4
	s_mul_f32 s45, s45, s47
	s_cbranch_scc0 .LBB610_56
; %bb.51:                               ;   in Loop: Header=BB610_4 Depth=1
	s_wait_alu 0xfffe
	s_delay_alu instid0(SALU_CYCLE_1)
	s_and_b32 s47, s45, 0x7f800000
	s_mov_b32 s48, -1
	s_wait_alu 0xfffe
	s_cmp_eq_u32 s47, 0x7f800000
                                        ; implicit-def: $sgpr47
	s_cbranch_scc1 .LBB610_53
; %bb.52:                               ;   in Loop: Header=BB610_4 Depth=1
	s_bfe_u32 s47, s45, 0x10010
	s_mov_b32 s48, 0
	s_wait_alu 0xfffe
	s_add_co_i32 s47, s45, s47
	s_wait_alu 0xfffe
	s_addk_co_i32 s47, 0x7fff
.LBB610_53:                             ;   in Loop: Header=BB610_4 Depth=1
	s_and_not1_b32 vcc_lo, exec_lo, s48
	s_wait_alu 0xfffe
	s_cbranch_vccnz .LBB610_55
; %bb.54:                               ;   in Loop: Header=BB610_4 Depth=1
	s_and_b32 s47, s45, 0xffff
	s_or_b32 s48, s45, 0x10000
	s_wait_alu 0xfffe
	s_cmp_eq_u32 s47, 0
	s_cselect_b32 s47, s45, s48
.LBB610_55:                             ;   in Loop: Header=BB610_4 Depth=1
	s_wait_alu 0xfffe
	v_mov_b32_e32 v4, s47
	s_cbranch_execz .LBB610_57
	s_branch .LBB610_66
.LBB610_56:                             ;   in Loop: Header=BB610_4 Depth=1
                                        ; implicit-def: $sgpr47
	v_mov_b32_e32 v4, s47
.LBB610_57:                             ;   in Loop: Header=BB610_4 Depth=1
	v_add_co_u32 v4, vcc_lo, v15, s38
	s_wait_alu 0xfffd
	v_add_co_ci_u32_e64 v5, null, s39, v16, vcc_lo
	flat_load_u16 v4, v[4:5]
	s_wait_loadcnt_dscnt 0x0
	v_lshlrev_b32_e32 v4, 16, v4
	s_delay_alu instid0(VALU_DEP_1) | instskip(NEXT) | instid1(VALU_DEP_1)
	v_mul_f32_e32 v4, s9, v4
	v_and_b32_e32 v5, 0x7f800000, v4
	s_delay_alu instid0(VALU_DEP_1)
	v_cmp_ne_u32_e32 vcc_lo, 0x7f800000, v5
                                        ; implicit-def: $vgpr5
	s_and_saveexec_b32 s9, vcc_lo
	s_wait_alu 0xfffe
	s_xor_b32 s9, exec_lo, s9
; %bb.58:                               ;   in Loop: Header=BB610_4 Depth=1
	v_bfe_u32 v5, v4, 16, 1
	s_delay_alu instid0(VALU_DEP_1)
	v_add3_u32 v5, v4, v5, 0x7fff
                                        ; implicit-def: $vgpr4
; %bb.59:                               ;   in Loop: Header=BB610_4 Depth=1
	s_wait_alu 0xfffe
	s_and_not1_saveexec_b32 s9, s9
; %bb.60:                               ;   in Loop: Header=BB610_4 Depth=1
	v_and_b32_e32 v5, 0xffff, v4
	v_or_b32_e32 v6, 0x10000, v4
	s_delay_alu instid0(VALU_DEP_2) | instskip(SKIP_1) | instid1(VALU_DEP_2)
	v_cmp_eq_u32_e32 vcc_lo, 0, v5
	s_wait_alu 0xfffd
	v_cndmask_b32_e32 v5, v6, v4, vcc_lo
; %bb.61:                               ;   in Loop: Header=BB610_4 Depth=1
	s_wait_alu 0xfffe
	s_or_b32 exec_lo, exec_lo, s9
	s_delay_alu instid0(VALU_DEP_1) | instskip(NEXT) | instid1(VALU_DEP_1)
	v_and_b32_e32 v4, 0xffff0000, v5
	v_add_f32_e32 v5, s45, v4
	s_delay_alu instid0(VALU_DEP_1) | instskip(NEXT) | instid1(VALU_DEP_1)
	v_and_b32_e32 v4, 0x7f800000, v5
	v_cmp_ne_u32_e32 vcc_lo, 0x7f800000, v4
                                        ; implicit-def: $vgpr4
	s_and_saveexec_b32 s9, vcc_lo
	s_wait_alu 0xfffe
	s_xor_b32 s9, exec_lo, s9
; %bb.62:                               ;   in Loop: Header=BB610_4 Depth=1
	v_bfe_u32 v4, v5, 16, 1
	s_delay_alu instid0(VALU_DEP_1)
	v_add3_u32 v4, v5, v4, 0x7fff
                                        ; implicit-def: $vgpr5
; %bb.63:                               ;   in Loop: Header=BB610_4 Depth=1
	s_wait_alu 0xfffe
	s_and_not1_saveexec_b32 s9, s9
; %bb.64:                               ;   in Loop: Header=BB610_4 Depth=1
	v_and_b32_e32 v4, 0xffff, v5
	v_or_b32_e32 v6, 0x10000, v5
	s_delay_alu instid0(VALU_DEP_2) | instskip(SKIP_1) | instid1(VALU_DEP_2)
	v_cmp_eq_u32_e32 vcc_lo, 0, v4
	s_wait_alu 0xfffd
	v_cndmask_b32_e32 v4, v6, v5, vcc_lo
; %bb.65:                               ;   in Loop: Header=BB610_4 Depth=1
	s_wait_alu 0xfffe
	s_or_b32 exec_lo, exec_lo, s9
.LBB610_66:                             ;   in Loop: Header=BB610_4 Depth=1
	s_delay_alu instid0(VALU_DEP_1)
	v_lshrrev_b32_e32 v8, 16, v4
	s_or_b32 s35, s35, exec_lo
.LBB610_67:                             ;   in Loop: Header=BB610_4 Depth=1
	s_wait_alu 0xfffe
	s_or_b32 exec_lo, exec_lo, s46
.LBB610_68:                             ;   in Loop: Header=BB610_4 Depth=1
	s_wait_alu 0xfffe
	s_and_saveexec_b32 s9, s35
	s_cbranch_execz .LBB610_2
; %bb.69:                               ;   in Loop: Header=BB610_4 Depth=1
	v_add_co_u32 v4, vcc_lo, v15, s38
	s_wait_alu 0xfffd
	v_add_co_ci_u32_e64 v5, null, s39, v16, vcc_lo
	flat_store_b16 v[4:5], v8
	s_branch .LBB610_2
.LBB610_70:
	s_endpgm
	.section	.rodata,"a",@progbits
	.p2align	6, 0x0
	.amdhsa_kernel _ZL20rocblas_gemvt_kernelILb0ELi256EPK16rocblas_bfloat16PKfKPS0_EviiT2_lPKT1_lilSA_lilS7_lPT3_lili
		.amdhsa_group_segment_fixed_size 1024
		.amdhsa_private_segment_fixed_size 0
		.amdhsa_kernarg_size 140
		.amdhsa_user_sgpr_count 2
		.amdhsa_user_sgpr_dispatch_ptr 0
		.amdhsa_user_sgpr_queue_ptr 0
		.amdhsa_user_sgpr_kernarg_segment_ptr 1
		.amdhsa_user_sgpr_dispatch_id 0
		.amdhsa_user_sgpr_private_segment_size 0
		.amdhsa_wavefront_size32 1
		.amdhsa_uses_dynamic_stack 0
		.amdhsa_enable_private_segment 0
		.amdhsa_system_sgpr_workgroup_id_x 1
		.amdhsa_system_sgpr_workgroup_id_y 0
		.amdhsa_system_sgpr_workgroup_id_z 1
		.amdhsa_system_sgpr_workgroup_info 0
		.amdhsa_system_vgpr_workitem_id 0
		.amdhsa_next_free_vgpr 21
		.amdhsa_next_free_sgpr 50
		.amdhsa_reserve_vcc 1
		.amdhsa_float_round_mode_32 0
		.amdhsa_float_round_mode_16_64 0
		.amdhsa_float_denorm_mode_32 3
		.amdhsa_float_denorm_mode_16_64 3
		.amdhsa_fp16_overflow 0
		.amdhsa_workgroup_processor_mode 1
		.amdhsa_memory_ordered 1
		.amdhsa_forward_progress 1
		.amdhsa_inst_pref_size 20
		.amdhsa_round_robin_scheduling 0
		.amdhsa_exception_fp_ieee_invalid_op 0
		.amdhsa_exception_fp_denorm_src 0
		.amdhsa_exception_fp_ieee_div_zero 0
		.amdhsa_exception_fp_ieee_overflow 0
		.amdhsa_exception_fp_ieee_underflow 0
		.amdhsa_exception_fp_ieee_inexact 0
		.amdhsa_exception_int_div_zero 0
	.end_amdhsa_kernel
	.section	.text._ZL20rocblas_gemvt_kernelILb0ELi256EPK16rocblas_bfloat16PKfKPS0_EviiT2_lPKT1_lilSA_lilS7_lPT3_lili,"axG",@progbits,_ZL20rocblas_gemvt_kernelILb0ELi256EPK16rocblas_bfloat16PKfKPS0_EviiT2_lPKT1_lilSA_lilS7_lPT3_lili,comdat
.Lfunc_end610:
	.size	_ZL20rocblas_gemvt_kernelILb0ELi256EPK16rocblas_bfloat16PKfKPS0_EviiT2_lPKT1_lilSA_lilS7_lPT3_lili, .Lfunc_end610-_ZL20rocblas_gemvt_kernelILb0ELi256EPK16rocblas_bfloat16PKfKPS0_EviiT2_lPKT1_lilSA_lilS7_lPT3_lili
                                        ; -- End function
	.set _ZL20rocblas_gemvt_kernelILb0ELi256EPK16rocblas_bfloat16PKfKPS0_EviiT2_lPKT1_lilSA_lilS7_lPT3_lili.num_vgpr, 21
	.set _ZL20rocblas_gemvt_kernelILb0ELi256EPK16rocblas_bfloat16PKfKPS0_EviiT2_lPKT1_lilSA_lilS7_lPT3_lili.num_agpr, 0
	.set _ZL20rocblas_gemvt_kernelILb0ELi256EPK16rocblas_bfloat16PKfKPS0_EviiT2_lPKT1_lilSA_lilS7_lPT3_lili.numbered_sgpr, 50
	.set _ZL20rocblas_gemvt_kernelILb0ELi256EPK16rocblas_bfloat16PKfKPS0_EviiT2_lPKT1_lilSA_lilS7_lPT3_lili.num_named_barrier, 0
	.set _ZL20rocblas_gemvt_kernelILb0ELi256EPK16rocblas_bfloat16PKfKPS0_EviiT2_lPKT1_lilSA_lilS7_lPT3_lili.private_seg_size, 0
	.set _ZL20rocblas_gemvt_kernelILb0ELi256EPK16rocblas_bfloat16PKfKPS0_EviiT2_lPKT1_lilSA_lilS7_lPT3_lili.uses_vcc, 1
	.set _ZL20rocblas_gemvt_kernelILb0ELi256EPK16rocblas_bfloat16PKfKPS0_EviiT2_lPKT1_lilSA_lilS7_lPT3_lili.uses_flat_scratch, 0
	.set _ZL20rocblas_gemvt_kernelILb0ELi256EPK16rocblas_bfloat16PKfKPS0_EviiT2_lPKT1_lilSA_lilS7_lPT3_lili.has_dyn_sized_stack, 0
	.set _ZL20rocblas_gemvt_kernelILb0ELi256EPK16rocblas_bfloat16PKfKPS0_EviiT2_lPKT1_lilSA_lilS7_lPT3_lili.has_recursion, 0
	.set _ZL20rocblas_gemvt_kernelILb0ELi256EPK16rocblas_bfloat16PKfKPS0_EviiT2_lPKT1_lilSA_lilS7_lPT3_lili.has_indirect_call, 0
	.section	.AMDGPU.csdata,"",@progbits
; Kernel info:
; codeLenInByte = 2560
; TotalNumSgprs: 52
; NumVgprs: 21
; ScratchSize: 0
; MemoryBound: 0
; FloatMode: 240
; IeeeMode: 1
; LDSByteSize: 1024 bytes/workgroup (compile time only)
; SGPRBlocks: 0
; VGPRBlocks: 2
; NumSGPRsForWavesPerEU: 52
; NumVGPRsForWavesPerEU: 21
; Occupancy: 16
; WaveLimiterHint : 1
; COMPUTE_PGM_RSRC2:SCRATCH_EN: 0
; COMPUTE_PGM_RSRC2:USER_SGPR: 2
; COMPUTE_PGM_RSRC2:TRAP_HANDLER: 0
; COMPUTE_PGM_RSRC2:TGID_X_EN: 1
; COMPUTE_PGM_RSRC2:TGID_Y_EN: 0
; COMPUTE_PGM_RSRC2:TGID_Z_EN: 1
; COMPUTE_PGM_RSRC2:TIDIG_COMP_CNT: 0
	.section	.text._ZL20rocblas_gemvt_kernelILb0ELi256EPK16rocblas_bfloat16fKPS0_EviiT2_lPKT1_lilS8_lilS5_lPT3_lili,"axG",@progbits,_ZL20rocblas_gemvt_kernelILb0ELi256EPK16rocblas_bfloat16fKPS0_EviiT2_lPKT1_lilS8_lilS5_lPT3_lili,comdat
	.globl	_ZL20rocblas_gemvt_kernelILb0ELi256EPK16rocblas_bfloat16fKPS0_EviiT2_lPKT1_lilS8_lilS5_lPT3_lili ; -- Begin function _ZL20rocblas_gemvt_kernelILb0ELi256EPK16rocblas_bfloat16fKPS0_EviiT2_lPKT1_lilS8_lilS5_lPT3_lili
	.p2align	8
	.type	_ZL20rocblas_gemvt_kernelILb0ELi256EPK16rocblas_bfloat16fKPS0_EviiT2_lPKT1_lilS8_lilS5_lPT3_lili,@function
_ZL20rocblas_gemvt_kernelILb0ELi256EPK16rocblas_bfloat16fKPS0_EviiT2_lPKT1_lilS8_lilS5_lPT3_lili: ; @_ZL20rocblas_gemvt_kernelILb0ELi256EPK16rocblas_bfloat16fKPS0_EviiT2_lPKT1_lilS8_lilS5_lPT3_lili
; %bb.0:
	s_load_b32 s33, s[0:1], 0x88
	s_lshr_b32 s10, ttmp7, 16
	s_wait_kmcnt 0x0
	s_cmp_ge_u32 s10, s33
	s_cbranch_scc1 .LBB611_73
; %bb.1:
	s_clause 0x8
	s_load_b32 s26, s[0:1], 0x28
	s_load_b32 s28, s[0:1], 0x48
	;; [unrolled: 1-line block ×5, first 2 shown]
	s_load_b128 s[12:15], s[0:1], 0x18
	s_load_b32 s42, s[0:1], 0x0
	s_load_b128 s[16:19], s[0:1], 0x38
	s_load_b128 s[20:23], s[0:1], 0x68
	v_cmp_eq_u32_e64 s0, 0, v0
	v_dual_mov_b32 v13, 0 :: v_dual_lshlrev_b32 v14, 2, v0
	v_cmp_gt_u32_e64 s1, 0x80, v0
	v_cmp_gt_u32_e64 s2, 64, v0
	;; [unrolled: 1-line block ×5, first 2 shown]
	s_mov_b32 s8, ttmp9
	s_mov_b32 s11, 0
	s_wait_kmcnt 0x0
	s_ashr_i32 s27, s26, 31
	s_ashr_i32 s29, s28, 31
	;; [unrolled: 1-line block ×3, first 2 shown]
	s_cmp_eq_f32 s36, 0
	v_cmp_gt_i32_e32 vcc_lo, s42, v0
	v_mad_co_i64_i32 v[1:2], null, s28, v0, 0
	s_cselect_b32 s38, -1, 0
	s_cmp_neq_f32 s37, 1.0
	v_cndmask_b32_e32 v5, 0, v0, vcc_lo
	s_cselect_b32 s3, -1, 0
	s_cmp_neq_f32 s36, 0
	v_lshlrev_b64_e32 v[1:2], 1, v[1:2]
	s_cselect_b32 s4, -1, 0
	s_delay_alu instid0(SALU_CYCLE_1)
	s_or_b32 s39, s4, s3
	s_cmp_neq_f32 s37, 0
	v_cndmask_b32_e64 v15, 0, 1, s4
	v_cmp_gt_u32_e64 s3, 32, v0
	v_cmp_gt_u32_e64 s4, 16, v0
	s_cselect_b32 s40, -1, 0
	s_cmp_eq_f32 s37, 0
	s_cselect_b32 s41, -1, 0
	s_ashr_i32 s9, s42, 31
	s_delay_alu instid0(SALU_CYCLE_1) | instskip(NEXT) | instid1(SALU_CYCLE_1)
	s_lshr_b32 s9, s9, 24
	s_add_co_i32 s24, s42, s9
	s_ashr_i32 s9, ttmp9, 31
	s_and_b32 s24, s24, 0xffffff00
	s_cmp_gt_i32 s42, 0xff
	v_or_b32_e32 v0, s24, v0
	s_mul_u64 s[30:31], s[30:31], s[8:9]
	s_mul_u64 s[34:35], s[26:27], s[8:9]
	s_cselect_b32 s9, -1, 0
	s_ashr_i32 s25, s24, 31
	v_mad_co_i64_i32 v[3:4], null, s28, v0, 0
	v_cmp_gt_i32_e64 s8, s42, v0
	v_lshlrev_b32_e32 v0, 1, v5
	s_lshl_b64 s[26:27], s[28:29], 9
	s_lshl_b64 s[14:15], s[14:15], 1
	;; [unrolled: 1-line block ×4, first 2 shown]
	v_lshlrev_b64_e32 v[3:4], 1, v[3:4]
	s_lshl_b64 s[28:29], s[30:31], 1
	s_lshl_b64 s[30:31], s[34:35], 1
	s_wait_alu 0xfffe
	s_lshl_b64 s[34:35], s[24:25], 1
	s_branch .LBB611_4
.LBB611_2:                              ;   in Loop: Header=BB611_4 Depth=1
	s_wait_alu 0xfffe
	s_or_b32 exec_lo, exec_lo, s42
.LBB611_3:                              ;   in Loop: Header=BB611_4 Depth=1
	s_add_co_i32 s10, s10, 0x10000
	s_delay_alu instid0(SALU_CYCLE_1)
	s_cmp_lt_u32 s10, s33
	s_cbranch_scc0 .LBB611_73
.LBB611_4:                              ; =>This Loop Header: Depth=1
                                        ;     Child Loop BB611_26 Depth 2
	s_and_not1_b32 vcc_lo, exec_lo, s39
	s_wait_alu 0xfffe
	s_cbranch_vccnz .LBB611_3
; %bb.5:                                ;   in Loop: Header=BB611_4 Depth=1
	s_and_not1_b32 vcc_lo, exec_lo, s38
	s_wait_alu 0xfffe
	s_cbranch_vccnz .LBB611_7
; %bb.6:                                ;   in Loop: Header=BB611_4 Depth=1
	s_mov_b32 s25, 0
	s_branch .LBB611_8
.LBB611_7:                              ;   in Loop: Header=BB611_4 Depth=1
	s_mov_b32 s25, -1
.LBB611_8:                              ;   in Loop: Header=BB611_4 Depth=1
	v_mov_b32_e32 v5, 0
	v_dual_mov_b32 v6, 0 :: v_dual_mov_b32 v7, 0
	v_mov_b32_e32 v8, 0
	s_wait_alu 0xfffe
	s_and_not1_b32 vcc_lo, exec_lo, s25
	s_wait_alu 0xfffe
	s_cbranch_vccnz .LBB611_10
; %bb.9:                                ;   in Loop: Header=BB611_4 Depth=1
	s_lshl_b64 s[42:43], s[10:11], 3
	s_wait_alu 0xfffe
	s_add_nc_u64 s[42:43], s[12:13], s[42:43]
	global_load_b64 v[7:8], v13, s[42:43]
	s_wait_loadcnt 0x0
	v_add_co_u32 v7, vcc_lo, v7, s14
	s_wait_alu 0xfffd
	v_add_co_ci_u32_e64 v8, null, s15, v8, vcc_lo
.LBB611_10:                             ;   in Loop: Header=BB611_4 Depth=1
	v_cmp_ne_u32_e32 vcc_lo, 1, v15
	s_cbranch_vccnz .LBB611_12
; %bb.11:                               ;   in Loop: Header=BB611_4 Depth=1
	s_lshl_b64 s[42:43], s[10:11], 3
	s_wait_alu 0xfffe
	s_add_nc_u64 s[42:43], s[16:17], s[42:43]
	global_load_b64 v[5:6], v13, s[42:43]
	s_wait_loadcnt 0x0
	v_add_co_u32 v5, vcc_lo, v5, s18
	s_wait_alu 0xfffd
	v_add_co_ci_u32_e64 v6, null, s19, v6, vcc_lo
.LBB611_12:                             ;   in Loop: Header=BB611_4 Depth=1
	s_lshl_b64 s[42:43], s[10:11], 3
	s_wait_alu 0xfffe
	s_add_nc_u64 s[42:43], s[20:21], s[42:43]
	global_load_b64 v[9:10], v13, s[42:43]
	s_wait_loadcnt 0x0
	v_add_co_u32 v16, vcc_lo, v9, s22
	s_wait_alu 0xfffd
	v_add_co_ci_u32_e64 v17, null, s23, v10, vcc_lo
	s_and_not1_b32 vcc_lo, exec_lo, s38
	s_wait_alu 0xfffe
	s_cbranch_vccnz .LBB611_20
; %bb.13:                               ;   in Loop: Header=BB611_4 Depth=1
	s_mov_b32 s42, 0
	s_mov_b32 s25, 0
                                        ; implicit-def: $vgpr9
	s_and_saveexec_b32 s43, s0
	s_cbranch_execz .LBB611_21
; %bb.14:                               ;   in Loop: Header=BB611_4 Depth=1
	s_and_not1_b32 vcc_lo, exec_lo, s40
	s_wait_alu 0xfffe
	s_cbranch_vccnz .LBB611_22
; %bb.15:                               ;   in Loop: Header=BB611_4 Depth=1
	v_add_co_u32 v9, vcc_lo, v16, s28
	s_wait_alu 0xfffd
	v_add_co_ci_u32_e64 v10, null, s29, v17, vcc_lo
	flat_load_u16 v9, v[9:10]
	s_wait_loadcnt_dscnt 0x0
	v_lshlrev_b32_e32 v9, 16, v9
	s_delay_alu instid0(VALU_DEP_1) | instskip(NEXT) | instid1(VALU_DEP_1)
	v_mul_f32_e32 v9, s37, v9
	v_and_b32_e32 v10, 0x7f800000, v9
	s_delay_alu instid0(VALU_DEP_1)
	v_cmp_ne_u32_e32 vcc_lo, 0x7f800000, v10
                                        ; implicit-def: $vgpr10
	s_and_saveexec_b32 s25, vcc_lo
	s_wait_alu 0xfffe
	s_xor_b32 s25, exec_lo, s25
; %bb.16:                               ;   in Loop: Header=BB611_4 Depth=1
	v_bfe_u32 v10, v9, 16, 1
	s_delay_alu instid0(VALU_DEP_1)
	v_add3_u32 v10, v9, v10, 0x7fff
                                        ; implicit-def: $vgpr9
; %bb.17:                               ;   in Loop: Header=BB611_4 Depth=1
	s_wait_alu 0xfffe
	s_and_not1_saveexec_b32 s25, s25
; %bb.18:                               ;   in Loop: Header=BB611_4 Depth=1
	v_and_b32_e32 v10, 0xffff, v9
	v_or_b32_e32 v11, 0x10000, v9
	s_delay_alu instid0(VALU_DEP_2) | instskip(SKIP_1) | instid1(VALU_DEP_2)
	v_cmp_eq_u32_e32 vcc_lo, 0, v10
	s_wait_alu 0xfffd
	v_cndmask_b32_e32 v10, v11, v9, vcc_lo
; %bb.19:                               ;   in Loop: Header=BB611_4 Depth=1
	s_wait_alu 0xfffe
	s_or_b32 exec_lo, exec_lo, s25
	s_delay_alu instid0(VALU_DEP_1) | instskip(SKIP_2) | instid1(SALU_CYCLE_1)
	v_lshrrev_b32_e32 v9, 16, v10
	s_mov_b32 s25, exec_lo
	s_or_b32 exec_lo, exec_lo, s43
	s_and_b32 vcc_lo, exec_lo, s42
	s_wait_alu 0xfffe
	s_cbranch_vccnz .LBB611_23
	s_branch .LBB611_71
.LBB611_20:                             ;   in Loop: Header=BB611_4 Depth=1
	s_mov_b32 s25, 0
                                        ; implicit-def: $vgpr9
	s_cbranch_execnz .LBB611_23
	s_branch .LBB611_71
.LBB611_21:                             ;   in Loop: Header=BB611_4 Depth=1
	s_wait_alu 0xfffe
	s_or_b32 exec_lo, exec_lo, s43
	s_delay_alu instid0(SALU_CYCLE_1)
	s_and_b32 vcc_lo, exec_lo, s42
	s_wait_alu 0xfffe
	s_cbranch_vccnz .LBB611_23
	s_branch .LBB611_71
.LBB611_22:                             ;   in Loop: Header=BB611_4 Depth=1
	v_mov_b32_e32 v9, 0
	s_mov_b32 s25, exec_lo
	s_or_b32 exec_lo, exec_lo, s43
	s_delay_alu instid0(SALU_CYCLE_1)
	s_and_b32 vcc_lo, exec_lo, s42
	s_wait_alu 0xfffe
	s_cbranch_vccz .LBB611_71
.LBB611_23:                             ;   in Loop: Header=BB611_4 Depth=1
	v_add_co_u32 v7, vcc_lo, v7, v0
	s_wait_alu 0xfffd
	v_add_co_ci_u32_e64 v8, null, 0, v8, vcc_lo
	v_mov_b32_e32 v18, 0
	s_delay_alu instid0(VALU_DEP_3) | instskip(SKIP_1) | instid1(VALU_DEP_3)
	v_add_co_u32 v7, vcc_lo, v7, s30
	s_wait_alu 0xfffd
	v_add_co_ci_u32_e64 v8, null, s31, v8, vcc_lo
	s_and_not1_b32 vcc_lo, exec_lo, s9
	s_wait_alu 0xfffe
	s_cbranch_vccnz .LBB611_30
; %bb.24:                               ;   in Loop: Header=BB611_4 Depth=1
	v_add_co_u32 v9, vcc_lo, v5, v1
	v_mov_b32_e32 v12, v8
	s_wait_alu 0xfffd
	v_add_co_ci_u32_e64 v10, null, v6, v2, vcc_lo
	v_dual_mov_b32 v18, 0 :: v_dual_mov_b32 v11, v7
	s_mov_b32 s42, 0
	s_branch .LBB611_26
.LBB611_25:                             ;   in Loop: Header=BB611_26 Depth=2
	s_wait_alu 0xfffe
	s_or_b32 exec_lo, exec_lo, s43
	s_delay_alu instid0(VALU_DEP_1)
	v_and_b32_e32 v19, 0xffff0000, v20
	v_add_co_u32 v9, vcc_lo, v9, s26
	s_wait_alu 0xfffd
	v_add_co_ci_u32_e64 v10, null, s27, v10, vcc_lo
	v_add_co_u32 v11, vcc_lo, 0x200, v11
	v_add_f32_e32 v18, v18, v19
	s_wait_alu 0xfffd
	v_add_co_ci_u32_e64 v12, null, 0, v12, vcc_lo
	s_addk_co_i32 s42, 0x100
	s_wait_alu 0xfffe
	s_cmp_ge_i32 s42, s24
	s_cbranch_scc1 .LBB611_30
.LBB611_26:                             ;   Parent Loop BB611_4 Depth=1
                                        ; =>  This Inner Loop Header: Depth=2
	flat_load_u16 v19, v[9:10]
	flat_load_u16 v20, v[11:12]
	s_wait_loadcnt_dscnt 0x101
	v_lshlrev_b32_e32 v19, 16, v19
	s_wait_loadcnt_dscnt 0x0
	v_lshlrev_b32_e32 v20, 16, v20
	s_delay_alu instid0(VALU_DEP_1) | instskip(NEXT) | instid1(VALU_DEP_1)
	v_mul_f32_e32 v19, v20, v19
	v_and_b32_e32 v20, 0x7f800000, v19
	s_delay_alu instid0(VALU_DEP_1)
	v_cmp_ne_u32_e32 vcc_lo, 0x7f800000, v20
                                        ; implicit-def: $vgpr20
	s_and_saveexec_b32 s43, vcc_lo
	s_wait_alu 0xfffe
	s_xor_b32 s43, exec_lo, s43
; %bb.27:                               ;   in Loop: Header=BB611_26 Depth=2
	v_bfe_u32 v20, v19, 16, 1
	s_delay_alu instid0(VALU_DEP_1)
	v_add3_u32 v20, v19, v20, 0x7fff
                                        ; implicit-def: $vgpr19
; %bb.28:                               ;   in Loop: Header=BB611_26 Depth=2
	s_wait_alu 0xfffe
	s_and_not1_saveexec_b32 s43, s43
	s_cbranch_execz .LBB611_25
; %bb.29:                               ;   in Loop: Header=BB611_26 Depth=2
	v_and_b32_e32 v20, 0xffff, v19
	v_or_b32_e32 v21, 0x10000, v19
	s_delay_alu instid0(VALU_DEP_2) | instskip(SKIP_1) | instid1(VALU_DEP_2)
	v_cmp_eq_u32_e32 vcc_lo, 0, v20
	s_wait_alu 0xfffd
	v_cndmask_b32_e32 v20, v21, v19, vcc_lo
	s_branch .LBB611_25
.LBB611_30:                             ;   in Loop: Header=BB611_4 Depth=1
	s_and_saveexec_b32 s42, s8
	s_cbranch_execz .LBB611_36
; %bb.31:                               ;   in Loop: Header=BB611_4 Depth=1
	v_add_co_u32 v5, vcc_lo, v5, v3
	s_wait_alu 0xfffd
	v_add_co_ci_u32_e64 v6, null, v6, v4, vcc_lo
	v_add_co_u32 v7, vcc_lo, v7, s34
	s_wait_alu 0xfffd
	v_add_co_ci_u32_e64 v8, null, s35, v8, vcc_lo
	flat_load_u16 v5, v[5:6]
	flat_load_u16 v6, v[7:8]
	s_wait_loadcnt_dscnt 0x101
	v_lshlrev_b32_e32 v5, 16, v5
	s_wait_loadcnt_dscnt 0x0
	v_lshlrev_b32_e32 v6, 16, v6
	s_delay_alu instid0(VALU_DEP_1) | instskip(NEXT) | instid1(VALU_DEP_1)
	v_mul_f32_e32 v5, v6, v5
	v_and_b32_e32 v6, 0x7f800000, v5
	s_delay_alu instid0(VALU_DEP_1)
	v_cmp_ne_u32_e32 vcc_lo, 0x7f800000, v6
                                        ; implicit-def: $vgpr6
	s_and_saveexec_b32 s43, vcc_lo
	s_wait_alu 0xfffe
	s_xor_b32 s43, exec_lo, s43
; %bb.32:                               ;   in Loop: Header=BB611_4 Depth=1
	v_bfe_u32 v6, v5, 16, 1
	s_delay_alu instid0(VALU_DEP_1)
	v_add3_u32 v6, v5, v6, 0x7fff
                                        ; implicit-def: $vgpr5
; %bb.33:                               ;   in Loop: Header=BB611_4 Depth=1
	s_wait_alu 0xfffe
	s_and_not1_saveexec_b32 s43, s43
; %bb.34:                               ;   in Loop: Header=BB611_4 Depth=1
	v_and_b32_e32 v6, 0xffff, v5
	v_or_b32_e32 v7, 0x10000, v5
	s_delay_alu instid0(VALU_DEP_2) | instskip(SKIP_1) | instid1(VALU_DEP_2)
	v_cmp_eq_u32_e32 vcc_lo, 0, v6
	s_wait_alu 0xfffd
	v_cndmask_b32_e32 v6, v7, v5, vcc_lo
; %bb.35:                               ;   in Loop: Header=BB611_4 Depth=1
	s_wait_alu 0xfffe
	s_or_b32 exec_lo, exec_lo, s43
	s_delay_alu instid0(VALU_DEP_1) | instskip(NEXT) | instid1(VALU_DEP_1)
	v_and_b32_e32 v5, 0xffff0000, v6
	v_add_f32_e32 v18, v18, v5
.LBB611_36:                             ;   in Loop: Header=BB611_4 Depth=1
	s_wait_alu 0xfffe
	s_or_b32 exec_lo, exec_lo, s42
	ds_store_b32 v14, v18
	s_wait_dscnt 0x0
	s_barrier_signal -1
	s_barrier_wait -1
	global_inv scope:SCOPE_SE
	s_and_saveexec_b32 s42, s1
	s_cbranch_execz .LBB611_38
; %bb.37:                               ;   in Loop: Header=BB611_4 Depth=1
	ds_load_2addr_stride64_b32 v[5:6], v14 offset1:2
	s_wait_dscnt 0x0
	v_add_f32_e32 v5, v6, v5
	ds_store_b32 v14, v5
.LBB611_38:                             ;   in Loop: Header=BB611_4 Depth=1
	s_wait_alu 0xfffe
	s_or_b32 exec_lo, exec_lo, s42
	s_wait_loadcnt_dscnt 0x0
	s_barrier_signal -1
	s_barrier_wait -1
	global_inv scope:SCOPE_SE
	s_and_saveexec_b32 s42, s2
	s_cbranch_execz .LBB611_40
; %bb.39:                               ;   in Loop: Header=BB611_4 Depth=1
	ds_load_2addr_stride64_b32 v[5:6], v14 offset1:1
	s_wait_dscnt 0x0
	v_add_f32_e32 v5, v6, v5
	ds_store_b32 v14, v5
.LBB611_40:                             ;   in Loop: Header=BB611_4 Depth=1
	s_wait_alu 0xfffe
	s_or_b32 exec_lo, exec_lo, s42
	s_wait_loadcnt_dscnt 0x0
	s_barrier_signal -1
	s_barrier_wait -1
	global_inv scope:SCOPE_SE
	s_and_saveexec_b32 s42, s3
	s_cbranch_execz .LBB611_42
; %bb.41:                               ;   in Loop: Header=BB611_4 Depth=1
	ds_load_2addr_b32 v[5:6], v14 offset1:32
	s_wait_dscnt 0x0
	v_add_f32_e32 v5, v6, v5
	ds_store_b32 v14, v5
.LBB611_42:                             ;   in Loop: Header=BB611_4 Depth=1
	s_wait_alu 0xfffe
	s_or_b32 exec_lo, exec_lo, s42
	s_wait_loadcnt_dscnt 0x0
	s_barrier_signal -1
	s_barrier_wait -1
	global_inv scope:SCOPE_SE
	s_and_saveexec_b32 s42, s4
	s_cbranch_execz .LBB611_44
; %bb.43:                               ;   in Loop: Header=BB611_4 Depth=1
	ds_load_2addr_b32 v[5:6], v14 offset1:16
	s_wait_dscnt 0x0
	v_add_f32_e32 v5, v6, v5
	ds_store_b32 v14, v5
.LBB611_44:                             ;   in Loop: Header=BB611_4 Depth=1
	;; [unrolled: 14-line block ×5, first 2 shown]
	s_wait_alu 0xfffe
	s_or_b32 exec_lo, exec_lo, s42
	s_wait_loadcnt_dscnt 0x0
	s_barrier_signal -1
	s_barrier_wait -1
	global_inv scope:SCOPE_SE
	s_and_saveexec_b32 s42, s0
	s_cbranch_execz .LBB611_52
; %bb.51:                               ;   in Loop: Header=BB611_4 Depth=1
	ds_load_b64 v[5:6], v13
	s_wait_dscnt 0x0
	v_add_f32_e32 v5, v6, v5
	ds_store_b32 v13, v5
.LBB611_52:                             ;   in Loop: Header=BB611_4 Depth=1
	s_wait_alu 0xfffe
	s_or_b32 exec_lo, exec_lo, s42
	s_wait_loadcnt_dscnt 0x0
	s_barrier_signal -1
	s_barrier_wait -1
	global_inv scope:SCOPE_SE
                                        ; implicit-def: $vgpr9
	s_and_saveexec_b32 s42, s0
	s_cbranch_execz .LBB611_70
; %bb.53:                               ;   in Loop: Header=BB611_4 Depth=1
	ds_load_b32 v5, v13
	s_and_b32 vcc_lo, exec_lo, s41
	s_mov_b32 s45, -1
                                        ; implicit-def: $sgpr44
	s_wait_dscnt 0x0
	v_readfirstlane_b32 s43, v5
	s_mul_f32 s43, s36, s43
	s_wait_alu 0xfffe
	s_cbranch_vccz .LBB611_59
; %bb.54:                               ;   in Loop: Header=BB611_4 Depth=1
	s_delay_alu instid0(SALU_CYCLE_1)
	s_and_b32 s44, s43, 0x7f800000
	s_wait_alu 0xfffe
	s_cmp_eq_u32 s44, 0x7f800000
                                        ; implicit-def: $sgpr44
	s_cbranch_scc1 .LBB611_56
; %bb.55:                               ;   in Loop: Header=BB611_4 Depth=1
	s_bfe_u32 s44, s43, 0x10010
	s_mov_b32 s45, 0
	s_wait_alu 0xfffe
	s_add_co_i32 s44, s43, s44
	s_wait_alu 0xfffe
	s_addk_co_i32 s44, 0x7fff
.LBB611_56:                             ;   in Loop: Header=BB611_4 Depth=1
	s_and_not1_b32 vcc_lo, exec_lo, s45
	s_wait_alu 0xfffe
	s_cbranch_vccnz .LBB611_58
; %bb.57:                               ;   in Loop: Header=BB611_4 Depth=1
	s_and_b32 s44, s43, 0xffff
	s_or_b32 s45, s43, 0x10000
	s_wait_alu 0xfffe
	s_cmp_eq_u32 s44, 0
	s_cselect_b32 s44, s43, s45
.LBB611_58:                             ;   in Loop: Header=BB611_4 Depth=1
	s_mov_b32 s45, 0
.LBB611_59:                             ;   in Loop: Header=BB611_4 Depth=1
	s_wait_alu 0xfffe
	v_mov_b32_e32 v5, s44
	s_and_not1_b32 vcc_lo, exec_lo, s45
	s_wait_alu 0xfffe
	s_cbranch_vccnz .LBB611_69
; %bb.60:                               ;   in Loop: Header=BB611_4 Depth=1
	v_add_co_u32 v5, vcc_lo, v16, s28
	s_wait_alu 0xfffd
	v_add_co_ci_u32_e64 v6, null, s29, v17, vcc_lo
	flat_load_u16 v5, v[5:6]
	s_wait_loadcnt_dscnt 0x0
	v_lshlrev_b32_e32 v5, 16, v5
	s_delay_alu instid0(VALU_DEP_1) | instskip(NEXT) | instid1(VALU_DEP_1)
	v_mul_f32_e32 v5, s37, v5
	v_and_b32_e32 v6, 0x7f800000, v5
	s_delay_alu instid0(VALU_DEP_1)
	v_cmp_ne_u32_e32 vcc_lo, 0x7f800000, v6
                                        ; implicit-def: $vgpr6
	s_and_saveexec_b32 s44, vcc_lo
	s_wait_alu 0xfffe
	s_xor_b32 s44, exec_lo, s44
; %bb.61:                               ;   in Loop: Header=BB611_4 Depth=1
	v_bfe_u32 v6, v5, 16, 1
	s_delay_alu instid0(VALU_DEP_1)
	v_add3_u32 v6, v5, v6, 0x7fff
                                        ; implicit-def: $vgpr5
; %bb.62:                               ;   in Loop: Header=BB611_4 Depth=1
	s_wait_alu 0xfffe
	s_and_not1_saveexec_b32 s44, s44
; %bb.63:                               ;   in Loop: Header=BB611_4 Depth=1
	v_and_b32_e32 v6, 0xffff, v5
	v_or_b32_e32 v7, 0x10000, v5
	s_delay_alu instid0(VALU_DEP_2) | instskip(SKIP_1) | instid1(VALU_DEP_2)
	v_cmp_eq_u32_e32 vcc_lo, 0, v6
	s_wait_alu 0xfffd
	v_cndmask_b32_e32 v6, v7, v5, vcc_lo
; %bb.64:                               ;   in Loop: Header=BB611_4 Depth=1
	s_wait_alu 0xfffe
	s_or_b32 exec_lo, exec_lo, s44
	s_delay_alu instid0(VALU_DEP_1) | instskip(NEXT) | instid1(VALU_DEP_1)
	v_and_b32_e32 v5, 0xffff0000, v6
	v_add_f32_e32 v6, s43, v5
	s_delay_alu instid0(VALU_DEP_1) | instskip(NEXT) | instid1(VALU_DEP_1)
	v_and_b32_e32 v5, 0x7f800000, v6
	v_cmp_ne_u32_e32 vcc_lo, 0x7f800000, v5
                                        ; implicit-def: $vgpr5
	s_and_saveexec_b32 s43, vcc_lo
	s_wait_alu 0xfffe
	s_xor_b32 s43, exec_lo, s43
; %bb.65:                               ;   in Loop: Header=BB611_4 Depth=1
	v_bfe_u32 v5, v6, 16, 1
	s_delay_alu instid0(VALU_DEP_1)
	v_add3_u32 v5, v6, v5, 0x7fff
                                        ; implicit-def: $vgpr6
; %bb.66:                               ;   in Loop: Header=BB611_4 Depth=1
	s_wait_alu 0xfffe
	s_and_not1_saveexec_b32 s43, s43
; %bb.67:                               ;   in Loop: Header=BB611_4 Depth=1
	v_and_b32_e32 v5, 0xffff, v6
	v_or_b32_e32 v7, 0x10000, v6
	s_delay_alu instid0(VALU_DEP_2) | instskip(SKIP_1) | instid1(VALU_DEP_2)
	v_cmp_eq_u32_e32 vcc_lo, 0, v5
	s_wait_alu 0xfffd
	v_cndmask_b32_e32 v5, v7, v6, vcc_lo
; %bb.68:                               ;   in Loop: Header=BB611_4 Depth=1
	s_wait_alu 0xfffe
	s_or_b32 exec_lo, exec_lo, s43
.LBB611_69:                             ;   in Loop: Header=BB611_4 Depth=1
	s_delay_alu instid0(VALU_DEP_1)
	v_lshrrev_b32_e32 v9, 16, v5
	s_or_b32 s25, s25, exec_lo
.LBB611_70:                             ;   in Loop: Header=BB611_4 Depth=1
	s_wait_alu 0xfffe
	s_or_b32 exec_lo, exec_lo, s42
.LBB611_71:                             ;   in Loop: Header=BB611_4 Depth=1
	s_wait_alu 0xfffe
	s_and_saveexec_b32 s42, s25
	s_cbranch_execz .LBB611_2
; %bb.72:                               ;   in Loop: Header=BB611_4 Depth=1
	v_add_co_u32 v5, vcc_lo, v16, s28
	s_wait_alu 0xfffd
	v_add_co_ci_u32_e64 v6, null, s29, v17, vcc_lo
	flat_store_b16 v[5:6], v9
	s_branch .LBB611_2
.LBB611_73:
	s_endpgm
	.section	.rodata,"a",@progbits
	.p2align	6, 0x0
	.amdhsa_kernel _ZL20rocblas_gemvt_kernelILb0ELi256EPK16rocblas_bfloat16fKPS0_EviiT2_lPKT1_lilS8_lilS5_lPT3_lili
		.amdhsa_group_segment_fixed_size 1024
		.amdhsa_private_segment_fixed_size 0
		.amdhsa_kernarg_size 140
		.amdhsa_user_sgpr_count 2
		.amdhsa_user_sgpr_dispatch_ptr 0
		.amdhsa_user_sgpr_queue_ptr 0
		.amdhsa_user_sgpr_kernarg_segment_ptr 1
		.amdhsa_user_sgpr_dispatch_id 0
		.amdhsa_user_sgpr_private_segment_size 0
		.amdhsa_wavefront_size32 1
		.amdhsa_uses_dynamic_stack 0
		.amdhsa_enable_private_segment 0
		.amdhsa_system_sgpr_workgroup_id_x 1
		.amdhsa_system_sgpr_workgroup_id_y 0
		.amdhsa_system_sgpr_workgroup_id_z 1
		.amdhsa_system_sgpr_workgroup_info 0
		.amdhsa_system_vgpr_workitem_id 0
		.amdhsa_next_free_vgpr 22
		.amdhsa_next_free_sgpr 46
		.amdhsa_reserve_vcc 1
		.amdhsa_float_round_mode_32 0
		.amdhsa_float_round_mode_16_64 0
		.amdhsa_float_denorm_mode_32 3
		.amdhsa_float_denorm_mode_16_64 3
		.amdhsa_fp16_overflow 0
		.amdhsa_workgroup_processor_mode 1
		.amdhsa_memory_ordered 1
		.amdhsa_forward_progress 1
		.amdhsa_inst_pref_size 20
		.amdhsa_round_robin_scheduling 0
		.amdhsa_exception_fp_ieee_invalid_op 0
		.amdhsa_exception_fp_denorm_src 0
		.amdhsa_exception_fp_ieee_div_zero 0
		.amdhsa_exception_fp_ieee_overflow 0
		.amdhsa_exception_fp_ieee_underflow 0
		.amdhsa_exception_fp_ieee_inexact 0
		.amdhsa_exception_int_div_zero 0
	.end_amdhsa_kernel
	.section	.text._ZL20rocblas_gemvt_kernelILb0ELi256EPK16rocblas_bfloat16fKPS0_EviiT2_lPKT1_lilS8_lilS5_lPT3_lili,"axG",@progbits,_ZL20rocblas_gemvt_kernelILb0ELi256EPK16rocblas_bfloat16fKPS0_EviiT2_lPKT1_lilS8_lilS5_lPT3_lili,comdat
.Lfunc_end611:
	.size	_ZL20rocblas_gemvt_kernelILb0ELi256EPK16rocblas_bfloat16fKPS0_EviiT2_lPKT1_lilS8_lilS5_lPT3_lili, .Lfunc_end611-_ZL20rocblas_gemvt_kernelILb0ELi256EPK16rocblas_bfloat16fKPS0_EviiT2_lPKT1_lilS8_lilS5_lPT3_lili
                                        ; -- End function
	.set _ZL20rocblas_gemvt_kernelILb0ELi256EPK16rocblas_bfloat16fKPS0_EviiT2_lPKT1_lilS8_lilS5_lPT3_lili.num_vgpr, 22
	.set _ZL20rocblas_gemvt_kernelILb0ELi256EPK16rocblas_bfloat16fKPS0_EviiT2_lPKT1_lilS8_lilS5_lPT3_lili.num_agpr, 0
	.set _ZL20rocblas_gemvt_kernelILb0ELi256EPK16rocblas_bfloat16fKPS0_EviiT2_lPKT1_lilS8_lilS5_lPT3_lili.numbered_sgpr, 46
	.set _ZL20rocblas_gemvt_kernelILb0ELi256EPK16rocblas_bfloat16fKPS0_EviiT2_lPKT1_lilS8_lilS5_lPT3_lili.num_named_barrier, 0
	.set _ZL20rocblas_gemvt_kernelILb0ELi256EPK16rocblas_bfloat16fKPS0_EviiT2_lPKT1_lilS8_lilS5_lPT3_lili.private_seg_size, 0
	.set _ZL20rocblas_gemvt_kernelILb0ELi256EPK16rocblas_bfloat16fKPS0_EviiT2_lPKT1_lilS8_lilS5_lPT3_lili.uses_vcc, 1
	.set _ZL20rocblas_gemvt_kernelILb0ELi256EPK16rocblas_bfloat16fKPS0_EviiT2_lPKT1_lilS8_lilS5_lPT3_lili.uses_flat_scratch, 0
	.set _ZL20rocblas_gemvt_kernelILb0ELi256EPK16rocblas_bfloat16fKPS0_EviiT2_lPKT1_lilS8_lilS5_lPT3_lili.has_dyn_sized_stack, 0
	.set _ZL20rocblas_gemvt_kernelILb0ELi256EPK16rocblas_bfloat16fKPS0_EviiT2_lPKT1_lilS8_lilS5_lPT3_lili.has_recursion, 0
	.set _ZL20rocblas_gemvt_kernelILb0ELi256EPK16rocblas_bfloat16fKPS0_EviiT2_lPKT1_lilS8_lilS5_lPT3_lili.has_indirect_call, 0
	.section	.AMDGPU.csdata,"",@progbits
; Kernel info:
; codeLenInByte = 2544
; TotalNumSgprs: 48
; NumVgprs: 22
; ScratchSize: 0
; MemoryBound: 0
; FloatMode: 240
; IeeeMode: 1
; LDSByteSize: 1024 bytes/workgroup (compile time only)
; SGPRBlocks: 0
; VGPRBlocks: 2
; NumSGPRsForWavesPerEU: 48
; NumVGPRsForWavesPerEU: 22
; Occupancy: 16
; WaveLimiterHint : 1
; COMPUTE_PGM_RSRC2:SCRATCH_EN: 0
; COMPUTE_PGM_RSRC2:USER_SGPR: 2
; COMPUTE_PGM_RSRC2:TRAP_HANDLER: 0
; COMPUTE_PGM_RSRC2:TGID_X_EN: 1
; COMPUTE_PGM_RSRC2:TGID_Y_EN: 0
; COMPUTE_PGM_RSRC2:TGID_Z_EN: 1
; COMPUTE_PGM_RSRC2:TIDIG_COMP_CNT: 0
	.section	.text._ZL32rocblas_gemvt_warp_reduce_kernelILb0ELi1024EiPK16rocblas_bfloat16PKfKPS0_EviiT3_lPKT2_lT1_lSA_lSB_lS7_lPT4_lSB_li,"axG",@progbits,_ZL32rocblas_gemvt_warp_reduce_kernelILb0ELi1024EiPK16rocblas_bfloat16PKfKPS0_EviiT3_lPKT2_lT1_lSA_lSB_lS7_lPT4_lSB_li,comdat
	.globl	_ZL32rocblas_gemvt_warp_reduce_kernelILb0ELi1024EiPK16rocblas_bfloat16PKfKPS0_EviiT3_lPKT2_lT1_lSA_lSB_lS7_lPT4_lSB_li ; -- Begin function _ZL32rocblas_gemvt_warp_reduce_kernelILb0ELi1024EiPK16rocblas_bfloat16PKfKPS0_EviiT3_lPKT2_lT1_lSA_lSB_lS7_lPT4_lSB_li
	.p2align	8
	.type	_ZL32rocblas_gemvt_warp_reduce_kernelILb0ELi1024EiPK16rocblas_bfloat16PKfKPS0_EviiT3_lPKT2_lT1_lSA_lSB_lS7_lPT4_lSB_li,@function
_ZL32rocblas_gemvt_warp_reduce_kernelILb0ELi1024EiPK16rocblas_bfloat16PKfKPS0_EviiT3_lPKT2_lT1_lSA_lSB_lS7_lPT4_lSB_li: ; @_ZL32rocblas_gemvt_warp_reduce_kernelILb0ELi1024EiPK16rocblas_bfloat16PKfKPS0_EviiT3_lPKT2_lT1_lSA_lSB_lS7_lPT4_lSB_li
; %bb.0:
	s_load_b32 s7, s[0:1], 0x88
	s_lshr_b32 s28, ttmp7, 16
	s_wait_kmcnt 0x0
	s_cmp_ge_u32 s28, s7
	s_cbranch_scc1 .LBB612_63
; %bb.1:
	s_clause 0x6
	s_load_b32 s4, s[0:1], 0x0
	s_load_b32 s3, s[0:1], 0x78
	s_load_b256 s[8:15], s[0:1], 0x8
	s_load_b32 s5, s[0:1], 0x28
	s_load_b128 s[24:27], s[0:1], 0x38
	s_load_b32 s6, s[0:1], 0x48
	s_load_b256 s[16:23], s[0:1], 0x58
	v_lshrrev_b32_e32 v2, 3, v0
	v_and_b32_e32 v1, 31, v0
	v_mov_b32_e32 v11, 0
	v_mbcnt_lo_u32_b32 v15, -1, 0
	v_cmp_eq_u32_e64 s0, 0, v0
	v_and_b32_e32 v13, 0x7c, v2
	v_lshlrev_b32_e32 v12, 2, v1
	v_cmp_gt_u32_e64 s1, 32, v0
	v_lshl_or_b32 v17, v15, 2, 64
	s_mov_b32 s29, 0
	s_wait_kmcnt 0x0
	s_ashr_i32 s2, s4, 31
	v_cmp_gt_i32_e32 vcc_lo, s4, v0
	s_lshr_b32 s2, s2, 22
	s_mul_i32 s34, s3, ttmp9
	s_add_co_i32 s30, s4, s2
	v_cmp_eq_u32_e64 s2, 0, v1
	s_and_b32 s30, s30, 0xfffffc00
	v_cndmask_b32_e32 v3, 0, v0, vcc_lo
	v_or_b32_e32 v2, s30, v0
	v_mul_lo_u32 v14, v0, s6
	s_mul_i32 s36, s5, ttmp9
	v_cmp_gt_i32_e64 s3, s30, v0
	v_lshlrev_b32_e32 v16, 1, v3
	v_mul_lo_u32 v1, s6, v2
	v_cmp_gt_i32_e64 s4, s4, v2
	s_ashr_i32 s35, s34, 31
	s_ashr_i32 s37, s36, 31
	;; [unrolled: 1-line block ×3, first 2 shown]
	s_lshl_b32 s33, s6, 10
	s_lshl_b64 s[14:15], s[14:15], 1
	s_lshl_b64 s[26:27], s[26:27], 1
	v_ashrrev_i32_e32 v2, 31, v1
	s_lshl_b64 s[22:23], s[22:23], 1
	s_lshl_b64 s[34:35], s[34:35], 1
	s_lshl_b64 s[36:37], s[36:37], 1
	s_wait_alu 0xfffe
	s_lshl_b64 s[38:39], s[30:31], 1
	v_lshlrev_b64_e32 v[1:2], 1, v[1:2]
	s_branch .LBB612_4
.LBB612_2:                              ;   in Loop: Header=BB612_4 Depth=1
	s_wait_alu 0xfffe
	s_or_b32 exec_lo, exec_lo, s5
.LBB612_3:                              ;   in Loop: Header=BB612_4 Depth=1
	s_add_co_i32 s28, s28, 0x10000
	s_delay_alu instid0(SALU_CYCLE_1)
	s_cmp_lt_u32 s28, s7
	s_cbranch_scc0 .LBB612_63
.LBB612_4:                              ; =>This Loop Header: Depth=1
                                        ;     Child Loop BB612_31 Depth 2
	s_mul_u64 s[40:41], s[10:11], s[28:29]
	s_mul_u64 s[42:43], s[18:19], s[28:29]
	s_lshl_b64 s[40:41], s[40:41], 2
	s_lshl_b64 s[42:43], s[42:43], 2
	s_add_nc_u64 s[40:41], s[8:9], s[40:41]
	s_add_nc_u64 s[42:43], s[16:17], s[42:43]
	s_clause 0x1
	global_load_b32 v20, v11, s[40:41]
	global_load_b32 v3, v11, s[42:43]
	s_wait_loadcnt 0x1
	v_cmp_eq_f32_e64 s5, 0, v20
	s_wait_loadcnt 0x0
	v_cmp_eq_f32_e32 vcc_lo, 1.0, v3
	v_readfirstlane_b32 s31, v3
	s_and_b32 s6, s5, vcc_lo
	s_wait_alu 0xfffe
	s_and_b32 vcc_lo, exec_lo, s6
	s_wait_alu 0xfffe
	s_cbranch_vccnz .LBB612_3
; %bb.5:                                ;   in Loop: Header=BB612_4 Depth=1
	v_mov_b32_e32 v3, 0
	v_dual_mov_b32 v4, 0 :: v_dual_mov_b32 v5, 0
	v_cmp_neq_f32_e64 s6, 0, v20
	v_mov_b32_e32 v6, 0
	s_and_b32 vcc_lo, exec_lo, s5
	s_wait_alu 0xfffe
	s_cbranch_vccnz .LBB612_7
; %bb.6:                                ;   in Loop: Header=BB612_4 Depth=1
	s_lshl_b64 s[40:41], s[28:29], 3
	s_delay_alu instid0(SALU_CYCLE_1)
	s_add_nc_u64 s[40:41], s[12:13], s[40:41]
	global_load_b64 v[5:6], v11, s[40:41]
	s_wait_loadcnt 0x0
	v_add_co_u32 v5, vcc_lo, v5, s14
	s_wait_alu 0xfffd
	v_add_co_ci_u32_e64 v6, null, s15, v6, vcc_lo
.LBB612_7:                              ;   in Loop: Header=BB612_4 Depth=1
	s_and_not1_b32 vcc_lo, exec_lo, s6
	s_wait_alu 0xfffe
	s_cbranch_vccnz .LBB612_9
; %bb.8:                                ;   in Loop: Header=BB612_4 Depth=1
	s_lshl_b64 s[40:41], s[28:29], 3
	s_delay_alu instid0(SALU_CYCLE_1)
	s_add_nc_u64 s[40:41], s[24:25], s[40:41]
	global_load_b64 v[3:4], v11, s[40:41]
	s_wait_loadcnt 0x0
	v_add_co_u32 v3, vcc_lo, v3, s26
	s_wait_alu 0xfffd
	v_add_co_ci_u32_e64 v4, null, s27, v4, vcc_lo
.LBB612_9:                              ;   in Loop: Header=BB612_4 Depth=1
	s_lshl_b64 s[40:41], s[28:29], 3
	s_delay_alu instid0(SALU_CYCLE_1)
	s_add_nc_u64 s[40:41], s[20:21], s[40:41]
	s_wait_dscnt 0x0
	global_load_b64 v[7:8], v11, s[40:41]
	s_wait_loadcnt 0x0
	v_add_co_u32 v18, vcc_lo, v7, s22
	s_wait_alu 0xfffd
	v_add_co_ci_u32_e64 v19, null, s23, v8, vcc_lo
	s_and_not1_b32 vcc_lo, exec_lo, s5
	s_wait_alu 0xfffe
	s_cbranch_vccnz .LBB612_17
; %bb.10:                               ;   in Loop: Header=BB612_4 Depth=1
	s_mov_b32 s5, 0
	s_mov_b32 s6, 0
                                        ; implicit-def: $vgpr7
	s_and_saveexec_b32 s40, s0
	s_cbranch_execz .LBB612_18
; %bb.11:                               ;   in Loop: Header=BB612_4 Depth=1
	s_cmp_eq_f32 s31, 0
	s_cbranch_scc1 .LBB612_19
; %bb.12:                               ;   in Loop: Header=BB612_4 Depth=1
	v_add_co_u32 v7, vcc_lo, v18, s34
	s_wait_alu 0xfffd
	v_add_co_ci_u32_e64 v8, null, s35, v19, vcc_lo
	flat_load_u16 v7, v[7:8]
	s_wait_loadcnt_dscnt 0x0
	v_lshlrev_b32_e32 v7, 16, v7
	s_delay_alu instid0(VALU_DEP_1) | instskip(NEXT) | instid1(VALU_DEP_1)
	v_mul_f32_e32 v7, s31, v7
	v_and_b32_e32 v8, 0x7f800000, v7
	s_delay_alu instid0(VALU_DEP_1)
	v_cmp_ne_u32_e32 vcc_lo, 0x7f800000, v8
                                        ; implicit-def: $vgpr8
	s_and_saveexec_b32 s6, vcc_lo
	s_wait_alu 0xfffe
	s_xor_b32 s6, exec_lo, s6
; %bb.13:                               ;   in Loop: Header=BB612_4 Depth=1
	v_bfe_u32 v8, v7, 16, 1
	s_delay_alu instid0(VALU_DEP_1)
	v_add3_u32 v8, v7, v8, 0x7fff
                                        ; implicit-def: $vgpr7
; %bb.14:                               ;   in Loop: Header=BB612_4 Depth=1
	s_wait_alu 0xfffe
	s_and_not1_saveexec_b32 s6, s6
; %bb.15:                               ;   in Loop: Header=BB612_4 Depth=1
	v_and_b32_e32 v8, 0xffff, v7
	v_or_b32_e32 v9, 0x10000, v7
	s_delay_alu instid0(VALU_DEP_2) | instskip(SKIP_1) | instid1(VALU_DEP_2)
	v_cmp_eq_u32_e32 vcc_lo, 0, v8
	s_wait_alu 0xfffd
	v_cndmask_b32_e32 v8, v9, v7, vcc_lo
; %bb.16:                               ;   in Loop: Header=BB612_4 Depth=1
	s_wait_alu 0xfffe
	s_or_b32 exec_lo, exec_lo, s6
	s_delay_alu instid0(VALU_DEP_1) | instskip(SKIP_2) | instid1(SALU_CYCLE_1)
	v_lshrrev_b32_e32 v7, 16, v8
	s_mov_b32 s6, exec_lo
	s_or_b32 exec_lo, exec_lo, s40
	s_and_b32 vcc_lo, exec_lo, s5
	s_wait_alu 0xfffe
	s_cbranch_vccnz .LBB612_20
	s_branch .LBB612_61
.LBB612_17:                             ;   in Loop: Header=BB612_4 Depth=1
	s_mov_b32 s6, 0
                                        ; implicit-def: $vgpr7
	s_cbranch_execnz .LBB612_20
	s_branch .LBB612_61
.LBB612_18:                             ;   in Loop: Header=BB612_4 Depth=1
	s_or_b32 exec_lo, exec_lo, s40
	s_wait_alu 0xfffe
	s_and_b32 vcc_lo, exec_lo, s5
	s_wait_alu 0xfffe
	s_cbranch_vccnz .LBB612_20
	s_branch .LBB612_61
.LBB612_19:                             ;   in Loop: Header=BB612_4 Depth=1
	v_mov_b32_e32 v7, 0
	s_mov_b32 s6, exec_lo
	s_or_b32 exec_lo, exec_lo, s40
	s_wait_alu 0xfffe
	s_and_b32 vcc_lo, exec_lo, s5
	s_wait_alu 0xfffe
	s_cbranch_vccz .LBB612_61
.LBB612_20:                             ;   in Loop: Header=BB612_4 Depth=1
	v_add_co_u32 v5, vcc_lo, v5, v16
	s_wait_alu 0xfffd
	v_add_co_ci_u32_e64 v6, null, 0, v6, vcc_lo
	v_mov_b32_e32 v21, 0
	s_delay_alu instid0(VALU_DEP_3) | instskip(SKIP_1) | instid1(VALU_DEP_3)
	v_add_co_u32 v5, vcc_lo, v5, s36
	s_wait_alu 0xfffd
	v_add_co_ci_u32_e64 v6, null, s37, v6, vcc_lo
	s_and_saveexec_b32 s40, s3
	s_cbranch_execnz .LBB612_29
; %bb.21:                               ;   in Loop: Header=BB612_4 Depth=1
	s_or_b32 exec_lo, exec_lo, s40
	s_and_saveexec_b32 s5, s4
	s_cbranch_execnz .LBB612_44
.LBB612_22:                             ;   in Loop: Header=BB612_4 Depth=1
	s_wait_alu 0xfffe
	s_or_b32 exec_lo, exec_lo, s5
	s_and_saveexec_b32 s5, s1
.LBB612_23:                             ;   in Loop: Header=BB612_4 Depth=1
	ds_store_b32 v12, v11
.LBB612_24:                             ;   in Loop: Header=BB612_4 Depth=1
	s_wait_alu 0xfffe
	s_or_b32 exec_lo, exec_lo, s5
	ds_bpermute_b32 v4, v17, v21
	v_cmp_gt_u32_e32 vcc_lo, 24, v15
	s_wait_dscnt 0x0
	s_barrier_signal -1
	s_barrier_wait -1
	global_inv scope:SCOPE_SE
	s_wait_alu 0xfffd
	v_cndmask_b32_e64 v3, 0, 8, vcc_lo
	v_cmp_gt_u32_e32 vcc_lo, 28, v15
	s_delay_alu instid0(VALU_DEP_2)
	v_add_lshl_u32 v3, v3, v15, 2
	v_add_f32_e32 v5, v21, v4
	s_wait_alu 0xfffd
	v_cndmask_b32_e64 v4, 0, 4, vcc_lo
	v_cmp_gt_u32_e32 vcc_lo, 30, v15
	ds_bpermute_b32 v6, v3, v5
	v_add_lshl_u32 v4, v4, v15, 2
	s_wait_dscnt 0x0
	v_add_f32_e32 v6, v5, v6
	s_wait_alu 0xfffd
	v_cndmask_b32_e64 v5, 0, 2, vcc_lo
	v_cmp_ne_u32_e32 vcc_lo, 31, v15
	ds_bpermute_b32 v7, v4, v6
	v_add_lshl_u32 v5, v5, v15, 2
	s_wait_alu 0xfffd
	v_add_co_ci_u32_e64 v8, null, 0, v15, vcc_lo
	s_wait_dscnt 0x0
	v_add_f32_e32 v6, v6, v7
	ds_bpermute_b32 v7, v5, v6
	s_wait_dscnt 0x0
	v_dual_add_f32 v7, v6, v7 :: v_dual_lshlrev_b32 v6, 2, v8
	ds_bpermute_b32 v8, v6, v7
	s_and_saveexec_b32 s5, s2
	s_cbranch_execz .LBB612_26
; %bb.25:                               ;   in Loop: Header=BB612_4 Depth=1
	s_wait_dscnt 0x0
	v_add_f32_e32 v7, v7, v8
	ds_store_b32 v13, v7
.LBB612_26:                             ;   in Loop: Header=BB612_4 Depth=1
	s_wait_alu 0xfffe
	s_or_b32 exec_lo, exec_lo, s5
	s_wait_dscnt 0x0
	v_mov_b32_e32 v8, 0
	s_wait_loadcnt 0x0
	s_barrier_signal -1
	s_barrier_wait -1
	global_inv scope:SCOPE_SE
	s_and_saveexec_b32 s5, s1
	s_cbranch_execnz .LBB612_35
; %bb.27:                               ;   in Loop: Header=BB612_4 Depth=1
	s_wait_alu 0xfffe
	s_or_b32 exec_lo, exec_lo, s5
	s_and_saveexec_b32 s5, s1
	s_cbranch_execnz .LBB612_36
.LBB612_28:                             ;   in Loop: Header=BB612_4 Depth=1
	s_wait_alu 0xfffe
	s_or_b32 exec_lo, exec_lo, s5
                                        ; implicit-def: $vgpr7
	s_and_saveexec_b32 s5, s0
	s_cbranch_execnz .LBB612_37
	s_branch .LBB612_60
.LBB612_29:                             ;   in Loop: Header=BB612_4 Depth=1
	v_dual_mov_b32 v21, 0 :: v_dual_mov_b32 v8, v6
	v_dual_mov_b32 v7, v5 :: v_dual_mov_b32 v22, v0
	v_mov_b32_e32 v9, v14
	s_mov_b32 s41, 0
	s_branch .LBB612_31
.LBB612_30:                             ;   in Loop: Header=BB612_31 Depth=2
	s_wait_alu 0xfffe
	s_or_b32 exec_lo, exec_lo, s5
	v_add_nc_u32_e32 v22, 0x400, v22
	v_and_b32_e32 v10, 0xffff0000, v23
	v_add_co_u32 v7, s5, 0x800, v7
	v_add_nc_u32_e32 v9, s33, v9
	s_delay_alu instid0(VALU_DEP_4) | instskip(NEXT) | instid1(VALU_DEP_4)
	v_cmp_le_i32_e32 vcc_lo, s30, v22
	v_add_f32_e32 v21, v21, v10
	s_wait_alu 0xf1ff
	v_add_co_ci_u32_e64 v8, null, 0, v8, s5
	s_or_b32 s41, vcc_lo, s41
	s_delay_alu instid0(SALU_CYCLE_1)
	s_and_not1_b32 exec_lo, exec_lo, s41
	s_cbranch_execz .LBB612_43
.LBB612_31:                             ;   Parent Loop BB612_4 Depth=1
                                        ; =>  This Inner Loop Header: Depth=2
	s_delay_alu instid0(VALU_DEP_1) | instskip(NEXT) | instid1(VALU_DEP_1)
	v_ashrrev_i32_e32 v10, 31, v9
	v_lshlrev_b64_e32 v[23:24], 1, v[9:10]
	s_delay_alu instid0(VALU_DEP_1) | instskip(SKIP_1) | instid1(VALU_DEP_2)
	v_add_co_u32 v23, vcc_lo, v3, v23
	s_wait_alu 0xfffd
	v_add_co_ci_u32_e64 v24, null, v4, v24, vcc_lo
	flat_load_u16 v10, v[7:8]
	flat_load_u16 v23, v[23:24]
	s_wait_loadcnt_dscnt 0x101
	v_lshlrev_b32_e32 v10, 16, v10
	s_wait_loadcnt_dscnt 0x0
	v_lshlrev_b32_e32 v23, 16, v23
	s_delay_alu instid0(VALU_DEP_1) | instskip(NEXT) | instid1(VALU_DEP_1)
	v_mul_f32_e32 v10, v10, v23
	v_and_b32_e32 v23, 0x7f800000, v10
	s_delay_alu instid0(VALU_DEP_1)
	v_cmp_ne_u32_e32 vcc_lo, 0x7f800000, v23
                                        ; implicit-def: $vgpr23
	s_and_saveexec_b32 s5, vcc_lo
	s_wait_alu 0xfffe
	s_xor_b32 s5, exec_lo, s5
; %bb.32:                               ;   in Loop: Header=BB612_31 Depth=2
	v_bfe_u32 v23, v10, 16, 1
	s_delay_alu instid0(VALU_DEP_1)
	v_add3_u32 v23, v10, v23, 0x7fff
                                        ; implicit-def: $vgpr10
; %bb.33:                               ;   in Loop: Header=BB612_31 Depth=2
	s_wait_alu 0xfffe
	s_and_not1_saveexec_b32 s5, s5
	s_cbranch_execz .LBB612_30
; %bb.34:                               ;   in Loop: Header=BB612_31 Depth=2
	v_and_b32_e32 v23, 0xffff, v10
	v_or_b32_e32 v24, 0x10000, v10
	s_delay_alu instid0(VALU_DEP_2) | instskip(SKIP_1) | instid1(VALU_DEP_2)
	v_cmp_eq_u32_e32 vcc_lo, 0, v23
	s_wait_alu 0xfffd
	v_cndmask_b32_e32 v23, v24, v10, vcc_lo
	s_branch .LBB612_30
.LBB612_35:                             ;   in Loop: Header=BB612_4 Depth=1
	ds_load_b32 v8, v12
	s_wait_alu 0xfffe
	s_or_b32 exec_lo, exec_lo, s5
	s_and_saveexec_b32 s5, s1
	s_cbranch_execz .LBB612_28
.LBB612_36:                             ;   in Loop: Header=BB612_4 Depth=1
	s_wait_dscnt 0x0
	ds_bpermute_b32 v7, v17, v8
	s_wait_dscnt 0x0
	v_add_f32_e32 v7, v8, v7
	ds_bpermute_b32 v3, v3, v7
	s_wait_dscnt 0x0
	v_add_f32_e32 v3, v7, v3
	;; [unrolled: 3-line block ×5, first 2 shown]
	s_wait_alu 0xfffe
	s_or_b32 exec_lo, exec_lo, s5
                                        ; implicit-def: $vgpr7
	s_and_saveexec_b32 s5, s0
	s_cbranch_execz .LBB612_60
.LBB612_37:                             ;   in Loop: Header=BB612_4 Depth=1
	s_wait_dscnt 0x0
	v_mul_f32_e32 v3, v20, v8
	s_cmp_eq_f32 s31, 0
	s_cbranch_scc0 .LBB612_49
; %bb.38:                               ;   in Loop: Header=BB612_4 Depth=1
	s_delay_alu instid0(VALU_DEP_1) | instskip(NEXT) | instid1(VALU_DEP_1)
	v_and_b32_e32 v4, 0x7f800000, v3
	v_cmp_ne_u32_e32 vcc_lo, 0x7f800000, v4
                                        ; implicit-def: $vgpr4
	s_and_saveexec_b32 s40, vcc_lo
	s_delay_alu instid0(SALU_CYCLE_1)
	s_xor_b32 s40, exec_lo, s40
; %bb.39:                               ;   in Loop: Header=BB612_4 Depth=1
	v_bfe_u32 v4, v3, 16, 1
	s_delay_alu instid0(VALU_DEP_1)
	v_add3_u32 v4, v3, v4, 0x7fff
; %bb.40:                               ;   in Loop: Header=BB612_4 Depth=1
	s_and_not1_saveexec_b32 s40, s40
; %bb.41:                               ;   in Loop: Header=BB612_4 Depth=1
	v_and_b32_e32 v4, 0xffff, v3
	v_or_b32_e32 v5, 0x10000, v3
	s_delay_alu instid0(VALU_DEP_2) | instskip(SKIP_1) | instid1(VALU_DEP_2)
	v_cmp_eq_u32_e32 vcc_lo, 0, v4
	s_wait_alu 0xfffd
	v_cndmask_b32_e32 v4, v5, v3, vcc_lo
; %bb.42:                               ;   in Loop: Header=BB612_4 Depth=1
	s_or_b32 exec_lo, exec_lo, s40
	s_cbranch_execz .LBB612_50
	s_branch .LBB612_59
.LBB612_43:                             ;   in Loop: Header=BB612_4 Depth=1
	s_or_b32 exec_lo, exec_lo, s41
	s_delay_alu instid0(SALU_CYCLE_1)
	s_or_b32 exec_lo, exec_lo, s40
	s_and_saveexec_b32 s5, s4
	s_cbranch_execz .LBB612_22
.LBB612_44:                             ;   in Loop: Header=BB612_4 Depth=1
	v_add_co_u32 v3, vcc_lo, v3, v1
	s_wait_alu 0xfffd
	v_add_co_ci_u32_e64 v4, null, v4, v2, vcc_lo
	v_add_co_u32 v5, vcc_lo, v5, s38
	s_wait_alu 0xfffd
	v_add_co_ci_u32_e64 v6, null, s39, v6, vcc_lo
	flat_load_u16 v3, v[3:4]
	flat_load_u16 v4, v[5:6]
	s_wait_loadcnt_dscnt 0x101
	v_lshlrev_b32_e32 v3, 16, v3
	s_wait_loadcnt_dscnt 0x0
	v_lshlrev_b32_e32 v4, 16, v4
	s_delay_alu instid0(VALU_DEP_1) | instskip(NEXT) | instid1(VALU_DEP_1)
	v_mul_f32_e32 v3, v4, v3
	v_and_b32_e32 v4, 0x7f800000, v3
	s_delay_alu instid0(VALU_DEP_1) | instskip(SKIP_1) | instid1(SALU_CYCLE_1)
	v_cmp_ne_u32_e32 vcc_lo, 0x7f800000, v4
                                        ; implicit-def: $vgpr4
	s_and_saveexec_b32 s40, vcc_lo
	s_xor_b32 s40, exec_lo, s40
; %bb.45:                               ;   in Loop: Header=BB612_4 Depth=1
	v_bfe_u32 v4, v3, 16, 1
	s_delay_alu instid0(VALU_DEP_1)
	v_add3_u32 v4, v3, v4, 0x7fff
                                        ; implicit-def: $vgpr3
; %bb.46:                               ;   in Loop: Header=BB612_4 Depth=1
	s_and_not1_saveexec_b32 s40, s40
; %bb.47:                               ;   in Loop: Header=BB612_4 Depth=1
	v_and_b32_e32 v4, 0xffff, v3
	v_or_b32_e32 v5, 0x10000, v3
	s_delay_alu instid0(VALU_DEP_2) | instskip(SKIP_1) | instid1(VALU_DEP_2)
	v_cmp_eq_u32_e32 vcc_lo, 0, v4
	s_wait_alu 0xfffd
	v_cndmask_b32_e32 v4, v5, v3, vcc_lo
; %bb.48:                               ;   in Loop: Header=BB612_4 Depth=1
	s_or_b32 exec_lo, exec_lo, s40
	s_delay_alu instid0(VALU_DEP_1) | instskip(NEXT) | instid1(VALU_DEP_1)
	v_and_b32_e32 v3, 0xffff0000, v4
	v_add_f32_e32 v21, v21, v3
	s_wait_alu 0xfffe
	s_or_b32 exec_lo, exec_lo, s5
	s_and_saveexec_b32 s5, s1
	s_cbranch_execnz .LBB612_23
	s_branch .LBB612_24
.LBB612_49:                             ;   in Loop: Header=BB612_4 Depth=1
                                        ; implicit-def: $vgpr4
.LBB612_50:                             ;   in Loop: Header=BB612_4 Depth=1
	v_add_co_u32 v4, vcc_lo, v18, s34
	s_wait_alu 0xfffd
	v_add_co_ci_u32_e64 v5, null, s35, v19, vcc_lo
	flat_load_u16 v4, v[4:5]
	s_wait_loadcnt_dscnt 0x0
	v_lshlrev_b32_e32 v4, 16, v4
	s_delay_alu instid0(VALU_DEP_1) | instskip(NEXT) | instid1(VALU_DEP_1)
	v_mul_f32_e32 v4, s31, v4
	v_and_b32_e32 v5, 0x7f800000, v4
	s_delay_alu instid0(VALU_DEP_1)
	v_cmp_ne_u32_e32 vcc_lo, 0x7f800000, v5
                                        ; implicit-def: $vgpr5
	s_and_saveexec_b32 s31, vcc_lo
	s_wait_alu 0xfffe
	s_xor_b32 s31, exec_lo, s31
; %bb.51:                               ;   in Loop: Header=BB612_4 Depth=1
	v_bfe_u32 v5, v4, 16, 1
	s_delay_alu instid0(VALU_DEP_1)
	v_add3_u32 v5, v4, v5, 0x7fff
                                        ; implicit-def: $vgpr4
; %bb.52:                               ;   in Loop: Header=BB612_4 Depth=1
	s_wait_alu 0xfffe
	s_and_not1_saveexec_b32 s31, s31
; %bb.53:                               ;   in Loop: Header=BB612_4 Depth=1
	v_and_b32_e32 v5, 0xffff, v4
	v_or_b32_e32 v6, 0x10000, v4
	s_delay_alu instid0(VALU_DEP_2) | instskip(SKIP_1) | instid1(VALU_DEP_2)
	v_cmp_eq_u32_e32 vcc_lo, 0, v5
	s_wait_alu 0xfffd
	v_cndmask_b32_e32 v5, v6, v4, vcc_lo
; %bb.54:                               ;   in Loop: Header=BB612_4 Depth=1
	s_wait_alu 0xfffe
	s_or_b32 exec_lo, exec_lo, s31
	s_delay_alu instid0(VALU_DEP_1) | instskip(NEXT) | instid1(VALU_DEP_1)
	v_and_b32_e32 v4, 0xffff0000, v5
	v_add_f32_e32 v3, v3, v4
	s_delay_alu instid0(VALU_DEP_1) | instskip(NEXT) | instid1(VALU_DEP_1)
	v_and_b32_e32 v4, 0x7f800000, v3
	v_cmp_ne_u32_e32 vcc_lo, 0x7f800000, v4
                                        ; implicit-def: $vgpr4
	s_and_saveexec_b32 s31, vcc_lo
	s_wait_alu 0xfffe
	s_xor_b32 s31, exec_lo, s31
; %bb.55:                               ;   in Loop: Header=BB612_4 Depth=1
	v_bfe_u32 v4, v3, 16, 1
	s_delay_alu instid0(VALU_DEP_1)
	v_add3_u32 v4, v3, v4, 0x7fff
                                        ; implicit-def: $vgpr3
; %bb.56:                               ;   in Loop: Header=BB612_4 Depth=1
	s_wait_alu 0xfffe
	s_and_not1_saveexec_b32 s31, s31
; %bb.57:                               ;   in Loop: Header=BB612_4 Depth=1
	v_and_b32_e32 v4, 0xffff, v3
	v_or_b32_e32 v5, 0x10000, v3
	s_delay_alu instid0(VALU_DEP_2) | instskip(SKIP_1) | instid1(VALU_DEP_2)
	v_cmp_eq_u32_e32 vcc_lo, 0, v4
	s_wait_alu 0xfffd
	v_cndmask_b32_e32 v4, v5, v3, vcc_lo
; %bb.58:                               ;   in Loop: Header=BB612_4 Depth=1
	s_wait_alu 0xfffe
	s_or_b32 exec_lo, exec_lo, s31
.LBB612_59:                             ;   in Loop: Header=BB612_4 Depth=1
	s_delay_alu instid0(VALU_DEP_1)
	v_lshrrev_b32_e32 v7, 16, v4
	s_or_b32 s6, s6, exec_lo
.LBB612_60:                             ;   in Loop: Header=BB612_4 Depth=1
	s_wait_alu 0xfffe
	s_or_b32 exec_lo, exec_lo, s5
.LBB612_61:                             ;   in Loop: Header=BB612_4 Depth=1
	s_wait_alu 0xfffe
	s_and_saveexec_b32 s5, s6
	s_cbranch_execz .LBB612_2
; %bb.62:                               ;   in Loop: Header=BB612_4 Depth=1
	v_add_co_u32 v3, vcc_lo, v18, s34
	s_wait_alu 0xfffd
	v_add_co_ci_u32_e64 v4, null, s35, v19, vcc_lo
	flat_store_b16 v[3:4], v7
	s_branch .LBB612_2
.LBB612_63:
	s_endpgm
	.section	.rodata,"a",@progbits
	.p2align	6, 0x0
	.amdhsa_kernel _ZL32rocblas_gemvt_warp_reduce_kernelILb0ELi1024EiPK16rocblas_bfloat16PKfKPS0_EviiT3_lPKT2_lT1_lSA_lSB_lS7_lPT4_lSB_li
		.amdhsa_group_segment_fixed_size 128
		.amdhsa_private_segment_fixed_size 0
		.amdhsa_kernarg_size 140
		.amdhsa_user_sgpr_count 2
		.amdhsa_user_sgpr_dispatch_ptr 0
		.amdhsa_user_sgpr_queue_ptr 0
		.amdhsa_user_sgpr_kernarg_segment_ptr 1
		.amdhsa_user_sgpr_dispatch_id 0
		.amdhsa_user_sgpr_private_segment_size 0
		.amdhsa_wavefront_size32 1
		.amdhsa_uses_dynamic_stack 0
		.amdhsa_enable_private_segment 0
		.amdhsa_system_sgpr_workgroup_id_x 1
		.amdhsa_system_sgpr_workgroup_id_y 0
		.amdhsa_system_sgpr_workgroup_id_z 1
		.amdhsa_system_sgpr_workgroup_info 0
		.amdhsa_system_vgpr_workitem_id 0
		.amdhsa_next_free_vgpr 25
		.amdhsa_next_free_sgpr 44
		.amdhsa_reserve_vcc 1
		.amdhsa_float_round_mode_32 0
		.amdhsa_float_round_mode_16_64 0
		.amdhsa_float_denorm_mode_32 3
		.amdhsa_float_denorm_mode_16_64 3
		.amdhsa_fp16_overflow 0
		.amdhsa_workgroup_processor_mode 1
		.amdhsa_memory_ordered 1
		.amdhsa_forward_progress 1
		.amdhsa_inst_pref_size 19
		.amdhsa_round_robin_scheduling 0
		.amdhsa_exception_fp_ieee_invalid_op 0
		.amdhsa_exception_fp_denorm_src 0
		.amdhsa_exception_fp_ieee_div_zero 0
		.amdhsa_exception_fp_ieee_overflow 0
		.amdhsa_exception_fp_ieee_underflow 0
		.amdhsa_exception_fp_ieee_inexact 0
		.amdhsa_exception_int_div_zero 0
	.end_amdhsa_kernel
	.section	.text._ZL32rocblas_gemvt_warp_reduce_kernelILb0ELi1024EiPK16rocblas_bfloat16PKfKPS0_EviiT3_lPKT2_lT1_lSA_lSB_lS7_lPT4_lSB_li,"axG",@progbits,_ZL32rocblas_gemvt_warp_reduce_kernelILb0ELi1024EiPK16rocblas_bfloat16PKfKPS0_EviiT3_lPKT2_lT1_lSA_lSB_lS7_lPT4_lSB_li,comdat
.Lfunc_end612:
	.size	_ZL32rocblas_gemvt_warp_reduce_kernelILb0ELi1024EiPK16rocblas_bfloat16PKfKPS0_EviiT3_lPKT2_lT1_lSA_lSB_lS7_lPT4_lSB_li, .Lfunc_end612-_ZL32rocblas_gemvt_warp_reduce_kernelILb0ELi1024EiPK16rocblas_bfloat16PKfKPS0_EviiT3_lPKT2_lT1_lSA_lSB_lS7_lPT4_lSB_li
                                        ; -- End function
	.set _ZL32rocblas_gemvt_warp_reduce_kernelILb0ELi1024EiPK16rocblas_bfloat16PKfKPS0_EviiT3_lPKT2_lT1_lSA_lSB_lS7_lPT4_lSB_li.num_vgpr, 25
	.set _ZL32rocblas_gemvt_warp_reduce_kernelILb0ELi1024EiPK16rocblas_bfloat16PKfKPS0_EviiT3_lPKT2_lT1_lSA_lSB_lS7_lPT4_lSB_li.num_agpr, 0
	.set _ZL32rocblas_gemvt_warp_reduce_kernelILb0ELi1024EiPK16rocblas_bfloat16PKfKPS0_EviiT3_lPKT2_lT1_lSA_lSB_lS7_lPT4_lSB_li.numbered_sgpr, 44
	.set _ZL32rocblas_gemvt_warp_reduce_kernelILb0ELi1024EiPK16rocblas_bfloat16PKfKPS0_EviiT3_lPKT2_lT1_lSA_lSB_lS7_lPT4_lSB_li.num_named_barrier, 0
	.set _ZL32rocblas_gemvt_warp_reduce_kernelILb0ELi1024EiPK16rocblas_bfloat16PKfKPS0_EviiT3_lPKT2_lT1_lSA_lSB_lS7_lPT4_lSB_li.private_seg_size, 0
	.set _ZL32rocblas_gemvt_warp_reduce_kernelILb0ELi1024EiPK16rocblas_bfloat16PKfKPS0_EviiT3_lPKT2_lT1_lSA_lSB_lS7_lPT4_lSB_li.uses_vcc, 1
	.set _ZL32rocblas_gemvt_warp_reduce_kernelILb0ELi1024EiPK16rocblas_bfloat16PKfKPS0_EviiT3_lPKT2_lT1_lSA_lSB_lS7_lPT4_lSB_li.uses_flat_scratch, 0
	.set _ZL32rocblas_gemvt_warp_reduce_kernelILb0ELi1024EiPK16rocblas_bfloat16PKfKPS0_EviiT3_lPKT2_lT1_lSA_lSB_lS7_lPT4_lSB_li.has_dyn_sized_stack, 0
	.set _ZL32rocblas_gemvt_warp_reduce_kernelILb0ELi1024EiPK16rocblas_bfloat16PKfKPS0_EviiT3_lPKT2_lT1_lSA_lSB_lS7_lPT4_lSB_li.has_recursion, 0
	.set _ZL32rocblas_gemvt_warp_reduce_kernelILb0ELi1024EiPK16rocblas_bfloat16PKfKPS0_EviiT3_lPKT2_lT1_lSA_lSB_lS7_lPT4_lSB_li.has_indirect_call, 0
	.section	.AMDGPU.csdata,"",@progbits
; Kernel info:
; codeLenInByte = 2404
; TotalNumSgprs: 46
; NumVgprs: 25
; ScratchSize: 0
; MemoryBound: 0
; FloatMode: 240
; IeeeMode: 1
; LDSByteSize: 128 bytes/workgroup (compile time only)
; SGPRBlocks: 0
; VGPRBlocks: 3
; NumSGPRsForWavesPerEU: 46
; NumVGPRsForWavesPerEU: 25
; Occupancy: 16
; WaveLimiterHint : 1
; COMPUTE_PGM_RSRC2:SCRATCH_EN: 0
; COMPUTE_PGM_RSRC2:USER_SGPR: 2
; COMPUTE_PGM_RSRC2:TRAP_HANDLER: 0
; COMPUTE_PGM_RSRC2:TGID_X_EN: 1
; COMPUTE_PGM_RSRC2:TGID_Y_EN: 0
; COMPUTE_PGM_RSRC2:TGID_Z_EN: 1
; COMPUTE_PGM_RSRC2:TIDIG_COMP_CNT: 0
	.section	.text._ZL32rocblas_gemvt_warp_reduce_kernelILb0ELi1024ElPK16rocblas_bfloat16PKfKPS0_EviiT3_lPKT2_lT1_lSA_lSB_lS7_lPT4_lSB_li,"axG",@progbits,_ZL32rocblas_gemvt_warp_reduce_kernelILb0ELi1024ElPK16rocblas_bfloat16PKfKPS0_EviiT3_lPKT2_lT1_lSA_lSB_lS7_lPT4_lSB_li,comdat
	.globl	_ZL32rocblas_gemvt_warp_reduce_kernelILb0ELi1024ElPK16rocblas_bfloat16PKfKPS0_EviiT3_lPKT2_lT1_lSA_lSB_lS7_lPT4_lSB_li ; -- Begin function _ZL32rocblas_gemvt_warp_reduce_kernelILb0ELi1024ElPK16rocblas_bfloat16PKfKPS0_EviiT3_lPKT2_lT1_lSA_lSB_lS7_lPT4_lSB_li
	.p2align	8
	.type	_ZL32rocblas_gemvt_warp_reduce_kernelILb0ELi1024ElPK16rocblas_bfloat16PKfKPS0_EviiT3_lPKT2_lT1_lSA_lSB_lS7_lPT4_lSB_li,@function
_ZL32rocblas_gemvt_warp_reduce_kernelILb0ELi1024ElPK16rocblas_bfloat16PKfKPS0_EviiT3_lPKT2_lT1_lSA_lSB_lS7_lPT4_lSB_li: ; @_ZL32rocblas_gemvt_warp_reduce_kernelILb0ELi1024ElPK16rocblas_bfloat16PKfKPS0_EviiT3_lPKT2_lT1_lSA_lSB_lS7_lPT4_lSB_li
; %bb.0:
	s_load_b32 s7, s[0:1], 0x88
	s_lshr_b32 s28, ttmp7, 16
	s_wait_kmcnt 0x0
	s_cmp_ge_u32 s28, s7
	s_cbranch_scc1 .LBB613_63
; %bb.1:
	s_clause 0x6
	s_load_b32 s6, s[0:1], 0x0
	s_load_b64 s[36:37], s[0:1], 0x48
	s_load_b256 s[8:15], s[0:1], 0x8
	s_load_b64 s[34:35], s[0:1], 0x78
	s_load_b64 s[38:39], s[0:1], 0x28
	s_load_b128 s[24:27], s[0:1], 0x38
	s_load_b256 s[16:23], s[0:1], 0x58
	v_and_b32_e32 v3, 31, v0
	v_lshrrev_b32_e32 v4, 3, v0
	v_mov_b32_e32 v13, 0
	v_mbcnt_lo_u32_b32 v14, -1, 0
	s_mov_b32 s4, ttmp9
	s_ashr_i32 s5, ttmp9, 31
	v_and_b32_e32 v16, 0x7c, v4
	v_cmp_eq_u32_e64 s0, 0, v0
	v_cmp_gt_u32_e64 s1, 32, v0
	v_lshl_or_b32 v18, v14, 2, 64
	s_mov_b32 s29, 0
	s_wait_kmcnt 0x0
	s_ashr_i32 s2, s6, 31
	v_mad_co_u64_u32 v[1:2], null, s36, v0, 0
	s_lshr_b32 s3, s2, 22
	v_cmp_eq_u32_e64 s2, 0, v3
	s_add_co_i32 s3, s6, s3
	v_cmp_gt_i32_e32 vcc_lo, s6, v0
	s_and_b32 s30, s3, 0xfffffc00
	v_lshlrev_b32_e32 v15, 2, v3
	v_or_b32_e32 v5, s30, v0
	v_mad_co_u64_u32 v[2:3], null, s37, v0, v[2:3]
	s_ashr_i32 s31, s30, 31
	v_cndmask_b32_e32 v6, 0, v0, vcc_lo
	v_mul_lo_u32 v7, s37, v5
	v_mad_co_u64_u32 v[3:4], null, s36, v5, 0
	s_wait_alu 0xfffe
	s_mul_i32 s3, s36, s31
	v_lshlrev_b64_e32 v[1:2], 1, v[1:2]
	s_mul_u64 s[40:41], s[34:35], s[4:5]
	s_mul_u64 s[38:39], s[38:39], s[4:5]
	v_cmp_gt_i32_e64 s4, s6, v5
	v_lshlrev_b32_e32 v17, 1, v6
	v_add3_u32 v4, v4, s3, v7
	v_cmp_gt_i32_e64 s3, s30, v0
	s_lshl_b64 s[34:35], s[36:37], 11
	s_lshl_b64 s[14:15], s[14:15], 1
	;; [unrolled: 1-line block ×3, first 2 shown]
	v_lshlrev_b64_e32 v[3:4], 1, v[3:4]
	s_lshl_b64 s[22:23], s[22:23], 1
	s_lshl_b64 s[36:37], s[40:41], 1
	;; [unrolled: 1-line block ×4, first 2 shown]
	s_branch .LBB613_4
.LBB613_2:                              ;   in Loop: Header=BB613_4 Depth=1
	s_wait_alu 0xfffe
	s_or_b32 exec_lo, exec_lo, s5
.LBB613_3:                              ;   in Loop: Header=BB613_4 Depth=1
	s_add_co_i32 s28, s28, 0x10000
	s_delay_alu instid0(SALU_CYCLE_1)
	s_cmp_lt_u32 s28, s7
	s_cbranch_scc0 .LBB613_63
.LBB613_4:                              ; =>This Loop Header: Depth=1
                                        ;     Child Loop BB613_31 Depth 2
	s_mul_u64 s[42:43], s[10:11], s[28:29]
	s_mul_u64 s[44:45], s[18:19], s[28:29]
	s_lshl_b64 s[42:43], s[42:43], 2
	s_lshl_b64 s[44:45], s[44:45], 2
	s_add_nc_u64 s[42:43], s[8:9], s[42:43]
	s_add_nc_u64 s[44:45], s[16:17], s[44:45]
	s_clause 0x1
	global_load_b32 v21, v13, s[42:43]
	global_load_b32 v5, v13, s[44:45]
	s_wait_loadcnt 0x1
	v_cmp_eq_f32_e64 s5, 0, v21
	s_wait_loadcnt 0x0
	v_cmp_eq_f32_e32 vcc_lo, 1.0, v5
	v_readfirstlane_b32 s31, v5
	s_and_b32 s6, s5, vcc_lo
	s_wait_alu 0xfffe
	s_and_b32 vcc_lo, exec_lo, s6
	s_wait_alu 0xfffe
	s_cbranch_vccnz .LBB613_3
; %bb.5:                                ;   in Loop: Header=BB613_4 Depth=1
	v_mov_b32_e32 v5, 0
	v_dual_mov_b32 v6, 0 :: v_dual_mov_b32 v7, 0
	v_cmp_neq_f32_e64 s6, 0, v21
	v_mov_b32_e32 v8, 0
	s_and_b32 vcc_lo, exec_lo, s5
	s_wait_alu 0xfffe
	s_cbranch_vccnz .LBB613_7
; %bb.6:                                ;   in Loop: Header=BB613_4 Depth=1
	s_lshl_b64 s[42:43], s[28:29], 3
	s_delay_alu instid0(SALU_CYCLE_1)
	s_add_nc_u64 s[42:43], s[12:13], s[42:43]
	global_load_b64 v[7:8], v13, s[42:43]
	s_wait_loadcnt 0x0
	v_add_co_u32 v7, vcc_lo, v7, s14
	s_wait_alu 0xfffd
	v_add_co_ci_u32_e64 v8, null, s15, v8, vcc_lo
.LBB613_7:                              ;   in Loop: Header=BB613_4 Depth=1
	s_and_not1_b32 vcc_lo, exec_lo, s6
	s_wait_alu 0xfffe
	s_cbranch_vccnz .LBB613_9
; %bb.8:                                ;   in Loop: Header=BB613_4 Depth=1
	s_lshl_b64 s[42:43], s[28:29], 3
	s_delay_alu instid0(SALU_CYCLE_1)
	s_add_nc_u64 s[42:43], s[24:25], s[42:43]
	global_load_b64 v[5:6], v13, s[42:43]
	s_wait_loadcnt 0x0
	v_add_co_u32 v5, vcc_lo, v5, s26
	s_wait_alu 0xfffd
	v_add_co_ci_u32_e64 v6, null, s27, v6, vcc_lo
.LBB613_9:                              ;   in Loop: Header=BB613_4 Depth=1
	s_lshl_b64 s[42:43], s[28:29], 3
	s_delay_alu instid0(SALU_CYCLE_1)
	s_add_nc_u64 s[42:43], s[20:21], s[42:43]
	s_wait_dscnt 0x0
	global_load_b64 v[9:10], v13, s[42:43]
	s_wait_loadcnt 0x0
	v_add_co_u32 v19, vcc_lo, v9, s22
	s_wait_alu 0xfffd
	v_add_co_ci_u32_e64 v20, null, s23, v10, vcc_lo
	s_and_not1_b32 vcc_lo, exec_lo, s5
	s_wait_alu 0xfffe
	s_cbranch_vccnz .LBB613_17
; %bb.10:                               ;   in Loop: Header=BB613_4 Depth=1
	s_mov_b32 s5, 0
	s_mov_b32 s6, 0
                                        ; implicit-def: $vgpr9
	s_and_saveexec_b32 s33, s0
	s_cbranch_execz .LBB613_18
; %bb.11:                               ;   in Loop: Header=BB613_4 Depth=1
	s_cmp_eq_f32 s31, 0
	s_cbranch_scc1 .LBB613_19
; %bb.12:                               ;   in Loop: Header=BB613_4 Depth=1
	v_add_co_u32 v9, vcc_lo, v19, s36
	s_wait_alu 0xfffd
	v_add_co_ci_u32_e64 v10, null, s37, v20, vcc_lo
	flat_load_u16 v9, v[9:10]
	s_wait_loadcnt_dscnt 0x0
	v_lshlrev_b32_e32 v9, 16, v9
	s_delay_alu instid0(VALU_DEP_1) | instskip(NEXT) | instid1(VALU_DEP_1)
	v_mul_f32_e32 v9, s31, v9
	v_and_b32_e32 v10, 0x7f800000, v9
	s_delay_alu instid0(VALU_DEP_1)
	v_cmp_ne_u32_e32 vcc_lo, 0x7f800000, v10
                                        ; implicit-def: $vgpr10
	s_and_saveexec_b32 s6, vcc_lo
	s_wait_alu 0xfffe
	s_xor_b32 s6, exec_lo, s6
; %bb.13:                               ;   in Loop: Header=BB613_4 Depth=1
	v_bfe_u32 v10, v9, 16, 1
	s_delay_alu instid0(VALU_DEP_1)
	v_add3_u32 v10, v9, v10, 0x7fff
                                        ; implicit-def: $vgpr9
; %bb.14:                               ;   in Loop: Header=BB613_4 Depth=1
	s_wait_alu 0xfffe
	s_and_not1_saveexec_b32 s6, s6
; %bb.15:                               ;   in Loop: Header=BB613_4 Depth=1
	v_and_b32_e32 v10, 0xffff, v9
	v_or_b32_e32 v11, 0x10000, v9
	s_delay_alu instid0(VALU_DEP_2) | instskip(SKIP_1) | instid1(VALU_DEP_2)
	v_cmp_eq_u32_e32 vcc_lo, 0, v10
	s_wait_alu 0xfffd
	v_cndmask_b32_e32 v10, v11, v9, vcc_lo
; %bb.16:                               ;   in Loop: Header=BB613_4 Depth=1
	s_wait_alu 0xfffe
	s_or_b32 exec_lo, exec_lo, s6
	s_delay_alu instid0(VALU_DEP_1) | instskip(SKIP_2) | instid1(SALU_CYCLE_1)
	v_lshrrev_b32_e32 v9, 16, v10
	s_mov_b32 s6, exec_lo
	s_or_b32 exec_lo, exec_lo, s33
	s_and_b32 vcc_lo, exec_lo, s5
	s_wait_alu 0xfffe
	s_cbranch_vccnz .LBB613_20
	s_branch .LBB613_61
.LBB613_17:                             ;   in Loop: Header=BB613_4 Depth=1
	s_mov_b32 s6, 0
                                        ; implicit-def: $vgpr9
	s_cbranch_execnz .LBB613_20
	s_branch .LBB613_61
.LBB613_18:                             ;   in Loop: Header=BB613_4 Depth=1
	s_or_b32 exec_lo, exec_lo, s33
	s_wait_alu 0xfffe
	s_and_b32 vcc_lo, exec_lo, s5
	s_wait_alu 0xfffe
	s_cbranch_vccnz .LBB613_20
	s_branch .LBB613_61
.LBB613_19:                             ;   in Loop: Header=BB613_4 Depth=1
	v_mov_b32_e32 v9, 0
	s_mov_b32 s6, exec_lo
	s_or_b32 exec_lo, exec_lo, s33
	s_wait_alu 0xfffe
	s_and_b32 vcc_lo, exec_lo, s5
	s_wait_alu 0xfffe
	s_cbranch_vccz .LBB613_61
.LBB613_20:                             ;   in Loop: Header=BB613_4 Depth=1
	v_add_co_u32 v7, vcc_lo, v7, v17
	s_wait_alu 0xfffd
	v_add_co_ci_u32_e64 v8, null, 0, v8, vcc_lo
	v_mov_b32_e32 v22, 0
	s_delay_alu instid0(VALU_DEP_3) | instskip(SKIP_1) | instid1(VALU_DEP_3)
	v_add_co_u32 v7, vcc_lo, v7, s38
	s_wait_alu 0xfffd
	v_add_co_ci_u32_e64 v8, null, s39, v8, vcc_lo
	s_and_saveexec_b32 s33, s3
	s_cbranch_execnz .LBB613_29
; %bb.21:                               ;   in Loop: Header=BB613_4 Depth=1
	s_or_b32 exec_lo, exec_lo, s33
	s_and_saveexec_b32 s5, s4
	s_cbranch_execnz .LBB613_44
.LBB613_22:                             ;   in Loop: Header=BB613_4 Depth=1
	s_wait_alu 0xfffe
	s_or_b32 exec_lo, exec_lo, s5
	s_and_saveexec_b32 s5, s1
.LBB613_23:                             ;   in Loop: Header=BB613_4 Depth=1
	ds_store_b32 v15, v13
.LBB613_24:                             ;   in Loop: Header=BB613_4 Depth=1
	s_wait_alu 0xfffe
	s_or_b32 exec_lo, exec_lo, s5
	ds_bpermute_b32 v6, v18, v22
	v_cmp_gt_u32_e32 vcc_lo, 24, v14
	s_wait_dscnt 0x0
	s_barrier_signal -1
	s_barrier_wait -1
	global_inv scope:SCOPE_SE
	s_wait_alu 0xfffd
	v_cndmask_b32_e64 v5, 0, 8, vcc_lo
	v_cmp_gt_u32_e32 vcc_lo, 28, v14
	s_delay_alu instid0(VALU_DEP_2)
	v_add_lshl_u32 v5, v5, v14, 2
	v_add_f32_e32 v7, v22, v6
	s_wait_alu 0xfffd
	v_cndmask_b32_e64 v6, 0, 4, vcc_lo
	v_cmp_gt_u32_e32 vcc_lo, 30, v14
	ds_bpermute_b32 v8, v5, v7
	v_add_lshl_u32 v6, v6, v14, 2
	s_wait_dscnt 0x0
	v_add_f32_e32 v8, v7, v8
	s_wait_alu 0xfffd
	v_cndmask_b32_e64 v7, 0, 2, vcc_lo
	v_cmp_ne_u32_e32 vcc_lo, 31, v14
	ds_bpermute_b32 v9, v6, v8
	v_add_lshl_u32 v7, v7, v14, 2
	s_wait_alu 0xfffd
	v_add_co_ci_u32_e64 v10, null, 0, v14, vcc_lo
	s_wait_dscnt 0x0
	v_add_f32_e32 v8, v8, v9
	ds_bpermute_b32 v9, v7, v8
	s_wait_dscnt 0x0
	v_dual_add_f32 v9, v8, v9 :: v_dual_lshlrev_b32 v8, 2, v10
	ds_bpermute_b32 v10, v8, v9
	s_and_saveexec_b32 s5, s2
	s_cbranch_execz .LBB613_26
; %bb.25:                               ;   in Loop: Header=BB613_4 Depth=1
	s_wait_dscnt 0x0
	v_add_f32_e32 v9, v9, v10
	ds_store_b32 v16, v9
.LBB613_26:                             ;   in Loop: Header=BB613_4 Depth=1
	s_wait_alu 0xfffe
	s_or_b32 exec_lo, exec_lo, s5
	s_wait_dscnt 0x0
	v_mov_b32_e32 v10, 0
	s_wait_loadcnt 0x0
	s_barrier_signal -1
	s_barrier_wait -1
	global_inv scope:SCOPE_SE
	s_and_saveexec_b32 s5, s1
	s_cbranch_execnz .LBB613_35
; %bb.27:                               ;   in Loop: Header=BB613_4 Depth=1
	s_wait_alu 0xfffe
	s_or_b32 exec_lo, exec_lo, s5
	s_and_saveexec_b32 s5, s1
	s_cbranch_execnz .LBB613_36
.LBB613_28:                             ;   in Loop: Header=BB613_4 Depth=1
	s_wait_alu 0xfffe
	s_or_b32 exec_lo, exec_lo, s5
                                        ; implicit-def: $vgpr9
	s_and_saveexec_b32 s5, s0
	s_cbranch_execnz .LBB613_37
	s_branch .LBB613_60
.LBB613_29:                             ;   in Loop: Header=BB613_4 Depth=1
	v_add_co_u32 v9, vcc_lo, v5, v1
	v_dual_mov_b32 v12, v8 :: v_dual_mov_b32 v23, v0
	s_wait_alu 0xfffd
	v_add_co_ci_u32_e64 v10, null, v6, v2, vcc_lo
	v_dual_mov_b32 v22, 0 :: v_dual_mov_b32 v11, v7
	s_mov_b32 s42, 0
	s_branch .LBB613_31
.LBB613_30:                             ;   in Loop: Header=BB613_31 Depth=2
	s_wait_alu 0xfffe
	s_or_b32 exec_lo, exec_lo, s5
	s_delay_alu instid0(VALU_DEP_1)
	v_and_b32_e32 v24, 0xffff0000, v25
	v_add_nc_u32_e32 v23, 0x400, v23
	v_add_co_u32 v11, vcc_lo, 0x800, v11
	s_wait_alu 0xfffd
	v_add_co_ci_u32_e64 v12, null, 0, v12, vcc_lo
	v_add_f32_e32 v22, v22, v24
	v_cmp_le_i32_e32 vcc_lo, s30, v23
	v_add_co_u32 v9, s5, v9, s34
	s_wait_alu 0xf1ff
	v_add_co_ci_u32_e64 v10, null, s35, v10, s5
	s_or_b32 s42, vcc_lo, s42
	s_delay_alu instid0(SALU_CYCLE_1)
	s_and_not1_b32 exec_lo, exec_lo, s42
	s_cbranch_execz .LBB613_43
.LBB613_31:                             ;   Parent Loop BB613_4 Depth=1
                                        ; =>  This Inner Loop Header: Depth=2
	flat_load_u16 v24, v[9:10]
	flat_load_u16 v25, v[11:12]
	s_wait_loadcnt_dscnt 0x101
	v_lshlrev_b32_e32 v24, 16, v24
	s_wait_loadcnt_dscnt 0x0
	v_lshlrev_b32_e32 v25, 16, v25
	s_delay_alu instid0(VALU_DEP_1) | instskip(NEXT) | instid1(VALU_DEP_1)
	v_mul_f32_e32 v24, v25, v24
	v_and_b32_e32 v25, 0x7f800000, v24
	s_delay_alu instid0(VALU_DEP_1)
	v_cmp_ne_u32_e32 vcc_lo, 0x7f800000, v25
                                        ; implicit-def: $vgpr25
	s_and_saveexec_b32 s5, vcc_lo
	s_wait_alu 0xfffe
	s_xor_b32 s5, exec_lo, s5
; %bb.32:                               ;   in Loop: Header=BB613_31 Depth=2
	v_bfe_u32 v25, v24, 16, 1
	s_delay_alu instid0(VALU_DEP_1)
	v_add3_u32 v25, v24, v25, 0x7fff
                                        ; implicit-def: $vgpr24
; %bb.33:                               ;   in Loop: Header=BB613_31 Depth=2
	s_wait_alu 0xfffe
	s_and_not1_saveexec_b32 s5, s5
	s_cbranch_execz .LBB613_30
; %bb.34:                               ;   in Loop: Header=BB613_31 Depth=2
	v_and_b32_e32 v25, 0xffff, v24
	v_or_b32_e32 v26, 0x10000, v24
	s_delay_alu instid0(VALU_DEP_2) | instskip(SKIP_1) | instid1(VALU_DEP_2)
	v_cmp_eq_u32_e32 vcc_lo, 0, v25
	s_wait_alu 0xfffd
	v_cndmask_b32_e32 v25, v26, v24, vcc_lo
	s_branch .LBB613_30
.LBB613_35:                             ;   in Loop: Header=BB613_4 Depth=1
	ds_load_b32 v10, v15
	s_wait_alu 0xfffe
	s_or_b32 exec_lo, exec_lo, s5
	s_and_saveexec_b32 s5, s1
	s_cbranch_execz .LBB613_28
.LBB613_36:                             ;   in Loop: Header=BB613_4 Depth=1
	s_wait_dscnt 0x0
	ds_bpermute_b32 v9, v18, v10
	s_wait_dscnt 0x0
	v_add_f32_e32 v9, v10, v9
	ds_bpermute_b32 v5, v5, v9
	s_wait_dscnt 0x0
	v_add_f32_e32 v5, v9, v5
	;; [unrolled: 3-line block ×5, first 2 shown]
	s_wait_alu 0xfffe
	s_or_b32 exec_lo, exec_lo, s5
                                        ; implicit-def: $vgpr9
	s_and_saveexec_b32 s5, s0
	s_cbranch_execz .LBB613_60
.LBB613_37:                             ;   in Loop: Header=BB613_4 Depth=1
	s_wait_dscnt 0x0
	v_mul_f32_e32 v5, v21, v10
	s_cmp_eq_f32 s31, 0
	s_cbranch_scc0 .LBB613_49
; %bb.38:                               ;   in Loop: Header=BB613_4 Depth=1
	s_delay_alu instid0(VALU_DEP_1) | instskip(NEXT) | instid1(VALU_DEP_1)
	v_and_b32_e32 v6, 0x7f800000, v5
	v_cmp_ne_u32_e32 vcc_lo, 0x7f800000, v6
                                        ; implicit-def: $vgpr6
	s_and_saveexec_b32 s33, vcc_lo
	s_delay_alu instid0(SALU_CYCLE_1)
	s_xor_b32 s33, exec_lo, s33
; %bb.39:                               ;   in Loop: Header=BB613_4 Depth=1
	v_bfe_u32 v6, v5, 16, 1
	s_delay_alu instid0(VALU_DEP_1)
	v_add3_u32 v6, v5, v6, 0x7fff
; %bb.40:                               ;   in Loop: Header=BB613_4 Depth=1
	s_and_not1_saveexec_b32 s33, s33
; %bb.41:                               ;   in Loop: Header=BB613_4 Depth=1
	v_and_b32_e32 v6, 0xffff, v5
	v_or_b32_e32 v7, 0x10000, v5
	s_delay_alu instid0(VALU_DEP_2) | instskip(SKIP_1) | instid1(VALU_DEP_2)
	v_cmp_eq_u32_e32 vcc_lo, 0, v6
	s_wait_alu 0xfffd
	v_cndmask_b32_e32 v6, v7, v5, vcc_lo
; %bb.42:                               ;   in Loop: Header=BB613_4 Depth=1
	s_or_b32 exec_lo, exec_lo, s33
	s_cbranch_execz .LBB613_50
	s_branch .LBB613_59
.LBB613_43:                             ;   in Loop: Header=BB613_4 Depth=1
	s_or_b32 exec_lo, exec_lo, s42
	s_delay_alu instid0(SALU_CYCLE_1)
	s_or_b32 exec_lo, exec_lo, s33
	s_and_saveexec_b32 s5, s4
	s_cbranch_execz .LBB613_22
.LBB613_44:                             ;   in Loop: Header=BB613_4 Depth=1
	v_add_co_u32 v5, vcc_lo, v5, v3
	s_wait_alu 0xfffd
	v_add_co_ci_u32_e64 v6, null, v6, v4, vcc_lo
	v_add_co_u32 v7, vcc_lo, v7, s40
	s_wait_alu 0xfffd
	v_add_co_ci_u32_e64 v8, null, s41, v8, vcc_lo
	flat_load_u16 v5, v[5:6]
	flat_load_u16 v6, v[7:8]
	s_wait_loadcnt_dscnt 0x101
	v_lshlrev_b32_e32 v5, 16, v5
	s_wait_loadcnt_dscnt 0x0
	v_lshlrev_b32_e32 v6, 16, v6
	s_delay_alu instid0(VALU_DEP_1) | instskip(NEXT) | instid1(VALU_DEP_1)
	v_mul_f32_e32 v5, v6, v5
	v_and_b32_e32 v6, 0x7f800000, v5
	s_delay_alu instid0(VALU_DEP_1) | instskip(SKIP_1) | instid1(SALU_CYCLE_1)
	v_cmp_ne_u32_e32 vcc_lo, 0x7f800000, v6
                                        ; implicit-def: $vgpr6
	s_and_saveexec_b32 s33, vcc_lo
	s_xor_b32 s33, exec_lo, s33
; %bb.45:                               ;   in Loop: Header=BB613_4 Depth=1
	v_bfe_u32 v6, v5, 16, 1
	s_delay_alu instid0(VALU_DEP_1)
	v_add3_u32 v6, v5, v6, 0x7fff
                                        ; implicit-def: $vgpr5
; %bb.46:                               ;   in Loop: Header=BB613_4 Depth=1
	s_and_not1_saveexec_b32 s33, s33
; %bb.47:                               ;   in Loop: Header=BB613_4 Depth=1
	v_and_b32_e32 v6, 0xffff, v5
	v_or_b32_e32 v7, 0x10000, v5
	s_delay_alu instid0(VALU_DEP_2) | instskip(SKIP_1) | instid1(VALU_DEP_2)
	v_cmp_eq_u32_e32 vcc_lo, 0, v6
	s_wait_alu 0xfffd
	v_cndmask_b32_e32 v6, v7, v5, vcc_lo
; %bb.48:                               ;   in Loop: Header=BB613_4 Depth=1
	s_or_b32 exec_lo, exec_lo, s33
	s_delay_alu instid0(VALU_DEP_1) | instskip(NEXT) | instid1(VALU_DEP_1)
	v_and_b32_e32 v5, 0xffff0000, v6
	v_add_f32_e32 v22, v22, v5
	s_wait_alu 0xfffe
	s_or_b32 exec_lo, exec_lo, s5
	s_and_saveexec_b32 s5, s1
	s_cbranch_execnz .LBB613_23
	s_branch .LBB613_24
.LBB613_49:                             ;   in Loop: Header=BB613_4 Depth=1
                                        ; implicit-def: $vgpr6
.LBB613_50:                             ;   in Loop: Header=BB613_4 Depth=1
	v_add_co_u32 v6, vcc_lo, v19, s36
	s_wait_alu 0xfffd
	v_add_co_ci_u32_e64 v7, null, s37, v20, vcc_lo
	flat_load_u16 v6, v[6:7]
	s_wait_loadcnt_dscnt 0x0
	v_lshlrev_b32_e32 v6, 16, v6
	s_delay_alu instid0(VALU_DEP_1) | instskip(NEXT) | instid1(VALU_DEP_1)
	v_mul_f32_e32 v6, s31, v6
	v_and_b32_e32 v7, 0x7f800000, v6
	s_delay_alu instid0(VALU_DEP_1)
	v_cmp_ne_u32_e32 vcc_lo, 0x7f800000, v7
                                        ; implicit-def: $vgpr7
	s_and_saveexec_b32 s31, vcc_lo
	s_wait_alu 0xfffe
	s_xor_b32 s31, exec_lo, s31
; %bb.51:                               ;   in Loop: Header=BB613_4 Depth=1
	v_bfe_u32 v7, v6, 16, 1
	s_delay_alu instid0(VALU_DEP_1)
	v_add3_u32 v7, v6, v7, 0x7fff
                                        ; implicit-def: $vgpr6
; %bb.52:                               ;   in Loop: Header=BB613_4 Depth=1
	s_wait_alu 0xfffe
	s_and_not1_saveexec_b32 s31, s31
; %bb.53:                               ;   in Loop: Header=BB613_4 Depth=1
	v_and_b32_e32 v7, 0xffff, v6
	v_or_b32_e32 v8, 0x10000, v6
	s_delay_alu instid0(VALU_DEP_2) | instskip(SKIP_1) | instid1(VALU_DEP_2)
	v_cmp_eq_u32_e32 vcc_lo, 0, v7
	s_wait_alu 0xfffd
	v_cndmask_b32_e32 v7, v8, v6, vcc_lo
; %bb.54:                               ;   in Loop: Header=BB613_4 Depth=1
	s_wait_alu 0xfffe
	s_or_b32 exec_lo, exec_lo, s31
	s_delay_alu instid0(VALU_DEP_1) | instskip(NEXT) | instid1(VALU_DEP_1)
	v_and_b32_e32 v6, 0xffff0000, v7
	v_add_f32_e32 v5, v5, v6
	s_delay_alu instid0(VALU_DEP_1) | instskip(NEXT) | instid1(VALU_DEP_1)
	v_and_b32_e32 v6, 0x7f800000, v5
	v_cmp_ne_u32_e32 vcc_lo, 0x7f800000, v6
                                        ; implicit-def: $vgpr6
	s_and_saveexec_b32 s31, vcc_lo
	s_wait_alu 0xfffe
	s_xor_b32 s31, exec_lo, s31
; %bb.55:                               ;   in Loop: Header=BB613_4 Depth=1
	v_bfe_u32 v6, v5, 16, 1
	s_delay_alu instid0(VALU_DEP_1)
	v_add3_u32 v6, v5, v6, 0x7fff
                                        ; implicit-def: $vgpr5
; %bb.56:                               ;   in Loop: Header=BB613_4 Depth=1
	s_wait_alu 0xfffe
	s_and_not1_saveexec_b32 s31, s31
; %bb.57:                               ;   in Loop: Header=BB613_4 Depth=1
	v_and_b32_e32 v6, 0xffff, v5
	v_or_b32_e32 v7, 0x10000, v5
	s_delay_alu instid0(VALU_DEP_2) | instskip(SKIP_1) | instid1(VALU_DEP_2)
	v_cmp_eq_u32_e32 vcc_lo, 0, v6
	s_wait_alu 0xfffd
	v_cndmask_b32_e32 v6, v7, v5, vcc_lo
; %bb.58:                               ;   in Loop: Header=BB613_4 Depth=1
	s_wait_alu 0xfffe
	s_or_b32 exec_lo, exec_lo, s31
.LBB613_59:                             ;   in Loop: Header=BB613_4 Depth=1
	s_delay_alu instid0(VALU_DEP_1)
	v_lshrrev_b32_e32 v9, 16, v6
	s_wait_alu 0xfffe
	s_or_b32 s6, s6, exec_lo
.LBB613_60:                             ;   in Loop: Header=BB613_4 Depth=1
	s_wait_alu 0xfffe
	s_or_b32 exec_lo, exec_lo, s5
.LBB613_61:                             ;   in Loop: Header=BB613_4 Depth=1
	s_wait_alu 0xfffe
	s_and_saveexec_b32 s5, s6
	s_cbranch_execz .LBB613_2
; %bb.62:                               ;   in Loop: Header=BB613_4 Depth=1
	v_add_co_u32 v5, vcc_lo, v19, s36
	s_wait_alu 0xfffd
	v_add_co_ci_u32_e64 v6, null, s37, v20, vcc_lo
	flat_store_b16 v[5:6], v9
	s_branch .LBB613_2
.LBB613_63:
	s_endpgm
	.section	.rodata,"a",@progbits
	.p2align	6, 0x0
	.amdhsa_kernel _ZL32rocblas_gemvt_warp_reduce_kernelILb0ELi1024ElPK16rocblas_bfloat16PKfKPS0_EviiT3_lPKT2_lT1_lSA_lSB_lS7_lPT4_lSB_li
		.amdhsa_group_segment_fixed_size 128
		.amdhsa_private_segment_fixed_size 0
		.amdhsa_kernarg_size 140
		.amdhsa_user_sgpr_count 2
		.amdhsa_user_sgpr_dispatch_ptr 0
		.amdhsa_user_sgpr_queue_ptr 0
		.amdhsa_user_sgpr_kernarg_segment_ptr 1
		.amdhsa_user_sgpr_dispatch_id 0
		.amdhsa_user_sgpr_private_segment_size 0
		.amdhsa_wavefront_size32 1
		.amdhsa_uses_dynamic_stack 0
		.amdhsa_enable_private_segment 0
		.amdhsa_system_sgpr_workgroup_id_x 1
		.amdhsa_system_sgpr_workgroup_id_y 0
		.amdhsa_system_sgpr_workgroup_id_z 1
		.amdhsa_system_sgpr_workgroup_info 0
		.amdhsa_system_vgpr_workitem_id 0
		.amdhsa_next_free_vgpr 27
		.amdhsa_next_free_sgpr 46
		.amdhsa_reserve_vcc 1
		.amdhsa_float_round_mode_32 0
		.amdhsa_float_round_mode_16_64 0
		.amdhsa_float_denorm_mode_32 3
		.amdhsa_float_denorm_mode_16_64 3
		.amdhsa_fp16_overflow 0
		.amdhsa_workgroup_processor_mode 1
		.amdhsa_memory_ordered 1
		.amdhsa_forward_progress 1
		.amdhsa_inst_pref_size 19
		.amdhsa_round_robin_scheduling 0
		.amdhsa_exception_fp_ieee_invalid_op 0
		.amdhsa_exception_fp_denorm_src 0
		.amdhsa_exception_fp_ieee_div_zero 0
		.amdhsa_exception_fp_ieee_overflow 0
		.amdhsa_exception_fp_ieee_underflow 0
		.amdhsa_exception_fp_ieee_inexact 0
		.amdhsa_exception_int_div_zero 0
	.end_amdhsa_kernel
	.section	.text._ZL32rocblas_gemvt_warp_reduce_kernelILb0ELi1024ElPK16rocblas_bfloat16PKfKPS0_EviiT3_lPKT2_lT1_lSA_lSB_lS7_lPT4_lSB_li,"axG",@progbits,_ZL32rocblas_gemvt_warp_reduce_kernelILb0ELi1024ElPK16rocblas_bfloat16PKfKPS0_EviiT3_lPKT2_lT1_lSA_lSB_lS7_lPT4_lSB_li,comdat
.Lfunc_end613:
	.size	_ZL32rocblas_gemvt_warp_reduce_kernelILb0ELi1024ElPK16rocblas_bfloat16PKfKPS0_EviiT3_lPKT2_lT1_lSA_lSB_lS7_lPT4_lSB_li, .Lfunc_end613-_ZL32rocblas_gemvt_warp_reduce_kernelILb0ELi1024ElPK16rocblas_bfloat16PKfKPS0_EviiT3_lPKT2_lT1_lSA_lSB_lS7_lPT4_lSB_li
                                        ; -- End function
	.set _ZL32rocblas_gemvt_warp_reduce_kernelILb0ELi1024ElPK16rocblas_bfloat16PKfKPS0_EviiT3_lPKT2_lT1_lSA_lSB_lS7_lPT4_lSB_li.num_vgpr, 27
	.set _ZL32rocblas_gemvt_warp_reduce_kernelILb0ELi1024ElPK16rocblas_bfloat16PKfKPS0_EviiT3_lPKT2_lT1_lSA_lSB_lS7_lPT4_lSB_li.num_agpr, 0
	.set _ZL32rocblas_gemvt_warp_reduce_kernelILb0ELi1024ElPK16rocblas_bfloat16PKfKPS0_EviiT3_lPKT2_lT1_lSA_lSB_lS7_lPT4_lSB_li.numbered_sgpr, 46
	.set _ZL32rocblas_gemvt_warp_reduce_kernelILb0ELi1024ElPK16rocblas_bfloat16PKfKPS0_EviiT3_lPKT2_lT1_lSA_lSB_lS7_lPT4_lSB_li.num_named_barrier, 0
	.set _ZL32rocblas_gemvt_warp_reduce_kernelILb0ELi1024ElPK16rocblas_bfloat16PKfKPS0_EviiT3_lPKT2_lT1_lSA_lSB_lS7_lPT4_lSB_li.private_seg_size, 0
	.set _ZL32rocblas_gemvt_warp_reduce_kernelILb0ELi1024ElPK16rocblas_bfloat16PKfKPS0_EviiT3_lPKT2_lT1_lSA_lSB_lS7_lPT4_lSB_li.uses_vcc, 1
	.set _ZL32rocblas_gemvt_warp_reduce_kernelILb0ELi1024ElPK16rocblas_bfloat16PKfKPS0_EviiT3_lPKT2_lT1_lSA_lSB_lS7_lPT4_lSB_li.uses_flat_scratch, 0
	.set _ZL32rocblas_gemvt_warp_reduce_kernelILb0ELi1024ElPK16rocblas_bfloat16PKfKPS0_EviiT3_lPKT2_lT1_lSA_lSB_lS7_lPT4_lSB_li.has_dyn_sized_stack, 0
	.set _ZL32rocblas_gemvt_warp_reduce_kernelILb0ELi1024ElPK16rocblas_bfloat16PKfKPS0_EviiT3_lPKT2_lT1_lSA_lSB_lS7_lPT4_lSB_li.has_recursion, 0
	.set _ZL32rocblas_gemvt_warp_reduce_kernelILb0ELi1024ElPK16rocblas_bfloat16PKfKPS0_EviiT3_lPKT2_lT1_lSA_lSB_lS7_lPT4_lSB_li.has_indirect_call, 0
	.section	.AMDGPU.csdata,"",@progbits
; Kernel info:
; codeLenInByte = 2432
; TotalNumSgprs: 48
; NumVgprs: 27
; ScratchSize: 0
; MemoryBound: 0
; FloatMode: 240
; IeeeMode: 1
; LDSByteSize: 128 bytes/workgroup (compile time only)
; SGPRBlocks: 0
; VGPRBlocks: 3
; NumSGPRsForWavesPerEU: 48
; NumVGPRsForWavesPerEU: 27
; Occupancy: 16
; WaveLimiterHint : 1
; COMPUTE_PGM_RSRC2:SCRATCH_EN: 0
; COMPUTE_PGM_RSRC2:USER_SGPR: 2
; COMPUTE_PGM_RSRC2:TRAP_HANDLER: 0
; COMPUTE_PGM_RSRC2:TGID_X_EN: 1
; COMPUTE_PGM_RSRC2:TGID_Y_EN: 0
; COMPUTE_PGM_RSRC2:TGID_Z_EN: 1
; COMPUTE_PGM_RSRC2:TIDIG_COMP_CNT: 0
	.section	.text._ZL32rocblas_gemvt_warp_reduce_kernelILb0ELi1024EiPK16rocblas_bfloat16fKPS0_EviiT3_lPKT2_lT1_lS8_lS9_lS5_lPT4_lS9_li,"axG",@progbits,_ZL32rocblas_gemvt_warp_reduce_kernelILb0ELi1024EiPK16rocblas_bfloat16fKPS0_EviiT3_lPKT2_lT1_lS8_lS9_lS5_lPT4_lS9_li,comdat
	.globl	_ZL32rocblas_gemvt_warp_reduce_kernelILb0ELi1024EiPK16rocblas_bfloat16fKPS0_EviiT3_lPKT2_lT1_lS8_lS9_lS5_lPT4_lS9_li ; -- Begin function _ZL32rocblas_gemvt_warp_reduce_kernelILb0ELi1024EiPK16rocblas_bfloat16fKPS0_EviiT3_lPKT2_lT1_lS8_lS9_lS5_lPT4_lS9_li
	.p2align	8
	.type	_ZL32rocblas_gemvt_warp_reduce_kernelILb0ELi1024EiPK16rocblas_bfloat16fKPS0_EviiT3_lPKT2_lT1_lS8_lS9_lS5_lPT4_lS9_li,@function
_ZL32rocblas_gemvt_warp_reduce_kernelILb0ELi1024EiPK16rocblas_bfloat16fKPS0_EviiT3_lPKT2_lT1_lS8_lS9_lS5_lPT4_lS9_li: ; @_ZL32rocblas_gemvt_warp_reduce_kernelILb0ELi1024EiPK16rocblas_bfloat16fKPS0_EviiT3_lPKT2_lT1_lS8_lS9_lS5_lPT4_lS9_li
; %bb.0:
	s_load_b32 s28, s[0:1], 0x88
	s_lshr_b32 s6, ttmp7, 16
	s_wait_kmcnt 0x0
	s_cmp_ge_u32 s6, s28
	s_cbranch_scc1 .LBB614_66
; %bb.1:
	s_clause 0x8
	s_load_b32 s29, s[0:1], 0x8
	s_load_b32 s30, s[0:1], 0x58
	s_load_b128 s[8:11], s[0:1], 0x18
	s_load_b32 s3, s[0:1], 0x28
	s_load_b32 s4, s[0:1], 0x0
	s_load_b128 s[12:15], s[0:1], 0x38
	s_load_b32 s5, s[0:1], 0x48
	s_load_b128 s[16:19], s[0:1], 0x68
	s_load_b32 s20, s[0:1], 0x78
	v_lshrrev_b32_e32 v2, 3, v0
	v_dual_mov_b32 v12, 0 :: v_dual_and_b32 v1, 31, v0
	v_mbcnt_lo_u32_b32 v16, -1, 0
	v_cmp_gt_u32_e64 s1, 32, v0
	s_mov_b32 s7, 0
	v_lshlrev_b32_e32 v13, 2, v1
	v_lshl_or_b32 v18, v16, 2, 64
	s_wait_kmcnt 0x0
	s_cmp_eq_f32 s29, 0
	v_cmp_gt_i32_e32 vcc_lo, s4, v0
	v_and_b32_e32 v14, 0x7c, v2
	s_cselect_b32 s31, -1, 0
	s_cmp_neq_f32 s30, 1.0
	s_mul_i32 s22, s20, ttmp9
	v_cndmask_b32_e32 v3, 0, v0, vcc_lo
	v_mul_lo_u32 v15, v0, s5
	s_cselect_b32 s2, -1, 0
	s_cmp_neq_f32 s29, 0
	s_mul_i32 s24, s3, ttmp9
	v_lshlrev_b32_e32 v17, 1, v3
	s_cselect_b32 s0, -1, 0
	s_delay_alu instid0(SALU_CYCLE_1)
	s_or_b32 s33, s0, s2
	s_cmp_neq_f32 s30, 0
	v_cmp_eq_u32_e64 s2, 0, v1
	v_cndmask_b32_e64 v11, 0, 1, s0
	v_cmp_eq_u32_e64 s0, 0, v0
	s_cselect_b32 s34, -1, 0
	s_cmp_eq_f32 s30, 0
	s_cselect_b32 s35, -1, 0
	s_ashr_i32 s21, s4, 31
	s_ashr_i32 s23, s22, 31
	s_lshr_b32 s21, s21, 22
	s_ashr_i32 s25, s24, 31
	s_add_co_i32 s21, s4, s21
	s_lshl_b32 s36, s5, 10
	s_and_b32 s20, s21, 0xfffffc00
	s_lshl_b64 s[10:11], s[10:11], 1
	v_or_b32_e32 v2, s20, v0
	v_cmp_gt_i32_e64 s3, s20, v0
	s_ashr_i32 s21, s20, 31
	s_lshl_b64 s[14:15], s[14:15], 1
	s_lshl_b64 s[18:19], s[18:19], 1
	v_mul_lo_u32 v1, s5, v2
	v_cmp_gt_i32_e64 s4, s4, v2
	s_lshl_b64 s[22:23], s[22:23], 1
	s_lshl_b64 s[24:25], s[24:25], 1
	s_wait_alu 0xfffe
	s_lshl_b64 s[26:27], s[20:21], 1
	v_ashrrev_i32_e32 v2, 31, v1
	s_delay_alu instid0(VALU_DEP_1)
	v_lshlrev_b64_e32 v[1:2], 1, v[1:2]
	s_branch .LBB614_4
.LBB614_2:                              ;   in Loop: Header=BB614_4 Depth=1
	s_wait_alu 0xfffe
	s_or_b32 exec_lo, exec_lo, s5
.LBB614_3:                              ;   in Loop: Header=BB614_4 Depth=1
	s_add_co_i32 s6, s6, 0x10000
	s_delay_alu instid0(SALU_CYCLE_1)
	s_cmp_lt_u32 s6, s28
	s_cbranch_scc0 .LBB614_66
.LBB614_4:                              ; =>This Loop Header: Depth=1
                                        ;     Child Loop BB614_34 Depth 2
	s_and_not1_b32 vcc_lo, exec_lo, s33
	s_wait_alu 0xfffe
	s_cbranch_vccnz .LBB614_3
; %bb.5:                                ;   in Loop: Header=BB614_4 Depth=1
	s_and_not1_b32 vcc_lo, exec_lo, s31
	s_wait_alu 0xfffe
	s_cbranch_vccnz .LBB614_7
; %bb.6:                                ;   in Loop: Header=BB614_4 Depth=1
	s_mov_b32 s5, 0
	s_branch .LBB614_8
.LBB614_7:                              ;   in Loop: Header=BB614_4 Depth=1
	s_mov_b32 s5, -1
.LBB614_8:                              ;   in Loop: Header=BB614_4 Depth=1
	v_mov_b32_e32 v3, 0
	v_dual_mov_b32 v4, 0 :: v_dual_mov_b32 v5, 0
	v_mov_b32_e32 v6, 0
	s_wait_alu 0xfffe
	s_and_not1_b32 vcc_lo, exec_lo, s5
	s_wait_alu 0xfffe
	s_cbranch_vccnz .LBB614_10
; %bb.9:                                ;   in Loop: Header=BB614_4 Depth=1
	s_lshl_b64 s[38:39], s[6:7], 3
	s_delay_alu instid0(SALU_CYCLE_1)
	s_add_nc_u64 s[38:39], s[8:9], s[38:39]
	global_load_b64 v[5:6], v12, s[38:39]
	s_wait_loadcnt 0x0
	v_add_co_u32 v5, vcc_lo, v5, s10
	s_wait_alu 0xfffd
	v_add_co_ci_u32_e64 v6, null, s11, v6, vcc_lo
.LBB614_10:                             ;   in Loop: Header=BB614_4 Depth=1
	v_cmp_ne_u32_e32 vcc_lo, 1, v11
	s_cbranch_vccnz .LBB614_12
; %bb.11:                               ;   in Loop: Header=BB614_4 Depth=1
	s_lshl_b64 s[38:39], s[6:7], 3
	s_delay_alu instid0(SALU_CYCLE_1)
	s_add_nc_u64 s[38:39], s[12:13], s[38:39]
	global_load_b64 v[3:4], v12, s[38:39]
	s_wait_loadcnt 0x0
	v_add_co_u32 v3, vcc_lo, v3, s14
	s_wait_alu 0xfffd
	v_add_co_ci_u32_e64 v4, null, s15, v4, vcc_lo
.LBB614_12:                             ;   in Loop: Header=BB614_4 Depth=1
	s_lshl_b64 s[38:39], s[6:7], 3
	s_delay_alu instid0(SALU_CYCLE_1)
	s_add_nc_u64 s[38:39], s[16:17], s[38:39]
	s_wait_dscnt 0x0
	global_load_b64 v[7:8], v12, s[38:39]
	s_wait_loadcnt 0x0
	v_add_co_u32 v19, vcc_lo, v7, s18
	s_wait_alu 0xfffd
	v_add_co_ci_u32_e64 v20, null, s19, v8, vcc_lo
	s_and_not1_b32 vcc_lo, exec_lo, s31
	s_wait_alu 0xfffe
	s_cbranch_vccnz .LBB614_20
; %bb.13:                               ;   in Loop: Header=BB614_4 Depth=1
	s_mov_b32 s5, 0
	s_mov_b32 s21, 0
                                        ; implicit-def: $vgpr7
	s_and_saveexec_b32 s37, s0
	s_cbranch_execz .LBB614_21
; %bb.14:                               ;   in Loop: Header=BB614_4 Depth=1
	s_and_not1_b32 vcc_lo, exec_lo, s34
	s_wait_alu 0xfffe
	s_cbranch_vccnz .LBB614_22
; %bb.15:                               ;   in Loop: Header=BB614_4 Depth=1
	v_add_co_u32 v7, vcc_lo, v19, s22
	s_wait_alu 0xfffd
	v_add_co_ci_u32_e64 v8, null, s23, v20, vcc_lo
	flat_load_u16 v7, v[7:8]
	s_wait_loadcnt_dscnt 0x0
	v_lshlrev_b32_e32 v7, 16, v7
	s_delay_alu instid0(VALU_DEP_1) | instskip(NEXT) | instid1(VALU_DEP_1)
	v_mul_f32_e32 v7, s30, v7
	v_and_b32_e32 v8, 0x7f800000, v7
	s_delay_alu instid0(VALU_DEP_1)
	v_cmp_ne_u32_e32 vcc_lo, 0x7f800000, v8
                                        ; implicit-def: $vgpr8
	s_and_saveexec_b32 s21, vcc_lo
	s_wait_alu 0xfffe
	s_xor_b32 s21, exec_lo, s21
; %bb.16:                               ;   in Loop: Header=BB614_4 Depth=1
	v_bfe_u32 v8, v7, 16, 1
	s_delay_alu instid0(VALU_DEP_1)
	v_add3_u32 v8, v7, v8, 0x7fff
                                        ; implicit-def: $vgpr7
; %bb.17:                               ;   in Loop: Header=BB614_4 Depth=1
	s_wait_alu 0xfffe
	s_and_not1_saveexec_b32 s21, s21
; %bb.18:                               ;   in Loop: Header=BB614_4 Depth=1
	v_and_b32_e32 v8, 0xffff, v7
	v_or_b32_e32 v9, 0x10000, v7
	s_delay_alu instid0(VALU_DEP_2) | instskip(SKIP_1) | instid1(VALU_DEP_2)
	v_cmp_eq_u32_e32 vcc_lo, 0, v8
	s_wait_alu 0xfffd
	v_cndmask_b32_e32 v8, v9, v7, vcc_lo
; %bb.19:                               ;   in Loop: Header=BB614_4 Depth=1
	s_wait_alu 0xfffe
	s_or_b32 exec_lo, exec_lo, s21
	s_delay_alu instid0(VALU_DEP_1) | instskip(SKIP_2) | instid1(SALU_CYCLE_1)
	v_lshrrev_b32_e32 v7, 16, v8
	s_mov_b32 s21, exec_lo
	s_or_b32 exec_lo, exec_lo, s37
	s_and_b32 vcc_lo, exec_lo, s5
	s_wait_alu 0xfffe
	s_cbranch_vccnz .LBB614_23
	s_branch .LBB614_58
.LBB614_20:                             ;   in Loop: Header=BB614_4 Depth=1
	s_mov_b32 s21, 0
                                        ; implicit-def: $vgpr7
	s_cbranch_execnz .LBB614_23
	s_branch .LBB614_58
.LBB614_21:                             ;   in Loop: Header=BB614_4 Depth=1
	s_wait_alu 0xfffe
	s_or_b32 exec_lo, exec_lo, s37
	s_delay_alu instid0(SALU_CYCLE_1)
	s_and_b32 vcc_lo, exec_lo, s5
	s_wait_alu 0xfffe
	s_cbranch_vccnz .LBB614_23
	s_branch .LBB614_58
.LBB614_22:                             ;   in Loop: Header=BB614_4 Depth=1
	v_mov_b32_e32 v7, 0
	s_mov_b32 s21, exec_lo
	s_or_b32 exec_lo, exec_lo, s37
	s_delay_alu instid0(SALU_CYCLE_1)
	s_and_b32 vcc_lo, exec_lo, s5
	s_wait_alu 0xfffe
	s_cbranch_vccz .LBB614_58
.LBB614_23:                             ;   in Loop: Header=BB614_4 Depth=1
	v_add_co_u32 v5, vcc_lo, v5, v17
	s_wait_alu 0xfffd
	v_add_co_ci_u32_e64 v6, null, 0, v6, vcc_lo
	v_mov_b32_e32 v21, 0
	s_delay_alu instid0(VALU_DEP_3) | instskip(SKIP_1) | instid1(VALU_DEP_3)
	v_add_co_u32 v5, vcc_lo, v5, s24
	s_wait_alu 0xfffd
	v_add_co_ci_u32_e64 v6, null, s25, v6, vcc_lo
	s_and_saveexec_b32 s37, s3
	s_cbranch_execnz .LBB614_32
; %bb.24:                               ;   in Loop: Header=BB614_4 Depth=1
	s_wait_alu 0xfffe
	s_or_b32 exec_lo, exec_lo, s37
	s_and_saveexec_b32 s5, s4
	s_cbranch_execnz .LBB614_61
.LBB614_25:                             ;   in Loop: Header=BB614_4 Depth=1
	s_wait_alu 0xfffe
	s_or_b32 exec_lo, exec_lo, s5
	s_and_saveexec_b32 s5, s1
.LBB614_26:                             ;   in Loop: Header=BB614_4 Depth=1
	ds_store_b32 v13, v12
.LBB614_27:                             ;   in Loop: Header=BB614_4 Depth=1
	s_wait_alu 0xfffe
	s_or_b32 exec_lo, exec_lo, s5
	ds_bpermute_b32 v4, v18, v21
	v_cmp_gt_u32_e32 vcc_lo, 24, v16
	s_wait_dscnt 0x0
	s_barrier_signal -1
	s_barrier_wait -1
	global_inv scope:SCOPE_SE
	s_wait_alu 0xfffd
	v_cndmask_b32_e64 v3, 0, 8, vcc_lo
	v_cmp_gt_u32_e32 vcc_lo, 28, v16
	s_delay_alu instid0(VALU_DEP_2)
	v_add_lshl_u32 v3, v3, v16, 2
	v_add_f32_e32 v5, v21, v4
	s_wait_alu 0xfffd
	v_cndmask_b32_e64 v4, 0, 4, vcc_lo
	v_cmp_gt_u32_e32 vcc_lo, 30, v16
	ds_bpermute_b32 v6, v3, v5
	v_add_lshl_u32 v4, v4, v16, 2
	s_wait_dscnt 0x0
	v_add_f32_e32 v6, v5, v6
	s_wait_alu 0xfffd
	v_cndmask_b32_e64 v5, 0, 2, vcc_lo
	v_cmp_ne_u32_e32 vcc_lo, 31, v16
	ds_bpermute_b32 v7, v4, v6
	v_add_lshl_u32 v5, v5, v16, 2
	s_wait_alu 0xfffd
	v_add_co_ci_u32_e64 v8, null, 0, v16, vcc_lo
	s_wait_dscnt 0x0
	v_add_f32_e32 v6, v6, v7
	ds_bpermute_b32 v7, v5, v6
	s_wait_dscnt 0x0
	v_dual_add_f32 v7, v6, v7 :: v_dual_lshlrev_b32 v6, 2, v8
	ds_bpermute_b32 v8, v6, v7
	s_and_saveexec_b32 s5, s2
	s_cbranch_execz .LBB614_29
; %bb.28:                               ;   in Loop: Header=BB614_4 Depth=1
	s_wait_dscnt 0x0
	v_add_f32_e32 v7, v7, v8
	ds_store_b32 v14, v7
.LBB614_29:                             ;   in Loop: Header=BB614_4 Depth=1
	s_wait_alu 0xfffe
	s_or_b32 exec_lo, exec_lo, s5
	s_wait_dscnt 0x0
	v_mov_b32_e32 v8, 0
	s_wait_loadcnt 0x0
	s_barrier_signal -1
	s_barrier_wait -1
	global_inv scope:SCOPE_SE
	s_and_saveexec_b32 s5, s1
	s_cbranch_execnz .LBB614_38
; %bb.30:                               ;   in Loop: Header=BB614_4 Depth=1
	s_wait_alu 0xfffe
	s_or_b32 exec_lo, exec_lo, s5
	s_and_saveexec_b32 s5, s1
	s_cbranch_execnz .LBB614_39
.LBB614_31:                             ;   in Loop: Header=BB614_4 Depth=1
	s_wait_alu 0xfffe
	s_or_b32 exec_lo, exec_lo, s5
                                        ; implicit-def: $vgpr7
	s_and_saveexec_b32 s5, s0
	s_cbranch_execnz .LBB614_40
	s_branch .LBB614_57
.LBB614_32:                             ;   in Loop: Header=BB614_4 Depth=1
	v_dual_mov_b32 v21, 0 :: v_dual_mov_b32 v8, v6
	v_dual_mov_b32 v7, v5 :: v_dual_mov_b32 v22, v0
	v_mov_b32_e32 v9, v15
	s_mov_b32 s38, 0
	s_branch .LBB614_34
.LBB614_33:                             ;   in Loop: Header=BB614_34 Depth=2
	s_wait_alu 0xfffe
	s_or_b32 exec_lo, exec_lo, s5
	v_add_nc_u32_e32 v22, 0x400, v22
	v_and_b32_e32 v10, 0xffff0000, v23
	v_add_co_u32 v7, s5, 0x800, v7
	v_add_nc_u32_e32 v9, s36, v9
	s_delay_alu instid0(VALU_DEP_4) | instskip(NEXT) | instid1(VALU_DEP_4)
	v_cmp_le_i32_e32 vcc_lo, s20, v22
	v_add_f32_e32 v21, v21, v10
	s_wait_alu 0xf1ff
	v_add_co_ci_u32_e64 v8, null, 0, v8, s5
	s_or_b32 s38, vcc_lo, s38
	s_delay_alu instid0(SALU_CYCLE_1)
	s_and_not1_b32 exec_lo, exec_lo, s38
	s_cbranch_execz .LBB614_60
.LBB614_34:                             ;   Parent Loop BB614_4 Depth=1
                                        ; =>  This Inner Loop Header: Depth=2
	s_delay_alu instid0(VALU_DEP_1) | instskip(NEXT) | instid1(VALU_DEP_1)
	v_ashrrev_i32_e32 v10, 31, v9
	v_lshlrev_b64_e32 v[23:24], 1, v[9:10]
	s_delay_alu instid0(VALU_DEP_1) | instskip(SKIP_1) | instid1(VALU_DEP_2)
	v_add_co_u32 v23, vcc_lo, v3, v23
	s_wait_alu 0xfffd
	v_add_co_ci_u32_e64 v24, null, v4, v24, vcc_lo
	flat_load_u16 v10, v[7:8]
	flat_load_u16 v23, v[23:24]
	s_wait_loadcnt_dscnt 0x101
	v_lshlrev_b32_e32 v10, 16, v10
	s_wait_loadcnt_dscnt 0x0
	v_lshlrev_b32_e32 v23, 16, v23
	s_delay_alu instid0(VALU_DEP_1) | instskip(NEXT) | instid1(VALU_DEP_1)
	v_mul_f32_e32 v10, v10, v23
	v_and_b32_e32 v23, 0x7f800000, v10
	s_delay_alu instid0(VALU_DEP_1)
	v_cmp_ne_u32_e32 vcc_lo, 0x7f800000, v23
                                        ; implicit-def: $vgpr23
	s_and_saveexec_b32 s5, vcc_lo
	s_wait_alu 0xfffe
	s_xor_b32 s5, exec_lo, s5
; %bb.35:                               ;   in Loop: Header=BB614_34 Depth=2
	v_bfe_u32 v23, v10, 16, 1
	s_delay_alu instid0(VALU_DEP_1)
	v_add3_u32 v23, v10, v23, 0x7fff
                                        ; implicit-def: $vgpr10
; %bb.36:                               ;   in Loop: Header=BB614_34 Depth=2
	s_wait_alu 0xfffe
	s_and_not1_saveexec_b32 s5, s5
	s_cbranch_execz .LBB614_33
; %bb.37:                               ;   in Loop: Header=BB614_34 Depth=2
	v_and_b32_e32 v23, 0xffff, v10
	v_or_b32_e32 v24, 0x10000, v10
	s_delay_alu instid0(VALU_DEP_2) | instskip(SKIP_1) | instid1(VALU_DEP_2)
	v_cmp_eq_u32_e32 vcc_lo, 0, v23
	s_wait_alu 0xfffd
	v_cndmask_b32_e32 v23, v24, v10, vcc_lo
	s_branch .LBB614_33
.LBB614_38:                             ;   in Loop: Header=BB614_4 Depth=1
	ds_load_b32 v8, v13
	s_wait_alu 0xfffe
	s_or_b32 exec_lo, exec_lo, s5
	s_and_saveexec_b32 s5, s1
	s_cbranch_execz .LBB614_31
.LBB614_39:                             ;   in Loop: Header=BB614_4 Depth=1
	s_wait_dscnt 0x0
	ds_bpermute_b32 v7, v18, v8
	s_wait_dscnt 0x0
	v_add_f32_e32 v7, v8, v7
	ds_bpermute_b32 v3, v3, v7
	s_wait_dscnt 0x0
	v_add_f32_e32 v3, v7, v3
	ds_bpermute_b32 v4, v4, v3
	s_wait_dscnt 0x0
	v_add_f32_e32 v3, v3, v4
	ds_bpermute_b32 v4, v5, v3
	s_wait_dscnt 0x0
	v_add_f32_e32 v3, v3, v4
	ds_bpermute_b32 v4, v6, v3
	s_wait_dscnt 0x0
	v_add_f32_e32 v8, v3, v4
	s_wait_alu 0xfffe
	s_or_b32 exec_lo, exec_lo, s5
                                        ; implicit-def: $vgpr7
	s_and_saveexec_b32 s5, s0
	s_cbranch_execz .LBB614_57
.LBB614_40:                             ;   in Loop: Header=BB614_4 Depth=1
	s_wait_dscnt 0x0
	v_mul_f32_e32 v3, s29, v8
	s_and_b32 vcc_lo, exec_lo, s35
	s_mov_b32 s37, -1
                                        ; implicit-def: $vgpr4
	s_wait_alu 0xfffe
	s_cbranch_vccz .LBB614_46
; %bb.41:                               ;   in Loop: Header=BB614_4 Depth=1
	v_and_b32_e32 v4, 0x7f800000, v3
	s_delay_alu instid0(VALU_DEP_1)
	v_cmp_ne_u32_e32 vcc_lo, 0x7f800000, v4
                                        ; implicit-def: $vgpr4
	s_and_saveexec_b32 s37, vcc_lo
	s_wait_alu 0xfffe
	s_xor_b32 s37, exec_lo, s37
; %bb.42:                               ;   in Loop: Header=BB614_4 Depth=1
	v_bfe_u32 v4, v3, 16, 1
	s_delay_alu instid0(VALU_DEP_1)
	v_add3_u32 v4, v3, v4, 0x7fff
; %bb.43:                               ;   in Loop: Header=BB614_4 Depth=1
	s_wait_alu 0xfffe
	s_and_not1_saveexec_b32 s37, s37
; %bb.44:                               ;   in Loop: Header=BB614_4 Depth=1
	v_and_b32_e32 v4, 0xffff, v3
	v_or_b32_e32 v5, 0x10000, v3
	s_delay_alu instid0(VALU_DEP_2) | instskip(SKIP_1) | instid1(VALU_DEP_2)
	v_cmp_eq_u32_e32 vcc_lo, 0, v4
	s_wait_alu 0xfffd
	v_cndmask_b32_e32 v4, v5, v3, vcc_lo
; %bb.45:                               ;   in Loop: Header=BB614_4 Depth=1
	s_wait_alu 0xfffe
	s_or_b32 exec_lo, exec_lo, s37
	s_mov_b32 s37, 0
.LBB614_46:                             ;   in Loop: Header=BB614_4 Depth=1
	s_wait_alu 0xfffe
	s_and_not1_b32 vcc_lo, exec_lo, s37
	s_wait_alu 0xfffe
	s_cbranch_vccnz .LBB614_56
; %bb.47:                               ;   in Loop: Header=BB614_4 Depth=1
	v_add_co_u32 v4, vcc_lo, v19, s22
	s_wait_alu 0xfffd
	v_add_co_ci_u32_e64 v5, null, s23, v20, vcc_lo
	flat_load_u16 v4, v[4:5]
	s_wait_loadcnt_dscnt 0x0
	v_lshlrev_b32_e32 v4, 16, v4
	s_delay_alu instid0(VALU_DEP_1) | instskip(NEXT) | instid1(VALU_DEP_1)
	v_mul_f32_e32 v4, s30, v4
	v_and_b32_e32 v5, 0x7f800000, v4
	s_delay_alu instid0(VALU_DEP_1)
	v_cmp_ne_u32_e32 vcc_lo, 0x7f800000, v5
                                        ; implicit-def: $vgpr5
	s_and_saveexec_b32 s37, vcc_lo
	s_wait_alu 0xfffe
	s_xor_b32 s37, exec_lo, s37
; %bb.48:                               ;   in Loop: Header=BB614_4 Depth=1
	v_bfe_u32 v5, v4, 16, 1
	s_delay_alu instid0(VALU_DEP_1)
	v_add3_u32 v5, v4, v5, 0x7fff
                                        ; implicit-def: $vgpr4
; %bb.49:                               ;   in Loop: Header=BB614_4 Depth=1
	s_wait_alu 0xfffe
	s_and_not1_saveexec_b32 s37, s37
; %bb.50:                               ;   in Loop: Header=BB614_4 Depth=1
	v_and_b32_e32 v5, 0xffff, v4
	v_or_b32_e32 v6, 0x10000, v4
	s_delay_alu instid0(VALU_DEP_2) | instskip(SKIP_1) | instid1(VALU_DEP_2)
	v_cmp_eq_u32_e32 vcc_lo, 0, v5
	s_wait_alu 0xfffd
	v_cndmask_b32_e32 v5, v6, v4, vcc_lo
; %bb.51:                               ;   in Loop: Header=BB614_4 Depth=1
	s_wait_alu 0xfffe
	s_or_b32 exec_lo, exec_lo, s37
	s_delay_alu instid0(VALU_DEP_1) | instskip(NEXT) | instid1(VALU_DEP_1)
	v_and_b32_e32 v4, 0xffff0000, v5
	v_add_f32_e32 v3, v3, v4
	s_delay_alu instid0(VALU_DEP_1) | instskip(NEXT) | instid1(VALU_DEP_1)
	v_and_b32_e32 v4, 0x7f800000, v3
	v_cmp_ne_u32_e32 vcc_lo, 0x7f800000, v4
                                        ; implicit-def: $vgpr4
	s_and_saveexec_b32 s37, vcc_lo
	s_wait_alu 0xfffe
	s_xor_b32 s37, exec_lo, s37
; %bb.52:                               ;   in Loop: Header=BB614_4 Depth=1
	v_bfe_u32 v4, v3, 16, 1
	s_delay_alu instid0(VALU_DEP_1)
	v_add3_u32 v4, v3, v4, 0x7fff
                                        ; implicit-def: $vgpr3
; %bb.53:                               ;   in Loop: Header=BB614_4 Depth=1
	s_wait_alu 0xfffe
	s_and_not1_saveexec_b32 s37, s37
; %bb.54:                               ;   in Loop: Header=BB614_4 Depth=1
	v_and_b32_e32 v4, 0xffff, v3
	v_or_b32_e32 v5, 0x10000, v3
	s_delay_alu instid0(VALU_DEP_2) | instskip(SKIP_1) | instid1(VALU_DEP_2)
	v_cmp_eq_u32_e32 vcc_lo, 0, v4
	s_wait_alu 0xfffd
	v_cndmask_b32_e32 v4, v5, v3, vcc_lo
; %bb.55:                               ;   in Loop: Header=BB614_4 Depth=1
	s_wait_alu 0xfffe
	s_or_b32 exec_lo, exec_lo, s37
.LBB614_56:                             ;   in Loop: Header=BB614_4 Depth=1
	s_delay_alu instid0(VALU_DEP_1)
	v_lshrrev_b32_e32 v7, 16, v4
	s_or_b32 s21, s21, exec_lo
.LBB614_57:                             ;   in Loop: Header=BB614_4 Depth=1
	s_wait_alu 0xfffe
	s_or_b32 exec_lo, exec_lo, s5
.LBB614_58:                             ;   in Loop: Header=BB614_4 Depth=1
	s_wait_alu 0xfffe
	s_and_saveexec_b32 s5, s21
	s_cbranch_execz .LBB614_2
; %bb.59:                               ;   in Loop: Header=BB614_4 Depth=1
	v_add_co_u32 v3, vcc_lo, v19, s22
	s_wait_alu 0xfffd
	v_add_co_ci_u32_e64 v4, null, s23, v20, vcc_lo
	flat_store_b16 v[3:4], v7
	s_branch .LBB614_2
.LBB614_60:                             ;   in Loop: Header=BB614_4 Depth=1
	s_or_b32 exec_lo, exec_lo, s38
	s_delay_alu instid0(SALU_CYCLE_1)
	s_or_b32 exec_lo, exec_lo, s37
	s_and_saveexec_b32 s5, s4
	s_cbranch_execz .LBB614_25
.LBB614_61:                             ;   in Loop: Header=BB614_4 Depth=1
	v_add_co_u32 v3, vcc_lo, v3, v1
	s_wait_alu 0xfffd
	v_add_co_ci_u32_e64 v4, null, v4, v2, vcc_lo
	v_add_co_u32 v5, vcc_lo, v5, s26
	s_wait_alu 0xfffd
	v_add_co_ci_u32_e64 v6, null, s27, v6, vcc_lo
	flat_load_u16 v3, v[3:4]
	flat_load_u16 v4, v[5:6]
	s_wait_loadcnt_dscnt 0x101
	v_lshlrev_b32_e32 v3, 16, v3
	s_wait_loadcnt_dscnt 0x0
	v_lshlrev_b32_e32 v4, 16, v4
	s_delay_alu instid0(VALU_DEP_1) | instskip(NEXT) | instid1(VALU_DEP_1)
	v_mul_f32_e32 v3, v4, v3
	v_and_b32_e32 v4, 0x7f800000, v3
	s_delay_alu instid0(VALU_DEP_1)
	v_cmp_ne_u32_e32 vcc_lo, 0x7f800000, v4
                                        ; implicit-def: $vgpr4
	s_and_saveexec_b32 s37, vcc_lo
	s_wait_alu 0xfffe
	s_xor_b32 s37, exec_lo, s37
; %bb.62:                               ;   in Loop: Header=BB614_4 Depth=1
	v_bfe_u32 v4, v3, 16, 1
	s_delay_alu instid0(VALU_DEP_1)
	v_add3_u32 v4, v3, v4, 0x7fff
                                        ; implicit-def: $vgpr3
; %bb.63:                               ;   in Loop: Header=BB614_4 Depth=1
	s_wait_alu 0xfffe
	s_and_not1_saveexec_b32 s37, s37
; %bb.64:                               ;   in Loop: Header=BB614_4 Depth=1
	v_and_b32_e32 v4, 0xffff, v3
	v_or_b32_e32 v5, 0x10000, v3
	s_delay_alu instid0(VALU_DEP_2) | instskip(SKIP_1) | instid1(VALU_DEP_2)
	v_cmp_eq_u32_e32 vcc_lo, 0, v4
	s_wait_alu 0xfffd
	v_cndmask_b32_e32 v4, v5, v3, vcc_lo
; %bb.65:                               ;   in Loop: Header=BB614_4 Depth=1
	s_wait_alu 0xfffe
	s_or_b32 exec_lo, exec_lo, s37
	s_delay_alu instid0(VALU_DEP_1) | instskip(NEXT) | instid1(VALU_DEP_1)
	v_and_b32_e32 v3, 0xffff0000, v4
	v_add_f32_e32 v21, v21, v3
	s_or_b32 exec_lo, exec_lo, s5
	s_and_saveexec_b32 s5, s1
	s_cbranch_execnz .LBB614_26
	s_branch .LBB614_27
.LBB614_66:
	s_endpgm
	.section	.rodata,"a",@progbits
	.p2align	6, 0x0
	.amdhsa_kernel _ZL32rocblas_gemvt_warp_reduce_kernelILb0ELi1024EiPK16rocblas_bfloat16fKPS0_EviiT3_lPKT2_lT1_lS8_lS9_lS5_lPT4_lS9_li
		.amdhsa_group_segment_fixed_size 128
		.amdhsa_private_segment_fixed_size 0
		.amdhsa_kernarg_size 140
		.amdhsa_user_sgpr_count 2
		.amdhsa_user_sgpr_dispatch_ptr 0
		.amdhsa_user_sgpr_queue_ptr 0
		.amdhsa_user_sgpr_kernarg_segment_ptr 1
		.amdhsa_user_sgpr_dispatch_id 0
		.amdhsa_user_sgpr_private_segment_size 0
		.amdhsa_wavefront_size32 1
		.amdhsa_uses_dynamic_stack 0
		.amdhsa_enable_private_segment 0
		.amdhsa_system_sgpr_workgroup_id_x 1
		.amdhsa_system_sgpr_workgroup_id_y 0
		.amdhsa_system_sgpr_workgroup_id_z 1
		.amdhsa_system_sgpr_workgroup_info 0
		.amdhsa_system_vgpr_workitem_id 0
		.amdhsa_next_free_vgpr 25
		.amdhsa_next_free_sgpr 40
		.amdhsa_reserve_vcc 1
		.amdhsa_float_round_mode_32 0
		.amdhsa_float_round_mode_16_64 0
		.amdhsa_float_denorm_mode_32 3
		.amdhsa_float_denorm_mode_16_64 3
		.amdhsa_fp16_overflow 0
		.amdhsa_workgroup_processor_mode 1
		.amdhsa_memory_ordered 1
		.amdhsa_forward_progress 1
		.amdhsa_inst_pref_size 20
		.amdhsa_round_robin_scheduling 0
		.amdhsa_exception_fp_ieee_invalid_op 0
		.amdhsa_exception_fp_denorm_src 0
		.amdhsa_exception_fp_ieee_div_zero 0
		.amdhsa_exception_fp_ieee_overflow 0
		.amdhsa_exception_fp_ieee_underflow 0
		.amdhsa_exception_fp_ieee_inexact 0
		.amdhsa_exception_int_div_zero 0
	.end_amdhsa_kernel
	.section	.text._ZL32rocblas_gemvt_warp_reduce_kernelILb0ELi1024EiPK16rocblas_bfloat16fKPS0_EviiT3_lPKT2_lT1_lS8_lS9_lS5_lPT4_lS9_li,"axG",@progbits,_ZL32rocblas_gemvt_warp_reduce_kernelILb0ELi1024EiPK16rocblas_bfloat16fKPS0_EviiT3_lPKT2_lT1_lS8_lS9_lS5_lPT4_lS9_li,comdat
.Lfunc_end614:
	.size	_ZL32rocblas_gemvt_warp_reduce_kernelILb0ELi1024EiPK16rocblas_bfloat16fKPS0_EviiT3_lPKT2_lT1_lS8_lS9_lS5_lPT4_lS9_li, .Lfunc_end614-_ZL32rocblas_gemvt_warp_reduce_kernelILb0ELi1024EiPK16rocblas_bfloat16fKPS0_EviiT3_lPKT2_lT1_lS8_lS9_lS5_lPT4_lS9_li
                                        ; -- End function
	.set _ZL32rocblas_gemvt_warp_reduce_kernelILb0ELi1024EiPK16rocblas_bfloat16fKPS0_EviiT3_lPKT2_lT1_lS8_lS9_lS5_lPT4_lS9_li.num_vgpr, 25
	.set _ZL32rocblas_gemvt_warp_reduce_kernelILb0ELi1024EiPK16rocblas_bfloat16fKPS0_EviiT3_lPKT2_lT1_lS8_lS9_lS5_lPT4_lS9_li.num_agpr, 0
	.set _ZL32rocblas_gemvt_warp_reduce_kernelILb0ELi1024EiPK16rocblas_bfloat16fKPS0_EviiT3_lPKT2_lT1_lS8_lS9_lS5_lPT4_lS9_li.numbered_sgpr, 40
	.set _ZL32rocblas_gemvt_warp_reduce_kernelILb0ELi1024EiPK16rocblas_bfloat16fKPS0_EviiT3_lPKT2_lT1_lS8_lS9_lS5_lPT4_lS9_li.num_named_barrier, 0
	.set _ZL32rocblas_gemvt_warp_reduce_kernelILb0ELi1024EiPK16rocblas_bfloat16fKPS0_EviiT3_lPKT2_lT1_lS8_lS9_lS5_lPT4_lS9_li.private_seg_size, 0
	.set _ZL32rocblas_gemvt_warp_reduce_kernelILb0ELi1024EiPK16rocblas_bfloat16fKPS0_EviiT3_lPKT2_lT1_lS8_lS9_lS5_lPT4_lS9_li.uses_vcc, 1
	.set _ZL32rocblas_gemvt_warp_reduce_kernelILb0ELi1024EiPK16rocblas_bfloat16fKPS0_EviiT3_lPKT2_lT1_lS8_lS9_lS5_lPT4_lS9_li.uses_flat_scratch, 0
	.set _ZL32rocblas_gemvt_warp_reduce_kernelILb0ELi1024EiPK16rocblas_bfloat16fKPS0_EviiT3_lPKT2_lT1_lS8_lS9_lS5_lPT4_lS9_li.has_dyn_sized_stack, 0
	.set _ZL32rocblas_gemvt_warp_reduce_kernelILb0ELi1024EiPK16rocblas_bfloat16fKPS0_EviiT3_lPKT2_lT1_lS8_lS9_lS5_lPT4_lS9_li.has_recursion, 0
	.set _ZL32rocblas_gemvt_warp_reduce_kernelILb0ELi1024EiPK16rocblas_bfloat16fKPS0_EviiT3_lPKT2_lT1_lS8_lS9_lS5_lPT4_lS9_li.has_indirect_call, 0
	.section	.AMDGPU.csdata,"",@progbits
; Kernel info:
; codeLenInByte = 2460
; TotalNumSgprs: 42
; NumVgprs: 25
; ScratchSize: 0
; MemoryBound: 0
; FloatMode: 240
; IeeeMode: 1
; LDSByteSize: 128 bytes/workgroup (compile time only)
; SGPRBlocks: 0
; VGPRBlocks: 3
; NumSGPRsForWavesPerEU: 42
; NumVGPRsForWavesPerEU: 25
; Occupancy: 16
; WaveLimiterHint : 1
; COMPUTE_PGM_RSRC2:SCRATCH_EN: 0
; COMPUTE_PGM_RSRC2:USER_SGPR: 2
; COMPUTE_PGM_RSRC2:TRAP_HANDLER: 0
; COMPUTE_PGM_RSRC2:TGID_X_EN: 1
; COMPUTE_PGM_RSRC2:TGID_Y_EN: 0
; COMPUTE_PGM_RSRC2:TGID_Z_EN: 1
; COMPUTE_PGM_RSRC2:TIDIG_COMP_CNT: 0
	.section	.text._ZL32rocblas_gemvt_warp_reduce_kernelILb0ELi1024ElPK16rocblas_bfloat16fKPS0_EviiT3_lPKT2_lT1_lS8_lS9_lS5_lPT4_lS9_li,"axG",@progbits,_ZL32rocblas_gemvt_warp_reduce_kernelILb0ELi1024ElPK16rocblas_bfloat16fKPS0_EviiT3_lPKT2_lT1_lS8_lS9_lS5_lPT4_lS9_li,comdat
	.globl	_ZL32rocblas_gemvt_warp_reduce_kernelILb0ELi1024ElPK16rocblas_bfloat16fKPS0_EviiT3_lPKT2_lT1_lS8_lS9_lS5_lPT4_lS9_li ; -- Begin function _ZL32rocblas_gemvt_warp_reduce_kernelILb0ELi1024ElPK16rocblas_bfloat16fKPS0_EviiT3_lPKT2_lT1_lS8_lS9_lS5_lPT4_lS9_li
	.p2align	8
	.type	_ZL32rocblas_gemvt_warp_reduce_kernelILb0ELi1024ElPK16rocblas_bfloat16fKPS0_EviiT3_lPKT2_lT1_lS8_lS9_lS5_lPT4_lS9_li,@function
_ZL32rocblas_gemvt_warp_reduce_kernelILb0ELi1024ElPK16rocblas_bfloat16fKPS0_EviiT3_lPKT2_lT1_lS8_lS9_lS5_lPT4_lS9_li: ; @_ZL32rocblas_gemvt_warp_reduce_kernelILb0ELi1024ElPK16rocblas_bfloat16fKPS0_EviiT3_lPKT2_lT1_lS8_lS9_lS5_lPT4_lS9_li
; %bb.0:
	s_load_b32 s30, s[0:1], 0x88
	s_lshr_b32 s6, ttmp7, 16
	s_wait_kmcnt 0x0
	s_cmp_ge_u32 s6, s30
	s_cbranch_scc1 .LBB615_66
; %bb.1:
	s_clause 0x8
	s_load_b32 s31, s[0:1], 0x8
	s_load_b32 s33, s[0:1], 0x58
	s_load_b64 s[24:25], s[0:1], 0x48
	s_load_b32 s38, s[0:1], 0x0
	s_load_b128 s[8:11], s[0:1], 0x18
	s_load_b64 s[26:27], s[0:1], 0x28
	s_load_b128 s[12:15], s[0:1], 0x38
	s_load_b64 s[28:29], s[0:1], 0x78
	s_load_b128 s[16:19], s[0:1], 0x68
	v_and_b32_e32 v3, 31, v0
	v_lshrrev_b32_e32 v4, 3, v0
	v_mov_b32_e32 v13, 0
	s_mov_b32 s4, ttmp9
	v_mbcnt_lo_u32_b32 v17, -1, 0
	v_lshlrev_b32_e32 v15, 2, v3
	v_and_b32_e32 v16, 0x7c, v4
	v_cmp_eq_u32_e64 s0, 0, v0
	s_mov_b32 s7, 0
	v_lshl_or_b32 v19, v17, 2, 64
	s_wait_kmcnt 0x0
	s_cmp_eq_f32 s31, 0
	v_mad_co_u64_u32 v[1:2], null, s24, v0, 0
	s_cselect_b32 s34, -1, 0
	s_cmp_neq_f32 s33, 1.0
	v_cmp_gt_i32_e32 vcc_lo, s38, v0
	s_cselect_b32 s1, -1, 0
	s_cmp_neq_f32 s31, 0
	v_cndmask_b32_e32 v5, 0, v0, vcc_lo
	s_cselect_b32 s2, -1, 0
	s_delay_alu instid0(SALU_CYCLE_1)
	s_or_b32 s35, s2, s1
	s_cmp_neq_f32 s33, 0
	v_cndmask_b32_e64 v14, 0, 1, s2
	v_cmp_eq_u32_e64 s2, 0, v3
	v_mad_co_u64_u32 v[2:3], null, s25, v0, v[2:3]
	s_cselect_b32 s36, -1, 0
	s_cmp_eq_f32 s33, 0
	v_cmp_gt_u32_e64 s1, 32, v0
	v_lshlrev_b32_e32 v18, 1, v5
	s_cselect_b32 s37, -1, 0
	s_ashr_i32 s3, s38, 31
	s_ashr_i32 s5, ttmp9, 31
	s_wait_alu 0xfffe
	s_lshr_b32 s3, s3, 22
	s_mul_u64 s[28:29], s[28:29], s[4:5]
	s_wait_alu 0xfffe
	s_add_co_i32 s3, s38, s3
	s_mul_u64 s[26:27], s[26:27], s[4:5]
	s_wait_alu 0xfffe
	s_and_b32 s20, s3, 0xfffffc00
	v_lshlrev_b64_e32 v[1:2], 1, v[1:2]
	v_or_b32_e32 v6, s20, v0
	s_ashr_i32 s21, s20, 31
	v_cmp_gt_i32_e64 s3, s20, v0
	s_wait_alu 0xfffe
	s_mul_i32 s5, s24, s21
	s_lshl_b64 s[22:23], s[24:25], 11
	v_mul_lo_u32 v7, s25, v6
	v_mad_co_u64_u32 v[3:4], null, s24, v6, 0
	v_cmp_gt_i32_e64 s4, s38, v6
	s_lshl_b64 s[10:11], s[10:11], 1
	s_lshl_b64 s[14:15], s[14:15], 1
	;; [unrolled: 1-line block ×5, first 2 shown]
	v_add3_u32 v4, v4, s5, v7
	s_lshl_b64 s[28:29], s[20:21], 1
	s_delay_alu instid0(VALU_DEP_1)
	v_lshlrev_b64_e32 v[3:4], 1, v[3:4]
	s_branch .LBB615_4
.LBB615_2:                              ;   in Loop: Header=BB615_4 Depth=1
	s_wait_alu 0xfffe
	s_or_b32 exec_lo, exec_lo, s5
.LBB615_3:                              ;   in Loop: Header=BB615_4 Depth=1
	s_add_co_i32 s6, s6, 0x10000
	s_delay_alu instid0(SALU_CYCLE_1)
	s_cmp_lt_u32 s6, s30
	s_cbranch_scc0 .LBB615_66
.LBB615_4:                              ; =>This Loop Header: Depth=1
                                        ;     Child Loop BB615_34 Depth 2
	s_and_not1_b32 vcc_lo, exec_lo, s35
	s_wait_alu 0xfffe
	s_cbranch_vccnz .LBB615_3
; %bb.5:                                ;   in Loop: Header=BB615_4 Depth=1
	s_and_not1_b32 vcc_lo, exec_lo, s34
	s_wait_alu 0xfffe
	s_cbranch_vccnz .LBB615_7
; %bb.6:                                ;   in Loop: Header=BB615_4 Depth=1
	s_mov_b32 s5, 0
	s_branch .LBB615_8
.LBB615_7:                              ;   in Loop: Header=BB615_4 Depth=1
	s_mov_b32 s5, -1
.LBB615_8:                              ;   in Loop: Header=BB615_4 Depth=1
	v_mov_b32_e32 v5, 0
	v_dual_mov_b32 v6, 0 :: v_dual_mov_b32 v7, 0
	v_mov_b32_e32 v8, 0
	s_wait_alu 0xfffe
	s_and_not1_b32 vcc_lo, exec_lo, s5
	s_wait_alu 0xfffe
	s_cbranch_vccnz .LBB615_10
; %bb.9:                                ;   in Loop: Header=BB615_4 Depth=1
	s_lshl_b64 s[38:39], s[6:7], 3
	s_wait_alu 0xfffe
	s_add_nc_u64 s[38:39], s[8:9], s[38:39]
	global_load_b64 v[7:8], v13, s[38:39]
	s_wait_loadcnt 0x0
	v_add_co_u32 v7, vcc_lo, v7, s10
	s_wait_alu 0xfffd
	v_add_co_ci_u32_e64 v8, null, s11, v8, vcc_lo
.LBB615_10:                             ;   in Loop: Header=BB615_4 Depth=1
	v_cmp_ne_u32_e32 vcc_lo, 1, v14
	s_cbranch_vccnz .LBB615_12
; %bb.11:                               ;   in Loop: Header=BB615_4 Depth=1
	s_lshl_b64 s[38:39], s[6:7], 3
	s_wait_alu 0xfffe
	s_add_nc_u64 s[38:39], s[12:13], s[38:39]
	global_load_b64 v[5:6], v13, s[38:39]
	s_wait_loadcnt 0x0
	v_add_co_u32 v5, vcc_lo, v5, s14
	s_wait_alu 0xfffd
	v_add_co_ci_u32_e64 v6, null, s15, v6, vcc_lo
.LBB615_12:                             ;   in Loop: Header=BB615_4 Depth=1
	s_lshl_b64 s[38:39], s[6:7], 3
	s_wait_alu 0xfffe
	s_add_nc_u64 s[38:39], s[16:17], s[38:39]
	s_wait_dscnt 0x0
	global_load_b64 v[9:10], v13, s[38:39]
	s_wait_loadcnt 0x0
	v_add_co_u32 v20, vcc_lo, v9, s18
	s_wait_alu 0xfffd
	v_add_co_ci_u32_e64 v21, null, s19, v10, vcc_lo
	s_and_not1_b32 vcc_lo, exec_lo, s34
	s_wait_alu 0xfffe
	s_cbranch_vccnz .LBB615_20
; %bb.13:                               ;   in Loop: Header=BB615_4 Depth=1
	s_mov_b32 s5, 0
	s_mov_b32 s21, 0
                                        ; implicit-def: $vgpr9
	s_and_saveexec_b32 s38, s0
	s_cbranch_execz .LBB615_21
; %bb.14:                               ;   in Loop: Header=BB615_4 Depth=1
	s_and_not1_b32 vcc_lo, exec_lo, s36
	s_wait_alu 0xfffe
	s_cbranch_vccnz .LBB615_22
; %bb.15:                               ;   in Loop: Header=BB615_4 Depth=1
	v_add_co_u32 v9, vcc_lo, v20, s24
	s_wait_alu 0xfffd
	v_add_co_ci_u32_e64 v10, null, s25, v21, vcc_lo
	flat_load_u16 v9, v[9:10]
	s_wait_loadcnt_dscnt 0x0
	v_lshlrev_b32_e32 v9, 16, v9
	s_delay_alu instid0(VALU_DEP_1) | instskip(NEXT) | instid1(VALU_DEP_1)
	v_mul_f32_e32 v9, s33, v9
	v_and_b32_e32 v10, 0x7f800000, v9
	s_delay_alu instid0(VALU_DEP_1)
	v_cmp_ne_u32_e32 vcc_lo, 0x7f800000, v10
                                        ; implicit-def: $vgpr10
	s_and_saveexec_b32 s21, vcc_lo
	s_wait_alu 0xfffe
	s_xor_b32 s21, exec_lo, s21
; %bb.16:                               ;   in Loop: Header=BB615_4 Depth=1
	v_bfe_u32 v10, v9, 16, 1
	s_delay_alu instid0(VALU_DEP_1)
	v_add3_u32 v10, v9, v10, 0x7fff
                                        ; implicit-def: $vgpr9
; %bb.17:                               ;   in Loop: Header=BB615_4 Depth=1
	s_wait_alu 0xfffe
	s_and_not1_saveexec_b32 s21, s21
; %bb.18:                               ;   in Loop: Header=BB615_4 Depth=1
	v_and_b32_e32 v10, 0xffff, v9
	v_or_b32_e32 v11, 0x10000, v9
	s_delay_alu instid0(VALU_DEP_2) | instskip(SKIP_1) | instid1(VALU_DEP_2)
	v_cmp_eq_u32_e32 vcc_lo, 0, v10
	s_wait_alu 0xfffd
	v_cndmask_b32_e32 v10, v11, v9, vcc_lo
; %bb.19:                               ;   in Loop: Header=BB615_4 Depth=1
	s_wait_alu 0xfffe
	s_or_b32 exec_lo, exec_lo, s21
	s_delay_alu instid0(VALU_DEP_1) | instskip(SKIP_2) | instid1(SALU_CYCLE_1)
	v_lshrrev_b32_e32 v9, 16, v10
	s_mov_b32 s21, exec_lo
	s_or_b32 exec_lo, exec_lo, s38
	s_and_b32 vcc_lo, exec_lo, s5
	s_wait_alu 0xfffe
	s_cbranch_vccnz .LBB615_23
	s_branch .LBB615_58
.LBB615_20:                             ;   in Loop: Header=BB615_4 Depth=1
	s_mov_b32 s21, 0
                                        ; implicit-def: $vgpr9
	s_cbranch_execnz .LBB615_23
	s_branch .LBB615_58
.LBB615_21:                             ;   in Loop: Header=BB615_4 Depth=1
	s_wait_alu 0xfffe
	s_or_b32 exec_lo, exec_lo, s38
	s_delay_alu instid0(SALU_CYCLE_1)
	s_and_b32 vcc_lo, exec_lo, s5
	s_wait_alu 0xfffe
	s_cbranch_vccnz .LBB615_23
	s_branch .LBB615_58
.LBB615_22:                             ;   in Loop: Header=BB615_4 Depth=1
	v_mov_b32_e32 v9, 0
	s_mov_b32 s21, exec_lo
	s_or_b32 exec_lo, exec_lo, s38
	s_delay_alu instid0(SALU_CYCLE_1)
	s_and_b32 vcc_lo, exec_lo, s5
	s_wait_alu 0xfffe
	s_cbranch_vccz .LBB615_58
.LBB615_23:                             ;   in Loop: Header=BB615_4 Depth=1
	v_add_co_u32 v7, vcc_lo, v7, v18
	s_wait_alu 0xfffd
	v_add_co_ci_u32_e64 v8, null, 0, v8, vcc_lo
	v_mov_b32_e32 v22, 0
	s_delay_alu instid0(VALU_DEP_3) | instskip(SKIP_1) | instid1(VALU_DEP_3)
	v_add_co_u32 v7, vcc_lo, v7, s26
	s_wait_alu 0xfffd
	v_add_co_ci_u32_e64 v8, null, s27, v8, vcc_lo
	s_and_saveexec_b32 s38, s3
	s_cbranch_execnz .LBB615_32
; %bb.24:                               ;   in Loop: Header=BB615_4 Depth=1
	s_wait_alu 0xfffe
	s_or_b32 exec_lo, exec_lo, s38
	s_and_saveexec_b32 s5, s4
	s_cbranch_execnz .LBB615_61
.LBB615_25:                             ;   in Loop: Header=BB615_4 Depth=1
	s_wait_alu 0xfffe
	s_or_b32 exec_lo, exec_lo, s5
	s_and_saveexec_b32 s5, s1
.LBB615_26:                             ;   in Loop: Header=BB615_4 Depth=1
	ds_store_b32 v15, v13
.LBB615_27:                             ;   in Loop: Header=BB615_4 Depth=1
	s_wait_alu 0xfffe
	s_or_b32 exec_lo, exec_lo, s5
	ds_bpermute_b32 v6, v19, v22
	v_cmp_gt_u32_e32 vcc_lo, 24, v17
	s_wait_dscnt 0x0
	s_barrier_signal -1
	s_barrier_wait -1
	global_inv scope:SCOPE_SE
	s_wait_alu 0xfffd
	v_cndmask_b32_e64 v5, 0, 8, vcc_lo
	v_cmp_gt_u32_e32 vcc_lo, 28, v17
	s_delay_alu instid0(VALU_DEP_2)
	v_add_lshl_u32 v5, v5, v17, 2
	v_add_f32_e32 v7, v22, v6
	s_wait_alu 0xfffd
	v_cndmask_b32_e64 v6, 0, 4, vcc_lo
	v_cmp_gt_u32_e32 vcc_lo, 30, v17
	ds_bpermute_b32 v8, v5, v7
	v_add_lshl_u32 v6, v6, v17, 2
	s_wait_dscnt 0x0
	v_add_f32_e32 v8, v7, v8
	s_wait_alu 0xfffd
	v_cndmask_b32_e64 v7, 0, 2, vcc_lo
	v_cmp_ne_u32_e32 vcc_lo, 31, v17
	ds_bpermute_b32 v9, v6, v8
	v_add_lshl_u32 v7, v7, v17, 2
	s_wait_alu 0xfffd
	v_add_co_ci_u32_e64 v10, null, 0, v17, vcc_lo
	s_wait_dscnt 0x0
	v_add_f32_e32 v8, v8, v9
	ds_bpermute_b32 v9, v7, v8
	s_wait_dscnt 0x0
	v_dual_add_f32 v9, v8, v9 :: v_dual_lshlrev_b32 v8, 2, v10
	ds_bpermute_b32 v10, v8, v9
	s_and_saveexec_b32 s5, s2
	s_cbranch_execz .LBB615_29
; %bb.28:                               ;   in Loop: Header=BB615_4 Depth=1
	s_wait_dscnt 0x0
	v_add_f32_e32 v9, v9, v10
	ds_store_b32 v16, v9
.LBB615_29:                             ;   in Loop: Header=BB615_4 Depth=1
	s_wait_alu 0xfffe
	s_or_b32 exec_lo, exec_lo, s5
	s_wait_dscnt 0x0
	v_mov_b32_e32 v10, 0
	s_wait_loadcnt 0x0
	s_barrier_signal -1
	s_barrier_wait -1
	global_inv scope:SCOPE_SE
	s_and_saveexec_b32 s5, s1
	s_cbranch_execnz .LBB615_38
; %bb.30:                               ;   in Loop: Header=BB615_4 Depth=1
	s_wait_alu 0xfffe
	s_or_b32 exec_lo, exec_lo, s5
	s_and_saveexec_b32 s5, s1
	s_cbranch_execnz .LBB615_39
.LBB615_31:                             ;   in Loop: Header=BB615_4 Depth=1
	s_wait_alu 0xfffe
	s_or_b32 exec_lo, exec_lo, s5
                                        ; implicit-def: $vgpr9
	s_and_saveexec_b32 s5, s0
	s_cbranch_execnz .LBB615_40
	s_branch .LBB615_57
.LBB615_32:                             ;   in Loop: Header=BB615_4 Depth=1
	v_add_co_u32 v9, vcc_lo, v5, v1
	v_dual_mov_b32 v12, v8 :: v_dual_mov_b32 v23, v0
	s_wait_alu 0xfffd
	v_add_co_ci_u32_e64 v10, null, v6, v2, vcc_lo
	v_dual_mov_b32 v22, 0 :: v_dual_mov_b32 v11, v7
	s_mov_b32 s39, 0
	s_branch .LBB615_34
.LBB615_33:                             ;   in Loop: Header=BB615_34 Depth=2
	s_wait_alu 0xfffe
	s_or_b32 exec_lo, exec_lo, s5
	s_delay_alu instid0(VALU_DEP_1)
	v_and_b32_e32 v24, 0xffff0000, v25
	v_add_nc_u32_e32 v23, 0x400, v23
	v_add_co_u32 v11, vcc_lo, 0x800, v11
	s_wait_alu 0xfffd
	v_add_co_ci_u32_e64 v12, null, 0, v12, vcc_lo
	v_add_f32_e32 v22, v22, v24
	v_cmp_le_i32_e32 vcc_lo, s20, v23
	v_add_co_u32 v9, s5, v9, s22
	s_wait_alu 0xf1ff
	v_add_co_ci_u32_e64 v10, null, s23, v10, s5
	s_or_b32 s39, vcc_lo, s39
	s_wait_alu 0xfffe
	s_and_not1_b32 exec_lo, exec_lo, s39
	s_cbranch_execz .LBB615_60
.LBB615_34:                             ;   Parent Loop BB615_4 Depth=1
                                        ; =>  This Inner Loop Header: Depth=2
	flat_load_u16 v24, v[9:10]
	flat_load_u16 v25, v[11:12]
	s_wait_loadcnt_dscnt 0x101
	v_lshlrev_b32_e32 v24, 16, v24
	s_wait_loadcnt_dscnt 0x0
	v_lshlrev_b32_e32 v25, 16, v25
	s_delay_alu instid0(VALU_DEP_1) | instskip(NEXT) | instid1(VALU_DEP_1)
	v_mul_f32_e32 v24, v25, v24
	v_and_b32_e32 v25, 0x7f800000, v24
	s_delay_alu instid0(VALU_DEP_1)
	v_cmp_ne_u32_e32 vcc_lo, 0x7f800000, v25
                                        ; implicit-def: $vgpr25
	s_and_saveexec_b32 s5, vcc_lo
	s_wait_alu 0xfffe
	s_xor_b32 s5, exec_lo, s5
; %bb.35:                               ;   in Loop: Header=BB615_34 Depth=2
	v_bfe_u32 v25, v24, 16, 1
	s_delay_alu instid0(VALU_DEP_1)
	v_add3_u32 v25, v24, v25, 0x7fff
                                        ; implicit-def: $vgpr24
; %bb.36:                               ;   in Loop: Header=BB615_34 Depth=2
	s_wait_alu 0xfffe
	s_and_not1_saveexec_b32 s5, s5
	s_cbranch_execz .LBB615_33
; %bb.37:                               ;   in Loop: Header=BB615_34 Depth=2
	v_and_b32_e32 v25, 0xffff, v24
	v_or_b32_e32 v26, 0x10000, v24
	s_delay_alu instid0(VALU_DEP_2) | instskip(SKIP_1) | instid1(VALU_DEP_2)
	v_cmp_eq_u32_e32 vcc_lo, 0, v25
	s_wait_alu 0xfffd
	v_cndmask_b32_e32 v25, v26, v24, vcc_lo
	s_branch .LBB615_33
.LBB615_38:                             ;   in Loop: Header=BB615_4 Depth=1
	ds_load_b32 v10, v15
	s_wait_alu 0xfffe
	s_or_b32 exec_lo, exec_lo, s5
	s_and_saveexec_b32 s5, s1
	s_cbranch_execz .LBB615_31
.LBB615_39:                             ;   in Loop: Header=BB615_4 Depth=1
	s_wait_dscnt 0x0
	ds_bpermute_b32 v9, v19, v10
	s_wait_dscnt 0x0
	v_add_f32_e32 v9, v10, v9
	ds_bpermute_b32 v5, v5, v9
	s_wait_dscnt 0x0
	v_add_f32_e32 v5, v9, v5
	ds_bpermute_b32 v6, v6, v5
	s_wait_dscnt 0x0
	v_add_f32_e32 v5, v5, v6
	ds_bpermute_b32 v6, v7, v5
	s_wait_dscnt 0x0
	v_add_f32_e32 v5, v5, v6
	ds_bpermute_b32 v6, v8, v5
	s_wait_dscnt 0x0
	v_add_f32_e32 v10, v5, v6
	s_wait_alu 0xfffe
	s_or_b32 exec_lo, exec_lo, s5
                                        ; implicit-def: $vgpr9
	s_and_saveexec_b32 s5, s0
	s_cbranch_execz .LBB615_57
.LBB615_40:                             ;   in Loop: Header=BB615_4 Depth=1
	s_wait_dscnt 0x0
	v_mul_f32_e32 v5, s31, v10
	s_and_b32 vcc_lo, exec_lo, s37
	s_mov_b32 s38, -1
                                        ; implicit-def: $vgpr6
	s_wait_alu 0xfffe
	s_cbranch_vccz .LBB615_46
; %bb.41:                               ;   in Loop: Header=BB615_4 Depth=1
	v_and_b32_e32 v6, 0x7f800000, v5
	s_delay_alu instid0(VALU_DEP_1)
	v_cmp_ne_u32_e32 vcc_lo, 0x7f800000, v6
                                        ; implicit-def: $vgpr6
	s_and_saveexec_b32 s38, vcc_lo
	s_wait_alu 0xfffe
	s_xor_b32 s38, exec_lo, s38
; %bb.42:                               ;   in Loop: Header=BB615_4 Depth=1
	v_bfe_u32 v6, v5, 16, 1
	s_delay_alu instid0(VALU_DEP_1)
	v_add3_u32 v6, v5, v6, 0x7fff
; %bb.43:                               ;   in Loop: Header=BB615_4 Depth=1
	s_wait_alu 0xfffe
	s_and_not1_saveexec_b32 s38, s38
; %bb.44:                               ;   in Loop: Header=BB615_4 Depth=1
	v_and_b32_e32 v6, 0xffff, v5
	v_or_b32_e32 v7, 0x10000, v5
	s_delay_alu instid0(VALU_DEP_2) | instskip(SKIP_1) | instid1(VALU_DEP_2)
	v_cmp_eq_u32_e32 vcc_lo, 0, v6
	s_wait_alu 0xfffd
	v_cndmask_b32_e32 v6, v7, v5, vcc_lo
; %bb.45:                               ;   in Loop: Header=BB615_4 Depth=1
	s_wait_alu 0xfffe
	s_or_b32 exec_lo, exec_lo, s38
	s_mov_b32 s38, 0
.LBB615_46:                             ;   in Loop: Header=BB615_4 Depth=1
	s_wait_alu 0xfffe
	s_and_not1_b32 vcc_lo, exec_lo, s38
	s_wait_alu 0xfffe
	s_cbranch_vccnz .LBB615_56
; %bb.47:                               ;   in Loop: Header=BB615_4 Depth=1
	v_add_co_u32 v6, vcc_lo, v20, s24
	s_wait_alu 0xfffd
	v_add_co_ci_u32_e64 v7, null, s25, v21, vcc_lo
	flat_load_u16 v6, v[6:7]
	s_wait_loadcnt_dscnt 0x0
	v_lshlrev_b32_e32 v6, 16, v6
	s_delay_alu instid0(VALU_DEP_1) | instskip(NEXT) | instid1(VALU_DEP_1)
	v_mul_f32_e32 v6, s33, v6
	v_and_b32_e32 v7, 0x7f800000, v6
	s_delay_alu instid0(VALU_DEP_1)
	v_cmp_ne_u32_e32 vcc_lo, 0x7f800000, v7
                                        ; implicit-def: $vgpr7
	s_and_saveexec_b32 s38, vcc_lo
	s_wait_alu 0xfffe
	s_xor_b32 s38, exec_lo, s38
; %bb.48:                               ;   in Loop: Header=BB615_4 Depth=1
	v_bfe_u32 v7, v6, 16, 1
	s_delay_alu instid0(VALU_DEP_1)
	v_add3_u32 v7, v6, v7, 0x7fff
                                        ; implicit-def: $vgpr6
; %bb.49:                               ;   in Loop: Header=BB615_4 Depth=1
	s_wait_alu 0xfffe
	s_and_not1_saveexec_b32 s38, s38
; %bb.50:                               ;   in Loop: Header=BB615_4 Depth=1
	v_and_b32_e32 v7, 0xffff, v6
	v_or_b32_e32 v8, 0x10000, v6
	s_delay_alu instid0(VALU_DEP_2) | instskip(SKIP_1) | instid1(VALU_DEP_2)
	v_cmp_eq_u32_e32 vcc_lo, 0, v7
	s_wait_alu 0xfffd
	v_cndmask_b32_e32 v7, v8, v6, vcc_lo
; %bb.51:                               ;   in Loop: Header=BB615_4 Depth=1
	s_wait_alu 0xfffe
	s_or_b32 exec_lo, exec_lo, s38
	s_delay_alu instid0(VALU_DEP_1) | instskip(NEXT) | instid1(VALU_DEP_1)
	v_and_b32_e32 v6, 0xffff0000, v7
	v_add_f32_e32 v5, v5, v6
	s_delay_alu instid0(VALU_DEP_1) | instskip(NEXT) | instid1(VALU_DEP_1)
	v_and_b32_e32 v6, 0x7f800000, v5
	v_cmp_ne_u32_e32 vcc_lo, 0x7f800000, v6
                                        ; implicit-def: $vgpr6
	s_and_saveexec_b32 s38, vcc_lo
	s_wait_alu 0xfffe
	s_xor_b32 s38, exec_lo, s38
; %bb.52:                               ;   in Loop: Header=BB615_4 Depth=1
	v_bfe_u32 v6, v5, 16, 1
	s_delay_alu instid0(VALU_DEP_1)
	v_add3_u32 v6, v5, v6, 0x7fff
                                        ; implicit-def: $vgpr5
; %bb.53:                               ;   in Loop: Header=BB615_4 Depth=1
	s_wait_alu 0xfffe
	s_and_not1_saveexec_b32 s38, s38
; %bb.54:                               ;   in Loop: Header=BB615_4 Depth=1
	v_and_b32_e32 v6, 0xffff, v5
	v_or_b32_e32 v7, 0x10000, v5
	s_delay_alu instid0(VALU_DEP_2) | instskip(SKIP_1) | instid1(VALU_DEP_2)
	v_cmp_eq_u32_e32 vcc_lo, 0, v6
	s_wait_alu 0xfffd
	v_cndmask_b32_e32 v6, v7, v5, vcc_lo
; %bb.55:                               ;   in Loop: Header=BB615_4 Depth=1
	s_wait_alu 0xfffe
	s_or_b32 exec_lo, exec_lo, s38
.LBB615_56:                             ;   in Loop: Header=BB615_4 Depth=1
	s_delay_alu instid0(VALU_DEP_1)
	v_lshrrev_b32_e32 v9, 16, v6
	s_or_b32 s21, s21, exec_lo
.LBB615_57:                             ;   in Loop: Header=BB615_4 Depth=1
	s_wait_alu 0xfffe
	s_or_b32 exec_lo, exec_lo, s5
.LBB615_58:                             ;   in Loop: Header=BB615_4 Depth=1
	s_wait_alu 0xfffe
	s_and_saveexec_b32 s5, s21
	s_cbranch_execz .LBB615_2
; %bb.59:                               ;   in Loop: Header=BB615_4 Depth=1
	v_add_co_u32 v5, vcc_lo, v20, s24
	s_wait_alu 0xfffd
	v_add_co_ci_u32_e64 v6, null, s25, v21, vcc_lo
	flat_store_b16 v[5:6], v9
	s_branch .LBB615_2
.LBB615_60:                             ;   in Loop: Header=BB615_4 Depth=1
	s_or_b32 exec_lo, exec_lo, s39
	s_delay_alu instid0(SALU_CYCLE_1)
	s_or_b32 exec_lo, exec_lo, s38
	s_and_saveexec_b32 s5, s4
	s_cbranch_execz .LBB615_25
.LBB615_61:                             ;   in Loop: Header=BB615_4 Depth=1
	v_add_co_u32 v5, vcc_lo, v5, v3
	s_wait_alu 0xfffd
	v_add_co_ci_u32_e64 v6, null, v6, v4, vcc_lo
	v_add_co_u32 v7, vcc_lo, v7, s28
	s_wait_alu 0xfffd
	v_add_co_ci_u32_e64 v8, null, s29, v8, vcc_lo
	flat_load_u16 v5, v[5:6]
	flat_load_u16 v6, v[7:8]
	s_wait_loadcnt_dscnt 0x101
	v_lshlrev_b32_e32 v5, 16, v5
	s_wait_loadcnt_dscnt 0x0
	v_lshlrev_b32_e32 v6, 16, v6
	s_delay_alu instid0(VALU_DEP_1) | instskip(NEXT) | instid1(VALU_DEP_1)
	v_mul_f32_e32 v5, v6, v5
	v_and_b32_e32 v6, 0x7f800000, v5
	s_delay_alu instid0(VALU_DEP_1)
	v_cmp_ne_u32_e32 vcc_lo, 0x7f800000, v6
                                        ; implicit-def: $vgpr6
	s_and_saveexec_b32 s38, vcc_lo
	s_wait_alu 0xfffe
	s_xor_b32 s38, exec_lo, s38
; %bb.62:                               ;   in Loop: Header=BB615_4 Depth=1
	v_bfe_u32 v6, v5, 16, 1
	s_delay_alu instid0(VALU_DEP_1)
	v_add3_u32 v6, v5, v6, 0x7fff
                                        ; implicit-def: $vgpr5
; %bb.63:                               ;   in Loop: Header=BB615_4 Depth=1
	s_wait_alu 0xfffe
	s_and_not1_saveexec_b32 s38, s38
; %bb.64:                               ;   in Loop: Header=BB615_4 Depth=1
	v_and_b32_e32 v6, 0xffff, v5
	v_or_b32_e32 v7, 0x10000, v5
	s_delay_alu instid0(VALU_DEP_2) | instskip(SKIP_1) | instid1(VALU_DEP_2)
	v_cmp_eq_u32_e32 vcc_lo, 0, v6
	s_wait_alu 0xfffd
	v_cndmask_b32_e32 v6, v7, v5, vcc_lo
; %bb.65:                               ;   in Loop: Header=BB615_4 Depth=1
	s_wait_alu 0xfffe
	s_or_b32 exec_lo, exec_lo, s38
	s_delay_alu instid0(VALU_DEP_1) | instskip(NEXT) | instid1(VALU_DEP_1)
	v_and_b32_e32 v5, 0xffff0000, v6
	v_add_f32_e32 v22, v22, v5
	s_or_b32 exec_lo, exec_lo, s5
	s_and_saveexec_b32 s5, s1
	s_cbranch_execnz .LBB615_26
	s_branch .LBB615_27
.LBB615_66:
	s_endpgm
	.section	.rodata,"a",@progbits
	.p2align	6, 0x0
	.amdhsa_kernel _ZL32rocblas_gemvt_warp_reduce_kernelILb0ELi1024ElPK16rocblas_bfloat16fKPS0_EviiT3_lPKT2_lT1_lS8_lS9_lS5_lPT4_lS9_li
		.amdhsa_group_segment_fixed_size 128
		.amdhsa_private_segment_fixed_size 0
		.amdhsa_kernarg_size 140
		.amdhsa_user_sgpr_count 2
		.amdhsa_user_sgpr_dispatch_ptr 0
		.amdhsa_user_sgpr_queue_ptr 0
		.amdhsa_user_sgpr_kernarg_segment_ptr 1
		.amdhsa_user_sgpr_dispatch_id 0
		.amdhsa_user_sgpr_private_segment_size 0
		.amdhsa_wavefront_size32 1
		.amdhsa_uses_dynamic_stack 0
		.amdhsa_enable_private_segment 0
		.amdhsa_system_sgpr_workgroup_id_x 1
		.amdhsa_system_sgpr_workgroup_id_y 0
		.amdhsa_system_sgpr_workgroup_id_z 1
		.amdhsa_system_sgpr_workgroup_info 0
		.amdhsa_system_vgpr_workitem_id 0
		.amdhsa_next_free_vgpr 27
		.amdhsa_next_free_sgpr 40
		.amdhsa_reserve_vcc 1
		.amdhsa_float_round_mode_32 0
		.amdhsa_float_round_mode_16_64 0
		.amdhsa_float_denorm_mode_32 3
		.amdhsa_float_denorm_mode_16_64 3
		.amdhsa_fp16_overflow 0
		.amdhsa_workgroup_processor_mode 1
		.amdhsa_memory_ordered 1
		.amdhsa_forward_progress 1
		.amdhsa_inst_pref_size 20
		.amdhsa_round_robin_scheduling 0
		.amdhsa_exception_fp_ieee_invalid_op 0
		.amdhsa_exception_fp_denorm_src 0
		.amdhsa_exception_fp_ieee_div_zero 0
		.amdhsa_exception_fp_ieee_overflow 0
		.amdhsa_exception_fp_ieee_underflow 0
		.amdhsa_exception_fp_ieee_inexact 0
		.amdhsa_exception_int_div_zero 0
	.end_amdhsa_kernel
	.section	.text._ZL32rocblas_gemvt_warp_reduce_kernelILb0ELi1024ElPK16rocblas_bfloat16fKPS0_EviiT3_lPKT2_lT1_lS8_lS9_lS5_lPT4_lS9_li,"axG",@progbits,_ZL32rocblas_gemvt_warp_reduce_kernelILb0ELi1024ElPK16rocblas_bfloat16fKPS0_EviiT3_lPKT2_lT1_lS8_lS9_lS5_lPT4_lS9_li,comdat
.Lfunc_end615:
	.size	_ZL32rocblas_gemvt_warp_reduce_kernelILb0ELi1024ElPK16rocblas_bfloat16fKPS0_EviiT3_lPKT2_lT1_lS8_lS9_lS5_lPT4_lS9_li, .Lfunc_end615-_ZL32rocblas_gemvt_warp_reduce_kernelILb0ELi1024ElPK16rocblas_bfloat16fKPS0_EviiT3_lPKT2_lT1_lS8_lS9_lS5_lPT4_lS9_li
                                        ; -- End function
	.set _ZL32rocblas_gemvt_warp_reduce_kernelILb0ELi1024ElPK16rocblas_bfloat16fKPS0_EviiT3_lPKT2_lT1_lS8_lS9_lS5_lPT4_lS9_li.num_vgpr, 27
	.set _ZL32rocblas_gemvt_warp_reduce_kernelILb0ELi1024ElPK16rocblas_bfloat16fKPS0_EviiT3_lPKT2_lT1_lS8_lS9_lS5_lPT4_lS9_li.num_agpr, 0
	.set _ZL32rocblas_gemvt_warp_reduce_kernelILb0ELi1024ElPK16rocblas_bfloat16fKPS0_EviiT3_lPKT2_lT1_lS8_lS9_lS5_lPT4_lS9_li.numbered_sgpr, 40
	.set _ZL32rocblas_gemvt_warp_reduce_kernelILb0ELi1024ElPK16rocblas_bfloat16fKPS0_EviiT3_lPKT2_lT1_lS8_lS9_lS5_lPT4_lS9_li.num_named_barrier, 0
	.set _ZL32rocblas_gemvt_warp_reduce_kernelILb0ELi1024ElPK16rocblas_bfloat16fKPS0_EviiT3_lPKT2_lT1_lS8_lS9_lS5_lPT4_lS9_li.private_seg_size, 0
	.set _ZL32rocblas_gemvt_warp_reduce_kernelILb0ELi1024ElPK16rocblas_bfloat16fKPS0_EviiT3_lPKT2_lT1_lS8_lS9_lS5_lPT4_lS9_li.uses_vcc, 1
	.set _ZL32rocblas_gemvt_warp_reduce_kernelILb0ELi1024ElPK16rocblas_bfloat16fKPS0_EviiT3_lPKT2_lT1_lS8_lS9_lS5_lPT4_lS9_li.uses_flat_scratch, 0
	.set _ZL32rocblas_gemvt_warp_reduce_kernelILb0ELi1024ElPK16rocblas_bfloat16fKPS0_EviiT3_lPKT2_lT1_lS8_lS9_lS5_lPT4_lS9_li.has_dyn_sized_stack, 0
	.set _ZL32rocblas_gemvt_warp_reduce_kernelILb0ELi1024ElPK16rocblas_bfloat16fKPS0_EviiT3_lPKT2_lT1_lS8_lS9_lS5_lPT4_lS9_li.has_recursion, 0
	.set _ZL32rocblas_gemvt_warp_reduce_kernelILb0ELi1024ElPK16rocblas_bfloat16fKPS0_EviiT3_lPKT2_lT1_lS8_lS9_lS5_lPT4_lS9_li.has_indirect_call, 0
	.section	.AMDGPU.csdata,"",@progbits
; Kernel info:
; codeLenInByte = 2496
; TotalNumSgprs: 42
; NumVgprs: 27
; ScratchSize: 0
; MemoryBound: 0
; FloatMode: 240
; IeeeMode: 1
; LDSByteSize: 128 bytes/workgroup (compile time only)
; SGPRBlocks: 0
; VGPRBlocks: 3
; NumSGPRsForWavesPerEU: 42
; NumVGPRsForWavesPerEU: 27
; Occupancy: 16
; WaveLimiterHint : 1
; COMPUTE_PGM_RSRC2:SCRATCH_EN: 0
; COMPUTE_PGM_RSRC2:USER_SGPR: 2
; COMPUTE_PGM_RSRC2:TRAP_HANDLER: 0
; COMPUTE_PGM_RSRC2:TGID_X_EN: 1
; COMPUTE_PGM_RSRC2:TGID_Y_EN: 0
; COMPUTE_PGM_RSRC2:TGID_Z_EN: 1
; COMPUTE_PGM_RSRC2:TIDIG_COMP_CNT: 0
	.section	.text._ZL22rocblas_gemvtsm_kernelILb1ELi256EPK16rocblas_bfloat16PKfKPS0_EviiT2_lPKT1_lilSA_lilS7_lPT3_lil,"axG",@progbits,_ZL22rocblas_gemvtsm_kernelILb1ELi256EPK16rocblas_bfloat16PKfKPS0_EviiT2_lPKT1_lilSA_lilS7_lPT3_lil,comdat
	.globl	_ZL22rocblas_gemvtsm_kernelILb1ELi256EPK16rocblas_bfloat16PKfKPS0_EviiT2_lPKT1_lilSA_lilS7_lPT3_lil ; -- Begin function _ZL22rocblas_gemvtsm_kernelILb1ELi256EPK16rocblas_bfloat16PKfKPS0_EviiT2_lPKT1_lilSA_lilS7_lPT3_lil
	.p2align	8
	.type	_ZL22rocblas_gemvtsm_kernelILb1ELi256EPK16rocblas_bfloat16PKfKPS0_EviiT2_lPKT1_lilSA_lilS7_lPT3_lil,@function
_ZL22rocblas_gemvtsm_kernelILb1ELi256EPK16rocblas_bfloat16PKfKPS0_EviiT2_lPKT1_lilSA_lilS7_lPT3_lil: ; @_ZL22rocblas_gemvtsm_kernelILb1ELi256EPK16rocblas_bfloat16PKfKPS0_EviiT2_lPKT1_lilSA_lilS7_lPT3_lil
; %bb.0:
	s_clause 0x1
	s_load_b256 s[12:19], s[0:1], 0x8
	s_load_b256 s[4:11], s[0:1], 0x58
	s_mov_b32 s2, ttmp9
	s_mov_b32 s3, 0
	s_wait_kmcnt 0x0
	s_mul_u64 s[14:15], s[14:15], s[2:3]
	s_mul_u64 s[6:7], s[6:7], s[2:3]
	s_lshl_b64 s[14:15], s[14:15], 2
	s_lshl_b64 s[6:7], s[6:7], 2
	s_add_nc_u64 s[12:13], s[12:13], s[14:15]
	s_add_nc_u64 s[4:5], s[4:5], s[6:7]
	s_load_b32 s21, s[12:13], 0x0
	s_load_b32 s20, s[4:5], 0x0
	s_wait_kmcnt 0x0
	s_cmp_eq_f32 s21, 0
	s_cselect_b32 s4, -1, 0
	s_cmp_eq_f32 s20, 1.0
	s_cselect_b32 s5, -1, 0
	s_delay_alu instid0(SALU_CYCLE_1) | instskip(NEXT) | instid1(SALU_CYCLE_1)
	s_and_b32 s4, s4, s5
	s_and_b32 vcc_lo, exec_lo, s4
	s_cbranch_vccnz .LBB616_74
; %bb.1:
	s_cmp_neq_f32 s21, 0
	s_mov_b64 s[12:13], 0
	s_mov_b64 s[6:7], 0
	s_cselect_b32 s4, -1, 0
	s_cmp_eq_f32 s21, 0
	s_cselect_b32 s5, -1, 0
	s_delay_alu instid0(SALU_CYCLE_1)
	s_and_b32 vcc_lo, exec_lo, s5
	s_cbranch_vccnz .LBB616_3
; %bb.2:
	s_lshl_b64 s[6:7], s[2:3], 3
	s_lshl_b64 s[14:15], s[18:19], 1
	s_add_nc_u64 s[6:7], s[16:17], s[6:7]
	s_load_b64 s[6:7], s[6:7], 0x0
	s_wait_kmcnt 0x0
	s_add_nc_u64 s[6:7], s[6:7], s[14:15]
.LBB616_3:
	s_and_not1_b32 vcc_lo, exec_lo, s4
	s_cbranch_vccnz .LBB616_5
; %bb.4:
	s_load_b128 s[12:15], s[0:1], 0x38
	s_lshl_b64 s[16:17], s[2:3], 3
	s_wait_kmcnt 0x0
	s_add_nc_u64 s[12:13], s[12:13], s[16:17]
	s_lshl_b64 s[14:15], s[14:15], 1
	s_load_b64 s[12:13], s[12:13], 0x0
	s_wait_kmcnt 0x0
	s_add_nc_u64 s[12:13], s[12:13], s[14:15]
.LBB616_5:
	s_lshl_b64 s[2:3], s[2:3], 3
	s_and_not1_b32 vcc_lo, exec_lo, s5
	s_add_nc_u64 s[8:9], s[8:9], s[2:3]
	s_clause 0x1
	s_load_b64 s[2:3], s[0:1], 0x0
	s_load_b32 s4, s[0:1], 0x78
	s_load_b64 s[8:9], s[8:9], 0x0
	s_mov_b32 s5, -1
	s_cbranch_vccnz .LBB616_24
; %bb.6:
	s_wait_kmcnt 0x0
	s_cmp_gt_i32 s3, 0
	s_cselect_b32 s16, -1, 0
	s_cmp_neq_f32 s20, 0
	v_cndmask_b32_e64 v1, 0, 1, s16
	s_delay_alu instid0(VALU_DEP_1)
	v_cmp_ne_u32_e32 vcc_lo, 1, v1
	s_cbranch_scc1 .LBB616_13
; %bb.7:
	s_and_b32 vcc_lo, exec_lo, vcc_lo
	s_cbranch_vccnz .LBB616_12
; %bb.8:
	v_mad_co_i64_i32 v[1:2], null, s4, v0, 0
	s_lshl_b64 s[14:15], s[10:11], 1
	v_mov_b32_e32 v3, 0
	s_add_nc_u64 s[14:15], s[8:9], s[14:15]
	s_ashr_i32 s5, s4, 31
	v_lshlrev_b64_e32 v[1:2], 1, v[1:2]
	s_delay_alu instid0(VALU_DEP_1) | instskip(NEXT) | instid1(VALU_DEP_1)
	v_add_co_u32 v1, vcc_lo, s14, v1
	v_add_co_ci_u32_e64 v2, null, s15, v2, vcc_lo
	s_wait_alu 0xfffe
	s_lshl_b64 s[14:15], s[4:5], 9
	s_mov_b32 s5, 0
	s_branch .LBB616_10
.LBB616_9:                              ;   in Loop: Header=BB616_10 Depth=1
	s_wait_alu 0xfffe
	s_or_b32 exec_lo, exec_lo, s17
	v_add_co_u32 v1, vcc_lo, v1, s14
	s_wait_alu 0xfffd
	v_add_co_ci_u32_e64 v2, null, s15, v2, vcc_lo
	s_addk_co_i32 s5, 0x100
	s_wait_alu 0xfffe
	s_cmp_ge_i32 s5, s3
	s_cbranch_scc1 .LBB616_12
.LBB616_10:                             ; =>This Inner Loop Header: Depth=1
	s_wait_alu 0xfffe
	v_add_nc_u32_e32 v4, s5, v0
	s_mov_b32 s17, exec_lo
	s_delay_alu instid0(VALU_DEP_1)
	v_cmpx_gt_i32_e64 s3, v4
	s_cbranch_execz .LBB616_9
; %bb.11:                               ;   in Loop: Header=BB616_10 Depth=1
	flat_store_b16 v[1:2], v3
	s_branch .LBB616_9
.LBB616_12:
	s_mov_b32 s5, 0
.LBB616_13:
	s_wait_alu 0xfffe
	s_and_not1_b32 vcc_lo, exec_lo, s5
	s_wait_alu 0xfffe
	s_cbranch_vccnz .LBB616_23
; %bb.14:
	s_and_not1_b32 vcc_lo, exec_lo, s16
	s_wait_alu 0xfffe
	s_cbranch_vccnz .LBB616_23
; %bb.15:
	v_mad_co_i64_i32 v[1:2], null, s4, v0, 0
	s_lshl_b64 s[14:15], s[10:11], 1
	s_ashr_i32 s5, s4, 31
	s_wait_alu 0xfffe
	s_add_nc_u64 s[14:15], s[8:9], s[14:15]
	v_lshlrev_b64_e32 v[1:2], 1, v[1:2]
	s_wait_alu 0xfffe
	s_delay_alu instid0(VALU_DEP_1) | instskip(SKIP_1) | instid1(VALU_DEP_2)
	v_add_co_u32 v1, vcc_lo, s14, v1
	s_wait_alu 0xfffd
	v_add_co_ci_u32_e64 v2, null, s15, v2, vcc_lo
	s_lshl_b64 s[14:15], s[4:5], 9
	s_mov_b32 s5, 0
	s_branch .LBB616_18
.LBB616_16:                             ;   in Loop: Header=BB616_18 Depth=1
	s_wait_alu 0xfffe
	s_or_b32 exec_lo, exec_lo, s17
	flat_store_d16_hi_b16 v[1:2], v4
.LBB616_17:                             ;   in Loop: Header=BB616_18 Depth=1
	s_wait_alu 0xfffe
	s_or_b32 exec_lo, exec_lo, s16
	v_add_co_u32 v1, vcc_lo, v1, s14
	s_wait_alu 0xfffd
	v_add_co_ci_u32_e64 v2, null, s15, v2, vcc_lo
	s_addk_co_i32 s5, 0x100
	s_wait_alu 0xfffe
	s_cmp_ge_i32 s5, s3
	s_cbranch_scc1 .LBB616_23
.LBB616_18:                             ; =>This Inner Loop Header: Depth=1
	s_wait_alu 0xfffe
	v_add_nc_u32_e32 v3, s5, v0
	s_mov_b32 s16, exec_lo
	s_delay_alu instid0(VALU_DEP_1)
	v_cmpx_gt_i32_e64 s3, v3
	s_cbranch_execz .LBB616_17
; %bb.19:                               ;   in Loop: Header=BB616_18 Depth=1
	flat_load_u16 v3, v[1:2]
	s_wait_loadcnt_dscnt 0x0
	v_lshlrev_b32_e32 v3, 16, v3
	s_delay_alu instid0(VALU_DEP_1) | instskip(NEXT) | instid1(VALU_DEP_1)
	v_mul_f32_e32 v3, s20, v3
	v_and_b32_e32 v4, 0x7f800000, v3
	s_delay_alu instid0(VALU_DEP_1)
	v_cmp_ne_u32_e32 vcc_lo, 0x7f800000, v4
                                        ; implicit-def: $vgpr4
	s_and_saveexec_b32 s17, vcc_lo
	s_wait_alu 0xfffe
	s_xor_b32 s17, exec_lo, s17
; %bb.20:                               ;   in Loop: Header=BB616_18 Depth=1
	v_bfe_u32 v4, v3, 16, 1
	s_delay_alu instid0(VALU_DEP_1)
	v_add3_u32 v4, v3, v4, 0x7fff
                                        ; implicit-def: $vgpr3
; %bb.21:                               ;   in Loop: Header=BB616_18 Depth=1
	s_wait_alu 0xfffe
	s_and_not1_saveexec_b32 s17, s17
	s_cbranch_execz .LBB616_16
; %bb.22:                               ;   in Loop: Header=BB616_18 Depth=1
	v_and_b32_e32 v4, 0xffff, v3
	v_or_b32_e32 v5, 0x10000, v3
	s_delay_alu instid0(VALU_DEP_2) | instskip(SKIP_1) | instid1(VALU_DEP_2)
	v_cmp_eq_u32_e32 vcc_lo, 0, v4
	s_wait_alu 0xfffd
	v_cndmask_b32_e32 v4, v5, v3, vcc_lo
	s_branch .LBB616_16
.LBB616_23:
	s_mov_b32 s5, 0
.LBB616_24:
	s_wait_alu 0xfffe
	s_and_not1_b32 vcc_lo, exec_lo, s5
	s_wait_alu 0xfffe
	s_cbranch_vccnz .LBB616_74
; %bb.25:
	s_mov_b32 s5, exec_lo
	s_wait_kmcnt 0x0
	v_cmpx_gt_i32_e64 s2, v0
	s_cbranch_execz .LBB616_31
; %bb.26:
	s_load_b32 s14, s[0:1], 0x48
	s_wait_kmcnt 0x0
	v_mad_co_i64_i32 v[1:2], null, s14, v0, 0
	s_delay_alu instid0(VALU_DEP_1) | instskip(NEXT) | instid1(VALU_DEP_1)
	v_lshlrev_b64_e32 v[1:2], 1, v[1:2]
	v_add_co_u32 v1, vcc_lo, s12, v1
	s_wait_alu 0xfffd
	s_delay_alu instid0(VALU_DEP_2) | instskip(SKIP_3) | instid1(VALU_DEP_1)
	v_add_co_ci_u32_e64 v2, null, s13, v2, vcc_lo
	flat_load_u16 v1, v[1:2]
	s_wait_loadcnt_dscnt 0x0
	v_lshlrev_b32_e32 v1, 16, v1
	v_mul_f32_e32 v1, s21, v1
	s_delay_alu instid0(VALU_DEP_1) | instskip(NEXT) | instid1(VALU_DEP_1)
	v_and_b32_e32 v2, 0x7f800000, v1
	v_cmp_ne_u32_e32 vcc_lo, 0x7f800000, v2
                                        ; implicit-def: $vgpr2
	s_and_saveexec_b32 s12, vcc_lo
	s_wait_alu 0xfffe
	s_xor_b32 s12, exec_lo, s12
; %bb.27:
	v_bfe_u32 v2, v1, 16, 1
	s_delay_alu instid0(VALU_DEP_1)
	v_add3_u32 v2, v1, v2, 0x7fff
                                        ; implicit-def: $vgpr1
; %bb.28:
	s_wait_alu 0xfffe
	s_and_not1_saveexec_b32 s12, s12
; %bb.29:
	v_and_b32_e32 v2, 0xffff, v1
	v_or_b32_e32 v3, 0x10000, v1
	s_delay_alu instid0(VALU_DEP_2) | instskip(SKIP_1) | instid1(VALU_DEP_2)
	v_cmp_eq_u32_e32 vcc_lo, 0, v2
	s_wait_alu 0xfffd
	v_cndmask_b32_e32 v2, v3, v1, vcc_lo
; %bb.30:
	s_wait_alu 0xfffe
	s_or_b32 exec_lo, exec_lo, s12
	s_delay_alu instid0(VALU_DEP_1)
	v_and_b32_e32 v1, 0xffff0000, v2
	v_lshlrev_b32_e32 v2, 2, v0
	ds_store_b32 v2, v1
.LBB616_31:
	s_wait_alu 0xfffe
	s_or_b32 exec_lo, exec_lo, s5
	s_cmp_lt_i32 s3, 1
	s_wait_storecnt_dscnt 0x0
	s_barrier_signal -1
	s_barrier_wait -1
	global_inv scope:SCOPE_SE
	s_cbranch_scc1 .LBB616_74
; %bb.32:
	s_load_b32 s16, s[0:1], 0x28
	s_lshl_b64 s[0:1], s[10:11], 1
	s_ashr_i32 s5, s4, 31
	s_add_nc_u64 s[0:1], s[8:9], s[0:1]
	s_mov_b32 s8, 0
	s_wait_kmcnt 0x0
	v_mad_co_i64_i32 v[1:2], null, s16, v0, 0
	s_ashr_i32 s17, s16, 31
	s_cmp_neq_f32 s20, 0
	s_cselect_b32 s10, -1, 0
	v_lshlrev_b64_e32 v[1:2], 1, v[1:2]
	s_cmp_gt_i32 s2, 0
	s_cselect_b32 s11, -1, 0
	s_and_b32 s12, s2, 3
	s_cmp_gt_u32 s2, 3
	s_delay_alu instid0(VALU_DEP_1)
	v_add_co_u32 v7, vcc_lo, s6, v1
	s_wait_alu 0xfffd
	v_add_co_ci_u32_e64 v8, null, s7, v2, vcc_lo
	s_cselect_b32 s13, -1, 0
	v_add_co_u32 v1, vcc_lo, v7, 4
	s_and_b32 s2, s2, 0x7ffffffc
	s_wait_alu 0xfffd
	v_add_co_ci_u32_e64 v2, null, 0, v8, vcc_lo
	s_wait_alu 0xfffe
	s_cmp_lg_u32 s12, 0
	s_cselect_b32 s14, -1, 0
	s_lshl_b64 s[6:7], s[16:17], 9
	s_branch .LBB616_35
.LBB616_33:                             ;   in Loop: Header=BB616_35 Depth=1
	s_wait_alu 0xfffe
	s_or_b32 exec_lo, exec_lo, s15
	v_add_co_u32 v3, vcc_lo, s0, v3
	s_wait_alu 0xfffd
	v_add_co_ci_u32_e64 v4, null, s1, v4, vcc_lo
	flat_store_d16_hi_b16 v[3:4], v5
.LBB616_34:                             ;   in Loop: Header=BB616_35 Depth=1
	s_wait_alu 0xfffe
	s_or_b32 exec_lo, exec_lo, s9
	v_add_co_u32 v1, vcc_lo, v1, s6
	s_wait_alu 0xfffd
	v_add_co_ci_u32_e64 v2, null, s7, v2, vcc_lo
	v_add_co_u32 v7, vcc_lo, v7, s6
	s_wait_alu 0xfffd
	v_add_co_ci_u32_e64 v8, null, s7, v8, vcc_lo
	s_addk_co_i32 s8, 0x100
	s_wait_alu 0xfffe
	s_cmp_ge_i32 s8, s3
	s_cbranch_scc1 .LBB616_74
.LBB616_35:                             ; =>This Loop Header: Depth=1
                                        ;     Child Loop BB616_46 Depth 2
                                        ;     Child Loop BB616_66 Depth 2
	v_add_nc_u32_e32 v3, s8, v0
	s_mov_b32 s9, exec_lo
	s_delay_alu instid0(VALU_DEP_1)
	v_cmpx_gt_i32_e64 s3, v3
	s_cbranch_execz .LBB616_34
; %bb.36:                               ;   in Loop: Header=BB616_35 Depth=1
	v_mad_co_u64_u32 v[4:5], null, v3, s4, 0
	s_and_not1_b32 vcc_lo, exec_lo, s10
	v_mad_co_u64_u32 v[5:6], null, v3, s5, v[5:6]
	s_delay_alu instid0(VALU_DEP_1)
	v_lshlrev_b64_e32 v[3:4], 1, v[4:5]
	s_wait_alu 0xfffe
	s_cbranch_vccnz .LBB616_42
; %bb.37:                               ;   in Loop: Header=BB616_35 Depth=1
	s_delay_alu instid0(VALU_DEP_1) | instskip(SKIP_1) | instid1(VALU_DEP_2)
	v_add_co_u32 v5, vcc_lo, s0, v3
	s_wait_alu 0xfffd
	v_add_co_ci_u32_e64 v6, null, s1, v4, vcc_lo
	flat_load_u16 v5, v[5:6]
	s_wait_loadcnt_dscnt 0x0
	v_lshlrev_b32_e32 v5, 16, v5
	s_delay_alu instid0(VALU_DEP_1) | instskip(NEXT) | instid1(VALU_DEP_1)
	v_mul_f32_e32 v5, s20, v5
	v_and_b32_e32 v6, 0x7f800000, v5
	s_delay_alu instid0(VALU_DEP_1)
	v_cmp_ne_u32_e32 vcc_lo, 0x7f800000, v6
                                        ; implicit-def: $vgpr6
	s_and_saveexec_b32 s15, vcc_lo
	s_wait_alu 0xfffe
	s_xor_b32 s15, exec_lo, s15
; %bb.38:                               ;   in Loop: Header=BB616_35 Depth=1
	v_bfe_u32 v6, v5, 16, 1
	s_delay_alu instid0(VALU_DEP_1)
	v_add3_u32 v6, v5, v6, 0x7fff
                                        ; implicit-def: $vgpr5
; %bb.39:                               ;   in Loop: Header=BB616_35 Depth=1
	s_wait_alu 0xfffe
	s_and_not1_saveexec_b32 s15, s15
; %bb.40:                               ;   in Loop: Header=BB616_35 Depth=1
	v_and_b32_e32 v6, 0xffff, v5
	v_or_b32_e32 v9, 0x10000, v5
	s_delay_alu instid0(VALU_DEP_2) | instskip(SKIP_1) | instid1(VALU_DEP_2)
	v_cmp_eq_u32_e32 vcc_lo, 0, v6
	s_wait_alu 0xfffd
	v_cndmask_b32_e32 v6, v9, v5, vcc_lo
; %bb.41:                               ;   in Loop: Header=BB616_35 Depth=1
	s_wait_alu 0xfffe
	s_or_b32 exec_lo, exec_lo, s15
	s_delay_alu instid0(VALU_DEP_1) | instskip(NEXT) | instid1(VALU_DEP_1)
	v_and_b32_e32 v5, 0xffff0000, v6
	v_cvt_i32_f32_e32 v5, v5
	s_delay_alu instid0(VALU_DEP_1)
	v_cvt_f32_i32_e32 v9, v5
	s_and_not1_b32 vcc_lo, exec_lo, s11
	s_wait_alu 0xfffe
	s_cbranch_vccz .LBB616_43
	s_branch .LBB616_70
.LBB616_42:                             ;   in Loop: Header=BB616_35 Depth=1
	v_mov_b32_e32 v9, 0
	s_and_not1_b32 vcc_lo, exec_lo, s11
	s_wait_alu 0xfffe
	s_cbranch_vccnz .LBB616_70
.LBB616_43:                             ;   in Loop: Header=BB616_35 Depth=1
	s_and_not1_b32 vcc_lo, exec_lo, s13
	s_mov_b32 s15, 0
	s_wait_alu 0xfffe
	s_cbranch_vccnz .LBB616_63
; %bb.44:                               ;   in Loop: Header=BB616_35 Depth=1
	v_dual_mov_b32 v6, v2 :: v_dual_mov_b32 v5, v1
	s_mov_b32 s16, 0
	s_branch .LBB616_46
.LBB616_45:                             ;   in Loop: Header=BB616_46 Depth=2
	s_wait_alu 0xfffe
	s_or_b32 exec_lo, exec_lo, s17
	v_and_b32_e32 v11, 0xffff0000, v11
	v_and_b32_e32 v10, 0xffff0000, v10
	v_add_co_u32 v5, vcc_lo, v5, 8
	s_wait_alu 0xfffd
	v_add_co_ci_u32_e64 v6, null, 0, v6, vcc_lo
	s_delay_alu instid0(VALU_DEP_3)
	v_dual_add_f32 v9, v9, v10 :: v_dual_and_b32 v10, 0xffff0000, v12
	s_add_co_i32 s16, s16, 4
	s_add_co_i32 s15, s15, 16
	s_wait_alu 0xfffe
	s_cmp_eq_u32 s2, s16
	v_add_f32_e32 v9, v9, v11
	v_and_b32_e32 v11, 0xffff0000, v13
	s_delay_alu instid0(VALU_DEP_2) | instskip(NEXT) | instid1(VALU_DEP_1)
	v_add_f32_e32 v9, v9, v10
	v_add_f32_e32 v9, v9, v11
	s_cbranch_scc1 .LBB616_62
.LBB616_46:                             ;   Parent Loop BB616_35 Depth=1
                                        ; =>  This Inner Loop Header: Depth=2
	flat_load_u16 v10, v[5:6] offset:-4
	s_wait_loadcnt_dscnt 0x0
	v_dual_mov_b32 v11, s15 :: v_dual_lshlrev_b32 v10, 16, v10
	ds_load_b32 v11, v11
	s_wait_dscnt 0x0
	v_mul_f32_e32 v11, v11, v10
	s_delay_alu instid0(VALU_DEP_1) | instskip(NEXT) | instid1(VALU_DEP_1)
	v_and_b32_e32 v10, 0x7f800000, v11
	v_cmp_ne_u32_e32 vcc_lo, 0x7f800000, v10
                                        ; implicit-def: $vgpr10
	s_and_saveexec_b32 s17, vcc_lo
	s_wait_alu 0xfffe
	s_xor_b32 s17, exec_lo, s17
; %bb.47:                               ;   in Loop: Header=BB616_46 Depth=2
	v_bfe_u32 v10, v11, 16, 1
	s_delay_alu instid0(VALU_DEP_1)
	v_add3_u32 v10, v11, v10, 0x7fff
                                        ; implicit-def: $vgpr11
; %bb.48:                               ;   in Loop: Header=BB616_46 Depth=2
	s_wait_alu 0xfffe
	s_and_not1_saveexec_b32 s17, s17
; %bb.49:                               ;   in Loop: Header=BB616_46 Depth=2
	v_and_b32_e32 v10, 0xffff, v11
	v_or_b32_e32 v12, 0x10000, v11
	s_delay_alu instid0(VALU_DEP_2) | instskip(SKIP_1) | instid1(VALU_DEP_2)
	v_cmp_eq_u32_e32 vcc_lo, 0, v10
	s_wait_alu 0xfffd
	v_cndmask_b32_e32 v10, v12, v11, vcc_lo
; %bb.50:                               ;   in Loop: Header=BB616_46 Depth=2
	s_wait_alu 0xfffe
	s_or_b32 exec_lo, exec_lo, s17
	flat_load_u16 v11, v[5:6] offset:-2
	s_wait_loadcnt_dscnt 0x0
	v_dual_mov_b32 v12, s15 :: v_dual_lshlrev_b32 v11, 16, v11
	ds_load_b32 v12, v12 offset:4
	s_wait_dscnt 0x0
	v_mul_f32_e32 v12, v12, v11
	s_delay_alu instid0(VALU_DEP_1) | instskip(NEXT) | instid1(VALU_DEP_1)
	v_and_b32_e32 v11, 0x7f800000, v12
	v_cmp_ne_u32_e32 vcc_lo, 0x7f800000, v11
                                        ; implicit-def: $vgpr11
	s_and_saveexec_b32 s17, vcc_lo
	s_wait_alu 0xfffe
	s_xor_b32 s17, exec_lo, s17
; %bb.51:                               ;   in Loop: Header=BB616_46 Depth=2
	v_bfe_u32 v11, v12, 16, 1
	s_delay_alu instid0(VALU_DEP_1)
	v_add3_u32 v11, v12, v11, 0x7fff
                                        ; implicit-def: $vgpr12
; %bb.52:                               ;   in Loop: Header=BB616_46 Depth=2
	s_wait_alu 0xfffe
	s_and_not1_saveexec_b32 s17, s17
; %bb.53:                               ;   in Loop: Header=BB616_46 Depth=2
	v_and_b32_e32 v11, 0xffff, v12
	v_or_b32_e32 v13, 0x10000, v12
	s_delay_alu instid0(VALU_DEP_2) | instskip(SKIP_1) | instid1(VALU_DEP_2)
	v_cmp_eq_u32_e32 vcc_lo, 0, v11
	s_wait_alu 0xfffd
	v_cndmask_b32_e32 v11, v13, v12, vcc_lo
; %bb.54:                               ;   in Loop: Header=BB616_46 Depth=2
	s_wait_alu 0xfffe
	s_or_b32 exec_lo, exec_lo, s17
	flat_load_u16 v12, v[5:6]
	s_wait_loadcnt_dscnt 0x0
	v_dual_mov_b32 v13, s15 :: v_dual_lshlrev_b32 v12, 16, v12
	ds_load_b32 v13, v13 offset:8
	s_wait_dscnt 0x0
	v_mul_f32_e32 v13, v13, v12
	s_delay_alu instid0(VALU_DEP_1) | instskip(NEXT) | instid1(VALU_DEP_1)
	v_and_b32_e32 v12, 0x7f800000, v13
	v_cmp_ne_u32_e32 vcc_lo, 0x7f800000, v12
                                        ; implicit-def: $vgpr12
	s_and_saveexec_b32 s17, vcc_lo
	s_wait_alu 0xfffe
	s_xor_b32 s17, exec_lo, s17
; %bb.55:                               ;   in Loop: Header=BB616_46 Depth=2
	v_bfe_u32 v12, v13, 16, 1
	s_delay_alu instid0(VALU_DEP_1)
	v_add3_u32 v12, v13, v12, 0x7fff
                                        ; implicit-def: $vgpr13
; %bb.56:                               ;   in Loop: Header=BB616_46 Depth=2
	s_wait_alu 0xfffe
	s_and_not1_saveexec_b32 s17, s17
; %bb.57:                               ;   in Loop: Header=BB616_46 Depth=2
	v_and_b32_e32 v12, 0xffff, v13
	v_or_b32_e32 v14, 0x10000, v13
	s_delay_alu instid0(VALU_DEP_2) | instskip(SKIP_1) | instid1(VALU_DEP_2)
	v_cmp_eq_u32_e32 vcc_lo, 0, v12
	s_wait_alu 0xfffd
	v_cndmask_b32_e32 v12, v14, v13, vcc_lo
; %bb.58:                               ;   in Loop: Header=BB616_46 Depth=2
	s_wait_alu 0xfffe
	s_or_b32 exec_lo, exec_lo, s17
	flat_load_u16 v13, v[5:6] offset:2
	s_wait_loadcnt_dscnt 0x0
	v_dual_mov_b32 v14, s15 :: v_dual_lshlrev_b32 v13, 16, v13
	ds_load_b32 v14, v14 offset:12
	s_wait_dscnt 0x0
	v_mul_f32_e32 v14, v14, v13
	s_delay_alu instid0(VALU_DEP_1) | instskip(NEXT) | instid1(VALU_DEP_1)
	v_and_b32_e32 v13, 0x7f800000, v14
	v_cmp_ne_u32_e32 vcc_lo, 0x7f800000, v13
                                        ; implicit-def: $vgpr13
	s_and_saveexec_b32 s17, vcc_lo
	s_wait_alu 0xfffe
	s_xor_b32 s17, exec_lo, s17
; %bb.59:                               ;   in Loop: Header=BB616_46 Depth=2
	v_bfe_u32 v13, v14, 16, 1
	s_delay_alu instid0(VALU_DEP_1)
	v_add3_u32 v13, v14, v13, 0x7fff
                                        ; implicit-def: $vgpr14
; %bb.60:                               ;   in Loop: Header=BB616_46 Depth=2
	s_wait_alu 0xfffe
	s_and_not1_saveexec_b32 s17, s17
	s_cbranch_execz .LBB616_45
; %bb.61:                               ;   in Loop: Header=BB616_46 Depth=2
	v_and_b32_e32 v13, 0xffff, v14
	v_or_b32_e32 v15, 0x10000, v14
	s_delay_alu instid0(VALU_DEP_2) | instskip(SKIP_1) | instid1(VALU_DEP_2)
	v_cmp_eq_u32_e32 vcc_lo, 0, v13
	s_wait_alu 0xfffd
	v_cndmask_b32_e32 v13, v15, v14, vcc_lo
	s_branch .LBB616_45
.LBB616_62:                             ;   in Loop: Header=BB616_35 Depth=1
	s_mov_b32 s15, s2
.LBB616_63:                             ;   in Loop: Header=BB616_35 Depth=1
	s_and_not1_b32 vcc_lo, exec_lo, s14
	s_wait_alu 0xfffe
	s_cbranch_vccnz .LBB616_70
; %bb.64:                               ;   in Loop: Header=BB616_35 Depth=1
	s_lshl_b32 s16, s15, 1
	s_lshl_b32 s15, s15, 2
	s_wait_alu 0xfffe
	v_add_co_u32 v5, vcc_lo, v7, s16
	s_wait_alu 0xfffd
	v_add_co_ci_u32_e64 v6, null, 0, v8, vcc_lo
	s_mov_b32 s16, s12
	s_branch .LBB616_66
.LBB616_65:                             ;   in Loop: Header=BB616_66 Depth=2
	s_wait_alu 0xfffe
	s_or_b32 exec_lo, exec_lo, s17
	s_delay_alu instid0(VALU_DEP_1) | instskip(SKIP_3) | instid1(VALU_DEP_3)
	v_and_b32_e32 v10, 0xffff0000, v11
	v_add_co_u32 v5, vcc_lo, v5, 2
	s_wait_alu 0xfffd
	v_add_co_ci_u32_e64 v6, null, 0, v6, vcc_lo
	v_add_f32_e32 v9, v9, v10
	s_add_co_i32 s16, s16, -1
	s_add_co_i32 s15, s15, 4
	s_wait_alu 0xfffe
	s_cmp_lg_u32 s16, 0
	s_cbranch_scc0 .LBB616_70
.LBB616_66:                             ;   Parent Loop BB616_35 Depth=1
                                        ; =>  This Inner Loop Header: Depth=2
	flat_load_u16 v10, v[5:6]
	s_wait_loadcnt_dscnt 0x0
	v_dual_mov_b32 v11, s15 :: v_dual_lshlrev_b32 v10, 16, v10
	ds_load_b32 v11, v11
	s_wait_dscnt 0x0
	v_mul_f32_e32 v10, v11, v10
	s_delay_alu instid0(VALU_DEP_1) | instskip(NEXT) | instid1(VALU_DEP_1)
	v_and_b32_e32 v11, 0x7f800000, v10
	v_cmp_ne_u32_e32 vcc_lo, 0x7f800000, v11
                                        ; implicit-def: $vgpr11
	s_and_saveexec_b32 s17, vcc_lo
	s_wait_alu 0xfffe
	s_xor_b32 s17, exec_lo, s17
; %bb.67:                               ;   in Loop: Header=BB616_66 Depth=2
	v_bfe_u32 v11, v10, 16, 1
	s_delay_alu instid0(VALU_DEP_1)
	v_add3_u32 v11, v10, v11, 0x7fff
                                        ; implicit-def: $vgpr10
; %bb.68:                               ;   in Loop: Header=BB616_66 Depth=2
	s_wait_alu 0xfffe
	s_and_not1_saveexec_b32 s17, s17
	s_cbranch_execz .LBB616_65
; %bb.69:                               ;   in Loop: Header=BB616_66 Depth=2
	v_and_b32_e32 v11, 0xffff, v10
	v_or_b32_e32 v12, 0x10000, v10
	s_delay_alu instid0(VALU_DEP_2) | instskip(SKIP_1) | instid1(VALU_DEP_2)
	v_cmp_eq_u32_e32 vcc_lo, 0, v11
	s_wait_alu 0xfffd
	v_cndmask_b32_e32 v11, v12, v10, vcc_lo
	s_branch .LBB616_65
.LBB616_70:                             ;   in Loop: Header=BB616_35 Depth=1
	s_delay_alu instid0(VALU_DEP_1) | instskip(NEXT) | instid1(VALU_DEP_1)
	v_and_b32_e32 v5, 0x7f800000, v9
	v_cmp_ne_u32_e32 vcc_lo, 0x7f800000, v5
                                        ; implicit-def: $vgpr5
	s_and_saveexec_b32 s15, vcc_lo
	s_wait_alu 0xfffe
	s_xor_b32 s15, exec_lo, s15
; %bb.71:                               ;   in Loop: Header=BB616_35 Depth=1
	v_bfe_u32 v5, v9, 16, 1
	s_delay_alu instid0(VALU_DEP_1)
	v_add3_u32 v5, v9, v5, 0x7fff
                                        ; implicit-def: $vgpr9
; %bb.72:                               ;   in Loop: Header=BB616_35 Depth=1
	s_wait_alu 0xfffe
	s_and_not1_saveexec_b32 s15, s15
	s_cbranch_execz .LBB616_33
; %bb.73:                               ;   in Loop: Header=BB616_35 Depth=1
	v_and_b32_e32 v5, 0xffff, v9
	v_or_b32_e32 v6, 0x10000, v9
	s_delay_alu instid0(VALU_DEP_2) | instskip(SKIP_1) | instid1(VALU_DEP_2)
	v_cmp_eq_u32_e32 vcc_lo, 0, v5
	s_wait_alu 0xfffd
	v_cndmask_b32_e32 v5, v6, v9, vcc_lo
	s_branch .LBB616_33
.LBB616_74:
	s_endpgm
	.section	.rodata,"a",@progbits
	.p2align	6, 0x0
	.amdhsa_kernel _ZL22rocblas_gemvtsm_kernelILb1ELi256EPK16rocblas_bfloat16PKfKPS0_EviiT2_lPKT1_lilSA_lilS7_lPT3_lil
		.amdhsa_group_segment_fixed_size 256
		.amdhsa_private_segment_fixed_size 0
		.amdhsa_kernarg_size 136
		.amdhsa_user_sgpr_count 2
		.amdhsa_user_sgpr_dispatch_ptr 0
		.amdhsa_user_sgpr_queue_ptr 0
		.amdhsa_user_sgpr_kernarg_segment_ptr 1
		.amdhsa_user_sgpr_dispatch_id 0
		.amdhsa_user_sgpr_private_segment_size 0
		.amdhsa_wavefront_size32 1
		.amdhsa_uses_dynamic_stack 0
		.amdhsa_enable_private_segment 0
		.amdhsa_system_sgpr_workgroup_id_x 1
		.amdhsa_system_sgpr_workgroup_id_y 0
		.amdhsa_system_sgpr_workgroup_id_z 0
		.amdhsa_system_sgpr_workgroup_info 0
		.amdhsa_system_vgpr_workitem_id 0
		.amdhsa_next_free_vgpr 16
		.amdhsa_next_free_sgpr 22
		.amdhsa_reserve_vcc 1
		.amdhsa_float_round_mode_32 0
		.amdhsa_float_round_mode_16_64 0
		.amdhsa_float_denorm_mode_32 3
		.amdhsa_float_denorm_mode_16_64 3
		.amdhsa_fp16_overflow 0
		.amdhsa_workgroup_processor_mode 1
		.amdhsa_memory_ordered 1
		.amdhsa_forward_progress 1
		.amdhsa_inst_pref_size 21
		.amdhsa_round_robin_scheduling 0
		.amdhsa_exception_fp_ieee_invalid_op 0
		.amdhsa_exception_fp_denorm_src 0
		.amdhsa_exception_fp_ieee_div_zero 0
		.amdhsa_exception_fp_ieee_overflow 0
		.amdhsa_exception_fp_ieee_underflow 0
		.amdhsa_exception_fp_ieee_inexact 0
		.amdhsa_exception_int_div_zero 0
	.end_amdhsa_kernel
	.section	.text._ZL22rocblas_gemvtsm_kernelILb1ELi256EPK16rocblas_bfloat16PKfKPS0_EviiT2_lPKT1_lilSA_lilS7_lPT3_lil,"axG",@progbits,_ZL22rocblas_gemvtsm_kernelILb1ELi256EPK16rocblas_bfloat16PKfKPS0_EviiT2_lPKT1_lilSA_lilS7_lPT3_lil,comdat
.Lfunc_end616:
	.size	_ZL22rocblas_gemvtsm_kernelILb1ELi256EPK16rocblas_bfloat16PKfKPS0_EviiT2_lPKT1_lilSA_lilS7_lPT3_lil, .Lfunc_end616-_ZL22rocblas_gemvtsm_kernelILb1ELi256EPK16rocblas_bfloat16PKfKPS0_EviiT2_lPKT1_lilSA_lilS7_lPT3_lil
                                        ; -- End function
	.set _ZL22rocblas_gemvtsm_kernelILb1ELi256EPK16rocblas_bfloat16PKfKPS0_EviiT2_lPKT1_lilSA_lilS7_lPT3_lil.num_vgpr, 16
	.set _ZL22rocblas_gemvtsm_kernelILb1ELi256EPK16rocblas_bfloat16PKfKPS0_EviiT2_lPKT1_lilSA_lilS7_lPT3_lil.num_agpr, 0
	.set _ZL22rocblas_gemvtsm_kernelILb1ELi256EPK16rocblas_bfloat16PKfKPS0_EviiT2_lPKT1_lilSA_lilS7_lPT3_lil.numbered_sgpr, 22
	.set _ZL22rocblas_gemvtsm_kernelILb1ELi256EPK16rocblas_bfloat16PKfKPS0_EviiT2_lPKT1_lilSA_lilS7_lPT3_lil.num_named_barrier, 0
	.set _ZL22rocblas_gemvtsm_kernelILb1ELi256EPK16rocblas_bfloat16PKfKPS0_EviiT2_lPKT1_lilSA_lilS7_lPT3_lil.private_seg_size, 0
	.set _ZL22rocblas_gemvtsm_kernelILb1ELi256EPK16rocblas_bfloat16PKfKPS0_EviiT2_lPKT1_lilSA_lilS7_lPT3_lil.uses_vcc, 1
	.set _ZL22rocblas_gemvtsm_kernelILb1ELi256EPK16rocblas_bfloat16PKfKPS0_EviiT2_lPKT1_lilSA_lilS7_lPT3_lil.uses_flat_scratch, 0
	.set _ZL22rocblas_gemvtsm_kernelILb1ELi256EPK16rocblas_bfloat16PKfKPS0_EviiT2_lPKT1_lilSA_lilS7_lPT3_lil.has_dyn_sized_stack, 0
	.set _ZL22rocblas_gemvtsm_kernelILb1ELi256EPK16rocblas_bfloat16PKfKPS0_EviiT2_lPKT1_lilSA_lilS7_lPT3_lil.has_recursion, 0
	.set _ZL22rocblas_gemvtsm_kernelILb1ELi256EPK16rocblas_bfloat16PKfKPS0_EviiT2_lPKT1_lilSA_lilS7_lPT3_lil.has_indirect_call, 0
	.section	.AMDGPU.csdata,"",@progbits
; Kernel info:
; codeLenInByte = 2676
; TotalNumSgprs: 24
; NumVgprs: 16
; ScratchSize: 0
; MemoryBound: 0
; FloatMode: 240
; IeeeMode: 1
; LDSByteSize: 256 bytes/workgroup (compile time only)
; SGPRBlocks: 0
; VGPRBlocks: 1
; NumSGPRsForWavesPerEU: 24
; NumVGPRsForWavesPerEU: 16
; Occupancy: 16
; WaveLimiterHint : 1
; COMPUTE_PGM_RSRC2:SCRATCH_EN: 0
; COMPUTE_PGM_RSRC2:USER_SGPR: 2
; COMPUTE_PGM_RSRC2:TRAP_HANDLER: 0
; COMPUTE_PGM_RSRC2:TGID_X_EN: 1
; COMPUTE_PGM_RSRC2:TGID_Y_EN: 0
; COMPUTE_PGM_RSRC2:TGID_Z_EN: 0
; COMPUTE_PGM_RSRC2:TIDIG_COMP_CNT: 0
	.section	.text._ZL22rocblas_gemvtsm_kernelILb1ELi256EPK16rocblas_bfloat16fKPS0_EviiT2_lPKT1_lilS8_lilS5_lPT3_lil,"axG",@progbits,_ZL22rocblas_gemvtsm_kernelILb1ELi256EPK16rocblas_bfloat16fKPS0_EviiT2_lPKT1_lilS8_lilS5_lPT3_lil,comdat
	.globl	_ZL22rocblas_gemvtsm_kernelILb1ELi256EPK16rocblas_bfloat16fKPS0_EviiT2_lPKT1_lilS8_lilS5_lPT3_lil ; -- Begin function _ZL22rocblas_gemvtsm_kernelILb1ELi256EPK16rocblas_bfloat16fKPS0_EviiT2_lPKT1_lilS8_lilS5_lPT3_lil
	.p2align	8
	.type	_ZL22rocblas_gemvtsm_kernelILb1ELi256EPK16rocblas_bfloat16fKPS0_EviiT2_lPKT1_lilS8_lilS5_lPT3_lil,@function
_ZL22rocblas_gemvtsm_kernelILb1ELi256EPK16rocblas_bfloat16fKPS0_EviiT2_lPKT1_lilS8_lilS5_lPT3_lil: ; @_ZL22rocblas_gemvtsm_kernelILb1ELi256EPK16rocblas_bfloat16fKPS0_EviiT2_lPKT1_lilS8_lilS5_lPT3_lil
; %bb.0:
	s_clause 0x1
	s_load_b96 s[8:10], s[0:1], 0x0
	s_load_b32 s11, s[0:1], 0x58
	s_mov_b32 s5, 0
	s_wait_kmcnt 0x0
	s_cmp_eq_f32 s10, 0
	s_cselect_b32 s2, -1, 0
	s_cmp_eq_f32 s11, 1.0
	s_cselect_b32 s3, -1, 0
	s_delay_alu instid0(SALU_CYCLE_1) | instskip(NEXT) | instid1(SALU_CYCLE_1)
	s_and_b32 s2, s2, s3
	s_and_b32 vcc_lo, exec_lo, s2
	s_cbranch_vccnz .LBB617_76
; %bb.1:
	s_cmp_neq_f32 s10, 0
	s_mov_b32 s4, ttmp9
	s_cselect_b32 s6, -1, 0
	s_cmp_eq_f32 s10, 0
	s_cselect_b32 s16, -1, 0
	s_and_b32 vcc_lo, exec_lo, s6
	s_cbranch_vccnz .LBB617_3
; %bb.2:
	s_mov_b32 s3, 0
	s_mov_b32 s2, ttmp9
	s_mov_b32 s7, s3
	s_mov_b64 s[14:15], 0
	s_and_not1_b32 vcc_lo, exec_lo, s7
	s_mov_b64 s[12:13], 0
	s_cbranch_vccz .LBB617_4
	s_branch .LBB617_5
.LBB617_3:
	s_mov_b64 s[2:3], s[4:5]
	s_mov_b64 s[14:15], 0
	;; [unrolled: 1-line block ×3, first 2 shown]
.LBB617_4:
	s_load_b128 s[20:23], s[0:1], 0x18
	s_lshl_b64 s[4:5], s[4:5], 3
	s_wait_kmcnt 0x0
	s_add_nc_u64 s[4:5], s[20:21], s[4:5]
	s_lshl_b64 s[12:13], s[22:23], 1
	s_load_b64 s[4:5], s[4:5], 0x0
	s_wait_kmcnt 0x0
	s_add_nc_u64 s[12:13], s[4:5], s[12:13]
.LBB617_5:
	s_and_not1_b32 vcc_lo, exec_lo, s6
	s_cbranch_vccnz .LBB617_7
; %bb.6:
	s_load_b128 s[4:7], s[0:1], 0x38
	s_lshl_b64 s[14:15], s[2:3], 3
	s_wait_kmcnt 0x0
	s_add_nc_u64 s[4:5], s[4:5], s[14:15]
	s_lshl_b64 s[6:7], s[6:7], 1
	s_load_b64 s[4:5], s[4:5], 0x0
	s_wait_kmcnt 0x0
	s_add_nc_u64 s[14:15], s[4:5], s[6:7]
.LBB617_7:
	s_load_b128 s[4:7], s[0:1], 0x68
	s_lshl_b64 s[18:19], s[2:3], 3
	s_load_b32 s2, s[0:1], 0x78
	s_and_not1_b32 vcc_lo, exec_lo, s16
	s_mov_b32 s3, -1
	s_wait_kmcnt 0x0
	s_add_nc_u64 s[4:5], s[4:5], s[18:19]
	s_load_b64 s[4:5], s[4:5], 0x0
	s_cbranch_vccnz .LBB617_26
; %bb.8:
	s_cmp_gt_i32 s9, 0
	s_cselect_b32 s18, -1, 0
	s_cmp_neq_f32 s11, 0
	v_cndmask_b32_e64 v1, 0, 1, s18
	s_delay_alu instid0(VALU_DEP_1)
	v_cmp_ne_u32_e32 vcc_lo, 1, v1
	s_cbranch_scc1 .LBB617_15
; %bb.9:
	s_and_b32 vcc_lo, exec_lo, vcc_lo
	s_cbranch_vccnz .LBB617_14
; %bb.10:
	v_mad_co_i64_i32 v[1:2], null, s2, v0, 0
	s_lshl_b64 s[16:17], s[6:7], 1
	v_mov_b32_e32 v3, 0
	s_wait_kmcnt 0x0
	s_add_nc_u64 s[16:17], s[4:5], s[16:17]
	s_ashr_i32 s3, s2, 31
	v_lshlrev_b64_e32 v[1:2], 1, v[1:2]
	s_delay_alu instid0(VALU_DEP_1) | instskip(NEXT) | instid1(VALU_DEP_1)
	v_add_co_u32 v1, vcc_lo, s16, v1
	v_add_co_ci_u32_e64 v2, null, s17, v2, vcc_lo
	s_wait_alu 0xfffe
	s_lshl_b64 s[16:17], s[2:3], 9
	s_mov_b32 s3, 0
	s_branch .LBB617_12
.LBB617_11:                             ;   in Loop: Header=BB617_12 Depth=1
	s_wait_alu 0xfffe
	s_or_b32 exec_lo, exec_lo, s19
	v_add_co_u32 v1, vcc_lo, v1, s16
	s_wait_alu 0xfffd
	v_add_co_ci_u32_e64 v2, null, s17, v2, vcc_lo
	s_addk_co_i32 s3, 0x100
	s_wait_alu 0xfffe
	s_cmp_ge_i32 s3, s9
	s_cbranch_scc1 .LBB617_14
.LBB617_12:                             ; =>This Inner Loop Header: Depth=1
	s_wait_alu 0xfffe
	v_add_nc_u32_e32 v4, s3, v0
	s_mov_b32 s19, exec_lo
	s_delay_alu instid0(VALU_DEP_1)
	v_cmpx_gt_i32_e64 s9, v4
	s_cbranch_execz .LBB617_11
; %bb.13:                               ;   in Loop: Header=BB617_12 Depth=1
	flat_store_b16 v[1:2], v3
	s_branch .LBB617_11
.LBB617_14:
	s_mov_b32 s3, 0
.LBB617_15:
	s_wait_alu 0xfffe
	s_and_not1_b32 vcc_lo, exec_lo, s3
	s_wait_alu 0xfffe
	s_cbranch_vccnz .LBB617_25
; %bb.16:
	s_and_not1_b32 vcc_lo, exec_lo, s18
	s_wait_alu 0xfffe
	s_cbranch_vccnz .LBB617_25
; %bb.17:
	v_mad_co_i64_i32 v[1:2], null, s2, v0, 0
	s_lshl_b64 s[16:17], s[6:7], 1
	s_ashr_i32 s3, s2, 31
	s_wait_kmcnt 0x0
	s_wait_alu 0xfffe
	s_add_nc_u64 s[16:17], s[4:5], s[16:17]
	v_lshlrev_b64_e32 v[1:2], 1, v[1:2]
	s_wait_alu 0xfffe
	s_delay_alu instid0(VALU_DEP_1) | instskip(SKIP_1) | instid1(VALU_DEP_2)
	v_add_co_u32 v1, vcc_lo, s16, v1
	s_wait_alu 0xfffd
	v_add_co_ci_u32_e64 v2, null, s17, v2, vcc_lo
	s_lshl_b64 s[16:17], s[2:3], 9
	s_mov_b32 s3, 0
	s_branch .LBB617_20
.LBB617_18:                             ;   in Loop: Header=BB617_20 Depth=1
	s_wait_alu 0xfffe
	s_or_b32 exec_lo, exec_lo, s19
	flat_store_d16_hi_b16 v[1:2], v4
.LBB617_19:                             ;   in Loop: Header=BB617_20 Depth=1
	s_wait_alu 0xfffe
	s_or_b32 exec_lo, exec_lo, s18
	v_add_co_u32 v1, vcc_lo, v1, s16
	s_wait_alu 0xfffd
	v_add_co_ci_u32_e64 v2, null, s17, v2, vcc_lo
	s_addk_co_i32 s3, 0x100
	s_wait_alu 0xfffe
	s_cmp_ge_i32 s3, s9
	s_cbranch_scc1 .LBB617_25
.LBB617_20:                             ; =>This Inner Loop Header: Depth=1
	s_wait_alu 0xfffe
	v_add_nc_u32_e32 v3, s3, v0
	s_mov_b32 s18, exec_lo
	s_delay_alu instid0(VALU_DEP_1)
	v_cmpx_gt_i32_e64 s9, v3
	s_cbranch_execz .LBB617_19
; %bb.21:                               ;   in Loop: Header=BB617_20 Depth=1
	flat_load_u16 v3, v[1:2]
	s_wait_loadcnt_dscnt 0x0
	v_lshlrev_b32_e32 v3, 16, v3
	s_delay_alu instid0(VALU_DEP_1) | instskip(NEXT) | instid1(VALU_DEP_1)
	v_mul_f32_e32 v3, s11, v3
	v_and_b32_e32 v4, 0x7f800000, v3
	s_delay_alu instid0(VALU_DEP_1)
	v_cmp_ne_u32_e32 vcc_lo, 0x7f800000, v4
                                        ; implicit-def: $vgpr4
	s_and_saveexec_b32 s19, vcc_lo
	s_wait_alu 0xfffe
	s_xor_b32 s19, exec_lo, s19
; %bb.22:                               ;   in Loop: Header=BB617_20 Depth=1
	v_bfe_u32 v4, v3, 16, 1
	s_delay_alu instid0(VALU_DEP_1)
	v_add3_u32 v4, v3, v4, 0x7fff
                                        ; implicit-def: $vgpr3
; %bb.23:                               ;   in Loop: Header=BB617_20 Depth=1
	s_wait_alu 0xfffe
	s_and_not1_saveexec_b32 s19, s19
	s_cbranch_execz .LBB617_18
; %bb.24:                               ;   in Loop: Header=BB617_20 Depth=1
	v_and_b32_e32 v4, 0xffff, v3
	v_or_b32_e32 v5, 0x10000, v3
	s_delay_alu instid0(VALU_DEP_2) | instskip(SKIP_1) | instid1(VALU_DEP_2)
	v_cmp_eq_u32_e32 vcc_lo, 0, v4
	s_wait_alu 0xfffd
	v_cndmask_b32_e32 v4, v5, v3, vcc_lo
	s_branch .LBB617_18
.LBB617_25:
	s_mov_b32 s3, 0
.LBB617_26:
	s_wait_alu 0xfffe
	s_and_not1_b32 vcc_lo, exec_lo, s3
	s_wait_alu 0xfffe
	s_cbranch_vccnz .LBB617_76
; %bb.27:
	s_mov_b32 s3, exec_lo
	v_cmpx_gt_i32_e64 s8, v0
	s_cbranch_execz .LBB617_33
; %bb.28:
	s_load_b32 s16, s[0:1], 0x48
	s_wait_kmcnt 0x0
	v_mad_co_i64_i32 v[1:2], null, s16, v0, 0
	s_delay_alu instid0(VALU_DEP_1) | instskip(NEXT) | instid1(VALU_DEP_1)
	v_lshlrev_b64_e32 v[1:2], 1, v[1:2]
	v_add_co_u32 v1, vcc_lo, s14, v1
	s_wait_alu 0xfffd
	s_delay_alu instid0(VALU_DEP_2) | instskip(SKIP_3) | instid1(VALU_DEP_1)
	v_add_co_ci_u32_e64 v2, null, s15, v2, vcc_lo
	flat_load_u16 v1, v[1:2]
	s_wait_loadcnt_dscnt 0x0
	v_lshlrev_b32_e32 v1, 16, v1
	v_mul_f32_e32 v1, s10, v1
	s_delay_alu instid0(VALU_DEP_1) | instskip(NEXT) | instid1(VALU_DEP_1)
	v_and_b32_e32 v2, 0x7f800000, v1
	v_cmp_ne_u32_e32 vcc_lo, 0x7f800000, v2
                                        ; implicit-def: $vgpr2
	s_and_saveexec_b32 s10, vcc_lo
	s_wait_alu 0xfffe
	s_xor_b32 s10, exec_lo, s10
; %bb.29:
	v_bfe_u32 v2, v1, 16, 1
	s_delay_alu instid0(VALU_DEP_1)
	v_add3_u32 v2, v1, v2, 0x7fff
                                        ; implicit-def: $vgpr1
; %bb.30:
	s_wait_alu 0xfffe
	s_and_not1_saveexec_b32 s10, s10
; %bb.31:
	v_and_b32_e32 v2, 0xffff, v1
	v_or_b32_e32 v3, 0x10000, v1
	s_delay_alu instid0(VALU_DEP_2) | instskip(SKIP_1) | instid1(VALU_DEP_2)
	v_cmp_eq_u32_e32 vcc_lo, 0, v2
	s_wait_alu 0xfffd
	v_cndmask_b32_e32 v2, v3, v1, vcc_lo
; %bb.32:
	s_wait_alu 0xfffe
	s_or_b32 exec_lo, exec_lo, s10
	s_delay_alu instid0(VALU_DEP_1)
	v_and_b32_e32 v1, 0xffff0000, v2
	v_lshlrev_b32_e32 v2, 2, v0
	ds_store_b32 v2, v1
.LBB617_33:
	s_wait_alu 0xfffe
	s_or_b32 exec_lo, exec_lo, s3
	s_cmp_lt_i32 s9, 1
	s_wait_storecnt_dscnt 0x0
	s_barrier_signal -1
	s_barrier_wait -1
	global_inv scope:SCOPE_SE
	s_cbranch_scc1 .LBB617_76
; %bb.34:
	s_load_b32 s16, s[0:1], 0x28
	s_lshl_b64 s[0:1], s[6:7], 1
	s_ashr_i32 s3, s2, 31
	s_wait_kmcnt 0x0
	s_add_nc_u64 s[0:1], s[4:5], s[0:1]
	v_mad_co_i64_i32 v[1:2], null, s16, v0, 0
	s_ashr_i32 s17, s16, 31
	s_cmp_neq_f32 s11, 0
	s_cselect_b32 s6, -1, 0
	v_lshlrev_b64_e32 v[1:2], 1, v[1:2]
	s_cmp_gt_i32 s8, 0
	s_cselect_b32 s7, -1, 0
	s_and_b32 s10, s8, 3
	s_cmp_gt_u32 s8, 3
	s_delay_alu instid0(VALU_DEP_1)
	v_add_co_u32 v7, vcc_lo, s12, v1
	s_wait_alu 0xfffd
	v_add_co_ci_u32_e64 v8, null, s13, v2, vcc_lo
	s_cselect_b32 s14, -1, 0
	v_add_co_u32 v1, vcc_lo, v7, 4
	s_and_b32 s8, s8, 0x7ffffffc
	s_wait_alu 0xfffd
	v_add_co_ci_u32_e64 v2, null, 0, v8, vcc_lo
	s_wait_alu 0xfffe
	s_cmp_lg_u32 s10, 0
	s_mov_b32 s13, 0
	s_cselect_b32 s12, -1, 0
	s_lshl_b64 s[4:5], s[16:17], 9
	s_branch .LBB617_37
.LBB617_35:                             ;   in Loop: Header=BB617_37 Depth=1
	s_wait_alu 0xfffe
	s_or_b32 exec_lo, exec_lo, s16
	v_add_co_u32 v3, vcc_lo, s0, v3
	s_wait_alu 0xfffd
	v_add_co_ci_u32_e64 v4, null, s1, v4, vcc_lo
	flat_store_d16_hi_b16 v[3:4], v5
.LBB617_36:                             ;   in Loop: Header=BB617_37 Depth=1
	s_wait_alu 0xfffe
	s_or_b32 exec_lo, exec_lo, s15
	v_add_co_u32 v1, vcc_lo, v1, s4
	s_wait_alu 0xfffd
	v_add_co_ci_u32_e64 v2, null, s5, v2, vcc_lo
	v_add_co_u32 v7, vcc_lo, v7, s4
	s_wait_alu 0xfffd
	v_add_co_ci_u32_e64 v8, null, s5, v8, vcc_lo
	s_addk_co_i32 s13, 0x100
	s_wait_alu 0xfffe
	s_cmp_ge_i32 s13, s9
	s_cbranch_scc1 .LBB617_76
.LBB617_37:                             ; =>This Loop Header: Depth=1
                                        ;     Child Loop BB617_48 Depth 2
                                        ;     Child Loop BB617_68 Depth 2
	s_wait_alu 0xfffe
	v_add_nc_u32_e32 v3, s13, v0
	s_mov_b32 s15, exec_lo
	s_delay_alu instid0(VALU_DEP_1)
	v_cmpx_gt_i32_e64 s9, v3
	s_cbranch_execz .LBB617_36
; %bb.38:                               ;   in Loop: Header=BB617_37 Depth=1
	v_mad_co_u64_u32 v[4:5], null, v3, s2, 0
	s_and_not1_b32 vcc_lo, exec_lo, s6
	v_mad_co_u64_u32 v[5:6], null, v3, s3, v[5:6]
	s_delay_alu instid0(VALU_DEP_1)
	v_lshlrev_b64_e32 v[3:4], 1, v[4:5]
	s_wait_alu 0xfffe
	s_cbranch_vccnz .LBB617_44
; %bb.39:                               ;   in Loop: Header=BB617_37 Depth=1
	s_delay_alu instid0(VALU_DEP_1) | instskip(SKIP_1) | instid1(VALU_DEP_2)
	v_add_co_u32 v5, vcc_lo, s0, v3
	s_wait_alu 0xfffd
	v_add_co_ci_u32_e64 v6, null, s1, v4, vcc_lo
	flat_load_u16 v5, v[5:6]
	s_wait_loadcnt_dscnt 0x0
	v_lshlrev_b32_e32 v5, 16, v5
	s_delay_alu instid0(VALU_DEP_1) | instskip(NEXT) | instid1(VALU_DEP_1)
	v_mul_f32_e32 v5, s11, v5
	v_and_b32_e32 v6, 0x7f800000, v5
	s_delay_alu instid0(VALU_DEP_1)
	v_cmp_ne_u32_e32 vcc_lo, 0x7f800000, v6
                                        ; implicit-def: $vgpr6
	s_and_saveexec_b32 s16, vcc_lo
	s_wait_alu 0xfffe
	s_xor_b32 s16, exec_lo, s16
; %bb.40:                               ;   in Loop: Header=BB617_37 Depth=1
	v_bfe_u32 v6, v5, 16, 1
	s_delay_alu instid0(VALU_DEP_1)
	v_add3_u32 v6, v5, v6, 0x7fff
                                        ; implicit-def: $vgpr5
; %bb.41:                               ;   in Loop: Header=BB617_37 Depth=1
	s_wait_alu 0xfffe
	s_and_not1_saveexec_b32 s16, s16
; %bb.42:                               ;   in Loop: Header=BB617_37 Depth=1
	v_and_b32_e32 v6, 0xffff, v5
	v_or_b32_e32 v9, 0x10000, v5
	s_delay_alu instid0(VALU_DEP_2) | instskip(SKIP_1) | instid1(VALU_DEP_2)
	v_cmp_eq_u32_e32 vcc_lo, 0, v6
	s_wait_alu 0xfffd
	v_cndmask_b32_e32 v6, v9, v5, vcc_lo
; %bb.43:                               ;   in Loop: Header=BB617_37 Depth=1
	s_wait_alu 0xfffe
	s_or_b32 exec_lo, exec_lo, s16
	s_delay_alu instid0(VALU_DEP_1) | instskip(NEXT) | instid1(VALU_DEP_1)
	v_and_b32_e32 v5, 0xffff0000, v6
	v_cvt_i32_f32_e32 v5, v5
	s_delay_alu instid0(VALU_DEP_1)
	v_cvt_f32_i32_e32 v9, v5
	s_and_not1_b32 vcc_lo, exec_lo, s7
	s_wait_alu 0xfffe
	s_cbranch_vccz .LBB617_45
	s_branch .LBB617_72
.LBB617_44:                             ;   in Loop: Header=BB617_37 Depth=1
	v_mov_b32_e32 v9, 0
	s_and_not1_b32 vcc_lo, exec_lo, s7
	s_wait_alu 0xfffe
	s_cbranch_vccnz .LBB617_72
.LBB617_45:                             ;   in Loop: Header=BB617_37 Depth=1
	s_and_not1_b32 vcc_lo, exec_lo, s14
	s_mov_b32 s16, 0
	s_wait_alu 0xfffe
	s_cbranch_vccnz .LBB617_65
; %bb.46:                               ;   in Loop: Header=BB617_37 Depth=1
	v_dual_mov_b32 v6, v2 :: v_dual_mov_b32 v5, v1
	s_mov_b32 s17, 0
	s_branch .LBB617_48
.LBB617_47:                             ;   in Loop: Header=BB617_48 Depth=2
	s_wait_alu 0xfffe
	s_or_b32 exec_lo, exec_lo, s18
	v_and_b32_e32 v11, 0xffff0000, v11
	v_and_b32_e32 v10, 0xffff0000, v10
	v_add_co_u32 v5, vcc_lo, v5, 8
	s_wait_alu 0xfffd
	v_add_co_ci_u32_e64 v6, null, 0, v6, vcc_lo
	s_delay_alu instid0(VALU_DEP_3)
	v_dual_add_f32 v9, v9, v10 :: v_dual_and_b32 v10, 0xffff0000, v12
	s_add_co_i32 s17, s17, 4
	s_add_co_i32 s16, s16, 16
	s_wait_alu 0xfffe
	s_cmp_eq_u32 s8, s17
	v_add_f32_e32 v9, v9, v11
	v_and_b32_e32 v11, 0xffff0000, v13
	s_delay_alu instid0(VALU_DEP_2) | instskip(NEXT) | instid1(VALU_DEP_1)
	v_add_f32_e32 v9, v9, v10
	v_add_f32_e32 v9, v9, v11
	s_cbranch_scc1 .LBB617_64
.LBB617_48:                             ;   Parent Loop BB617_37 Depth=1
                                        ; =>  This Inner Loop Header: Depth=2
	flat_load_u16 v10, v[5:6] offset:-4
	s_wait_loadcnt_dscnt 0x0
	v_dual_mov_b32 v11, s16 :: v_dual_lshlrev_b32 v10, 16, v10
	ds_load_b32 v11, v11
	s_wait_dscnt 0x0
	v_mul_f32_e32 v11, v11, v10
	s_delay_alu instid0(VALU_DEP_1) | instskip(NEXT) | instid1(VALU_DEP_1)
	v_and_b32_e32 v10, 0x7f800000, v11
	v_cmp_ne_u32_e32 vcc_lo, 0x7f800000, v10
                                        ; implicit-def: $vgpr10
	s_and_saveexec_b32 s18, vcc_lo
	s_wait_alu 0xfffe
	s_xor_b32 s18, exec_lo, s18
; %bb.49:                               ;   in Loop: Header=BB617_48 Depth=2
	v_bfe_u32 v10, v11, 16, 1
	s_delay_alu instid0(VALU_DEP_1)
	v_add3_u32 v10, v11, v10, 0x7fff
                                        ; implicit-def: $vgpr11
; %bb.50:                               ;   in Loop: Header=BB617_48 Depth=2
	s_wait_alu 0xfffe
	s_and_not1_saveexec_b32 s18, s18
; %bb.51:                               ;   in Loop: Header=BB617_48 Depth=2
	v_and_b32_e32 v10, 0xffff, v11
	v_or_b32_e32 v12, 0x10000, v11
	s_delay_alu instid0(VALU_DEP_2) | instskip(SKIP_1) | instid1(VALU_DEP_2)
	v_cmp_eq_u32_e32 vcc_lo, 0, v10
	s_wait_alu 0xfffd
	v_cndmask_b32_e32 v10, v12, v11, vcc_lo
; %bb.52:                               ;   in Loop: Header=BB617_48 Depth=2
	s_wait_alu 0xfffe
	s_or_b32 exec_lo, exec_lo, s18
	flat_load_u16 v11, v[5:6] offset:-2
	s_wait_loadcnt_dscnt 0x0
	v_dual_mov_b32 v12, s16 :: v_dual_lshlrev_b32 v11, 16, v11
	ds_load_b32 v12, v12 offset:4
	s_wait_dscnt 0x0
	v_mul_f32_e32 v12, v12, v11
	s_delay_alu instid0(VALU_DEP_1) | instskip(NEXT) | instid1(VALU_DEP_1)
	v_and_b32_e32 v11, 0x7f800000, v12
	v_cmp_ne_u32_e32 vcc_lo, 0x7f800000, v11
                                        ; implicit-def: $vgpr11
	s_and_saveexec_b32 s18, vcc_lo
	s_wait_alu 0xfffe
	s_xor_b32 s18, exec_lo, s18
; %bb.53:                               ;   in Loop: Header=BB617_48 Depth=2
	v_bfe_u32 v11, v12, 16, 1
	s_delay_alu instid0(VALU_DEP_1)
	v_add3_u32 v11, v12, v11, 0x7fff
                                        ; implicit-def: $vgpr12
; %bb.54:                               ;   in Loop: Header=BB617_48 Depth=2
	s_wait_alu 0xfffe
	s_and_not1_saveexec_b32 s18, s18
; %bb.55:                               ;   in Loop: Header=BB617_48 Depth=2
	v_and_b32_e32 v11, 0xffff, v12
	v_or_b32_e32 v13, 0x10000, v12
	s_delay_alu instid0(VALU_DEP_2) | instskip(SKIP_1) | instid1(VALU_DEP_2)
	v_cmp_eq_u32_e32 vcc_lo, 0, v11
	s_wait_alu 0xfffd
	v_cndmask_b32_e32 v11, v13, v12, vcc_lo
; %bb.56:                               ;   in Loop: Header=BB617_48 Depth=2
	s_wait_alu 0xfffe
	s_or_b32 exec_lo, exec_lo, s18
	flat_load_u16 v12, v[5:6]
	s_wait_loadcnt_dscnt 0x0
	v_dual_mov_b32 v13, s16 :: v_dual_lshlrev_b32 v12, 16, v12
	ds_load_b32 v13, v13 offset:8
	s_wait_dscnt 0x0
	v_mul_f32_e32 v13, v13, v12
	s_delay_alu instid0(VALU_DEP_1) | instskip(NEXT) | instid1(VALU_DEP_1)
	v_and_b32_e32 v12, 0x7f800000, v13
	v_cmp_ne_u32_e32 vcc_lo, 0x7f800000, v12
                                        ; implicit-def: $vgpr12
	s_and_saveexec_b32 s18, vcc_lo
	s_wait_alu 0xfffe
	s_xor_b32 s18, exec_lo, s18
; %bb.57:                               ;   in Loop: Header=BB617_48 Depth=2
	v_bfe_u32 v12, v13, 16, 1
	s_delay_alu instid0(VALU_DEP_1)
	v_add3_u32 v12, v13, v12, 0x7fff
                                        ; implicit-def: $vgpr13
; %bb.58:                               ;   in Loop: Header=BB617_48 Depth=2
	s_wait_alu 0xfffe
	s_and_not1_saveexec_b32 s18, s18
; %bb.59:                               ;   in Loop: Header=BB617_48 Depth=2
	v_and_b32_e32 v12, 0xffff, v13
	v_or_b32_e32 v14, 0x10000, v13
	s_delay_alu instid0(VALU_DEP_2) | instskip(SKIP_1) | instid1(VALU_DEP_2)
	v_cmp_eq_u32_e32 vcc_lo, 0, v12
	s_wait_alu 0xfffd
	v_cndmask_b32_e32 v12, v14, v13, vcc_lo
; %bb.60:                               ;   in Loop: Header=BB617_48 Depth=2
	s_wait_alu 0xfffe
	s_or_b32 exec_lo, exec_lo, s18
	flat_load_u16 v13, v[5:6] offset:2
	s_wait_loadcnt_dscnt 0x0
	v_dual_mov_b32 v14, s16 :: v_dual_lshlrev_b32 v13, 16, v13
	ds_load_b32 v14, v14 offset:12
	s_wait_dscnt 0x0
	v_mul_f32_e32 v14, v14, v13
	s_delay_alu instid0(VALU_DEP_1) | instskip(NEXT) | instid1(VALU_DEP_1)
	v_and_b32_e32 v13, 0x7f800000, v14
	v_cmp_ne_u32_e32 vcc_lo, 0x7f800000, v13
                                        ; implicit-def: $vgpr13
	s_and_saveexec_b32 s18, vcc_lo
	s_wait_alu 0xfffe
	s_xor_b32 s18, exec_lo, s18
; %bb.61:                               ;   in Loop: Header=BB617_48 Depth=2
	v_bfe_u32 v13, v14, 16, 1
	s_delay_alu instid0(VALU_DEP_1)
	v_add3_u32 v13, v14, v13, 0x7fff
                                        ; implicit-def: $vgpr14
; %bb.62:                               ;   in Loop: Header=BB617_48 Depth=2
	s_wait_alu 0xfffe
	s_and_not1_saveexec_b32 s18, s18
	s_cbranch_execz .LBB617_47
; %bb.63:                               ;   in Loop: Header=BB617_48 Depth=2
	v_and_b32_e32 v13, 0xffff, v14
	v_or_b32_e32 v15, 0x10000, v14
	s_delay_alu instid0(VALU_DEP_2) | instskip(SKIP_1) | instid1(VALU_DEP_2)
	v_cmp_eq_u32_e32 vcc_lo, 0, v13
	s_wait_alu 0xfffd
	v_cndmask_b32_e32 v13, v15, v14, vcc_lo
	s_branch .LBB617_47
.LBB617_64:                             ;   in Loop: Header=BB617_37 Depth=1
	s_mov_b32 s16, s8
.LBB617_65:                             ;   in Loop: Header=BB617_37 Depth=1
	s_and_not1_b32 vcc_lo, exec_lo, s12
	s_wait_alu 0xfffe
	s_cbranch_vccnz .LBB617_72
; %bb.66:                               ;   in Loop: Header=BB617_37 Depth=1
	s_lshl_b32 s17, s16, 1
	s_lshl_b32 s16, s16, 2
	s_wait_alu 0xfffe
	v_add_co_u32 v5, vcc_lo, v7, s17
	s_wait_alu 0xfffd
	v_add_co_ci_u32_e64 v6, null, 0, v8, vcc_lo
	s_mov_b32 s17, s10
	s_branch .LBB617_68
.LBB617_67:                             ;   in Loop: Header=BB617_68 Depth=2
	s_wait_alu 0xfffe
	s_or_b32 exec_lo, exec_lo, s18
	s_delay_alu instid0(VALU_DEP_1) | instskip(SKIP_3) | instid1(VALU_DEP_3)
	v_and_b32_e32 v10, 0xffff0000, v11
	v_add_co_u32 v5, vcc_lo, v5, 2
	s_wait_alu 0xfffd
	v_add_co_ci_u32_e64 v6, null, 0, v6, vcc_lo
	v_add_f32_e32 v9, v9, v10
	s_add_co_i32 s17, s17, -1
	s_add_co_i32 s16, s16, 4
	s_wait_alu 0xfffe
	s_cmp_lg_u32 s17, 0
	s_cbranch_scc0 .LBB617_72
.LBB617_68:                             ;   Parent Loop BB617_37 Depth=1
                                        ; =>  This Inner Loop Header: Depth=2
	flat_load_u16 v10, v[5:6]
	s_wait_loadcnt_dscnt 0x0
	v_dual_mov_b32 v11, s16 :: v_dual_lshlrev_b32 v10, 16, v10
	ds_load_b32 v11, v11
	s_wait_dscnt 0x0
	v_mul_f32_e32 v10, v11, v10
	s_delay_alu instid0(VALU_DEP_1) | instskip(NEXT) | instid1(VALU_DEP_1)
	v_and_b32_e32 v11, 0x7f800000, v10
	v_cmp_ne_u32_e32 vcc_lo, 0x7f800000, v11
                                        ; implicit-def: $vgpr11
	s_and_saveexec_b32 s18, vcc_lo
	s_wait_alu 0xfffe
	s_xor_b32 s18, exec_lo, s18
; %bb.69:                               ;   in Loop: Header=BB617_68 Depth=2
	v_bfe_u32 v11, v10, 16, 1
	s_delay_alu instid0(VALU_DEP_1)
	v_add3_u32 v11, v10, v11, 0x7fff
                                        ; implicit-def: $vgpr10
; %bb.70:                               ;   in Loop: Header=BB617_68 Depth=2
	s_wait_alu 0xfffe
	s_and_not1_saveexec_b32 s18, s18
	s_cbranch_execz .LBB617_67
; %bb.71:                               ;   in Loop: Header=BB617_68 Depth=2
	v_and_b32_e32 v11, 0xffff, v10
	v_or_b32_e32 v12, 0x10000, v10
	s_delay_alu instid0(VALU_DEP_2) | instskip(SKIP_1) | instid1(VALU_DEP_2)
	v_cmp_eq_u32_e32 vcc_lo, 0, v11
	s_wait_alu 0xfffd
	v_cndmask_b32_e32 v11, v12, v10, vcc_lo
	s_branch .LBB617_67
.LBB617_72:                             ;   in Loop: Header=BB617_37 Depth=1
	s_delay_alu instid0(VALU_DEP_1) | instskip(NEXT) | instid1(VALU_DEP_1)
	v_and_b32_e32 v5, 0x7f800000, v9
	v_cmp_ne_u32_e32 vcc_lo, 0x7f800000, v5
                                        ; implicit-def: $vgpr5
	s_and_saveexec_b32 s16, vcc_lo
	s_wait_alu 0xfffe
	s_xor_b32 s16, exec_lo, s16
; %bb.73:                               ;   in Loop: Header=BB617_37 Depth=1
	v_bfe_u32 v5, v9, 16, 1
	s_delay_alu instid0(VALU_DEP_1)
	v_add3_u32 v5, v9, v5, 0x7fff
                                        ; implicit-def: $vgpr9
; %bb.74:                               ;   in Loop: Header=BB617_37 Depth=1
	s_wait_alu 0xfffe
	s_and_not1_saveexec_b32 s16, s16
	s_cbranch_execz .LBB617_35
; %bb.75:                               ;   in Loop: Header=BB617_37 Depth=1
	v_and_b32_e32 v5, 0xffff, v9
	v_or_b32_e32 v6, 0x10000, v9
	s_delay_alu instid0(VALU_DEP_2) | instskip(SKIP_1) | instid1(VALU_DEP_2)
	v_cmp_eq_u32_e32 vcc_lo, 0, v5
	s_wait_alu 0xfffd
	v_cndmask_b32_e32 v5, v6, v9, vcc_lo
	s_branch .LBB617_35
.LBB617_76:
	s_endpgm
	.section	.rodata,"a",@progbits
	.p2align	6, 0x0
	.amdhsa_kernel _ZL22rocblas_gemvtsm_kernelILb1ELi256EPK16rocblas_bfloat16fKPS0_EviiT2_lPKT1_lilS8_lilS5_lPT3_lil
		.amdhsa_group_segment_fixed_size 256
		.amdhsa_private_segment_fixed_size 0
		.amdhsa_kernarg_size 136
		.amdhsa_user_sgpr_count 2
		.amdhsa_user_sgpr_dispatch_ptr 0
		.amdhsa_user_sgpr_queue_ptr 0
		.amdhsa_user_sgpr_kernarg_segment_ptr 1
		.amdhsa_user_sgpr_dispatch_id 0
		.amdhsa_user_sgpr_private_segment_size 0
		.amdhsa_wavefront_size32 1
		.amdhsa_uses_dynamic_stack 0
		.amdhsa_enable_private_segment 0
		.amdhsa_system_sgpr_workgroup_id_x 1
		.amdhsa_system_sgpr_workgroup_id_y 0
		.amdhsa_system_sgpr_workgroup_id_z 0
		.amdhsa_system_sgpr_workgroup_info 0
		.amdhsa_system_vgpr_workitem_id 0
		.amdhsa_next_free_vgpr 16
		.amdhsa_next_free_sgpr 24
		.amdhsa_reserve_vcc 1
		.amdhsa_float_round_mode_32 0
		.amdhsa_float_round_mode_16_64 0
		.amdhsa_float_denorm_mode_32 3
		.amdhsa_float_denorm_mode_16_64 3
		.amdhsa_fp16_overflow 0
		.amdhsa_workgroup_processor_mode 1
		.amdhsa_memory_ordered 1
		.amdhsa_forward_progress 1
		.amdhsa_inst_pref_size 21
		.amdhsa_round_robin_scheduling 0
		.amdhsa_exception_fp_ieee_invalid_op 0
		.amdhsa_exception_fp_denorm_src 0
		.amdhsa_exception_fp_ieee_div_zero 0
		.amdhsa_exception_fp_ieee_overflow 0
		.amdhsa_exception_fp_ieee_underflow 0
		.amdhsa_exception_fp_ieee_inexact 0
		.amdhsa_exception_int_div_zero 0
	.end_amdhsa_kernel
	.section	.text._ZL22rocblas_gemvtsm_kernelILb1ELi256EPK16rocblas_bfloat16fKPS0_EviiT2_lPKT1_lilS8_lilS5_lPT3_lil,"axG",@progbits,_ZL22rocblas_gemvtsm_kernelILb1ELi256EPK16rocblas_bfloat16fKPS0_EviiT2_lPKT1_lilS8_lilS5_lPT3_lil,comdat
.Lfunc_end617:
	.size	_ZL22rocblas_gemvtsm_kernelILb1ELi256EPK16rocblas_bfloat16fKPS0_EviiT2_lPKT1_lilS8_lilS5_lPT3_lil, .Lfunc_end617-_ZL22rocblas_gemvtsm_kernelILb1ELi256EPK16rocblas_bfloat16fKPS0_EviiT2_lPKT1_lilS8_lilS5_lPT3_lil
                                        ; -- End function
	.set _ZL22rocblas_gemvtsm_kernelILb1ELi256EPK16rocblas_bfloat16fKPS0_EviiT2_lPKT1_lilS8_lilS5_lPT3_lil.num_vgpr, 16
	.set _ZL22rocblas_gemvtsm_kernelILb1ELi256EPK16rocblas_bfloat16fKPS0_EviiT2_lPKT1_lilS8_lilS5_lPT3_lil.num_agpr, 0
	.set _ZL22rocblas_gemvtsm_kernelILb1ELi256EPK16rocblas_bfloat16fKPS0_EviiT2_lPKT1_lilS8_lilS5_lPT3_lil.numbered_sgpr, 24
	.set _ZL22rocblas_gemvtsm_kernelILb1ELi256EPK16rocblas_bfloat16fKPS0_EviiT2_lPKT1_lilS8_lilS5_lPT3_lil.num_named_barrier, 0
	.set _ZL22rocblas_gemvtsm_kernelILb1ELi256EPK16rocblas_bfloat16fKPS0_EviiT2_lPKT1_lilS8_lilS5_lPT3_lil.private_seg_size, 0
	.set _ZL22rocblas_gemvtsm_kernelILb1ELi256EPK16rocblas_bfloat16fKPS0_EviiT2_lPKT1_lilS8_lilS5_lPT3_lil.uses_vcc, 1
	.set _ZL22rocblas_gemvtsm_kernelILb1ELi256EPK16rocblas_bfloat16fKPS0_EviiT2_lPKT1_lilS8_lilS5_lPT3_lil.uses_flat_scratch, 0
	.set _ZL22rocblas_gemvtsm_kernelILb1ELi256EPK16rocblas_bfloat16fKPS0_EviiT2_lPKT1_lilS8_lilS5_lPT3_lil.has_dyn_sized_stack, 0
	.set _ZL22rocblas_gemvtsm_kernelILb1ELi256EPK16rocblas_bfloat16fKPS0_EviiT2_lPKT1_lilS8_lilS5_lPT3_lil.has_recursion, 0
	.set _ZL22rocblas_gemvtsm_kernelILb1ELi256EPK16rocblas_bfloat16fKPS0_EviiT2_lPKT1_lilS8_lilS5_lPT3_lil.has_indirect_call, 0
	.section	.AMDGPU.csdata,"",@progbits
; Kernel info:
; codeLenInByte = 2680
; TotalNumSgprs: 26
; NumVgprs: 16
; ScratchSize: 0
; MemoryBound: 0
; FloatMode: 240
; IeeeMode: 1
; LDSByteSize: 256 bytes/workgroup (compile time only)
; SGPRBlocks: 0
; VGPRBlocks: 1
; NumSGPRsForWavesPerEU: 26
; NumVGPRsForWavesPerEU: 16
; Occupancy: 16
; WaveLimiterHint : 1
; COMPUTE_PGM_RSRC2:SCRATCH_EN: 0
; COMPUTE_PGM_RSRC2:USER_SGPR: 2
; COMPUTE_PGM_RSRC2:TRAP_HANDLER: 0
; COMPUTE_PGM_RSRC2:TGID_X_EN: 1
; COMPUTE_PGM_RSRC2:TGID_Y_EN: 0
; COMPUTE_PGM_RSRC2:TGID_Z_EN: 0
; COMPUTE_PGM_RSRC2:TIDIG_COMP_CNT: 0
	.section	.text._ZL23rocblas_gemvt_sn_kernelILb1ELi256ELi4EiPK16rocblas_bfloat16PKffEviiT4_lPKT3_lilS8_lilPT5_i,"axG",@progbits,_ZL23rocblas_gemvt_sn_kernelILb1ELi256ELi4EiPK16rocblas_bfloat16PKffEviiT4_lPKT3_lilS8_lilPT5_i,comdat
	.globl	_ZL23rocblas_gemvt_sn_kernelILb1ELi256ELi4EiPK16rocblas_bfloat16PKffEviiT4_lPKT3_lilS8_lilPT5_i ; -- Begin function _ZL23rocblas_gemvt_sn_kernelILb1ELi256ELi4EiPK16rocblas_bfloat16PKffEviiT4_lPKT3_lilS8_lilPT5_i
	.p2align	8
	.type	_ZL23rocblas_gemvt_sn_kernelILb1ELi256ELi4EiPK16rocblas_bfloat16PKffEviiT4_lPKT3_lilS8_lilPT5_i,@function
_ZL23rocblas_gemvt_sn_kernelILb1ELi256ELi4EiPK16rocblas_bfloat16PKffEviiT4_lPKT3_lilS8_lilPT5_i: ; @_ZL23rocblas_gemvt_sn_kernelILb1ELi256ELi4EiPK16rocblas_bfloat16PKffEviiT4_lPKT3_lilS8_lilPT5_i
; %bb.0:
	s_load_b32 s33, s[0:1], 0x60
	s_lshr_b32 s10, ttmp7, 16
	s_wait_kmcnt 0x0
	s_cmp_ge_u32 s10, s33
	s_cbranch_scc1 .LBB618_87
; %bb.1:
	s_clause 0x6
	s_load_b64 s[26:27], s[0:1], 0x0
	s_load_b256 s[12:19], s[0:1], 0x8
	s_load_b32 s28, s[0:1], 0x68
	s_load_b32 s30, s[0:1], 0x28
	s_load_b128 s[20:23], s[0:1], 0x38
	s_load_b32 s64, s[0:1], 0x48
	s_load_b64 s[34:35], s[0:1], 0x58
	v_cmp_eq_u32_e64 s0, 0, v0
	v_and_b32_e32 v1, 31, v0
	v_cmp_gt_u32_e64 s1, 32, v0
	v_cmp_gt_u32_e64 s2, 8, v0
	v_lshrrev_b32_e32 v2, 3, v0
	s_mov_b32 s37, 0
	v_cmp_eq_u32_e64 s3, 0, v1
	s_mov_b32 s29, s37
	v_lshlrev_b32_e32 v29, 2, v1
	v_and_b32_e32 v30, 28, v2
	v_mbcnt_lo_u32_b32 v31, -1, 0
	s_mov_b32 s24, ttmp9
	s_mov_b32 s25, s37
	s_wait_kmcnt 0x0
	s_ashr_i32 s5, s27, 31
	s_cmp_gt_i32 s27, 0
	s_mov_b32 s4, s27
	s_cselect_b32 s6, -1, 0
	s_lshl_b32 s7, ttmp9, 10
	s_mul_u64 s[38:39], s[4:5], s[28:29]
	v_lshl_or_b32 v0, v0, 2, s7
	s_lshr_b32 s4, s5, 30
	s_ashr_i32 s5, s26, 31
	s_add_co_i32 s4, s27, s4
	s_lshr_b32 s5, s5, 30
	v_mul_lo_u32 v5, s64, v0
	s_add_co_i32 s5, s26, s5
	v_add_nc_u32_e32 v3, 4, v0
	s_and_b32 s66, s4, -4
	s_and_b32 s4, s5, -4
	s_and_b32 s65, s0, s6
	s_sub_co_i32 s67, s26, s4
	v_ashrrev_i32_e32 v1, 31, v0
	v_add_nc_u32_e32 v2, s64, v5
	v_cmp_ge_i32_e64 s4, s26, v3
	v_ashrrev_i32_e32 v6, 31, v5
	s_cmp_gt_i32 s66, 0
	v_add_nc_u32_e32 v4, s67, v0
	v_add_nc_u32_e32 v13, s64, v2
	v_ashrrev_i32_e32 v3, 31, v2
	s_cselect_b32 s68, -1, 0
	s_cmp_gt_i32 s67, 0
	v_lshlrev_b64_e32 v[7:8], 1, v[0:1]
	v_add_nc_u32_e32 v15, s64, v13
	v_ashrrev_i32_e32 v14, 31, v13
	s_cselect_b32 s69, -1, 0
	s_lshl_b32 s36, s30, 1
	v_lshlrev_b64_e32 v[9:10], 1, v[5:6]
	v_ashrrev_i32_e32 v16, 31, v15
	v_lshlrev_b64_e32 v[11:12], 1, v[2:3]
	v_lshlrev_b64_e32 v[13:14], 1, v[13:14]
	v_cmp_ge_i32_e64 s5, s26, v4
	v_mov_b32_e32 v0, 0
	v_lshlrev_b64_e32 v[15:16], 1, v[15:16]
	v_lshl_or_b32 v6, v31, 2, 64
	s_lshl_b64 s[40:41], s[24:25], 2
	s_mov_b64 s[50:51], s[36:37]
	s_mul_i32 s36, s30, 3
	s_add_nc_u64 s[42:43], s[34:35], s[40:41]
	s_lshl_b64 s[44:45], s[38:39], 2
	s_lshl_b64 s[46:47], s[28:29], 2
	s_mov_b32 s31, s37
	s_lshl_b32 s48, s30, 2
	s_mov_b32 s49, s37
	s_mov_b64 s[52:53], s[36:37]
	s_lshl_b64 s[18:19], s[18:19], 1
	s_lshl_b64 s[22:23], s[22:23], 1
	s_branch .LBB618_3
.LBB618_2:                              ;   in Loop: Header=BB618_3 Depth=1
	s_add_co_i32 s10, s10, 0x10000
	s_delay_alu instid0(SALU_CYCLE_1)
	s_cmp_lt_u32 s10, s33
	s_cbranch_scc0 .LBB618_87
.LBB618_3:                              ; =>This Loop Header: Depth=1
                                        ;     Child Loop BB618_10 Depth 2
                                        ;     Child Loop BB618_16 Depth 2
                                        ;       Child Loop BB618_47 Depth 3
                                        ;       Child Loop BB618_50 Depth 3
                                        ;     Child Loop BB618_66 Depth 2
                                        ;       Child Loop BB618_79 Depth 3
                                        ;       Child Loop BB618_82 Depth 3
	s_mov_b32 s11, s37
	v_mov_b32_e32 v17, 0
	s_mul_u64 s[6:7], s[14:15], s[10:11]
	v_dual_mov_b32 v18, 0 :: v_dual_mov_b32 v1, 0
	s_wait_alu 0xfffe
	s_lshl_b64 s[6:7], s[6:7], 2
	v_mov_b32_e32 v2, 0
	s_wait_alu 0xfffe
	s_add_nc_u64 s[6:7], s[12:13], s[6:7]
	global_load_b32 v32, v0, s[6:7]
	s_wait_loadcnt 0x0
	v_cmp_eq_f32_e64 s6, 0, v32
	v_cmp_neq_f32_e64 s7, 0, v32
	s_wait_alu 0xfffe
	s_and_b32 vcc_lo, exec_lo, s6
	s_wait_alu 0xfffe
	s_cbranch_vccnz .LBB618_5
; %bb.4:                                ;   in Loop: Header=BB618_3 Depth=1
	s_lshl_b64 s[8:9], s[10:11], 3
	s_wait_alu 0xfffe
	s_add_nc_u64 s[8:9], s[16:17], s[8:9]
	global_load_b64 v[1:2], v0, s[8:9]
	s_wait_loadcnt 0x0
	v_add_co_u32 v1, vcc_lo, v1, s18
	s_wait_alu 0xfffd
	v_add_co_ci_u32_e64 v2, null, s19, v2, vcc_lo
.LBB618_5:                              ;   in Loop: Header=BB618_3 Depth=1
	s_and_not1_b32 vcc_lo, exec_lo, s7
	s_wait_alu 0xfffe
	s_cbranch_vccnz .LBB618_7
; %bb.6:                                ;   in Loop: Header=BB618_3 Depth=1
	s_lshl_b64 s[8:9], s[10:11], 3
	s_wait_alu 0xfffe
	s_add_nc_u64 s[8:9], s[20:21], s[8:9]
	global_load_b64 v[3:4], v0, s[8:9]
	s_wait_loadcnt 0x0
	v_add_co_u32 v17, vcc_lo, v3, s22
	s_wait_alu 0xfffd
	v_add_co_ci_u32_e64 v18, null, s23, v4, vcc_lo
.LBB618_7:                              ;   in Loop: Header=BB618_3 Depth=1
	s_and_not1_b32 vcc_lo, exec_lo, s6
	s_mov_b32 s6, -1
	s_wait_alu 0xfffe
	s_cbranch_vccnz .LBB618_12
; %bb.8:                                ;   in Loop: Header=BB618_3 Depth=1
	s_and_saveexec_b32 s8, s65
	s_cbranch_execz .LBB618_11
; %bb.9:                                ;   in Loop: Header=BB618_3 Depth=1
	s_mul_u64 s[6:7], s[44:45], s[10:11]
	s_mov_b32 s9, s27
	s_wait_alu 0xfffe
	s_add_nc_u64 s[6:7], s[42:43], s[6:7]
.LBB618_10:                             ;   Parent Loop BB618_3 Depth=1
                                        ; =>  This Inner Loop Header: Depth=2
	s_add_co_i32 s9, s9, -1
	global_store_b32 v0, v0, s[6:7]
	s_wait_alu 0xfffe
	s_cmp_eq_u32 s9, 0
	s_add_nc_u64 s[6:7], s[6:7], s[46:47]
	s_cbranch_scc0 .LBB618_10
.LBB618_11:                             ;   in Loop: Header=BB618_3 Depth=1
	s_wait_alu 0xfffe
	s_or_b32 exec_lo, exec_lo, s8
	s_mov_b32 s6, 0
.LBB618_12:                             ;   in Loop: Header=BB618_3 Depth=1
	s_wait_alu 0xfffe
	s_and_not1_b32 vcc_lo, exec_lo, s6
	s_wait_alu 0xfffe
	s_cbranch_vccnz .LBB618_2
; %bb.13:                               ;   in Loop: Header=BB618_3 Depth=1
	v_add_co_u32 v33, vcc_lo, v1, v7
	s_mul_u64 s[54:55], s[38:39], s[10:11]
	s_wait_alu 0xfffd
	v_add_co_ci_u32_e64 v34, null, v2, v8, vcc_lo
	v_cmp_gt_u32_e64 s9, 24, v31
	v_cmp_gt_u32_e64 s8, 28, v31
	v_cmp_gt_u32_e64 s7, 30, v31
	v_cmp_ne_u32_e64 s6, 31, v31
	s_lshl_b64 s[54:55], s[54:55], 2
	s_and_not1_b32 vcc_lo, exec_lo, s68
	s_add_nc_u64 s[54:55], s[34:35], s[54:55]
	s_wait_alu 0xfffe
	s_cbranch_vccnz .LBB618_62
; %bb.14:                               ;   in Loop: Header=BB618_3 Depth=1
	s_wait_alu 0xf1ff
	v_cndmask_b32_e64 v2, 0, 4, s8
	v_cndmask_b32_e64 v3, 0, 2, s7
	v_add_co_u32 v19, vcc_lo, v17, v9
	v_cndmask_b32_e64 v1, 0, 8, s9
	v_add_co_ci_u32_e64 v4, null, 0, v31, s6
	v_add_lshl_u32 v36, v2, v31, 2
	v_add_lshl_u32 v37, v3, v31, 2
	s_wait_alu 0xfffd
	v_add_co_ci_u32_e64 v20, null, v18, v10, vcc_lo
	v_add_co_u32 v21, vcc_lo, v17, v11
	v_dual_mov_b32 v2, v0 :: v_dual_mov_b32 v3, v0
	s_wait_alu 0xfffd
	v_add_co_ci_u32_e64 v22, null, v18, v12, vcc_lo
	v_add_co_u32 v23, vcc_lo, v17, v13
	v_add_lshl_u32 v35, v1, v31, 2
	v_dual_mov_b32 v1, v0 :: v_dual_lshlrev_b32 v38, 2, v4
	s_wait_alu 0xfffd
	v_add_co_ci_u32_e64 v24, null, v18, v14, vcc_lo
	v_add_co_u32 v25, vcc_lo, v17, v15
	v_mov_b32_e32 v4, v3
	s_wait_alu 0xfffd
	v_add_co_ci_u32_e64 v26, null, v18, v16, vcc_lo
	v_mov_b32_e32 v3, v2
	v_mov_b32_e32 v2, v1
	;; [unrolled: 1-line block ×3, first 2 shown]
	s_mov_b32 s8, 0
	s_mov_b64 s[56:57], s[52:53]
	s_mov_b64 s[58:59], s[50:51]
	;; [unrolled: 1-line block ×3, first 2 shown]
	s_mov_b32 s11, 0
	s_branch .LBB618_16
.LBB618_15:                             ;   in Loop: Header=BB618_16 Depth=2
	s_wait_alu 0xfffe
	s_or_b32 exec_lo, exec_lo, s6
	s_add_co_i32 s11, s11, 4
	s_add_co_i32 s8, s8, s48
	s_add_nc_u64 s[60:61], s[60:61], s[48:49]
	s_add_nc_u64 s[58:59], s[58:59], s[48:49]
	s_cmp_ge_i32 s11, s66
	s_add_nc_u64 s[56:57], s[56:57], s[48:49]
	s_cbranch_scc1 .LBB618_63
.LBB618_16:                             ;   Parent Loop BB618_3 Depth=1
                                        ; =>  This Loop Header: Depth=2
                                        ;       Child Loop BB618_47 Depth 3
                                        ;       Child Loop BB618_50 Depth 3
                                        ; implicit-def: $vgpr39
                                        ; implicit-def: $vgpr40
                                        ; implicit-def: $vgpr41
                                        ; implicit-def: $vgpr42
	s_and_saveexec_b32 s6, s4
	s_wait_alu 0xfffe
	s_xor_b32 s6, exec_lo, s6
	s_cbranch_execnz .LBB618_43
; %bb.17:                               ;   in Loop: Header=BB618_16 Depth=2
	s_wait_alu 0xfffe
	s_and_not1_saveexec_b32 s25, s6
	s_cbranch_execnz .LBB618_44
.LBB618_18:                             ;   in Loop: Header=BB618_16 Depth=2
	s_or_b32 exec_lo, exec_lo, s25
	s_and_saveexec_b32 s6, s1
.LBB618_19:                             ;   in Loop: Header=BB618_16 Depth=2
	ds_store_b32 v29, v0
.LBB618_20:                             ;   in Loop: Header=BB618_16 Depth=2
	s_wait_alu 0xfffe
	s_or_b32 exec_lo, exec_lo, s6
	s_wait_dscnt 0x0
	ds_bpermute_b32 v27, v6, v42
	s_wait_storecnt_dscnt 0x0
	s_barrier_signal -1
	s_barrier_wait -1
	global_inv scope:SCOPE_SE
	v_add_f32_e32 v27, v42, v27
	ds_bpermute_b32 v28, v35, v27
	s_wait_dscnt 0x0
	v_add_f32_e32 v27, v27, v28
	ds_bpermute_b32 v28, v36, v27
	s_wait_dscnt 0x0
	;; [unrolled: 3-line block ×3, first 2 shown]
	v_add_f32_e32 v27, v27, v28
	ds_bpermute_b32 v28, v38, v27
	s_and_saveexec_b32 s6, s3
	s_cbranch_execz .LBB618_22
; %bb.21:                               ;   in Loop: Header=BB618_16 Depth=2
	s_wait_dscnt 0x0
	v_add_f32_e32 v27, v27, v28
	ds_store_b32 v30, v27
.LBB618_22:                             ;   in Loop: Header=BB618_16 Depth=2
	s_wait_alu 0xfffe
	s_or_b32 exec_lo, exec_lo, s6
	v_mov_b32_e32 v27, 0
	s_wait_loadcnt_dscnt 0x0
	s_barrier_signal -1
	s_barrier_wait -1
	global_inv scope:SCOPE_SE
	s_and_saveexec_b32 s6, s2
	s_cbranch_execnz .LBB618_51
; %bb.23:                               ;   in Loop: Header=BB618_16 Depth=2
	s_wait_alu 0xfffe
	s_or_b32 exec_lo, exec_lo, s6
	s_and_saveexec_b32 s6, s1
	s_cbranch_execnz .LBB618_52
.LBB618_24:                             ;   in Loop: Header=BB618_16 Depth=2
	s_wait_alu 0xfffe
	s_or_b32 exec_lo, exec_lo, s6
	s_and_saveexec_b32 s6, s1
.LBB618_25:                             ;   in Loop: Header=BB618_16 Depth=2
	ds_store_b32 v29, v0
.LBB618_26:                             ;   in Loop: Header=BB618_16 Depth=2
	s_wait_alu 0xfffe
	s_or_b32 exec_lo, exec_lo, s6
	ds_bpermute_b32 v28, v6, v41
	s_wait_loadcnt_dscnt 0x0
	s_barrier_signal -1
	s_barrier_wait -1
	global_inv scope:SCOPE_SE
	v_add_f32_e32 v28, v41, v28
	ds_bpermute_b32 v41, v35, v28
	s_wait_dscnt 0x0
	v_add_f32_e32 v28, v28, v41
	ds_bpermute_b32 v41, v36, v28
	s_wait_dscnt 0x0
	;; [unrolled: 3-line block ×3, first 2 shown]
	v_add_f32_e32 v28, v28, v41
	ds_bpermute_b32 v41, v38, v28
	s_and_saveexec_b32 s6, s3
	s_cbranch_execz .LBB618_28
; %bb.27:                               ;   in Loop: Header=BB618_16 Depth=2
	s_wait_dscnt 0x0
	v_add_f32_e32 v28, v28, v41
	ds_store_b32 v30, v28
.LBB618_28:                             ;   in Loop: Header=BB618_16 Depth=2
	s_wait_alu 0xfffe
	s_or_b32 exec_lo, exec_lo, s6
	v_mov_b32_e32 v28, 0
	s_wait_loadcnt_dscnt 0x0
	s_barrier_signal -1
	s_barrier_wait -1
	global_inv scope:SCOPE_SE
	s_and_saveexec_b32 s6, s2
	s_cbranch_execnz .LBB618_53
; %bb.29:                               ;   in Loop: Header=BB618_16 Depth=2
	s_wait_alu 0xfffe
	s_or_b32 exec_lo, exec_lo, s6
	s_and_saveexec_b32 s6, s1
	s_cbranch_execnz .LBB618_54
.LBB618_30:                             ;   in Loop: Header=BB618_16 Depth=2
	s_wait_alu 0xfffe
	s_or_b32 exec_lo, exec_lo, s6
	s_and_saveexec_b32 s6, s1
.LBB618_31:                             ;   in Loop: Header=BB618_16 Depth=2
	ds_store_b32 v29, v0
.LBB618_32:                             ;   in Loop: Header=BB618_16 Depth=2
	s_wait_alu 0xfffe
	s_or_b32 exec_lo, exec_lo, s6
	ds_bpermute_b32 v41, v6, v40
	s_wait_loadcnt_dscnt 0x0
	s_barrier_signal -1
	s_barrier_wait -1
	global_inv scope:SCOPE_SE
	v_add_f32_e32 v40, v40, v41
	ds_bpermute_b32 v41, v35, v40
	s_wait_dscnt 0x0
	v_add_f32_e32 v40, v40, v41
	ds_bpermute_b32 v41, v36, v40
	s_wait_dscnt 0x0
	;; [unrolled: 3-line block ×3, first 2 shown]
	v_add_f32_e32 v40, v40, v41
	ds_bpermute_b32 v41, v38, v40
	s_and_saveexec_b32 s6, s3
	s_cbranch_execz .LBB618_34
; %bb.33:                               ;   in Loop: Header=BB618_16 Depth=2
	s_wait_dscnt 0x0
	v_add_f32_e32 v40, v40, v41
	ds_store_b32 v30, v40
.LBB618_34:                             ;   in Loop: Header=BB618_16 Depth=2
	s_wait_alu 0xfffe
	s_or_b32 exec_lo, exec_lo, s6
	v_mov_b32_e32 v40, 0
	s_wait_loadcnt_dscnt 0x0
	s_barrier_signal -1
	s_barrier_wait -1
	global_inv scope:SCOPE_SE
	s_and_saveexec_b32 s6, s2
	s_cbranch_execnz .LBB618_55
; %bb.35:                               ;   in Loop: Header=BB618_16 Depth=2
	s_wait_alu 0xfffe
	s_or_b32 exec_lo, exec_lo, s6
	s_and_saveexec_b32 s6, s1
	s_cbranch_execnz .LBB618_56
.LBB618_36:                             ;   in Loop: Header=BB618_16 Depth=2
	s_wait_alu 0xfffe
	s_or_b32 exec_lo, exec_lo, s6
	s_and_saveexec_b32 s6, s1
.LBB618_37:                             ;   in Loop: Header=BB618_16 Depth=2
	ds_store_b32 v29, v0
.LBB618_38:                             ;   in Loop: Header=BB618_16 Depth=2
	s_wait_alu 0xfffe
	s_or_b32 exec_lo, exec_lo, s6
	ds_bpermute_b32 v41, v6, v39
	s_wait_loadcnt_dscnt 0x0
	s_barrier_signal -1
	s_barrier_wait -1
	global_inv scope:SCOPE_SE
	v_add_f32_e32 v39, v39, v41
	ds_bpermute_b32 v41, v35, v39
	s_wait_dscnt 0x0
	v_add_f32_e32 v39, v39, v41
	ds_bpermute_b32 v41, v36, v39
	s_wait_dscnt 0x0
	;; [unrolled: 3-line block ×3, first 2 shown]
	v_add_f32_e32 v39, v39, v41
	ds_bpermute_b32 v41, v38, v39
	s_and_saveexec_b32 s6, s3
	s_cbranch_execz .LBB618_40
; %bb.39:                               ;   in Loop: Header=BB618_16 Depth=2
	s_wait_dscnt 0x0
	v_add_f32_e32 v39, v39, v41
	ds_store_b32 v30, v39
.LBB618_40:                             ;   in Loop: Header=BB618_16 Depth=2
	s_wait_alu 0xfffe
	s_or_b32 exec_lo, exec_lo, s6
	v_mov_b32_e32 v39, 0
	s_wait_loadcnt_dscnt 0x0
	s_barrier_signal -1
	s_barrier_wait -1
	global_inv scope:SCOPE_SE
	s_and_saveexec_b32 s6, s2
	s_cbranch_execnz .LBB618_57
; %bb.41:                               ;   in Loop: Header=BB618_16 Depth=2
	s_wait_alu 0xfffe
	s_or_b32 exec_lo, exec_lo, s6
	s_and_saveexec_b32 s6, s1
	s_cbranch_execnz .LBB618_58
.LBB618_42:                             ;   in Loop: Header=BB618_16 Depth=2
	s_wait_alu 0xfffe
	s_or_b32 exec_lo, exec_lo, s6
	s_and_saveexec_b32 s6, s0
	s_cbranch_execz .LBB618_15
	s_branch .LBB618_59
.LBB618_43:                             ;   in Loop: Header=BB618_16 Depth=2
	s_mul_i32 s62, s11, s30
	s_wait_alu 0xfffe
	s_ashr_i32 s63, s62, 31
	s_add_co_i32 s70, s62, s30
	s_wait_alu 0xfffe
	s_lshl_b64 s[62:63], s[62:63], 1
	s_ashr_i32 s71, s70, 31
	s_wait_alu 0xfffe
	v_add_co_u32 v1, vcc_lo, v33, s62
	s_wait_alu 0xfffd
	v_add_co_ci_u32_e64 v2, null, s63, v34, vcc_lo
	s_lshl_b64 s[62:63], s[70:71], 1
	s_wait_alu 0xfffe
	v_add_co_u32 v3, vcc_lo, v33, s62
	s_add_co_i32 s62, s70, s30
	s_wait_alu 0xfffd
	v_add_co_ci_u32_e64 v4, null, s63, v34, vcc_lo
	s_wait_alu 0xfffe
	s_ashr_i32 s63, s62, 31
	s_add_co_i32 s70, s62, s30
	s_wait_alu 0xfffe
	s_lshl_b64 s[62:63], s[62:63], 1
	s_wait_dscnt 0x0
	s_clause 0x1
	flat_load_b64 v[27:28], v[1:2]
	flat_load_b64 v[39:40], v[3:4]
	s_ashr_i32 s71, s70, 31
	s_wait_alu 0xfffe
	v_add_co_u32 v1, vcc_lo, v33, s62
	s_wait_alu 0xfffd
	v_add_co_ci_u32_e64 v2, null, s63, v34, vcc_lo
	s_lshl_b64 s[62:63], s[70:71], 1
	s_clause 0x2
	flat_load_u16 v45, v[19:20]
	flat_load_u16 v46, v[21:22]
	;; [unrolled: 1-line block ×3, first 2 shown]
	s_wait_alu 0xfffe
	v_add_co_u32 v3, vcc_lo, v33, s62
	s_wait_alu 0xfffd
	v_add_co_ci_u32_e64 v4, null, s63, v34, vcc_lo
	s_clause 0x1
	flat_load_b64 v[41:42], v[1:2]
	flat_load_b64 v[43:44], v[3:4]
	flat_load_u16 v4, v[25:26]
	s_wait_loadcnt_dscnt 0x202
	v_and_b32_e32 v51, 0xffff0000, v41
	v_lshlrev_b32_e32 v49, 16, v40
	s_wait_loadcnt_dscnt 0x101
	v_lshlrev_b32_e32 v54, 16, v43
	v_and_b32_e32 v43, 0xffff0000, v43
	s_wait_loadcnt_dscnt 0x0
	v_lshlrev_b32_e32 v4, 16, v4
	v_lshlrev_b32_e32 v3, 16, v47
	;; [unrolled: 1-line block ×7, first 2 shown]
	v_and_b32_e32 v27, 0xffff0000, v27
	v_and_b32_e32 v53, 0xffff0000, v42
	v_lshlrev_b32_e32 v47, 16, v39
	v_fma_f32 v42, v1, v45, 0
	v_and_b32_e32 v45, 0xffff0000, v44
	v_and_b32_e32 v50, 0xffff0000, v40
	;; [unrolled: 1-line block ×3, first 2 shown]
	s_delay_alu instid0(VALU_DEP_4) | instskip(SKIP_3) | instid1(VALU_DEP_4)
	v_dual_fmac_f32 v42, v2, v27 :: v_dual_lshlrev_b32 v39, 16, v41
	v_fma_f32 v41, v1, v47, 0
	v_lshlrev_b32_e32 v27, 16, v44
	v_and_b32_e32 v28, 0xffff0000, v28
	v_fma_f32 v40, v1, v39, 0
	v_fma_f32 v39, v54, v1, 0
	v_dual_fmac_f32 v41, v2, v48 :: v_dual_fmac_f32 v42, v3, v46
	s_delay_alu instid0(VALU_DEP_1) | instskip(NEXT) | instid1(VALU_DEP_4)
	v_dual_fmac_f32 v42, v4, v28 :: v_dual_fmac_f32 v41, v3, v49
	v_fmac_f32_e32 v40, v2, v51
	s_delay_alu instid0(VALU_DEP_1) | instskip(NEXT) | instid1(VALU_DEP_1)
	v_dual_fmac_f32 v39, v2, v43 :: v_dual_fmac_f32 v40, v3, v52
	v_dual_fmac_f32 v39, v27, v3 :: v_dual_fmac_f32 v40, v4, v53
	s_delay_alu instid0(VALU_DEP_1)
	v_fmac_f32_e32 v39, v4, v45
	v_fmac_f32_e32 v41, v4, v50
	s_and_not1_saveexec_b32 s25, s6
	s_cbranch_execz .LBB618_18
.LBB618_44:                             ;   in Loop: Header=BB618_16 Depth=2
	s_wait_dscnt 0x0
	v_dual_mov_b32 v39, 0 :: v_dual_mov_b32 v40, 0
	v_dual_mov_b32 v41, 0 :: v_dual_mov_b32 v42, 0
	s_and_saveexec_b32 s26, s5
	s_cbranch_execz .LBB618_61
; %bb.45:                               ;   in Loop: Header=BB618_16 Depth=2
	s_and_not1_b32 vcc_lo, exec_lo, s69
	s_wait_alu 0xfffe
	s_cbranch_vccnz .LBB618_48
; %bb.46:                               ;   in Loop: Header=BB618_16 Depth=2
	v_mov_b32_e32 v27, v5
	s_mov_b64 s[62:63], 0
.LBB618_47:                             ;   Parent Loop BB618_3 Depth=1
                                        ;     Parent Loop BB618_16 Depth=2
                                        ; =>    This Inner Loop Header: Depth=3
	s_delay_alu instid0(VALU_DEP_1) | instskip(SKIP_2) | instid1(VALU_DEP_1)
	v_ashrrev_i32_e32 v28, 31, v27
	s_wait_alu 0xfffe
	s_cmp_eq_u32 s62, 3
	v_lshlrev_b64_e32 v[39:40], 1, v[27:28]
	s_delay_alu instid0(VALU_DEP_1) | instskip(SKIP_1) | instid1(VALU_DEP_2)
	v_add_co_u32 v39, vcc_lo, v17, v39
	s_wait_alu 0xfffd
	v_add_co_ci_u32_e64 v40, null, v18, v40, vcc_lo
	s_cselect_b32 vcc_lo, -1, 0
	s_cmp_eq_u32 s62, 2
	s_cselect_b32 s6, -1, 0
	flat_load_u16 v28, v[39:40]
	s_cmp_eq_u32 s62, 1
	s_cselect_b32 s7, -1, 0
	s_cmp_eq_u32 s62, 0
	s_add_nc_u64 s[62:63], s[62:63], 1
	s_wait_loadcnt_dscnt 0x0
	v_lshlrev_b32_e32 v28, 16, v28
	s_wait_alu 0xfffe
	s_delay_alu instid0(VALU_DEP_1)
	v_dual_cndmask_b32 v4, v4, v28 :: v_dual_add_nc_u32 v27, s64, v27
	s_cselect_b32 vcc_lo, -1, 0
	v_cndmask_b32_e64 v3, v3, v28, s6
	v_cndmask_b32_e64 v2, v2, v28, s7
	s_wait_alu 0xfffe
	v_cndmask_b32_e32 v1, v1, v28, vcc_lo
	s_cmp_eq_u32 s67, s62
	s_cbranch_scc0 .LBB618_47
.LBB618_48:                             ;   in Loop: Header=BB618_16 Depth=2
	s_and_not1_b32 vcc_lo, exec_lo, s69
	s_wait_alu 0xfffe
	s_cbranch_vccnz .LBB618_60
; %bb.49:                               ;   in Loop: Header=BB618_16 Depth=2
	s_ashr_i32 s9, s8, 31
	v_dual_mov_b32 v42, 0 :: v_dual_mov_b32 v41, 0
	s_wait_alu 0xfffe
	s_lshl_b64 s[6:7], s[8:9], 1
	v_dual_mov_b32 v40, 0 :: v_dual_mov_b32 v39, 0
	s_wait_alu 0xfffe
	v_add_co_u32 v27, vcc_lo, v33, s6
	s_wait_alu 0xfffd
	v_add_co_ci_u32_e64 v28, null, s7, v34, vcc_lo
	s_mov_b64 s[62:63], 0
.LBB618_50:                             ;   Parent Loop BB618_3 Depth=1
                                        ;     Parent Loop BB618_16 Depth=2
                                        ; =>    This Inner Loop Header: Depth=3
	s_wait_alu 0xfffe
	s_cmp_eq_u32 s62, 1
	s_cselect_b32 vcc_lo, -1, 0
	s_cmp_eq_u32 s62, 2
	s_wait_alu 0xfffe
	v_cndmask_b32_e32 v43, v1, v2, vcc_lo
	s_cselect_b32 vcc_lo, -1, 0
	s_cmp_eq_u32 s62, 3
	s_wait_alu 0xfffe
	s_delay_alu instid0(VALU_DEP_1)
	v_cndmask_b32_e32 v49, v43, v3, vcc_lo
	s_cselect_b32 vcc_lo, -1, 0
	s_add_co_i32 s6, s60, s62
	s_add_co_i32 s70, s58, s62
	s_wait_alu 0xfffe
	s_ashr_i32 s7, s6, 31
	s_add_co_i32 s72, s56, s62
	s_ashr_i32 s71, s70, 31
	s_wait_alu 0xfffe
	s_lshl_b64 s[6:7], s[6:7], 1
	s_ashr_i32 s73, s72, 31
	s_lshl_b64 s[70:71], s[70:71], 1
	s_wait_alu 0xfffe
	v_add_co_u32 v43, s6, v33, s6
	s_lshl_b64 s[72:73], s[72:73], 1
	v_add_co_ci_u32_e64 v44, null, s7, v34, s6
	v_add_co_u32 v45, s6, v33, s70
	s_wait_alu 0xf1ff
	v_add_co_ci_u32_e64 v46, null, s71, v34, s6
	s_wait_alu 0xfffe
	v_add_co_u32 v47, s6, v33, s72
	s_wait_alu 0xf1ff
	v_add_co_ci_u32_e64 v48, null, s73, v34, s6
	flat_load_u16 v50, v[27:28]
	s_clause 0x2
	flat_load_u16 v43, v[43:44]
	flat_load_u16 v44, v[45:46]
	;; [unrolled: 1-line block ×3, first 2 shown]
	v_cndmask_b32_e32 v46, v49, v4, vcc_lo
	v_add_co_u32 v27, s6, v27, 2
	s_wait_alu 0xf1ff
	v_add_co_ci_u32_e64 v28, null, 0, v28, s6
	s_add_nc_u64 s[62:63], s[62:63], 1
	s_wait_alu 0xfffe
	s_cmp_lg_u32 s67, s62
	s_wait_loadcnt_dscnt 0x303
	v_lshlrev_b32_e32 v47, 16, v50
	s_wait_loadcnt_dscnt 0x202
	v_lshlrev_b32_e32 v43, 16, v43
	;; [unrolled: 2-line block ×3, first 2 shown]
	s_wait_loadcnt_dscnt 0x0
	v_dual_fmac_f32 v42, v46, v47 :: v_dual_lshlrev_b32 v45, 16, v45
	v_fmac_f32_e32 v41, v46, v43
	s_delay_alu instid0(VALU_DEP_3) | instskip(NEXT) | instid1(VALU_DEP_3)
	v_fmac_f32_e32 v40, v46, v44
	v_fmac_f32_e32 v39, v46, v45
	s_cbranch_scc1 .LBB618_50
	s_branch .LBB618_61
.LBB618_51:                             ;   in Loop: Header=BB618_16 Depth=2
	ds_load_b32 v27, v29
	s_wait_alu 0xfffe
	s_or_b32 exec_lo, exec_lo, s6
	s_and_saveexec_b32 s6, s1
	s_cbranch_execz .LBB618_24
.LBB618_52:                             ;   in Loop: Header=BB618_16 Depth=2
	s_wait_dscnt 0x0
	ds_bpermute_b32 v28, v36, v27
	s_wait_dscnt 0x0
	v_add_f32_e32 v27, v27, v28
	ds_bpermute_b32 v28, v37, v27
	s_wait_dscnt 0x0
	v_add_f32_e32 v27, v27, v28
	;; [unrolled: 3-line block ×3, first 2 shown]
	s_wait_alu 0xfffe
	s_or_b32 exec_lo, exec_lo, s6
	s_and_saveexec_b32 s6, s1
	s_cbranch_execnz .LBB618_25
	s_branch .LBB618_26
.LBB618_53:                             ;   in Loop: Header=BB618_16 Depth=2
	ds_load_b32 v28, v29
	s_wait_alu 0xfffe
	s_or_b32 exec_lo, exec_lo, s6
	s_and_saveexec_b32 s6, s1
	s_cbranch_execz .LBB618_30
.LBB618_54:                             ;   in Loop: Header=BB618_16 Depth=2
	s_wait_dscnt 0x0
	ds_bpermute_b32 v41, v36, v28
	s_wait_dscnt 0x0
	v_add_f32_e32 v28, v28, v41
	ds_bpermute_b32 v41, v37, v28
	s_wait_dscnt 0x0
	v_add_f32_e32 v28, v28, v41
	ds_bpermute_b32 v41, v38, v28
	s_wait_dscnt 0x0
	v_add_f32_e32 v28, v28, v41
	s_wait_alu 0xfffe
	s_or_b32 exec_lo, exec_lo, s6
	s_and_saveexec_b32 s6, s1
	s_cbranch_execnz .LBB618_31
	s_branch .LBB618_32
.LBB618_55:                             ;   in Loop: Header=BB618_16 Depth=2
	ds_load_b32 v40, v29
	s_wait_alu 0xfffe
	s_or_b32 exec_lo, exec_lo, s6
	s_and_saveexec_b32 s6, s1
	s_cbranch_execz .LBB618_36
.LBB618_56:                             ;   in Loop: Header=BB618_16 Depth=2
	s_wait_dscnt 0x0
	ds_bpermute_b32 v41, v36, v40
	s_wait_dscnt 0x0
	v_add_f32_e32 v40, v40, v41
	ds_bpermute_b32 v41, v37, v40
	s_wait_dscnt 0x0
	v_add_f32_e32 v40, v40, v41
	;; [unrolled: 3-line block ×3, first 2 shown]
	s_wait_alu 0xfffe
	s_or_b32 exec_lo, exec_lo, s6
	s_and_saveexec_b32 s6, s1
	s_cbranch_execnz .LBB618_37
	s_branch .LBB618_38
.LBB618_57:                             ;   in Loop: Header=BB618_16 Depth=2
	ds_load_b32 v39, v29
	s_wait_alu 0xfffe
	s_or_b32 exec_lo, exec_lo, s6
	s_and_saveexec_b32 s6, s1
	s_cbranch_execz .LBB618_42
.LBB618_58:                             ;   in Loop: Header=BB618_16 Depth=2
	s_wait_dscnt 0x0
	ds_bpermute_b32 v41, v36, v39
	s_wait_dscnt 0x0
	v_add_f32_e32 v39, v39, v41
	ds_bpermute_b32 v41, v37, v39
	s_wait_dscnt 0x0
	v_add_f32_e32 v39, v39, v41
	;; [unrolled: 3-line block ×3, first 2 shown]
	s_wait_alu 0xfffe
	s_or_b32 exec_lo, exec_lo, s6
	s_and_saveexec_b32 s6, s0
	s_cbranch_execz .LBB618_15
.LBB618_59:                             ;   in Loop: Header=BB618_16 Depth=2
	s_mul_i32 s7, s11, s28
	v_mul_f32_e32 v27, v32, v27
	s_wait_alu 0xfffe
	s_add_co_i32 s36, s7, s24
	v_mul_f32_e32 v28, v32, v28
	s_wait_alu 0xfffe
	s_lshl_b64 s[62:63], s[36:37], 2
	s_add_co_i32 s36, s36, s28
	s_wait_alu 0xfffe
	s_add_nc_u64 s[62:63], s[54:55], s[62:63]
	s_lshl_b64 s[70:71], s[36:37], 2
	s_add_co_i32 s36, s36, s28
	s_wait_alu 0xfffe
	s_add_nc_u64 s[70:71], s[54:55], s[70:71]
	s_clause 0x1
	global_store_b32 v0, v27, s[62:63]
	global_store_b32 v0, v28, s[70:71]
	v_mul_f32_e32 v27, v32, v40
	s_lshl_b64 s[62:63], s[36:37], 2
	s_add_co_i32 s36, s36, s28
	s_wait_dscnt 0x0
	v_mul_f32_e32 v28, v32, v39
	s_wait_alu 0xfffe
	s_lshl_b64 s[70:71], s[36:37], 2
	s_add_nc_u64 s[62:63], s[54:55], s[62:63]
	s_wait_alu 0xfffe
	s_add_nc_u64 s[70:71], s[54:55], s[70:71]
	s_clause 0x1
	global_store_b32 v0, v27, s[62:63]
	global_store_b32 v0, v28, s[70:71]
	s_branch .LBB618_15
.LBB618_60:                             ;   in Loop: Header=BB618_16 Depth=2
	v_dual_mov_b32 v39, 0 :: v_dual_mov_b32 v40, 0
	v_dual_mov_b32 v41, 0 :: v_dual_mov_b32 v42, 0
.LBB618_61:                             ;   in Loop: Header=BB618_16 Depth=2
	s_wait_alu 0xfffe
	s_or_b32 exec_lo, exec_lo, s26
	s_delay_alu instid0(SALU_CYCLE_1)
	s_or_b32 exec_lo, exec_lo, s25
	s_and_saveexec_b32 s6, s1
	s_cbranch_execnz .LBB618_19
	s_branch .LBB618_20
.LBB618_62:                             ;   in Loop: Header=BB618_3 Depth=1
	v_mov_b32_e32 v3, v0
	v_dual_mov_b32 v1, v0 :: v_dual_mov_b32 v2, v0
	s_mov_b32 s11, 0
	s_delay_alu instid0(VALU_DEP_2) | instskip(NEXT) | instid1(VALU_DEP_2)
	v_mov_b32_e32 v4, v3
	v_mov_b32_e32 v3, v2
	s_delay_alu instid0(VALU_DEP_3)
	v_mov_b32_e32 v2, v1
	v_mov_b32_e32 v1, v0
.LBB618_63:                             ;   in Loop: Header=BB618_3 Depth=1
	s_cmp_ge_i32 s11, s27
	s_cbranch_scc1 .LBB618_2
; %bb.64:                               ;   in Loop: Header=BB618_3 Depth=1
	v_cmp_gt_u32_e32 vcc_lo, 24, v31
	s_add_nc_u64 s[8:9], s[54:55], s[40:41]
	s_mul_i32 s54, s30, s11
	s_mov_b32 s36, s11
	s_wait_alu 0xfffd
	v_cndmask_b32_e64 v19, 0, 8, vcc_lo
	v_cmp_gt_u32_e32 vcc_lo, 28, v31
	s_delay_alu instid0(VALU_DEP_2) | instskip(SKIP_3) | instid1(VALU_DEP_2)
	v_add_lshl_u32 v35, v19, v31, 2
	s_wait_alu 0xfffd
	v_cndmask_b32_e64 v20, 0, 4, vcc_lo
	v_cmp_gt_u32_e32 vcc_lo, 30, v31
	v_add_lshl_u32 v36, v20, v31, 2
	s_wait_alu 0xfffd
	v_cndmask_b32_e64 v21, 0, 2, vcc_lo
	v_cmp_ne_u32_e32 vcc_lo, 31, v31
	s_delay_alu instid0(VALU_DEP_2)
	v_add_lshl_u32 v37, v21, v31, 2
	s_wait_alu 0xfffd
	v_add_co_ci_u32_e64 v22, null, 0, v31, vcc_lo
	v_add_co_u32 v19, vcc_lo, v17, v9
	s_wait_alu 0xfffd
	v_add_co_ci_u32_e64 v20, null, v18, v10, vcc_lo
	v_add_co_u32 v21, vcc_lo, v17, v11
	v_lshlrev_b32_e32 v38, 2, v22
	s_wait_alu 0xfffd
	v_add_co_ci_u32_e64 v22, null, v18, v12, vcc_lo
	v_add_co_u32 v23, vcc_lo, v17, v13
	s_wait_alu 0xfffd
	v_add_co_ci_u32_e64 v24, null, v18, v14, vcc_lo
	v_add_co_u32 v25, vcc_lo, v17, v15
	s_wait_alu 0xfffd
	v_add_co_ci_u32_e64 v26, null, v18, v16, vcc_lo
	s_branch .LBB618_66
.LBB618_65:                             ;   in Loop: Header=BB618_66 Depth=2
	s_wait_alu 0xfffe
	s_or_b32 exec_lo, exec_lo, s6
	s_add_co_i32 s36, s36, 1
	s_add_co_i32 s54, s54, s30
	s_wait_alu 0xfffe
	s_cmp_ge_i32 s36, s27
	s_cbranch_scc1 .LBB618_2
.LBB618_66:                             ;   Parent Loop BB618_3 Depth=1
                                        ; =>  This Loop Header: Depth=2
                                        ;       Child Loop BB618_79 Depth 3
                                        ;       Child Loop BB618_82 Depth 3
	s_wait_dscnt 0x0
	v_mov_b32_e32 v39, s37
	s_and_saveexec_b32 s6, s4
	s_wait_alu 0xfffe
	s_xor_b32 s6, exec_lo, s6
	s_cbranch_execnz .LBB618_75
; %bb.67:                               ;   in Loop: Header=BB618_66 Depth=2
	s_wait_alu 0xfffe
	s_and_not1_saveexec_b32 s11, s6
	s_cbranch_execnz .LBB618_76
.LBB618_68:                             ;   in Loop: Header=BB618_66 Depth=2
	s_or_b32 exec_lo, exec_lo, s11
	s_and_saveexec_b32 s6, s1
.LBB618_69:                             ;   in Loop: Header=BB618_66 Depth=2
	ds_store_b32 v29, v0
.LBB618_70:                             ;   in Loop: Header=BB618_66 Depth=2
	s_wait_alu 0xfffe
	s_or_b32 exec_lo, exec_lo, s6
	ds_bpermute_b32 v27, v6, v39
	s_wait_storecnt 0x0
	s_wait_loadcnt_dscnt 0x0
	s_barrier_signal -1
	s_barrier_wait -1
	global_inv scope:SCOPE_SE
	v_add_f32_e32 v27, v39, v27
	ds_bpermute_b32 v28, v35, v27
	s_wait_dscnt 0x0
	v_add_f32_e32 v27, v27, v28
	ds_bpermute_b32 v28, v36, v27
	s_wait_dscnt 0x0
	;; [unrolled: 3-line block ×3, first 2 shown]
	v_add_f32_e32 v27, v27, v28
	ds_bpermute_b32 v28, v38, v27
	s_and_saveexec_b32 s6, s3
	s_cbranch_execz .LBB618_72
; %bb.71:                               ;   in Loop: Header=BB618_66 Depth=2
	s_wait_dscnt 0x0
	v_add_f32_e32 v27, v27, v28
	ds_store_b32 v30, v27
.LBB618_72:                             ;   in Loop: Header=BB618_66 Depth=2
	s_wait_alu 0xfffe
	s_or_b32 exec_lo, exec_lo, s6
	v_mov_b32_e32 v27, 0
	s_wait_loadcnt_dscnt 0x0
	s_barrier_signal -1
	s_barrier_wait -1
	global_inv scope:SCOPE_SE
	s_and_saveexec_b32 s6, s2
	s_cbranch_execnz .LBB618_84
; %bb.73:                               ;   in Loop: Header=BB618_66 Depth=2
	s_wait_alu 0xfffe
	s_or_b32 exec_lo, exec_lo, s6
	s_and_saveexec_b32 s6, s1
	s_cbranch_execnz .LBB618_85
.LBB618_74:                             ;   in Loop: Header=BB618_66 Depth=2
	s_wait_alu 0xfffe
	s_or_b32 exec_lo, exec_lo, s6
	s_and_saveexec_b32 s6, s0
	s_cbranch_execz .LBB618_65
	s_branch .LBB618_86
.LBB618_75:                             ;   in Loop: Header=BB618_66 Depth=2
	s_mul_i32 s56, s36, s30
	s_wait_alu 0xfffe
	s_ashr_i32 s57, s56, 31
	s_wait_alu 0xfffe
	s_lshl_b64 s[56:57], s[56:57], 1
	s_wait_alu 0xfffe
	v_add_co_u32 v1, vcc_lo, v33, s56
	s_wait_alu 0xfffd
	v_add_co_ci_u32_e64 v2, null, s57, v34, vcc_lo
	flat_load_u16 v3, v[19:20]
	flat_load_b64 v[27:28], v[1:2]
	s_clause 0x2
	flat_load_u16 v2, v[21:22]
	flat_load_u16 v4, v[23:24]
	;; [unrolled: 1-line block ×3, first 2 shown]
	s_wait_loadcnt_dscnt 0x404
	v_lshlrev_b32_e32 v1, 16, v3
	s_wait_loadcnt_dscnt 0x303
	v_lshlrev_b32_e32 v3, 16, v27
	v_and_b32_e32 v27, 0xffff0000, v27
	s_delay_alu instid0(VALU_DEP_2) | instskip(SKIP_4) | instid1(VALU_DEP_1)
	v_fma_f32 v39, v1, v3, 0
	s_wait_loadcnt_dscnt 0x101
	v_lshlrev_b32_e32 v3, 16, v4
	v_lshlrev_b32_e32 v2, 16, v2
	s_wait_loadcnt_dscnt 0x0
	v_dual_fmac_f32 v39, v2, v27 :: v_dual_lshlrev_b32 v4, 16, v40
	v_lshlrev_b32_e32 v27, 16, v28
	s_delay_alu instid0(VALU_DEP_1) | instskip(NEXT) | instid1(VALU_DEP_1)
	v_dual_fmac_f32 v39, v3, v27 :: v_dual_and_b32 v28, 0xffff0000, v28
	v_fmac_f32_e32 v39, v4, v28
	s_and_not1_saveexec_b32 s11, s6
	s_cbranch_execz .LBB618_68
.LBB618_76:                             ;   in Loop: Header=BB618_66 Depth=2
	s_and_saveexec_b32 s25, s5
	s_cbranch_execz .LBB618_83
; %bb.77:                               ;   in Loop: Header=BB618_66 Depth=2
	s_and_not1_b32 vcc_lo, exec_lo, s69
	s_wait_alu 0xfffe
	s_cbranch_vccnz .LBB618_80
; %bb.78:                               ;   in Loop: Header=BB618_66 Depth=2
	v_mov_b32_e32 v27, v5
	s_mov_b64 s[56:57], 0
.LBB618_79:                             ;   Parent Loop BB618_3 Depth=1
                                        ;     Parent Loop BB618_66 Depth=2
                                        ; =>    This Inner Loop Header: Depth=3
	s_delay_alu instid0(VALU_DEP_1) | instskip(SKIP_2) | instid1(VALU_DEP_1)
	v_ashrrev_i32_e32 v28, 31, v27
	s_wait_alu 0xfffe
	s_cmp_eq_u32 s56, 3
	v_lshlrev_b64_e32 v[40:41], 1, v[27:28]
	s_delay_alu instid0(VALU_DEP_1) | instskip(SKIP_1) | instid1(VALU_DEP_2)
	v_add_co_u32 v40, vcc_lo, v17, v40
	s_wait_alu 0xfffd
	v_add_co_ci_u32_e64 v41, null, v18, v41, vcc_lo
	s_cselect_b32 vcc_lo, -1, 0
	s_cmp_eq_u32 s56, 2
	s_cselect_b32 s6, -1, 0
	flat_load_u16 v28, v[40:41]
	s_cmp_eq_u32 s56, 1
	s_cselect_b32 s7, -1, 0
	s_cmp_eq_u32 s56, 0
	s_add_nc_u64 s[56:57], s[56:57], 1
	s_wait_loadcnt_dscnt 0x0
	v_lshlrev_b32_e32 v28, 16, v28
	s_wait_alu 0xfffe
	s_delay_alu instid0(VALU_DEP_1)
	v_dual_cndmask_b32 v4, v4, v28 :: v_dual_add_nc_u32 v27, s64, v27
	s_cselect_b32 vcc_lo, -1, 0
	v_cndmask_b32_e64 v3, v3, v28, s6
	v_cndmask_b32_e64 v2, v2, v28, s7
	s_wait_alu 0xfffe
	v_cndmask_b32_e32 v1, v1, v28, vcc_lo
	s_cmp_eq_u32 s67, s56
	s_cbranch_scc0 .LBB618_79
.LBB618_80:                             ;   in Loop: Header=BB618_66 Depth=2
	s_and_not1_b32 vcc_lo, exec_lo, s69
	s_wait_alu 0xfffe
	s_cbranch_vccnz .LBB618_83
; %bb.81:                               ;   in Loop: Header=BB618_66 Depth=2
	s_ashr_i32 s55, s54, 31
	s_delay_alu instid0(SALU_CYCLE_1)
	s_lshl_b64 s[6:7], s[54:55], 1
	s_wait_alu 0xfffe
	v_add_co_u32 v27, vcc_lo, v33, s6
	s_wait_alu 0xfffd
	v_add_co_ci_u32_e64 v28, null, s7, v34, vcc_lo
	s_mov_b64 s[6:7], 0
.LBB618_82:                             ;   Parent Loop BB618_3 Depth=1
                                        ;     Parent Loop BB618_66 Depth=2
                                        ; =>    This Inner Loop Header: Depth=3
	flat_load_u16 v40, v[27:28]
	s_wait_alu 0xfffe
	s_cmp_eq_u32 s6, 1
	s_cselect_b32 vcc_lo, -1, 0
	s_cmp_eq_u32 s6, 2
	s_wait_alu 0xfffe
	v_cndmask_b32_e32 v41, v1, v2, vcc_lo
	s_cselect_b32 vcc_lo, -1, 0
	s_cmp_eq_u32 s6, 3
	s_add_nc_u64 s[6:7], s[6:7], 1
	s_wait_loadcnt_dscnt 0x0
	s_wait_alu 0xfffe
	v_dual_cndmask_b32 v41, v41, v3 :: v_dual_lshlrev_b32 v40, 16, v40
	s_cselect_b32 vcc_lo, -1, 0
	s_cmp_lg_u32 s67, s6
	s_wait_alu 0xfffe
	s_delay_alu instid0(VALU_DEP_1) | instskip(SKIP_3) | instid1(VALU_DEP_3)
	v_cndmask_b32_e32 v41, v41, v4, vcc_lo
	v_add_co_u32 v27, vcc_lo, v27, 2
	s_wait_alu 0xfffd
	v_add_co_ci_u32_e64 v28, null, 0, v28, vcc_lo
	v_fmac_f32_e32 v39, v41, v40
	s_cbranch_scc1 .LBB618_82
.LBB618_83:                             ;   in Loop: Header=BB618_66 Depth=2
	s_or_b32 exec_lo, exec_lo, s25
	s_delay_alu instid0(SALU_CYCLE_1)
	s_or_b32 exec_lo, exec_lo, s11
	s_and_saveexec_b32 s6, s1
	s_cbranch_execnz .LBB618_69
	s_branch .LBB618_70
.LBB618_84:                             ;   in Loop: Header=BB618_66 Depth=2
	ds_load_b32 v27, v29
	s_wait_alu 0xfffe
	s_or_b32 exec_lo, exec_lo, s6
	s_and_saveexec_b32 s6, s1
	s_cbranch_execz .LBB618_74
.LBB618_85:                             ;   in Loop: Header=BB618_66 Depth=2
	s_wait_dscnt 0x0
	ds_bpermute_b32 v28, v36, v27
	s_wait_dscnt 0x0
	v_add_f32_e32 v27, v27, v28
	ds_bpermute_b32 v28, v37, v27
	s_wait_dscnt 0x0
	v_add_f32_e32 v27, v27, v28
	ds_bpermute_b32 v28, v38, v27
	s_wait_dscnt 0x0
	v_add_f32_e32 v27, v27, v28
	s_wait_alu 0xfffe
	s_or_b32 exec_lo, exec_lo, s6
	s_and_saveexec_b32 s6, s0
	s_cbranch_execz .LBB618_65
.LBB618_86:                             ;   in Loop: Header=BB618_66 Depth=2
	s_mul_u64 s[56:57], s[36:37], s[28:29]
	s_wait_dscnt 0x0
	v_mul_f32_e32 v27, v32, v27
	s_wait_alu 0xfffe
	s_lshl_b64 s[56:57], s[56:57], 2
	s_wait_alu 0xfffe
	s_add_nc_u64 s[56:57], s[8:9], s[56:57]
	global_store_b32 v0, v27, s[56:57]
	s_branch .LBB618_65
.LBB618_87:
	s_endpgm
	.section	.rodata,"a",@progbits
	.p2align	6, 0x0
	.amdhsa_kernel _ZL23rocblas_gemvt_sn_kernelILb1ELi256ELi4EiPK16rocblas_bfloat16PKffEviiT4_lPKT3_lilS8_lilPT5_i
		.amdhsa_group_segment_fixed_size 128
		.amdhsa_private_segment_fixed_size 0
		.amdhsa_kernarg_size 360
		.amdhsa_user_sgpr_count 2
		.amdhsa_user_sgpr_dispatch_ptr 0
		.amdhsa_user_sgpr_queue_ptr 0
		.amdhsa_user_sgpr_kernarg_segment_ptr 1
		.amdhsa_user_sgpr_dispatch_id 0
		.amdhsa_user_sgpr_private_segment_size 0
		.amdhsa_wavefront_size32 1
		.amdhsa_uses_dynamic_stack 0
		.amdhsa_enable_private_segment 0
		.amdhsa_system_sgpr_workgroup_id_x 1
		.amdhsa_system_sgpr_workgroup_id_y 0
		.amdhsa_system_sgpr_workgroup_id_z 1
		.amdhsa_system_sgpr_workgroup_info 0
		.amdhsa_system_vgpr_workitem_id 0
		.amdhsa_next_free_vgpr 55
		.amdhsa_next_free_sgpr 74
		.amdhsa_reserve_vcc 1
		.amdhsa_float_round_mode_32 0
		.amdhsa_float_round_mode_16_64 0
		.amdhsa_float_denorm_mode_32 3
		.amdhsa_float_denorm_mode_16_64 3
		.amdhsa_fp16_overflow 0
		.amdhsa_workgroup_processor_mode 1
		.amdhsa_memory_ordered 1
		.amdhsa_forward_progress 1
		.amdhsa_inst_pref_size 38
		.amdhsa_round_robin_scheduling 0
		.amdhsa_exception_fp_ieee_invalid_op 0
		.amdhsa_exception_fp_denorm_src 0
		.amdhsa_exception_fp_ieee_div_zero 0
		.amdhsa_exception_fp_ieee_overflow 0
		.amdhsa_exception_fp_ieee_underflow 0
		.amdhsa_exception_fp_ieee_inexact 0
		.amdhsa_exception_int_div_zero 0
	.end_amdhsa_kernel
	.section	.text._ZL23rocblas_gemvt_sn_kernelILb1ELi256ELi4EiPK16rocblas_bfloat16PKffEviiT4_lPKT3_lilS8_lilPT5_i,"axG",@progbits,_ZL23rocblas_gemvt_sn_kernelILb1ELi256ELi4EiPK16rocblas_bfloat16PKffEviiT4_lPKT3_lilS8_lilPT5_i,comdat
.Lfunc_end618:
	.size	_ZL23rocblas_gemvt_sn_kernelILb1ELi256ELi4EiPK16rocblas_bfloat16PKffEviiT4_lPKT3_lilS8_lilPT5_i, .Lfunc_end618-_ZL23rocblas_gemvt_sn_kernelILb1ELi256ELi4EiPK16rocblas_bfloat16PKffEviiT4_lPKT3_lilS8_lilPT5_i
                                        ; -- End function
	.set _ZL23rocblas_gemvt_sn_kernelILb1ELi256ELi4EiPK16rocblas_bfloat16PKffEviiT4_lPKT3_lilS8_lilPT5_i.num_vgpr, 55
	.set _ZL23rocblas_gemvt_sn_kernelILb1ELi256ELi4EiPK16rocblas_bfloat16PKffEviiT4_lPKT3_lilS8_lilPT5_i.num_agpr, 0
	.set _ZL23rocblas_gemvt_sn_kernelILb1ELi256ELi4EiPK16rocblas_bfloat16PKffEviiT4_lPKT3_lilS8_lilPT5_i.numbered_sgpr, 74
	.set _ZL23rocblas_gemvt_sn_kernelILb1ELi256ELi4EiPK16rocblas_bfloat16PKffEviiT4_lPKT3_lilS8_lilPT5_i.num_named_barrier, 0
	.set _ZL23rocblas_gemvt_sn_kernelILb1ELi256ELi4EiPK16rocblas_bfloat16PKffEviiT4_lPKT3_lilS8_lilPT5_i.private_seg_size, 0
	.set _ZL23rocblas_gemvt_sn_kernelILb1ELi256ELi4EiPK16rocblas_bfloat16PKffEviiT4_lPKT3_lilS8_lilPT5_i.uses_vcc, 1
	.set _ZL23rocblas_gemvt_sn_kernelILb1ELi256ELi4EiPK16rocblas_bfloat16PKffEviiT4_lPKT3_lilS8_lilPT5_i.uses_flat_scratch, 1
	.set _ZL23rocblas_gemvt_sn_kernelILb1ELi256ELi4EiPK16rocblas_bfloat16PKffEviiT4_lPKT3_lilS8_lilPT5_i.has_dyn_sized_stack, 0
	.set _ZL23rocblas_gemvt_sn_kernelILb1ELi256ELi4EiPK16rocblas_bfloat16PKffEviiT4_lPKT3_lilS8_lilPT5_i.has_recursion, 0
	.set _ZL23rocblas_gemvt_sn_kernelILb1ELi256ELi4EiPK16rocblas_bfloat16PKffEviiT4_lPKT3_lilS8_lilPT5_i.has_indirect_call, 0
	.section	.AMDGPU.csdata,"",@progbits
; Kernel info:
; codeLenInByte = 4760
; TotalNumSgprs: 76
; NumVgprs: 55
; ScratchSize: 0
; MemoryBound: 0
; FloatMode: 240
; IeeeMode: 1
; LDSByteSize: 128 bytes/workgroup (compile time only)
; SGPRBlocks: 0
; VGPRBlocks: 6
; NumSGPRsForWavesPerEU: 76
; NumVGPRsForWavesPerEU: 55
; Occupancy: 16
; WaveLimiterHint : 0
; COMPUTE_PGM_RSRC2:SCRATCH_EN: 0
; COMPUTE_PGM_RSRC2:USER_SGPR: 2
; COMPUTE_PGM_RSRC2:TRAP_HANDLER: 0
; COMPUTE_PGM_RSRC2:TGID_X_EN: 1
; COMPUTE_PGM_RSRC2:TGID_Y_EN: 0
; COMPUTE_PGM_RSRC2:TGID_Z_EN: 1
; COMPUTE_PGM_RSRC2:TIDIG_COMP_CNT: 0
	.section	.text._ZL23rocblas_gemvt_sn_kernelILb1ELi256ELi4ElPK16rocblas_bfloat16PKffEviiT4_lPKT3_lilS8_lilPT5_i,"axG",@progbits,_ZL23rocblas_gemvt_sn_kernelILb1ELi256ELi4ElPK16rocblas_bfloat16PKffEviiT4_lPKT3_lilS8_lilPT5_i,comdat
	.globl	_ZL23rocblas_gemvt_sn_kernelILb1ELi256ELi4ElPK16rocblas_bfloat16PKffEviiT4_lPKT3_lilS8_lilPT5_i ; -- Begin function _ZL23rocblas_gemvt_sn_kernelILb1ELi256ELi4ElPK16rocblas_bfloat16PKffEviiT4_lPKT3_lilS8_lilPT5_i
	.p2align	8
	.type	_ZL23rocblas_gemvt_sn_kernelILb1ELi256ELi4ElPK16rocblas_bfloat16PKffEviiT4_lPKT3_lilS8_lilPT5_i,@function
_ZL23rocblas_gemvt_sn_kernelILb1ELi256ELi4ElPK16rocblas_bfloat16PKffEviiT4_lPKT3_lilS8_lilPT5_i: ; @_ZL23rocblas_gemvt_sn_kernelILb1ELi256ELi4ElPK16rocblas_bfloat16PKffEviiT4_lPKT3_lilS8_lilPT5_i
; %bb.0:
	s_load_b32 s33, s[0:1], 0x60
	s_lshr_b32 s10, ttmp7, 16
	s_wait_kmcnt 0x0
	s_cmp_ge_u32 s10, s33
	s_cbranch_scc1 .LBB619_87
; %bb.1:
	s_clause 0x6
	s_load_b32 s26, s[0:1], 0x28
	s_load_b32 s6, s[0:1], 0x48
	s_load_b64 s[28:29], s[0:1], 0x0
	s_load_b32 s30, s[0:1], 0x68
	s_load_b256 s[12:19], s[0:1], 0x8
	s_load_b128 s[20:23], s[0:1], 0x38
	s_load_b64 s[34:35], s[0:1], 0x58
	s_mov_b32 s25, 0
	v_cmp_eq_u32_e64 s0, 0, v0
	s_mov_b32 s31, s25
	v_and_b32_e32 v3, 31, v0
	v_cmp_gt_u32_e64 s5, 8, v0
	v_mbcnt_lo_u32_b32 v33, -1, 0
	s_mov_b32 s24, ttmp9
	s_delay_alu instid0(VALU_DEP_1)
	v_lshl_or_b32 v34, v33, 2, 64
	s_wait_kmcnt 0x0
	s_ashr_i32 s27, s26, 31
	s_ashr_i32 s7, s6, 31
	;; [unrolled: 1-line block ×3, first 2 shown]
	s_mov_b32 s2, s29
	s_cmp_gt_i32 s29, 0
	s_mul_u64 s[36:37], s[2:3], s[30:31]
	s_cselect_b32 s1, -1, 0
	s_lshl_b32 s2, ttmp9, 10
	s_ashr_i32 s4, s28, 31
	v_lshl_or_b32 v1, v0, 2, s2
	s_and_b32 s58, s0, s1
	s_lshr_b32 s1, s4, 30
	s_lshr_b32 s3, s3, 30
	s_add_co_i32 s1, s28, s1
	v_add_nc_u32_e32 v4, 4, v1
	s_and_b32 s1, s1, -4
	s_wait_alu 0xfffe
	s_add_co_i32 s2, s29, s3
	s_sub_co_i32 s60, s28, s1
	v_cmp_gt_u32_e64 s3, 32, v0
	v_add_nc_u32_e32 v5, s60, v1
	v_cmp_ge_i32_e64 s1, s28, v4
	v_lshrrev_b32_e32 v4, 3, v0
	v_or_b32_e32 v0, 1, v1
	s_wait_alu 0xfffe
	s_and_b32 s59, s2, -4
	v_cmp_ge_i32_e64 s2, s28, v5
	v_or_b32_e32 v5, 2, v1
	v_and_b32_e32 v32, 28, v4
	v_mad_co_i64_i32 v[9:10], null, s6, v0, 0
	v_or_b32_e32 v0, 3, v1
	s_delay_alu instid0(VALU_DEP_4) | instskip(SKIP_2) | instid1(VALU_DEP_3)
	v_mad_co_i64_i32 v[11:12], null, s6, v5, 0
	v_ashrrev_i32_e32 v2, 31, v1
	s_cmp_gt_i32 s59, 0
	v_mad_co_i64_i32 v[13:14], null, s6, v0, 0
	v_mov_b32_e32 v0, 0
	v_cmp_eq_u32_e64 s4, 0, v3
	v_lshlrev_b32_e32 v31, 2, v3
	v_mad_co_i64_i32 v[3:4], null, s6, v1, 0
	s_cselect_b32 s61, -1, 0
	s_cmp_gt_i32 s60, 0
	v_lshlrev_b64_e32 v[7:8], 1, v[1:2]
	v_lshlrev_b64_e32 v[9:10], 1, v[9:10]
	v_lshlrev_b64_e32 v[11:12], 1, v[11:12]
	v_lshlrev_b64_e32 v[13:14], 1, v[13:14]
	v_lshlrev_b64_e32 v[5:6], 1, v[3:4]
	s_cselect_b32 s62, -1, 0
	s_lshl_b64 s[38:39], s[24:25], 2
	s_lshl_b64 s[42:43], s[36:37], 2
	s_add_nc_u64 s[40:41], s[34:35], s[38:39]
	s_lshl_b64 s[44:45], s[30:31], 2
	s_lshl_b64 s[46:47], s[6:7], 1
	s_mul_u64 s[48:49], s[26:27], 6
	s_lshl_b64 s[50:51], s[26:27], 3
	s_lshl_b64 s[52:53], s[26:27], 2
	;; [unrolled: 1-line block ×5, first 2 shown]
	s_branch .LBB619_3
.LBB619_2:                              ;   in Loop: Header=BB619_3 Depth=1
	s_add_co_i32 s10, s10, 0x10000
	s_delay_alu instid0(SALU_CYCLE_1)
	s_cmp_lt_u32 s10, s33
	s_cbranch_scc0 .LBB619_87
.LBB619_3:                              ; =>This Loop Header: Depth=1
                                        ;     Child Loop BB619_10 Depth 2
                                        ;     Child Loop BB619_16 Depth 2
                                        ;       Child Loop BB619_47 Depth 3
                                        ;       Child Loop BB619_50 Depth 3
                                        ;     Child Loop BB619_66 Depth 2
                                        ;       Child Loop BB619_79 Depth 3
                                        ;       Child Loop BB619_82 Depth 3
	s_mov_b32 s11, s25
	v_mov_b32_e32 v17, 0
	s_mul_u64 s[6:7], s[14:15], s[10:11]
	v_dual_mov_b32 v18, 0 :: v_dual_mov_b32 v1, 0
	s_wait_alu 0xfffe
	s_lshl_b64 s[6:7], s[6:7], 2
	v_mov_b32_e32 v2, 0
	s_wait_alu 0xfffe
	s_add_nc_u64 s[6:7], s[12:13], s[6:7]
	global_load_b32 v35, v0, s[6:7]
	s_wait_loadcnt 0x0
	v_cmp_eq_f32_e64 s6, 0, v35
	v_cmp_neq_f32_e64 s7, 0, v35
	s_wait_alu 0xfffe
	s_and_b32 vcc_lo, exec_lo, s6
	s_wait_alu 0xfffe
	s_cbranch_vccnz .LBB619_5
; %bb.4:                                ;   in Loop: Header=BB619_3 Depth=1
	s_lshl_b64 s[8:9], s[10:11], 3
	s_wait_alu 0xfffe
	s_add_nc_u64 s[8:9], s[16:17], s[8:9]
	global_load_b64 v[1:2], v0, s[8:9]
	s_wait_loadcnt 0x0
	v_add_co_u32 v1, vcc_lo, v1, s18
	s_wait_alu 0xfffd
	v_add_co_ci_u32_e64 v2, null, s19, v2, vcc_lo
.LBB619_5:                              ;   in Loop: Header=BB619_3 Depth=1
	s_and_not1_b32 vcc_lo, exec_lo, s7
	s_wait_alu 0xfffe
	s_cbranch_vccnz .LBB619_7
; %bb.6:                                ;   in Loop: Header=BB619_3 Depth=1
	s_lshl_b64 s[8:9], s[10:11], 3
	s_wait_alu 0xfffe
	s_add_nc_u64 s[8:9], s[20:21], s[8:9]
	global_load_b64 v[3:4], v0, s[8:9]
	s_wait_loadcnt 0x0
	v_add_co_u32 v17, vcc_lo, v3, s22
	s_wait_alu 0xfffd
	v_add_co_ci_u32_e64 v18, null, s23, v4, vcc_lo
.LBB619_7:                              ;   in Loop: Header=BB619_3 Depth=1
	s_and_not1_b32 vcc_lo, exec_lo, s6
	s_mov_b32 s6, -1
	s_wait_alu 0xfffe
	s_cbranch_vccnz .LBB619_12
; %bb.8:                                ;   in Loop: Header=BB619_3 Depth=1
	s_and_saveexec_b32 s8, s58
	s_cbranch_execz .LBB619_11
; %bb.9:                                ;   in Loop: Header=BB619_3 Depth=1
	s_mul_u64 s[6:7], s[42:43], s[10:11]
	s_mov_b32 s9, s29
	s_wait_alu 0xfffe
	s_add_nc_u64 s[6:7], s[40:41], s[6:7]
.LBB619_10:                             ;   Parent Loop BB619_3 Depth=1
                                        ; =>  This Inner Loop Header: Depth=2
	s_add_co_i32 s9, s9, -1
	global_store_b32 v0, v0, s[6:7]
	s_wait_alu 0xfffe
	s_cmp_eq_u32 s9, 0
	s_add_nc_u64 s[6:7], s[6:7], s[44:45]
	s_cbranch_scc0 .LBB619_10
.LBB619_11:                             ;   in Loop: Header=BB619_3 Depth=1
	s_wait_alu 0xfffe
	s_or_b32 exec_lo, exec_lo, s8
	s_mov_b32 s6, 0
.LBB619_12:                             ;   in Loop: Header=BB619_3 Depth=1
	s_wait_alu 0xfffe
	s_and_not1_b32 vcc_lo, exec_lo, s6
	s_wait_alu 0xfffe
	s_cbranch_vccnz .LBB619_2
; %bb.13:                               ;   in Loop: Header=BB619_3 Depth=1
	s_mul_u64 s[6:7], s[36:37], s[10:11]
	v_add_co_u32 v15, vcc_lo, v1, v7
	s_wait_alu 0xfffe
	s_lshl_b64 s[56:57], s[6:7], 2
	s_wait_alu 0xfffd
	v_add_co_ci_u32_e64 v16, null, v2, v8, vcc_lo
	v_cmp_gt_u32_e64 s9, 24, v33
	v_cmp_gt_u32_e64 s8, 28, v33
	;; [unrolled: 1-line block ×3, first 2 shown]
	v_cmp_ne_u32_e64 s6, 31, v33
	s_add_nc_u64 s[56:57], s[34:35], s[56:57]
	s_and_not1_b32 vcc_lo, exec_lo, s61
	s_add_nc_u64 s[56:57], s[56:57], s[38:39]
	s_wait_alu 0xfffe
	s_cbranch_vccnz .LBB619_62
; %bb.14:                               ;   in Loop: Header=BB619_3 Depth=1
	v_cndmask_b32_e64 v3, 0, 2, s7
	v_add_co_u32 v19, vcc_lo, v17, v5
	v_cndmask_b32_e64 v1, 0, 8, s9
	v_cndmask_b32_e64 v2, 0, 4, s8
	v_add_co_ci_u32_e64 v4, null, 0, v33, s6
	v_add_lshl_u32 v38, v3, v33, 2
	s_wait_alu 0xfffd
	v_add_co_ci_u32_e64 v20, null, v18, v6, vcc_lo
	v_add_co_u32 v21, vcc_lo, v17, v9
	v_mov_b32_e32 v3, v0
	s_wait_alu 0xfffd
	v_add_co_ci_u32_e64 v22, null, v18, v10, vcc_lo
	v_add_co_u32 v23, vcc_lo, v17, v11
	v_add_lshl_u32 v36, v1, v33, 2
	v_add_lshl_u32 v37, v2, v33, 2
	v_dual_mov_b32 v2, v0 :: v_dual_lshlrev_b32 v39, 2, v4
	s_wait_alu 0xfffd
	v_add_co_ci_u32_e64 v24, null, v18, v12, vcc_lo
	s_wait_dscnt 0x0
	v_dual_mov_b32 v1, v0 :: v_dual_mov_b32 v28, v16
	v_add_co_u32 v25, vcc_lo, v17, v13
	v_dual_mov_b32 v27, v15 :: v_dual_mov_b32 v4, v3
	s_wait_alu 0xfffd
	v_add_co_ci_u32_e64 v26, null, v18, v14, vcc_lo
	v_mov_b32_e32 v3, v2
	v_mov_b32_e32 v2, v1
	;; [unrolled: 1-line block ×3, first 2 shown]
	s_mov_b32 s24, 0
	s_branch .LBB619_16
.LBB619_15:                             ;   in Loop: Header=BB619_16 Depth=2
	s_wait_alu 0xfffe
	s_or_b32 exec_lo, exec_lo, s6
	v_add_co_u32 v27, vcc_lo, v27, s50
	s_wait_alu 0xfffd
	v_add_co_ci_u32_e64 v28, null, s51, v28, vcc_lo
	s_add_co_i32 s24, s24, 4
	s_wait_alu 0xfffe
	s_cmp_ge_i32 s24, s59
	s_cbranch_scc1 .LBB619_63
.LBB619_16:                             ;   Parent Loop BB619_3 Depth=1
                                        ; =>  This Loop Header: Depth=2
                                        ;       Child Loop BB619_47 Depth 3
                                        ;       Child Loop BB619_50 Depth 3
                                        ; implicit-def: $vgpr40
                                        ; implicit-def: $vgpr41
                                        ; implicit-def: $vgpr42
                                        ; implicit-def: $vgpr43
	s_and_saveexec_b32 s6, s1
	s_wait_alu 0xfffe
	s_xor_b32 s6, exec_lo, s6
	s_cbranch_execnz .LBB619_43
; %bb.17:                               ;   in Loop: Header=BB619_16 Depth=2
	s_wait_alu 0xfffe
	s_and_not1_saveexec_b32 s11, s6
	s_cbranch_execnz .LBB619_44
.LBB619_18:                             ;   in Loop: Header=BB619_16 Depth=2
	s_or_b32 exec_lo, exec_lo, s11
	s_and_saveexec_b32 s6, s3
.LBB619_19:                             ;   in Loop: Header=BB619_16 Depth=2
	ds_store_b32 v31, v0
.LBB619_20:                             ;   in Loop: Header=BB619_16 Depth=2
	s_wait_alu 0xfffe
	s_or_b32 exec_lo, exec_lo, s6
	ds_bpermute_b32 v29, v34, v43
	s_wait_storecnt_dscnt 0x0
	s_barrier_signal -1
	s_barrier_wait -1
	global_inv scope:SCOPE_SE
	v_add_f32_e32 v29, v43, v29
	ds_bpermute_b32 v30, v36, v29
	s_wait_dscnt 0x0
	v_add_f32_e32 v29, v29, v30
	ds_bpermute_b32 v30, v37, v29
	s_wait_dscnt 0x0
	;; [unrolled: 3-line block ×3, first 2 shown]
	v_add_f32_e32 v29, v29, v30
	ds_bpermute_b32 v30, v39, v29
	s_and_saveexec_b32 s6, s4
	s_cbranch_execz .LBB619_22
; %bb.21:                               ;   in Loop: Header=BB619_16 Depth=2
	s_wait_dscnt 0x0
	v_add_f32_e32 v29, v29, v30
	ds_store_b32 v32, v29
.LBB619_22:                             ;   in Loop: Header=BB619_16 Depth=2
	s_wait_alu 0xfffe
	s_or_b32 exec_lo, exec_lo, s6
	v_mov_b32_e32 v29, 0
	s_wait_loadcnt_dscnt 0x0
	s_barrier_signal -1
	s_barrier_wait -1
	global_inv scope:SCOPE_SE
	s_and_saveexec_b32 s6, s5
	s_cbranch_execnz .LBB619_51
; %bb.23:                               ;   in Loop: Header=BB619_16 Depth=2
	s_wait_alu 0xfffe
	s_or_b32 exec_lo, exec_lo, s6
	s_and_saveexec_b32 s6, s3
	s_cbranch_execnz .LBB619_52
.LBB619_24:                             ;   in Loop: Header=BB619_16 Depth=2
	s_wait_alu 0xfffe
	s_or_b32 exec_lo, exec_lo, s6
	s_and_saveexec_b32 s6, s3
.LBB619_25:                             ;   in Loop: Header=BB619_16 Depth=2
	ds_store_b32 v31, v0
.LBB619_26:                             ;   in Loop: Header=BB619_16 Depth=2
	s_wait_alu 0xfffe
	s_or_b32 exec_lo, exec_lo, s6
	ds_bpermute_b32 v30, v34, v42
	s_wait_loadcnt_dscnt 0x0
	s_barrier_signal -1
	s_barrier_wait -1
	global_inv scope:SCOPE_SE
	v_add_f32_e32 v30, v42, v30
	ds_bpermute_b32 v42, v36, v30
	s_wait_dscnt 0x0
	v_add_f32_e32 v30, v30, v42
	ds_bpermute_b32 v42, v37, v30
	s_wait_dscnt 0x0
	;; [unrolled: 3-line block ×3, first 2 shown]
	v_add_f32_e32 v30, v30, v42
	ds_bpermute_b32 v42, v39, v30
	s_and_saveexec_b32 s6, s4
	s_cbranch_execz .LBB619_28
; %bb.27:                               ;   in Loop: Header=BB619_16 Depth=2
	s_wait_dscnt 0x0
	v_add_f32_e32 v30, v30, v42
	ds_store_b32 v32, v30
.LBB619_28:                             ;   in Loop: Header=BB619_16 Depth=2
	s_wait_alu 0xfffe
	s_or_b32 exec_lo, exec_lo, s6
	v_mov_b32_e32 v30, 0
	s_wait_loadcnt_dscnt 0x0
	s_barrier_signal -1
	s_barrier_wait -1
	global_inv scope:SCOPE_SE
	s_and_saveexec_b32 s6, s5
	s_cbranch_execnz .LBB619_53
; %bb.29:                               ;   in Loop: Header=BB619_16 Depth=2
	s_wait_alu 0xfffe
	s_or_b32 exec_lo, exec_lo, s6
	s_and_saveexec_b32 s6, s3
	s_cbranch_execnz .LBB619_54
.LBB619_30:                             ;   in Loop: Header=BB619_16 Depth=2
	s_wait_alu 0xfffe
	s_or_b32 exec_lo, exec_lo, s6
	s_and_saveexec_b32 s6, s3
.LBB619_31:                             ;   in Loop: Header=BB619_16 Depth=2
	ds_store_b32 v31, v0
.LBB619_32:                             ;   in Loop: Header=BB619_16 Depth=2
	s_wait_alu 0xfffe
	s_or_b32 exec_lo, exec_lo, s6
	ds_bpermute_b32 v42, v34, v41
	s_wait_loadcnt_dscnt 0x0
	s_barrier_signal -1
	s_barrier_wait -1
	global_inv scope:SCOPE_SE
	v_add_f32_e32 v41, v41, v42
	ds_bpermute_b32 v42, v36, v41
	s_wait_dscnt 0x0
	v_add_f32_e32 v41, v41, v42
	ds_bpermute_b32 v42, v37, v41
	s_wait_dscnt 0x0
	;; [unrolled: 3-line block ×3, first 2 shown]
	v_add_f32_e32 v41, v41, v42
	ds_bpermute_b32 v42, v39, v41
	s_and_saveexec_b32 s6, s4
	s_cbranch_execz .LBB619_34
; %bb.33:                               ;   in Loop: Header=BB619_16 Depth=2
	s_wait_dscnt 0x0
	v_add_f32_e32 v41, v41, v42
	ds_store_b32 v32, v41
.LBB619_34:                             ;   in Loop: Header=BB619_16 Depth=2
	s_wait_alu 0xfffe
	s_or_b32 exec_lo, exec_lo, s6
	v_mov_b32_e32 v41, 0
	s_wait_loadcnt_dscnt 0x0
	s_barrier_signal -1
	s_barrier_wait -1
	global_inv scope:SCOPE_SE
	s_and_saveexec_b32 s6, s5
	s_cbranch_execnz .LBB619_55
; %bb.35:                               ;   in Loop: Header=BB619_16 Depth=2
	s_wait_alu 0xfffe
	s_or_b32 exec_lo, exec_lo, s6
	s_and_saveexec_b32 s6, s3
	s_cbranch_execnz .LBB619_56
.LBB619_36:                             ;   in Loop: Header=BB619_16 Depth=2
	s_wait_alu 0xfffe
	s_or_b32 exec_lo, exec_lo, s6
	s_and_saveexec_b32 s6, s3
.LBB619_37:                             ;   in Loop: Header=BB619_16 Depth=2
	ds_store_b32 v31, v0
.LBB619_38:                             ;   in Loop: Header=BB619_16 Depth=2
	s_wait_alu 0xfffe
	s_or_b32 exec_lo, exec_lo, s6
	ds_bpermute_b32 v42, v34, v40
	s_wait_loadcnt_dscnt 0x0
	s_barrier_signal -1
	s_barrier_wait -1
	global_inv scope:SCOPE_SE
	v_add_f32_e32 v40, v40, v42
	ds_bpermute_b32 v42, v36, v40
	s_wait_dscnt 0x0
	v_add_f32_e32 v40, v40, v42
	ds_bpermute_b32 v42, v37, v40
	s_wait_dscnt 0x0
	;; [unrolled: 3-line block ×3, first 2 shown]
	v_add_f32_e32 v40, v40, v42
	ds_bpermute_b32 v42, v39, v40
	s_and_saveexec_b32 s6, s4
	s_cbranch_execz .LBB619_40
; %bb.39:                               ;   in Loop: Header=BB619_16 Depth=2
	s_wait_dscnt 0x0
	v_add_f32_e32 v40, v40, v42
	ds_store_b32 v32, v40
.LBB619_40:                             ;   in Loop: Header=BB619_16 Depth=2
	s_wait_alu 0xfffe
	s_or_b32 exec_lo, exec_lo, s6
	v_mov_b32_e32 v40, 0
	s_wait_loadcnt_dscnt 0x0
	s_barrier_signal -1
	s_barrier_wait -1
	global_inv scope:SCOPE_SE
	s_and_saveexec_b32 s6, s5
	s_cbranch_execnz .LBB619_57
; %bb.41:                               ;   in Loop: Header=BB619_16 Depth=2
	s_wait_alu 0xfffe
	s_or_b32 exec_lo, exec_lo, s6
	s_and_saveexec_b32 s6, s3
	s_cbranch_execnz .LBB619_58
.LBB619_42:                             ;   in Loop: Header=BB619_16 Depth=2
	s_wait_alu 0xfffe
	s_or_b32 exec_lo, exec_lo, s6
	s_and_saveexec_b32 s6, s0
	s_cbranch_execz .LBB619_15
	s_branch .LBB619_59
.LBB619_43:                             ;   in Loop: Header=BB619_16 Depth=2
	s_mul_u64 s[8:9], s[24:25], s[26:27]
	s_or_b32 s64, s24, 2
	s_wait_alu 0xfffe
	s_lshl_b64 s[8:9], s[8:9], 1
	s_mov_b32 s65, s25
	s_wait_alu 0xfffe
	v_add_co_u32 v1, vcc_lo, v15, s8
	s_wait_alu 0xfffd
	v_add_co_ci_u32_e64 v2, null, s9, v16, vcc_lo
	s_or_b32 s8, s24, 1
	s_mov_b32 s9, s25
	s_wait_alu 0xfffe
	s_mul_u64 s[8:9], s[8:9], s[26:27]
	flat_load_b64 v[29:30], v[1:2]
	s_wait_alu 0xfffe
	s_lshl_b64 s[8:9], s[8:9], 1
	s_clause 0x3
	flat_load_u16 v48, v[19:20]
	flat_load_u16 v49, v[21:22]
	;; [unrolled: 1-line block ×4, first 2 shown]
	s_wait_alu 0xfffe
	v_add_co_u32 v1, vcc_lo, v15, s8
	s_wait_alu 0xfffd
	v_add_co_ci_u32_e64 v2, null, s9, v16, vcc_lo
	s_mul_u64 s[8:9], s[64:65], s[26:27]
	s_or_b32 s64, s24, 3
	s_wait_alu 0xfffe
	s_lshl_b64 s[8:9], s[8:9], 1
	s_mul_u64 s[64:65], s[64:65], s[26:27]
	s_wait_alu 0xfffe
	v_add_co_u32 v3, vcc_lo, v15, s8
	s_wait_alu 0xfffd
	v_add_co_ci_u32_e64 v4, null, s9, v16, vcc_lo
	s_lshl_b64 s[8:9], s[64:65], 1
	s_wait_dscnt 0x5
	s_wait_alu 0xfffe
	v_add_co_u32 v40, vcc_lo, v15, s8
	s_wait_alu 0xfffd
	v_add_co_ci_u32_e64 v41, null, s9, v16, vcc_lo
	s_clause 0x2
	flat_load_b64 v[42:43], v[1:2]
	flat_load_b64 v[44:45], v[3:4]
	;; [unrolled: 1-line block ×3, first 2 shown]
	s_wait_loadcnt_dscnt 0x707
	v_lshlrev_b32_e32 v40, 16, v29
	s_wait_loadcnt_dscnt 0x202
	v_lshlrev_b32_e32 v52, 16, v43
	v_and_b32_e32 v29, 0xffff0000, v29
	v_lshlrev_b32_e32 v4, 16, v51
	s_wait_loadcnt_dscnt 0x0
	v_and_b32_e32 v51, 0xffff0000, v46
	v_lshlrev_b32_e32 v3, 16, v50
	v_lshlrev_b32_e32 v2, 16, v49
	;; [unrolled: 1-line block ×3, first 2 shown]
	v_and_b32_e32 v50, 0xffff0000, v42
	v_lshlrev_b32_e32 v1, 16, v48
	v_lshlrev_b32_e32 v46, 16, v46
	v_and_b32_e32 v54, 0xffff0000, v43
	v_lshlrev_b32_e32 v53, 16, v45
	v_lshlrev_b32_e32 v48, 16, v30
	v_fma_f32 v42, v1, v41, 0
	s_delay_alu instid0(VALU_DEP_1) | instskip(SKIP_2) | instid1(VALU_DEP_2)
	v_dual_fmac_f32 v42, v2, v50 :: v_dual_and_b32 v45, 0xffff0000, v45
	v_fma_f32 v43, v1, v40, 0
	v_fma_f32 v40, v46, v1, 0
	v_dual_fmac_f32 v43, v2, v29 :: v_dual_lshlrev_b32 v46, 16, v47
	v_and_b32_e32 v29, 0xffff0000, v47
	s_delay_alu instid0(VALU_DEP_2) | instskip(SKIP_3) | instid1(VALU_DEP_4)
	v_dual_fmac_f32 v43, v3, v48 :: v_dual_fmac_f32 v40, v2, v51
	v_fmac_f32_e32 v42, v3, v52
	v_lshlrev_b32_e32 v49, 16, v44
	v_and_b32_e32 v44, 0xffff0000, v44
	v_fmac_f32_e32 v40, v46, v3
	s_delay_alu instid0(VALU_DEP_4) | instskip(NEXT) | instid1(VALU_DEP_4)
	v_fmac_f32_e32 v42, v4, v54
	v_fma_f32 v41, v1, v49, 0
	s_delay_alu instid0(VALU_DEP_1) | instskip(NEXT) | instid1(VALU_DEP_1)
	v_dual_fmac_f32 v40, v4, v29 :: v_dual_fmac_f32 v41, v2, v44
	v_dual_fmac_f32 v41, v3, v53 :: v_dual_and_b32 v30, 0xffff0000, v30
	s_delay_alu instid0(VALU_DEP_1) | instskip(NEXT) | instid1(VALU_DEP_2)
	v_fmac_f32_e32 v41, v4, v45
	v_fmac_f32_e32 v43, v4, v30
	s_and_not1_saveexec_b32 s11, s6
	s_cbranch_execz .LBB619_18
.LBB619_44:                             ;   in Loop: Header=BB619_16 Depth=2
	s_wait_dscnt 0x0
	v_dual_mov_b32 v40, 0 :: v_dual_mov_b32 v41, 0
	v_dual_mov_b32 v42, 0 :: v_dual_mov_b32 v43, 0
	s_and_saveexec_b32 s28, s2
	s_cbranch_execz .LBB619_61
; %bb.45:                               ;   in Loop: Header=BB619_16 Depth=2
	s_and_not1_b32 vcc_lo, exec_lo, s62
	s_wait_alu 0xfffe
	s_cbranch_vccnz .LBB619_48
; %bb.46:                               ;   in Loop: Header=BB619_16 Depth=2
	v_dual_mov_b32 v30, v20 :: v_dual_mov_b32 v29, v19
	s_mov_b64 s[8:9], 0
.LBB619_47:                             ;   Parent Loop BB619_3 Depth=1
                                        ;     Parent Loop BB619_16 Depth=2
                                        ; =>    This Inner Loop Header: Depth=3
	flat_load_u16 v40, v[29:30]
	s_wait_alu 0xfffe
	s_cmp_eq_u32 s8, 3
	v_add_co_u32 v29, vcc_lo, v29, s46
	s_wait_alu 0xfffd
	v_add_co_ci_u32_e64 v30, null, s47, v30, vcc_lo
	s_cselect_b32 vcc_lo, -1, 0
	s_cmp_eq_u32 s8, 2
	s_cselect_b32 s6, -1, 0
	s_cmp_eq_u32 s8, 1
	s_cselect_b32 s7, -1, 0
	s_cmp_eq_u32 s8, 0
	s_add_nc_u64 s[8:9], s[8:9], 1
	s_wait_loadcnt_dscnt 0x0
	v_lshlrev_b32_e32 v40, 16, v40
	s_wait_alu 0xfffe
	s_delay_alu instid0(VALU_DEP_1)
	v_cndmask_b32_e32 v4, v4, v40, vcc_lo
	s_cselect_b32 vcc_lo, -1, 0
	v_cndmask_b32_e64 v3, v3, v40, s6
	v_cndmask_b32_e64 v2, v2, v40, s7
	s_wait_alu 0xfffe
	v_cndmask_b32_e32 v1, v1, v40, vcc_lo
	s_cmp_eq_u32 s60, s8
	s_cbranch_scc0 .LBB619_47
.LBB619_48:                             ;   in Loop: Header=BB619_16 Depth=2
	s_and_not1_b32 vcc_lo, exec_lo, s62
	s_wait_alu 0xfffe
	s_cbranch_vccnz .LBB619_60
; %bb.49:                               ;   in Loop: Header=BB619_16 Depth=2
	v_dual_mov_b32 v43, 0 :: v_dual_mov_b32 v30, v28
	v_dual_mov_b32 v29, v27 :: v_dual_mov_b32 v42, 0
	;; [unrolled: 1-line block ×3, first 2 shown]
	s_mov_b64 s[8:9], 0
.LBB619_50:                             ;   Parent Loop BB619_3 Depth=1
                                        ;     Parent Loop BB619_16 Depth=2
                                        ; =>    This Inner Loop Header: Depth=3
	s_delay_alu instid0(VALU_DEP_2)
	v_add_co_u32 v44, vcc_lo, v29, s54
	s_wait_alu 0xfffd
	v_add_co_ci_u32_e64 v45, null, s55, v30, vcc_lo
	v_add_co_u32 v46, vcc_lo, v29, s52
	s_wait_alu 0xfffd
	v_add_co_ci_u32_e64 v47, null, s53, v30, vcc_lo
	;; [unrolled: 3-line block ×3, first 2 shown]
	s_clause 0x3
	flat_load_u16 v50, v[29:30]
	flat_load_u16 v44, v[44:45]
	;; [unrolled: 1-line block ×4, first 2 shown]
	s_wait_alu 0xfffe
	s_cmp_eq_u32 s8, 1
	v_add_co_u32 v29, s6, v29, 2
	s_cselect_b32 vcc_lo, -1, 0
	s_cmp_eq_u32 s8, 2
	s_wait_alu 0xfffe
	v_cndmask_b32_e32 v47, v1, v2, vcc_lo
	s_cselect_b32 vcc_lo, -1, 0
	s_cmp_eq_u32 s8, 3
	v_add_co_ci_u32_e64 v30, null, 0, v30, s6
	s_add_nc_u64 s[8:9], s[8:9], 1
	s_wait_loadcnt_dscnt 0x303
	v_lshlrev_b32_e32 v48, 16, v50
	s_wait_loadcnt_dscnt 0x202
	s_wait_alu 0xfffe
	v_dual_cndmask_b32 v47, v47, v3 :: v_dual_lshlrev_b32 v44, 16, v44
	s_cselect_b32 vcc_lo, -1, 0
	s_wait_loadcnt_dscnt 0x0
	v_lshlrev_b32_e32 v46, 16, v46
	s_cmp_lg_u32 s60, s8
	s_wait_alu 0xfffe
	v_cndmask_b32_e32 v47, v47, v4, vcc_lo
	s_delay_alu instid0(VALU_DEP_1) | instskip(SKIP_1) | instid1(VALU_DEP_2)
	v_dual_fmac_f32 v42, v47, v44 :: v_dual_lshlrev_b32 v45, 16, v45
	v_fmac_f32_e32 v43, v47, v48
	v_fmac_f32_e32 v41, v47, v45
	v_fmac_f32_e32 v40, v47, v46
	s_cbranch_scc1 .LBB619_50
	s_branch .LBB619_61
.LBB619_51:                             ;   in Loop: Header=BB619_16 Depth=2
	ds_load_b32 v29, v31
	s_wait_alu 0xfffe
	s_or_b32 exec_lo, exec_lo, s6
	s_and_saveexec_b32 s6, s3
	s_cbranch_execz .LBB619_24
.LBB619_52:                             ;   in Loop: Header=BB619_16 Depth=2
	s_wait_dscnt 0x0
	ds_bpermute_b32 v30, v37, v29
	s_wait_dscnt 0x0
	v_add_f32_e32 v29, v29, v30
	ds_bpermute_b32 v30, v38, v29
	s_wait_dscnt 0x0
	v_add_f32_e32 v29, v29, v30
	;; [unrolled: 3-line block ×3, first 2 shown]
	s_wait_alu 0xfffe
	s_or_b32 exec_lo, exec_lo, s6
	s_and_saveexec_b32 s6, s3
	s_cbranch_execnz .LBB619_25
	s_branch .LBB619_26
.LBB619_53:                             ;   in Loop: Header=BB619_16 Depth=2
	ds_load_b32 v30, v31
	s_wait_alu 0xfffe
	s_or_b32 exec_lo, exec_lo, s6
	s_and_saveexec_b32 s6, s3
	s_cbranch_execz .LBB619_30
.LBB619_54:                             ;   in Loop: Header=BB619_16 Depth=2
	s_wait_dscnt 0x0
	ds_bpermute_b32 v42, v37, v30
	s_wait_dscnt 0x0
	v_add_f32_e32 v30, v30, v42
	ds_bpermute_b32 v42, v38, v30
	s_wait_dscnt 0x0
	v_add_f32_e32 v30, v30, v42
	;; [unrolled: 3-line block ×3, first 2 shown]
	s_wait_alu 0xfffe
	s_or_b32 exec_lo, exec_lo, s6
	s_and_saveexec_b32 s6, s3
	s_cbranch_execnz .LBB619_31
	s_branch .LBB619_32
.LBB619_55:                             ;   in Loop: Header=BB619_16 Depth=2
	ds_load_b32 v41, v31
	s_wait_alu 0xfffe
	s_or_b32 exec_lo, exec_lo, s6
	s_and_saveexec_b32 s6, s3
	s_cbranch_execz .LBB619_36
.LBB619_56:                             ;   in Loop: Header=BB619_16 Depth=2
	s_wait_dscnt 0x0
	ds_bpermute_b32 v42, v37, v41
	s_wait_dscnt 0x0
	v_add_f32_e32 v41, v41, v42
	ds_bpermute_b32 v42, v38, v41
	s_wait_dscnt 0x0
	v_add_f32_e32 v41, v41, v42
	;; [unrolled: 3-line block ×3, first 2 shown]
	s_wait_alu 0xfffe
	s_or_b32 exec_lo, exec_lo, s6
	s_and_saveexec_b32 s6, s3
	s_cbranch_execnz .LBB619_37
	s_branch .LBB619_38
.LBB619_57:                             ;   in Loop: Header=BB619_16 Depth=2
	ds_load_b32 v40, v31
	s_wait_alu 0xfffe
	s_or_b32 exec_lo, exec_lo, s6
	s_and_saveexec_b32 s6, s3
	s_cbranch_execz .LBB619_42
.LBB619_58:                             ;   in Loop: Header=BB619_16 Depth=2
	s_wait_dscnt 0x0
	ds_bpermute_b32 v42, v37, v40
	s_wait_dscnt 0x0
	v_add_f32_e32 v40, v40, v42
	ds_bpermute_b32 v42, v38, v40
	s_wait_dscnt 0x0
	v_add_f32_e32 v40, v40, v42
	ds_bpermute_b32 v42, v39, v40
	s_wait_dscnt 0x0
	v_add_f32_e32 v40, v40, v42
	s_wait_alu 0xfffe
	s_or_b32 exec_lo, exec_lo, s6
	s_and_saveexec_b32 s6, s0
	s_cbranch_execz .LBB619_15
.LBB619_59:                             ;   in Loop: Header=BB619_16 Depth=2
	s_mul_u64 s[8:9], s[24:25], s[30:31]
	v_mul_f32_e32 v29, v35, v29
	s_or_b32 s64, s24, 1
	s_mov_b32 s65, s25
	s_wait_alu 0xfffe
	s_lshl_b64 s[8:9], s[8:9], 2
	s_mul_u64 s[64:65], s[64:65], s[30:31]
	s_wait_alu 0xfffe
	s_add_nc_u64 s[8:9], s[56:57], s[8:9]
	v_mul_f32_e32 v30, v35, v30
	s_or_b32 s66, s24, 2
	s_mov_b32 s67, s25
	global_store_b32 v0, v29, s[8:9]
	s_lshl_b64 s[8:9], s[64:65], 2
	s_mul_u64 s[64:65], s[66:67], s[30:31]
	s_or_b32 s66, s24, 3
	s_wait_alu 0xfffe
	s_add_nc_u64 s[8:9], s[56:57], s[8:9]
	s_mul_u64 s[66:67], s[66:67], s[30:31]
	v_mul_f32_e32 v29, v35, v41
	global_store_b32 v0, v30, s[8:9]
	s_lshl_b64 s[8:9], s[64:65], 2
	s_wait_dscnt 0x0
	v_mul_f32_e32 v30, v35, v40
	s_lshl_b64 s[64:65], s[66:67], 2
	s_wait_alu 0xfffe
	s_add_nc_u64 s[8:9], s[56:57], s[8:9]
	s_add_nc_u64 s[64:65], s[56:57], s[64:65]
	s_clause 0x1
	global_store_b32 v0, v29, s[8:9]
	global_store_b32 v0, v30, s[64:65]
	s_branch .LBB619_15
.LBB619_60:                             ;   in Loop: Header=BB619_16 Depth=2
	v_dual_mov_b32 v40, 0 :: v_dual_mov_b32 v41, 0
	v_dual_mov_b32 v42, 0 :: v_dual_mov_b32 v43, 0
.LBB619_61:                             ;   in Loop: Header=BB619_16 Depth=2
	s_wait_alu 0xfffe
	s_or_b32 exec_lo, exec_lo, s28
	s_delay_alu instid0(SALU_CYCLE_1)
	s_or_b32 exec_lo, exec_lo, s11
	s_and_saveexec_b32 s6, s3
	s_cbranch_execnz .LBB619_19
	s_branch .LBB619_20
.LBB619_62:                             ;   in Loop: Header=BB619_3 Depth=1
	v_mov_b32_e32 v3, v0
	v_dual_mov_b32 v1, v0 :: v_dual_mov_b32 v2, v0
	s_mov_b32 s24, 0
	s_delay_alu instid0(VALU_DEP_2) | instskip(NEXT) | instid1(VALU_DEP_2)
	v_mov_b32_e32 v4, v3
	v_mov_b32_e32 v3, v2
	s_delay_alu instid0(VALU_DEP_3)
	v_mov_b32_e32 v2, v1
	v_mov_b32_e32 v1, v0
.LBB619_63:                             ;   in Loop: Header=BB619_3 Depth=1
	s_wait_alu 0xfffe
	s_cmp_ge_i32 s24, s29
	s_cbranch_scc1 .LBB619_2
; %bb.64:                               ;   in Loop: Header=BB619_3 Depth=1
	v_cmp_gt_u32_e32 vcc_lo, 24, v33
	s_wait_alu 0xfffd
	v_cndmask_b32_e64 v19, 0, 8, vcc_lo
	v_cmp_gt_u32_e32 vcc_lo, 28, v33
	s_delay_alu instid0(VALU_DEP_2) | instskip(SKIP_4) | instid1(VALU_DEP_3)
	v_add_lshl_u32 v29, v19, v33, 2
	s_wait_alu 0xfffd
	v_cndmask_b32_e64 v21, 0, 4, vcc_lo
	v_cmp_gt_u32_e32 vcc_lo, 30, v33
	v_mad_co_u64_u32 v[19:20], null, s54, s24, v[15:16]
	v_add_lshl_u32 v30, v21, v33, 2
	s_wait_alu 0xfffd
	v_cndmask_b32_e64 v22, 0, 2, vcc_lo
	v_cmp_ne_u32_e32 vcc_lo, 31, v33
	s_delay_alu instid0(VALU_DEP_2)
	v_add_lshl_u32 v36, v22, v33, 2
	s_wait_alu 0xfffd
	v_add_co_ci_u32_e64 v23, null, 0, v33, vcc_lo
	v_add_co_u32 v21, vcc_lo, v17, v5
	s_wait_alu 0xfffd
	v_add_co_ci_u32_e64 v22, null, v18, v6, vcc_lo
	s_wait_dscnt 0x0
	s_delay_alu instid0(VALU_DEP_2)
	v_mad_co_u64_u32 v[27:28], null, s55, s24, v[20:21]
	v_lshlrev_b32_e32 v37, 2, v23
	v_add_co_u32 v23, vcc_lo, v17, v9
	s_wait_alu 0xfffd
	v_add_co_ci_u32_e64 v24, null, v18, v10, vcc_lo
	v_add_co_u32 v25, vcc_lo, v17, v11
	s_wait_alu 0xfffd
	v_add_co_ci_u32_e64 v26, null, v18, v12, vcc_lo
	v_add_co_u32 v17, vcc_lo, v17, v13
	s_wait_alu 0xfffd
	v_add_co_ci_u32_e64 v18, null, v18, v14, vcc_lo
	v_mov_b32_e32 v20, v27
	s_branch .LBB619_66
.LBB619_65:                             ;   in Loop: Header=BB619_66 Depth=2
	s_wait_alu 0xfffe
	s_or_b32 exec_lo, exec_lo, s6
	v_add_co_u32 v19, vcc_lo, v19, s54
	s_wait_alu 0xfffd
	v_add_co_ci_u32_e64 v20, null, s55, v20, vcc_lo
	s_add_co_i32 s24, s24, 1
	s_wait_alu 0xfffe
	s_cmp_ge_i32 s24, s29
	s_cbranch_scc1 .LBB619_2
.LBB619_66:                             ;   Parent Loop BB619_3 Depth=1
                                        ; =>  This Loop Header: Depth=2
                                        ;       Child Loop BB619_79 Depth 3
                                        ;       Child Loop BB619_82 Depth 3
	v_mov_b32_e32 v38, s25
	s_and_saveexec_b32 s6, s1
	s_wait_alu 0xfffe
	s_xor_b32 s6, exec_lo, s6
	s_cbranch_execnz .LBB619_75
; %bb.67:                               ;   in Loop: Header=BB619_66 Depth=2
	s_wait_alu 0xfffe
	s_and_not1_saveexec_b32 s11, s6
	s_cbranch_execnz .LBB619_76
.LBB619_68:                             ;   in Loop: Header=BB619_66 Depth=2
	s_or_b32 exec_lo, exec_lo, s11
	s_and_saveexec_b32 s6, s3
.LBB619_69:                             ;   in Loop: Header=BB619_66 Depth=2
	ds_store_b32 v31, v0
.LBB619_70:                             ;   in Loop: Header=BB619_66 Depth=2
	s_wait_alu 0xfffe
	s_or_b32 exec_lo, exec_lo, s6
	s_wait_dscnt 0x0
	ds_bpermute_b32 v27, v34, v38
	s_wait_storecnt 0x0
	s_wait_loadcnt_dscnt 0x0
	s_barrier_signal -1
	s_barrier_wait -1
	global_inv scope:SCOPE_SE
	v_add_f32_e32 v27, v38, v27
	ds_bpermute_b32 v28, v29, v27
	s_wait_dscnt 0x0
	v_add_f32_e32 v27, v27, v28
	ds_bpermute_b32 v28, v30, v27
	s_wait_dscnt 0x0
	;; [unrolled: 3-line block ×3, first 2 shown]
	v_add_f32_e32 v27, v27, v28
	ds_bpermute_b32 v28, v37, v27
	s_and_saveexec_b32 s6, s4
	s_cbranch_execz .LBB619_72
; %bb.71:                               ;   in Loop: Header=BB619_66 Depth=2
	s_wait_dscnt 0x0
	v_add_f32_e32 v27, v27, v28
	ds_store_b32 v32, v27
.LBB619_72:                             ;   in Loop: Header=BB619_66 Depth=2
	s_wait_alu 0xfffe
	s_or_b32 exec_lo, exec_lo, s6
	v_mov_b32_e32 v27, 0
	s_wait_loadcnt_dscnt 0x0
	s_barrier_signal -1
	s_barrier_wait -1
	global_inv scope:SCOPE_SE
	s_and_saveexec_b32 s6, s5
	s_cbranch_execnz .LBB619_84
; %bb.73:                               ;   in Loop: Header=BB619_66 Depth=2
	s_wait_alu 0xfffe
	s_or_b32 exec_lo, exec_lo, s6
	s_and_saveexec_b32 s6, s3
	s_cbranch_execnz .LBB619_85
.LBB619_74:                             ;   in Loop: Header=BB619_66 Depth=2
	s_wait_alu 0xfffe
	s_or_b32 exec_lo, exec_lo, s6
	s_and_saveexec_b32 s6, s0
	s_cbranch_execz .LBB619_65
	s_branch .LBB619_86
.LBB619_75:                             ;   in Loop: Header=BB619_66 Depth=2
	s_mul_u64 s[8:9], s[24:25], s[26:27]
	s_wait_alu 0xfffe
	s_lshl_b64 s[8:9], s[8:9], 1
	s_wait_alu 0xfffe
	v_add_co_u32 v1, vcc_lo, v15, s8
	s_wait_alu 0xfffd
	v_add_co_ci_u32_e64 v2, null, s9, v16, vcc_lo
	flat_load_u16 v3, v[21:22]
	s_wait_dscnt 0x1
	flat_load_b64 v[27:28], v[1:2]
	s_clause 0x2
	flat_load_u16 v2, v[23:24]
	flat_load_u16 v4, v[25:26]
	;; [unrolled: 1-line block ×3, first 2 shown]
	s_wait_loadcnt_dscnt 0x404
	v_lshlrev_b32_e32 v1, 16, v3
	s_wait_loadcnt_dscnt 0x303
	v_lshlrev_b32_e32 v3, 16, v27
	;; [unrolled: 2-line block ×3, first 2 shown]
	v_and_b32_e32 v27, 0xffff0000, v27
	s_delay_alu instid0(VALU_DEP_3)
	v_fma_f32 v38, v1, v3, 0
	s_wait_loadcnt_dscnt 0x101
	v_lshlrev_b32_e32 v3, 16, v4
	s_wait_loadcnt_dscnt 0x0
	v_lshlrev_b32_e32 v4, 16, v39
	v_dual_fmac_f32 v38, v2, v27 :: v_dual_lshlrev_b32 v27, 16, v28
	v_and_b32_e32 v28, 0xffff0000, v28
	s_delay_alu instid0(VALU_DEP_2) | instskip(NEXT) | instid1(VALU_DEP_1)
	v_fmac_f32_e32 v38, v3, v27
	v_fmac_f32_e32 v38, v4, v28
	s_and_not1_saveexec_b32 s11, s6
	s_cbranch_execz .LBB619_68
.LBB619_76:                             ;   in Loop: Header=BB619_66 Depth=2
	s_and_saveexec_b32 s28, s2
	s_cbranch_execz .LBB619_83
; %bb.77:                               ;   in Loop: Header=BB619_66 Depth=2
	s_and_not1_b32 vcc_lo, exec_lo, s62
	s_wait_alu 0xfffe
	s_cbranch_vccnz .LBB619_80
; %bb.78:                               ;   in Loop: Header=BB619_66 Depth=2
	s_wait_dscnt 0x0
	v_dual_mov_b32 v28, v22 :: v_dual_mov_b32 v27, v21
	s_mov_b64 s[8:9], 0
.LBB619_79:                             ;   Parent Loop BB619_3 Depth=1
                                        ;     Parent Loop BB619_66 Depth=2
                                        ; =>    This Inner Loop Header: Depth=3
	flat_load_u16 v39, v[27:28]
	s_wait_alu 0xfffe
	s_cmp_eq_u32 s8, 3
	v_add_co_u32 v27, vcc_lo, v27, s46
	s_wait_alu 0xfffd
	v_add_co_ci_u32_e64 v28, null, s47, v28, vcc_lo
	s_cselect_b32 vcc_lo, -1, 0
	s_cmp_eq_u32 s8, 2
	s_cselect_b32 s6, -1, 0
	s_cmp_eq_u32 s8, 1
	s_cselect_b32 s7, -1, 0
	s_cmp_eq_u32 s8, 0
	s_add_nc_u64 s[8:9], s[8:9], 1
	s_wait_loadcnt_dscnt 0x0
	v_lshlrev_b32_e32 v39, 16, v39
	s_wait_alu 0xfffe
	s_delay_alu instid0(VALU_DEP_1)
	v_cndmask_b32_e32 v4, v4, v39, vcc_lo
	s_cselect_b32 vcc_lo, -1, 0
	v_cndmask_b32_e64 v3, v3, v39, s6
	v_cndmask_b32_e64 v2, v2, v39, s7
	s_wait_alu 0xfffe
	v_cndmask_b32_e32 v1, v1, v39, vcc_lo
	s_cmp_eq_u32 s60, s8
	s_cbranch_scc0 .LBB619_79
.LBB619_80:                             ;   in Loop: Header=BB619_66 Depth=2
	s_and_not1_b32 vcc_lo, exec_lo, s62
	s_wait_alu 0xfffe
	s_cbranch_vccnz .LBB619_83
; %bb.81:                               ;   in Loop: Header=BB619_66 Depth=2
	s_wait_dscnt 0x0
	v_dual_mov_b32 v28, v20 :: v_dual_mov_b32 v27, v19
	s_mov_b64 s[6:7], 0
.LBB619_82:                             ;   Parent Loop BB619_3 Depth=1
                                        ;     Parent Loop BB619_66 Depth=2
                                        ; =>    This Inner Loop Header: Depth=3
	flat_load_u16 v39, v[27:28]
	s_wait_alu 0xfffe
	s_cmp_eq_u32 s6, 1
	s_cselect_b32 vcc_lo, -1, 0
	s_cmp_eq_u32 s6, 2
	s_wait_dscnt 0x1
	s_wait_alu 0xfffe
	v_cndmask_b32_e32 v40, v1, v2, vcc_lo
	s_cselect_b32 vcc_lo, -1, 0
	s_cmp_eq_u32 s6, 3
	s_add_nc_u64 s[6:7], s[6:7], 1
	s_wait_loadcnt_dscnt 0x0
	v_lshlrev_b32_e32 v39, 16, v39
	s_wait_alu 0xfffe
	v_cndmask_b32_e32 v40, v40, v3, vcc_lo
	s_cselect_b32 vcc_lo, -1, 0
	s_cmp_lg_u32 s60, s6
	s_wait_alu 0xfffe
	s_delay_alu instid0(VALU_DEP_1) | instskip(SKIP_3) | instid1(VALU_DEP_3)
	v_cndmask_b32_e32 v40, v40, v4, vcc_lo
	v_add_co_u32 v27, vcc_lo, v27, 2
	s_wait_alu 0xfffd
	v_add_co_ci_u32_e64 v28, null, 0, v28, vcc_lo
	v_fmac_f32_e32 v38, v40, v39
	s_cbranch_scc1 .LBB619_82
.LBB619_83:                             ;   in Loop: Header=BB619_66 Depth=2
	s_wait_alu 0xfffe
	s_or_b32 exec_lo, exec_lo, s28
	s_delay_alu instid0(SALU_CYCLE_1)
	s_or_b32 exec_lo, exec_lo, s11
	s_and_saveexec_b32 s6, s3
	s_cbranch_execnz .LBB619_69
	s_branch .LBB619_70
.LBB619_84:                             ;   in Loop: Header=BB619_66 Depth=2
	ds_load_b32 v27, v31
	s_wait_alu 0xfffe
	s_or_b32 exec_lo, exec_lo, s6
	s_and_saveexec_b32 s6, s3
	s_cbranch_execz .LBB619_74
.LBB619_85:                             ;   in Loop: Header=BB619_66 Depth=2
	s_wait_dscnt 0x0
	ds_bpermute_b32 v28, v30, v27
	s_wait_dscnt 0x0
	v_add_f32_e32 v27, v27, v28
	ds_bpermute_b32 v28, v36, v27
	s_wait_dscnt 0x0
	v_add_f32_e32 v27, v27, v28
	;; [unrolled: 3-line block ×3, first 2 shown]
	s_wait_alu 0xfffe
	s_or_b32 exec_lo, exec_lo, s6
	s_and_saveexec_b32 s6, s0
	s_cbranch_execz .LBB619_65
.LBB619_86:                             ;   in Loop: Header=BB619_66 Depth=2
	s_mul_u64 s[8:9], s[24:25], s[30:31]
	s_wait_dscnt 0x0
	v_mul_f32_e32 v27, v35, v27
	s_wait_alu 0xfffe
	s_lshl_b64 s[8:9], s[8:9], 2
	s_wait_alu 0xfffe
	s_add_nc_u64 s[8:9], s[56:57], s[8:9]
	global_store_b32 v0, v27, s[8:9]
	s_branch .LBB619_65
.LBB619_87:
	s_endpgm
	.section	.rodata,"a",@progbits
	.p2align	6, 0x0
	.amdhsa_kernel _ZL23rocblas_gemvt_sn_kernelILb1ELi256ELi4ElPK16rocblas_bfloat16PKffEviiT4_lPKT3_lilS8_lilPT5_i
		.amdhsa_group_segment_fixed_size 128
		.amdhsa_private_segment_fixed_size 0
		.amdhsa_kernarg_size 360
		.amdhsa_user_sgpr_count 2
		.amdhsa_user_sgpr_dispatch_ptr 0
		.amdhsa_user_sgpr_queue_ptr 0
		.amdhsa_user_sgpr_kernarg_segment_ptr 1
		.amdhsa_user_sgpr_dispatch_id 0
		.amdhsa_user_sgpr_private_segment_size 0
		.amdhsa_wavefront_size32 1
		.amdhsa_uses_dynamic_stack 0
		.amdhsa_enable_private_segment 0
		.amdhsa_system_sgpr_workgroup_id_x 1
		.amdhsa_system_sgpr_workgroup_id_y 0
		.amdhsa_system_sgpr_workgroup_id_z 1
		.amdhsa_system_sgpr_workgroup_info 0
		.amdhsa_system_vgpr_workitem_id 0
		.amdhsa_next_free_vgpr 55
		.amdhsa_next_free_sgpr 68
		.amdhsa_reserve_vcc 1
		.amdhsa_float_round_mode_32 0
		.amdhsa_float_round_mode_16_64 0
		.amdhsa_float_denorm_mode_32 3
		.amdhsa_float_denorm_mode_16_64 3
		.amdhsa_fp16_overflow 0
		.amdhsa_workgroup_processor_mode 1
		.amdhsa_memory_ordered 1
		.amdhsa_forward_progress 1
		.amdhsa_inst_pref_size 37
		.amdhsa_round_robin_scheduling 0
		.amdhsa_exception_fp_ieee_invalid_op 0
		.amdhsa_exception_fp_denorm_src 0
		.amdhsa_exception_fp_ieee_div_zero 0
		.amdhsa_exception_fp_ieee_overflow 0
		.amdhsa_exception_fp_ieee_underflow 0
		.amdhsa_exception_fp_ieee_inexact 0
		.amdhsa_exception_int_div_zero 0
	.end_amdhsa_kernel
	.section	.text._ZL23rocblas_gemvt_sn_kernelILb1ELi256ELi4ElPK16rocblas_bfloat16PKffEviiT4_lPKT3_lilS8_lilPT5_i,"axG",@progbits,_ZL23rocblas_gemvt_sn_kernelILb1ELi256ELi4ElPK16rocblas_bfloat16PKffEviiT4_lPKT3_lilS8_lilPT5_i,comdat
.Lfunc_end619:
	.size	_ZL23rocblas_gemvt_sn_kernelILb1ELi256ELi4ElPK16rocblas_bfloat16PKffEviiT4_lPKT3_lilS8_lilPT5_i, .Lfunc_end619-_ZL23rocblas_gemvt_sn_kernelILb1ELi256ELi4ElPK16rocblas_bfloat16PKffEviiT4_lPKT3_lilS8_lilPT5_i
                                        ; -- End function
	.set _ZL23rocblas_gemvt_sn_kernelILb1ELi256ELi4ElPK16rocblas_bfloat16PKffEviiT4_lPKT3_lilS8_lilPT5_i.num_vgpr, 55
	.set _ZL23rocblas_gemvt_sn_kernelILb1ELi256ELi4ElPK16rocblas_bfloat16PKffEviiT4_lPKT3_lilS8_lilPT5_i.num_agpr, 0
	.set _ZL23rocblas_gemvt_sn_kernelILb1ELi256ELi4ElPK16rocblas_bfloat16PKffEviiT4_lPKT3_lilS8_lilPT5_i.numbered_sgpr, 68
	.set _ZL23rocblas_gemvt_sn_kernelILb1ELi256ELi4ElPK16rocblas_bfloat16PKffEviiT4_lPKT3_lilS8_lilPT5_i.num_named_barrier, 0
	.set _ZL23rocblas_gemvt_sn_kernelILb1ELi256ELi4ElPK16rocblas_bfloat16PKffEviiT4_lPKT3_lilS8_lilPT5_i.private_seg_size, 0
	.set _ZL23rocblas_gemvt_sn_kernelILb1ELi256ELi4ElPK16rocblas_bfloat16PKffEviiT4_lPKT3_lilS8_lilPT5_i.uses_vcc, 1
	.set _ZL23rocblas_gemvt_sn_kernelILb1ELi256ELi4ElPK16rocblas_bfloat16PKffEviiT4_lPKT3_lilS8_lilPT5_i.uses_flat_scratch, 1
	.set _ZL23rocblas_gemvt_sn_kernelILb1ELi256ELi4ElPK16rocblas_bfloat16PKffEviiT4_lPKT3_lilS8_lilPT5_i.has_dyn_sized_stack, 0
	.set _ZL23rocblas_gemvt_sn_kernelILb1ELi256ELi4ElPK16rocblas_bfloat16PKffEviiT4_lPKT3_lilS8_lilPT5_i.has_recursion, 0
	.set _ZL23rocblas_gemvt_sn_kernelILb1ELi256ELi4ElPK16rocblas_bfloat16PKffEviiT4_lPKT3_lilS8_lilPT5_i.has_indirect_call, 0
	.section	.AMDGPU.csdata,"",@progbits
; Kernel info:
; codeLenInByte = 4700
; TotalNumSgprs: 70
; NumVgprs: 55
; ScratchSize: 0
; MemoryBound: 0
; FloatMode: 240
; IeeeMode: 1
; LDSByteSize: 128 bytes/workgroup (compile time only)
; SGPRBlocks: 0
; VGPRBlocks: 6
; NumSGPRsForWavesPerEU: 70
; NumVGPRsForWavesPerEU: 55
; Occupancy: 16
; WaveLimiterHint : 0
; COMPUTE_PGM_RSRC2:SCRATCH_EN: 0
; COMPUTE_PGM_RSRC2:USER_SGPR: 2
; COMPUTE_PGM_RSRC2:TRAP_HANDLER: 0
; COMPUTE_PGM_RSRC2:TGID_X_EN: 1
; COMPUTE_PGM_RSRC2:TGID_Y_EN: 0
; COMPUTE_PGM_RSRC2:TGID_Z_EN: 1
; COMPUTE_PGM_RSRC2:TIDIG_COMP_CNT: 0
	.section	.text._ZL23rocblas_gemvt_sn_kernelILb1ELi256ELi4EiPK16rocblas_bfloat16ffEviiT4_lPKT3_lilS6_lilPT5_i,"axG",@progbits,_ZL23rocblas_gemvt_sn_kernelILb1ELi256ELi4EiPK16rocblas_bfloat16ffEviiT4_lPKT3_lilS6_lilPT5_i,comdat
	.globl	_ZL23rocblas_gemvt_sn_kernelILb1ELi256ELi4EiPK16rocblas_bfloat16ffEviiT4_lPKT3_lilS6_lilPT5_i ; -- Begin function _ZL23rocblas_gemvt_sn_kernelILb1ELi256ELi4EiPK16rocblas_bfloat16ffEviiT4_lPKT3_lilS6_lilPT5_i
	.p2align	8
	.type	_ZL23rocblas_gemvt_sn_kernelILb1ELi256ELi4EiPK16rocblas_bfloat16ffEviiT4_lPKT3_lilS6_lilPT5_i,@function
_ZL23rocblas_gemvt_sn_kernelILb1ELi256ELi4EiPK16rocblas_bfloat16ffEviiT4_lPKT3_lilS6_lilPT5_i: ; @_ZL23rocblas_gemvt_sn_kernelILb1ELi256ELi4EiPK16rocblas_bfloat16ffEviiT4_lPKT3_lilS6_lilPT5_i
; %bb.0:
	s_load_b32 s23, s[0:1], 0x60
	s_lshr_b32 s10, ttmp7, 16
	s_wait_kmcnt 0x0
	s_cmp_ge_u32 s10, s23
	s_cbranch_scc1 .LBB620_89
; %bb.1:
	s_clause 0x6
	s_load_b96 s[20:22], s[0:1], 0x0
	s_load_b128 s[12:15], s[0:1], 0x18
	s_load_b32 s26, s[0:1], 0x28
	s_load_b128 s[16:19], s[0:1], 0x38
	s_load_b32 s33, s[0:1], 0x48
	s_load_b64 s[28:29], s[0:1], 0x58
	s_load_b32 s30, s[0:1], 0x68
	s_mov_b32 s35, 0
	v_cmp_eq_u32_e64 s0, 0, v0
	s_mov_b32 s31, s35
	v_and_b32_e32 v1, 31, v0
	v_cmp_gt_u32_e64 s1, 32, v0
	v_cmp_gt_u32_e64 s2, 8, v0
	v_lshrrev_b32_e32 v2, 3, v0
	v_mbcnt_lo_u32_b32 v31, -1, 0
	v_cmp_eq_u32_e64 s3, 0, v1
	v_lshlrev_b32_e32 v29, 2, v1
	s_mov_b32 s24, ttmp9
	v_and_b32_e32 v30, 28, v2
	s_mov_b32 s25, s35
	s_wait_kmcnt 0x0
	s_cmp_neq_f32 s22, 0
	s_mov_b32 s4, s21
	s_mov_b32 s27, s35
	;; [unrolled: 1-line block ×3, first 2 shown]
	s_cselect_b32 s58, -1, 0
	s_cmp_eq_f32 s22, 0
	s_cselect_b32 s59, -1, 0
	s_ashr_i32 s5, s21, 31
	s_cmp_gt_i32 s21, 0
	s_mul_u64 s[36:37], s[4:5], s[30:31]
	s_cselect_b32 s4, -1, 0
	s_lshl_b32 s6, ttmp9, 10
	s_lshr_b32 s5, s5, 30
	v_lshl_or_b32 v0, v0, 2, s6
	s_ashr_i32 s7, s20, 31
	s_and_b32 s60, s0, s4
	s_add_co_i32 s4, s21, s5
	s_wait_alu 0xfffe
	s_lshr_b32 s5, s7, 30
	v_mul_lo_u32 v5, s33, v0
	s_and_b32 s61, s4, -4
	s_add_co_i32 s4, s20, s5
	v_add_nc_u32_e32 v3, 4, v0
	s_and_b32 s4, s4, -4
	v_ashrrev_i32_e32 v1, 31, v0
	s_sub_co_i32 s62, s20, s4
	s_cmp_gt_i32 s61, 0
	v_add_nc_u32_e32 v2, s33, v5
	v_cmp_ge_i32_e64 s4, s20, v3
	v_ashrrev_i32_e32 v6, 31, v5
	v_add_nc_u32_e32 v4, s62, v0
	s_cselect_b32 s63, -1, 0
	v_add_nc_u32_e32 v13, s33, v2
	v_ashrrev_i32_e32 v3, 31, v2
	s_cmp_gt_i32 s62, 0
	v_lshlrev_b64_e32 v[7:8], 1, v[0:1]
	s_cselect_b32 s64, -1, 0
	v_add_nc_u32_e32 v15, s33, v13
	v_ashrrev_i32_e32 v14, 31, v13
	s_lshl_b32 s34, s26, 1
	v_lshlrev_b64_e32 v[9:10], 1, v[5:6]
	v_lshlrev_b64_e32 v[11:12], 1, v[2:3]
	v_ashrrev_i32_e32 v16, 31, v15
	v_lshlrev_b64_e32 v[13:14], 1, v[13:14]
	v_cmp_ge_i32_e64 s5, s20, v4
	v_mov_b32_e32 v0, 0
	v_lshl_or_b32 v6, v31, 2, 64
	v_lshlrev_b64_e32 v[15:16], 1, v[15:16]
	s_mov_b64 s[42:43], s[34:35]
	s_mul_i32 s34, s26, 3
	s_lshl_b64 s[38:39], s[30:31], 2
	s_lshl_b32 s40, s26, 2
	s_mov_b64 s[44:45], s[34:35]
	s_lshl_b64 s[14:15], s[14:15], 1
	s_lshl_b64 s[18:19], s[18:19], 1
	;; [unrolled: 1-line block ×3, first 2 shown]
	s_branch .LBB620_3
.LBB620_2:                              ;   in Loop: Header=BB620_3 Depth=1
	s_add_co_i32 s10, s10, 0x10000
	s_delay_alu instid0(SALU_CYCLE_1)
	s_cmp_lt_u32 s10, s23
	s_cbranch_scc0 .LBB620_89
.LBB620_3:                              ; =>This Loop Header: Depth=1
                                        ;     Child Loop BB620_12 Depth 2
                                        ;     Child Loop BB620_18 Depth 2
                                        ;       Child Loop BB620_49 Depth 3
                                        ;       Child Loop BB620_52 Depth 3
                                        ;     Child Loop BB620_68 Depth 2
                                        ;       Child Loop BB620_81 Depth 3
                                        ;       Child Loop BB620_84 Depth 3
	s_mov_b32 s11, s35
	s_and_not1_b32 vcc_lo, exec_lo, s59
	s_mov_b32 s6, -1
	s_wait_alu 0xfffe
	s_cbranch_vccnz .LBB620_5
; %bb.4:                                ;   in Loop: Header=BB620_3 Depth=1
	s_mov_b32 s6, 0
.LBB620_5:                              ;   in Loop: Header=BB620_3 Depth=1
	v_mov_b32_e32 v17, 0
	v_dual_mov_b32 v18, 0 :: v_dual_mov_b32 v1, 0
	v_mov_b32_e32 v2, 0
	s_wait_alu 0xfffe
	s_and_not1_b32 vcc_lo, exec_lo, s6
	s_wait_alu 0xfffe
	s_cbranch_vccnz .LBB620_7
; %bb.6:                                ;   in Loop: Header=BB620_3 Depth=1
	s_lshl_b64 s[6:7], s[10:11], 3
	s_wait_alu 0xfffe
	s_add_nc_u64 s[6:7], s[12:13], s[6:7]
	global_load_b64 v[1:2], v0, s[6:7]
	s_wait_loadcnt 0x0
	v_add_co_u32 v1, vcc_lo, v1, s14
	s_wait_alu 0xfffd
	v_add_co_ci_u32_e64 v2, null, s15, v2, vcc_lo
.LBB620_7:                              ;   in Loop: Header=BB620_3 Depth=1
	s_and_not1_b32 vcc_lo, exec_lo, s58
	s_wait_alu 0xfffe
	s_cbranch_vccnz .LBB620_9
; %bb.8:                                ;   in Loop: Header=BB620_3 Depth=1
	s_lshl_b64 s[6:7], s[10:11], 3
	s_wait_alu 0xfffe
	s_add_nc_u64 s[6:7], s[16:17], s[6:7]
	global_load_b64 v[3:4], v0, s[6:7]
	s_wait_loadcnt 0x0
	v_add_co_u32 v17, vcc_lo, v3, s18
	s_wait_alu 0xfffd
	v_add_co_ci_u32_e64 v18, null, s19, v4, vcc_lo
.LBB620_9:                              ;   in Loop: Header=BB620_3 Depth=1
	s_mul_u64 s[6:7], s[36:37], s[10:11]
	s_and_not1_b32 vcc_lo, exec_lo, s59
	s_wait_alu 0xfffe
	s_lshl_b64 s[6:7], s[6:7], 2
	s_wait_alu 0xfffe
	s_add_nc_u64 s[48:49], s[28:29], s[6:7]
	s_mov_b32 s6, -1
	s_cbranch_vccnz .LBB620_14
; %bb.10:                               ;   in Loop: Header=BB620_3 Depth=1
	s_and_saveexec_b32 s8, s60
	s_cbranch_execz .LBB620_13
; %bb.11:                               ;   in Loop: Header=BB620_3 Depth=1
	s_add_nc_u64 s[6:7], s[48:49], s[46:47]
	s_mov_b32 s9, s21
.LBB620_12:                             ;   Parent Loop BB620_3 Depth=1
                                        ; =>  This Inner Loop Header: Depth=2
	s_wait_alu 0xfffe
	s_add_co_i32 s9, s9, -1
	global_store_b32 v0, v0, s[6:7]
	s_wait_alu 0xfffe
	s_cmp_eq_u32 s9, 0
	s_add_nc_u64 s[6:7], s[6:7], s[38:39]
	s_cbranch_scc0 .LBB620_12
.LBB620_13:                             ;   in Loop: Header=BB620_3 Depth=1
	s_wait_alu 0xfffe
	s_or_b32 exec_lo, exec_lo, s8
	s_mov_b32 s6, 0
.LBB620_14:                             ;   in Loop: Header=BB620_3 Depth=1
	s_wait_alu 0xfffe
	s_and_not1_b32 vcc_lo, exec_lo, s6
	s_wait_alu 0xfffe
	s_cbranch_vccnz .LBB620_2
; %bb.15:                               ;   in Loop: Header=BB620_3 Depth=1
	v_add_co_u32 v32, vcc_lo, v1, v7
	s_wait_alu 0xfffd
	v_add_co_ci_u32_e64 v33, null, v2, v8, vcc_lo
	v_cmp_gt_u32_e64 s9, 24, v31
	v_cmp_gt_u32_e64 s8, 28, v31
	;; [unrolled: 1-line block ×3, first 2 shown]
	v_cmp_ne_u32_e64 s6, 31, v31
	s_and_not1_b32 vcc_lo, exec_lo, s63
	s_wait_alu 0xfffe
	s_cbranch_vccnz .LBB620_64
; %bb.16:                               ;   in Loop: Header=BB620_3 Depth=1
	v_cndmask_b32_e64 v3, 0, 2, s7
	v_add_co_u32 v19, vcc_lo, v17, v9
	v_cndmask_b32_e64 v1, 0, 8, s9
	v_cndmask_b32_e64 v2, 0, 4, s8
	v_add_co_ci_u32_e64 v4, null, 0, v31, s6
	v_add_lshl_u32 v36, v3, v31, 2
	s_wait_alu 0xfffd
	v_add_co_ci_u32_e64 v20, null, v18, v10, vcc_lo
	v_add_co_u32 v21, vcc_lo, v17, v11
	v_mov_b32_e32 v3, v0
	s_wait_alu 0xfffd
	v_add_co_ci_u32_e64 v22, null, v18, v12, vcc_lo
	v_add_co_u32 v23, vcc_lo, v17, v13
	v_add_lshl_u32 v34, v1, v31, 2
	v_add_lshl_u32 v35, v2, v31, 2
	v_dual_mov_b32 v2, v0 :: v_dual_lshlrev_b32 v37, 2, v4
	s_wait_alu 0xfffd
	v_add_co_ci_u32_e64 v24, null, v18, v14, vcc_lo
	v_mov_b32_e32 v1, v0
	v_add_co_u32 v25, vcc_lo, v17, v15
	v_mov_b32_e32 v4, v3
	s_wait_alu 0xfffd
	v_add_co_ci_u32_e64 v26, null, v18, v16, vcc_lo
	v_mov_b32_e32 v3, v2
	v_mov_b32_e32 v2, v1
	;; [unrolled: 1-line block ×3, first 2 shown]
	s_mov_b32 s8, 0
	s_mov_b64 s[50:51], s[44:45]
	s_mov_b64 s[52:53], s[42:43]
	;; [unrolled: 1-line block ×3, first 2 shown]
	s_mov_b32 s11, 0
	s_branch .LBB620_18
.LBB620_17:                             ;   in Loop: Header=BB620_18 Depth=2
	s_wait_alu 0xfffe
	s_or_b32 exec_lo, exec_lo, s6
	s_add_co_i32 s11, s11, 4
	s_add_co_i32 s8, s8, s40
	s_add_nc_u64 s[54:55], s[54:55], s[40:41]
	s_add_nc_u64 s[52:53], s[52:53], s[40:41]
	s_cmp_ge_i32 s11, s61
	s_add_nc_u64 s[50:51], s[50:51], s[40:41]
	s_cbranch_scc1 .LBB620_65
.LBB620_18:                             ;   Parent Loop BB620_3 Depth=1
                                        ; =>  This Loop Header: Depth=2
                                        ;       Child Loop BB620_49 Depth 3
                                        ;       Child Loop BB620_52 Depth 3
                                        ; implicit-def: $vgpr38
                                        ; implicit-def: $vgpr39
                                        ; implicit-def: $vgpr40
                                        ; implicit-def: $vgpr41
	s_and_saveexec_b32 s6, s4
	s_wait_alu 0xfffe
	s_xor_b32 s6, exec_lo, s6
	s_cbranch_execnz .LBB620_45
; %bb.19:                               ;   in Loop: Header=BB620_18 Depth=2
	s_wait_alu 0xfffe
	s_and_not1_saveexec_b32 s20, s6
	s_cbranch_execnz .LBB620_46
.LBB620_20:                             ;   in Loop: Header=BB620_18 Depth=2
	s_wait_alu 0xfffe
	s_or_b32 exec_lo, exec_lo, s20
	s_and_saveexec_b32 s6, s1
.LBB620_21:                             ;   in Loop: Header=BB620_18 Depth=2
	ds_store_b32 v29, v0
.LBB620_22:                             ;   in Loop: Header=BB620_18 Depth=2
	s_wait_alu 0xfffe
	s_or_b32 exec_lo, exec_lo, s6
	s_wait_dscnt 0x0
	ds_bpermute_b32 v27, v6, v41
	s_wait_storecnt_dscnt 0x0
	s_barrier_signal -1
	s_barrier_wait -1
	global_inv scope:SCOPE_SE
	v_add_f32_e32 v27, v41, v27
	ds_bpermute_b32 v28, v34, v27
	s_wait_dscnt 0x0
	v_add_f32_e32 v27, v27, v28
	ds_bpermute_b32 v28, v35, v27
	s_wait_dscnt 0x0
	v_add_f32_e32 v27, v27, v28
	ds_bpermute_b32 v28, v36, v27
	s_wait_dscnt 0x0
	v_add_f32_e32 v27, v27, v28
	ds_bpermute_b32 v28, v37, v27
	s_and_saveexec_b32 s6, s3
	s_cbranch_execz .LBB620_24
; %bb.23:                               ;   in Loop: Header=BB620_18 Depth=2
	s_wait_dscnt 0x0
	v_add_f32_e32 v27, v27, v28
	ds_store_b32 v30, v27
.LBB620_24:                             ;   in Loop: Header=BB620_18 Depth=2
	s_wait_alu 0xfffe
	s_or_b32 exec_lo, exec_lo, s6
	v_mov_b32_e32 v27, 0
	s_wait_loadcnt_dscnt 0x0
	s_barrier_signal -1
	s_barrier_wait -1
	global_inv scope:SCOPE_SE
	s_and_saveexec_b32 s6, s2
	s_cbranch_execnz .LBB620_53
; %bb.25:                               ;   in Loop: Header=BB620_18 Depth=2
	s_wait_alu 0xfffe
	s_or_b32 exec_lo, exec_lo, s6
	s_and_saveexec_b32 s6, s1
	s_cbranch_execnz .LBB620_54
.LBB620_26:                             ;   in Loop: Header=BB620_18 Depth=2
	s_wait_alu 0xfffe
	s_or_b32 exec_lo, exec_lo, s6
	s_and_saveexec_b32 s6, s1
.LBB620_27:                             ;   in Loop: Header=BB620_18 Depth=2
	ds_store_b32 v29, v0
.LBB620_28:                             ;   in Loop: Header=BB620_18 Depth=2
	s_wait_alu 0xfffe
	s_or_b32 exec_lo, exec_lo, s6
	ds_bpermute_b32 v28, v6, v40
	s_wait_loadcnt_dscnt 0x0
	s_barrier_signal -1
	s_barrier_wait -1
	global_inv scope:SCOPE_SE
	v_add_f32_e32 v28, v40, v28
	ds_bpermute_b32 v40, v34, v28
	s_wait_dscnt 0x0
	v_add_f32_e32 v28, v28, v40
	ds_bpermute_b32 v40, v35, v28
	s_wait_dscnt 0x0
	;; [unrolled: 3-line block ×3, first 2 shown]
	v_add_f32_e32 v28, v28, v40
	ds_bpermute_b32 v40, v37, v28
	s_and_saveexec_b32 s6, s3
	s_cbranch_execz .LBB620_30
; %bb.29:                               ;   in Loop: Header=BB620_18 Depth=2
	s_wait_dscnt 0x0
	v_add_f32_e32 v28, v28, v40
	ds_store_b32 v30, v28
.LBB620_30:                             ;   in Loop: Header=BB620_18 Depth=2
	s_wait_alu 0xfffe
	s_or_b32 exec_lo, exec_lo, s6
	v_mov_b32_e32 v28, 0
	s_wait_loadcnt_dscnt 0x0
	s_barrier_signal -1
	s_barrier_wait -1
	global_inv scope:SCOPE_SE
	s_and_saveexec_b32 s6, s2
	s_cbranch_execnz .LBB620_55
; %bb.31:                               ;   in Loop: Header=BB620_18 Depth=2
	s_wait_alu 0xfffe
	s_or_b32 exec_lo, exec_lo, s6
	s_and_saveexec_b32 s6, s1
	s_cbranch_execnz .LBB620_56
.LBB620_32:                             ;   in Loop: Header=BB620_18 Depth=2
	s_wait_alu 0xfffe
	s_or_b32 exec_lo, exec_lo, s6
	s_and_saveexec_b32 s6, s1
.LBB620_33:                             ;   in Loop: Header=BB620_18 Depth=2
	ds_store_b32 v29, v0
.LBB620_34:                             ;   in Loop: Header=BB620_18 Depth=2
	s_wait_alu 0xfffe
	s_or_b32 exec_lo, exec_lo, s6
	ds_bpermute_b32 v40, v6, v39
	s_wait_loadcnt_dscnt 0x0
	s_barrier_signal -1
	s_barrier_wait -1
	global_inv scope:SCOPE_SE
	v_add_f32_e32 v39, v39, v40
	ds_bpermute_b32 v40, v34, v39
	s_wait_dscnt 0x0
	v_add_f32_e32 v39, v39, v40
	ds_bpermute_b32 v40, v35, v39
	s_wait_dscnt 0x0
	;; [unrolled: 3-line block ×3, first 2 shown]
	v_add_f32_e32 v39, v39, v40
	ds_bpermute_b32 v40, v37, v39
	s_and_saveexec_b32 s6, s3
	s_cbranch_execz .LBB620_36
; %bb.35:                               ;   in Loop: Header=BB620_18 Depth=2
	s_wait_dscnt 0x0
	v_add_f32_e32 v39, v39, v40
	ds_store_b32 v30, v39
.LBB620_36:                             ;   in Loop: Header=BB620_18 Depth=2
	s_wait_alu 0xfffe
	s_or_b32 exec_lo, exec_lo, s6
	v_mov_b32_e32 v39, 0
	s_wait_loadcnt_dscnt 0x0
	s_barrier_signal -1
	s_barrier_wait -1
	global_inv scope:SCOPE_SE
	s_and_saveexec_b32 s6, s2
	s_cbranch_execnz .LBB620_57
; %bb.37:                               ;   in Loop: Header=BB620_18 Depth=2
	s_wait_alu 0xfffe
	s_or_b32 exec_lo, exec_lo, s6
	s_and_saveexec_b32 s6, s1
	s_cbranch_execnz .LBB620_58
.LBB620_38:                             ;   in Loop: Header=BB620_18 Depth=2
	s_wait_alu 0xfffe
	s_or_b32 exec_lo, exec_lo, s6
	s_and_saveexec_b32 s6, s1
.LBB620_39:                             ;   in Loop: Header=BB620_18 Depth=2
	ds_store_b32 v29, v0
.LBB620_40:                             ;   in Loop: Header=BB620_18 Depth=2
	s_wait_alu 0xfffe
	s_or_b32 exec_lo, exec_lo, s6
	ds_bpermute_b32 v40, v6, v38
	s_wait_loadcnt_dscnt 0x0
	s_barrier_signal -1
	s_barrier_wait -1
	global_inv scope:SCOPE_SE
	v_add_f32_e32 v38, v38, v40
	ds_bpermute_b32 v40, v34, v38
	s_wait_dscnt 0x0
	v_add_f32_e32 v38, v38, v40
	ds_bpermute_b32 v40, v35, v38
	s_wait_dscnt 0x0
	;; [unrolled: 3-line block ×3, first 2 shown]
	v_add_f32_e32 v38, v38, v40
	ds_bpermute_b32 v40, v37, v38
	s_and_saveexec_b32 s6, s3
	s_cbranch_execz .LBB620_42
; %bb.41:                               ;   in Loop: Header=BB620_18 Depth=2
	s_wait_dscnt 0x0
	v_add_f32_e32 v38, v38, v40
	ds_store_b32 v30, v38
.LBB620_42:                             ;   in Loop: Header=BB620_18 Depth=2
	s_wait_alu 0xfffe
	s_or_b32 exec_lo, exec_lo, s6
	v_mov_b32_e32 v38, 0
	s_wait_loadcnt_dscnt 0x0
	s_barrier_signal -1
	s_barrier_wait -1
	global_inv scope:SCOPE_SE
	s_and_saveexec_b32 s6, s2
	s_cbranch_execnz .LBB620_59
; %bb.43:                               ;   in Loop: Header=BB620_18 Depth=2
	s_wait_alu 0xfffe
	s_or_b32 exec_lo, exec_lo, s6
	s_and_saveexec_b32 s6, s1
	s_cbranch_execnz .LBB620_60
.LBB620_44:                             ;   in Loop: Header=BB620_18 Depth=2
	s_wait_alu 0xfffe
	s_or_b32 exec_lo, exec_lo, s6
	s_and_saveexec_b32 s6, s0
	s_cbranch_execz .LBB620_17
	s_branch .LBB620_61
.LBB620_45:                             ;   in Loop: Header=BB620_18 Depth=2
	s_mul_i32 s56, s11, s26
	s_wait_alu 0xfffe
	s_ashr_i32 s57, s56, 31
	s_add_co_i32 s66, s56, s26
	s_wait_alu 0xfffe
	s_lshl_b64 s[56:57], s[56:57], 1
	s_ashr_i32 s67, s66, 31
	s_wait_alu 0xfffe
	v_add_co_u32 v1, vcc_lo, v32, s56
	s_wait_alu 0xfffd
	v_add_co_ci_u32_e64 v2, null, s57, v33, vcc_lo
	s_lshl_b64 s[56:57], s[66:67], 1
	s_wait_alu 0xfffe
	v_add_co_u32 v3, vcc_lo, v32, s56
	s_add_co_i32 s56, s66, s26
	s_wait_alu 0xfffd
	v_add_co_ci_u32_e64 v4, null, s57, v33, vcc_lo
	s_wait_alu 0xfffe
	s_ashr_i32 s57, s56, 31
	s_add_co_i32 s66, s56, s26
	s_wait_alu 0xfffe
	s_lshl_b64 s[56:57], s[56:57], 1
	s_wait_dscnt 0x0
	s_clause 0x1
	flat_load_b64 v[27:28], v[1:2]
	flat_load_b64 v[38:39], v[3:4]
	s_ashr_i32 s67, s66, 31
	s_wait_alu 0xfffe
	v_add_co_u32 v1, vcc_lo, v32, s56
	s_wait_alu 0xfffd
	v_add_co_ci_u32_e64 v2, null, s57, v33, vcc_lo
	s_lshl_b64 s[56:57], s[66:67], 1
	s_clause 0x2
	flat_load_u16 v44, v[19:20]
	flat_load_u16 v45, v[21:22]
	;; [unrolled: 1-line block ×3, first 2 shown]
	s_wait_alu 0xfffe
	v_add_co_u32 v3, vcc_lo, v32, s56
	s_wait_alu 0xfffd
	v_add_co_ci_u32_e64 v4, null, s57, v33, vcc_lo
	s_clause 0x1
	flat_load_b64 v[40:41], v[1:2]
	flat_load_b64 v[42:43], v[3:4]
	flat_load_u16 v4, v[25:26]
	s_wait_loadcnt_dscnt 0x202
	v_lshlrev_b32_e32 v51, 16, v41
	v_and_b32_e32 v50, 0xffff0000, v40
	s_wait_loadcnt_dscnt 0x0
	v_lshlrev_b32_e32 v4, 16, v4
	v_lshlrev_b32_e32 v48, 16, v39
	v_and_b32_e32 v49, 0xffff0000, v39
	v_lshlrev_b32_e32 v3, 16, v46
	v_lshlrev_b32_e32 v2, 16, v45
	;; [unrolled: 1-line block ×3, first 2 shown]
	v_and_b32_e32 v47, 0xffff0000, v38
	v_lshlrev_b32_e32 v1, 16, v44
	v_lshlrev_b32_e32 v38, 16, v40
	v_and_b32_e32 v52, 0xffff0000, v41
	v_lshlrev_b32_e32 v53, 16, v42
	s_delay_alu instid0(VALU_DEP_4) | instskip(NEXT) | instid1(VALU_DEP_1)
	v_fma_f32 v40, v1, v46, 0
	v_fmac_f32_e32 v40, v2, v47
	v_fma_f32 v39, v1, v38, 0
	v_lshlrev_b32_e32 v44, 16, v27
	v_fma_f32 v38, v53, v1, 0
	s_delay_alu instid0(VALU_DEP_3) | instskip(NEXT) | instid1(VALU_DEP_3)
	v_dual_fmac_f32 v40, v3, v48 :: v_dual_fmac_f32 v39, v2, v50
	v_fma_f32 v41, v1, v44, 0
	v_and_b32_e32 v44, 0xffff0000, v43
	s_delay_alu instid0(VALU_DEP_3) | instskip(NEXT) | instid1(VALU_DEP_1)
	v_dual_fmac_f32 v40, v4, v49 :: v_dual_fmac_f32 v39, v3, v51
	v_dual_fmac_f32 v39, v4, v52 :: v_dual_and_b32 v42, 0xffff0000, v42
	s_delay_alu instid0(VALU_DEP_1) | instskip(NEXT) | instid1(VALU_DEP_1)
	v_dual_fmac_f32 v38, v2, v42 :: v_dual_and_b32 v27, 0xffff0000, v27
	v_fmac_f32_e32 v41, v2, v27
	v_lshlrev_b32_e32 v27, 16, v43
	s_delay_alu instid0(VALU_DEP_1) | instskip(NEXT) | instid1(VALU_DEP_1)
	v_dual_fmac_f32 v38, v27, v3 :: v_dual_lshlrev_b32 v45, 16, v28
	v_dual_fmac_f32 v41, v3, v45 :: v_dual_and_b32 v28, 0xffff0000, v28
	s_delay_alu instid0(VALU_DEP_2) | instskip(NEXT) | instid1(VALU_DEP_2)
	v_fmac_f32_e32 v38, v4, v44
	v_fmac_f32_e32 v41, v4, v28
	s_and_not1_saveexec_b32 s20, s6
	s_cbranch_execz .LBB620_20
.LBB620_46:                             ;   in Loop: Header=BB620_18 Depth=2
	s_wait_dscnt 0x0
	v_dual_mov_b32 v38, 0 :: v_dual_mov_b32 v39, 0
	v_dual_mov_b32 v40, 0 :: v_dual_mov_b32 v41, 0
	s_and_saveexec_b32 s25, s5
	s_cbranch_execz .LBB620_63
; %bb.47:                               ;   in Loop: Header=BB620_18 Depth=2
	s_and_not1_b32 vcc_lo, exec_lo, s64
	s_wait_alu 0xfffe
	s_cbranch_vccnz .LBB620_50
; %bb.48:                               ;   in Loop: Header=BB620_18 Depth=2
	v_mov_b32_e32 v27, v5
	s_mov_b64 s[56:57], 0
.LBB620_49:                             ;   Parent Loop BB620_3 Depth=1
                                        ;     Parent Loop BB620_18 Depth=2
                                        ; =>    This Inner Loop Header: Depth=3
	s_delay_alu instid0(VALU_DEP_1) | instskip(SKIP_2) | instid1(VALU_DEP_1)
	v_ashrrev_i32_e32 v28, 31, v27
	s_wait_alu 0xfffe
	s_cmp_eq_u32 s56, 3
	v_lshlrev_b64_e32 v[38:39], 1, v[27:28]
	s_delay_alu instid0(VALU_DEP_1) | instskip(SKIP_1) | instid1(VALU_DEP_2)
	v_add_co_u32 v38, vcc_lo, v17, v38
	s_wait_alu 0xfffd
	v_add_co_ci_u32_e64 v39, null, v18, v39, vcc_lo
	s_cselect_b32 vcc_lo, -1, 0
	s_cmp_eq_u32 s56, 2
	s_cselect_b32 s6, -1, 0
	flat_load_u16 v28, v[38:39]
	s_cmp_eq_u32 s56, 1
	s_cselect_b32 s7, -1, 0
	s_cmp_eq_u32 s56, 0
	s_add_nc_u64 s[56:57], s[56:57], 1
	s_wait_loadcnt_dscnt 0x0
	v_lshlrev_b32_e32 v28, 16, v28
	s_wait_alu 0xfffe
	s_delay_alu instid0(VALU_DEP_1)
	v_dual_cndmask_b32 v4, v4, v28 :: v_dual_add_nc_u32 v27, s33, v27
	s_cselect_b32 vcc_lo, -1, 0
	v_cndmask_b32_e64 v3, v3, v28, s6
	v_cndmask_b32_e64 v2, v2, v28, s7
	s_wait_alu 0xfffe
	v_cndmask_b32_e32 v1, v1, v28, vcc_lo
	s_cmp_eq_u32 s62, s56
	s_cbranch_scc0 .LBB620_49
.LBB620_50:                             ;   in Loop: Header=BB620_18 Depth=2
	s_and_not1_b32 vcc_lo, exec_lo, s64
	s_wait_alu 0xfffe
	s_cbranch_vccnz .LBB620_62
; %bb.51:                               ;   in Loop: Header=BB620_18 Depth=2
	s_ashr_i32 s9, s8, 31
	v_dual_mov_b32 v41, 0 :: v_dual_mov_b32 v40, 0
	s_wait_alu 0xfffe
	s_lshl_b64 s[6:7], s[8:9], 1
	v_dual_mov_b32 v39, 0 :: v_dual_mov_b32 v38, 0
	s_wait_alu 0xfffe
	v_add_co_u32 v27, vcc_lo, v32, s6
	s_wait_alu 0xfffd
	v_add_co_ci_u32_e64 v28, null, s7, v33, vcc_lo
	s_mov_b64 s[56:57], 0
.LBB620_52:                             ;   Parent Loop BB620_3 Depth=1
                                        ;     Parent Loop BB620_18 Depth=2
                                        ; =>    This Inner Loop Header: Depth=3
	s_wait_alu 0xfffe
	s_cmp_eq_u32 s56, 1
	s_cselect_b32 vcc_lo, -1, 0
	s_cmp_eq_u32 s56, 2
	s_wait_alu 0xfffe
	v_cndmask_b32_e32 v42, v1, v2, vcc_lo
	s_cselect_b32 vcc_lo, -1, 0
	s_cmp_eq_u32 s56, 3
	s_wait_alu 0xfffe
	s_delay_alu instid0(VALU_DEP_1)
	v_cndmask_b32_e32 v48, v42, v3, vcc_lo
	s_cselect_b32 vcc_lo, -1, 0
	s_add_co_i32 s6, s54, s56
	s_add_co_i32 s66, s52, s56
	s_wait_alu 0xfffe
	s_ashr_i32 s7, s6, 31
	s_add_co_i32 s68, s50, s56
	s_ashr_i32 s67, s66, 31
	s_wait_alu 0xfffe
	s_lshl_b64 s[6:7], s[6:7], 1
	s_ashr_i32 s69, s68, 31
	s_lshl_b64 s[66:67], s[66:67], 1
	s_wait_alu 0xfffe
	v_add_co_u32 v42, s6, v32, s6
	s_lshl_b64 s[68:69], s[68:69], 1
	v_add_co_ci_u32_e64 v43, null, s7, v33, s6
	v_add_co_u32 v44, s6, v32, s66
	s_wait_alu 0xf1ff
	v_add_co_ci_u32_e64 v45, null, s67, v33, s6
	s_wait_alu 0xfffe
	v_add_co_u32 v46, s6, v32, s68
	s_wait_alu 0xf1ff
	v_add_co_ci_u32_e64 v47, null, s69, v33, s6
	flat_load_u16 v49, v[27:28]
	s_clause 0x2
	flat_load_u16 v42, v[42:43]
	flat_load_u16 v43, v[44:45]
	;; [unrolled: 1-line block ×3, first 2 shown]
	v_cndmask_b32_e32 v45, v48, v4, vcc_lo
	v_add_co_u32 v27, s6, v27, 2
	s_wait_alu 0xf1ff
	v_add_co_ci_u32_e64 v28, null, 0, v28, s6
	s_add_nc_u64 s[56:57], s[56:57], 1
	s_wait_alu 0xfffe
	s_cmp_lg_u32 s62, s56
	s_wait_loadcnt_dscnt 0x202
	v_lshlrev_b32_e32 v42, 16, v42
	s_wait_loadcnt_dscnt 0x101
	v_lshlrev_b32_e32 v43, 16, v43
	;; [unrolled: 2-line block ×3, first 2 shown]
	v_fmac_f32_e32 v40, v45, v42
	s_delay_alu instid0(VALU_DEP_3) | instskip(NEXT) | instid1(VALU_DEP_3)
	v_dual_fmac_f32 v39, v45, v43 :: v_dual_lshlrev_b32 v46, 16, v49
	v_fmac_f32_e32 v38, v45, v44
	s_delay_alu instid0(VALU_DEP_2)
	v_fmac_f32_e32 v41, v45, v46
	s_cbranch_scc1 .LBB620_52
	s_branch .LBB620_63
.LBB620_53:                             ;   in Loop: Header=BB620_18 Depth=2
	ds_load_b32 v27, v29
	s_wait_alu 0xfffe
	s_or_b32 exec_lo, exec_lo, s6
	s_and_saveexec_b32 s6, s1
	s_cbranch_execz .LBB620_26
.LBB620_54:                             ;   in Loop: Header=BB620_18 Depth=2
	s_wait_dscnt 0x0
	ds_bpermute_b32 v28, v35, v27
	s_wait_dscnt 0x0
	v_add_f32_e32 v27, v27, v28
	ds_bpermute_b32 v28, v36, v27
	s_wait_dscnt 0x0
	v_add_f32_e32 v27, v27, v28
	;; [unrolled: 3-line block ×3, first 2 shown]
	s_wait_alu 0xfffe
	s_or_b32 exec_lo, exec_lo, s6
	s_and_saveexec_b32 s6, s1
	s_cbranch_execnz .LBB620_27
	s_branch .LBB620_28
.LBB620_55:                             ;   in Loop: Header=BB620_18 Depth=2
	ds_load_b32 v28, v29
	s_wait_alu 0xfffe
	s_or_b32 exec_lo, exec_lo, s6
	s_and_saveexec_b32 s6, s1
	s_cbranch_execz .LBB620_32
.LBB620_56:                             ;   in Loop: Header=BB620_18 Depth=2
	s_wait_dscnt 0x0
	ds_bpermute_b32 v40, v35, v28
	s_wait_dscnt 0x0
	v_add_f32_e32 v28, v28, v40
	ds_bpermute_b32 v40, v36, v28
	s_wait_dscnt 0x0
	v_add_f32_e32 v28, v28, v40
	;; [unrolled: 3-line block ×3, first 2 shown]
	s_wait_alu 0xfffe
	s_or_b32 exec_lo, exec_lo, s6
	s_and_saveexec_b32 s6, s1
	s_cbranch_execnz .LBB620_33
	s_branch .LBB620_34
.LBB620_57:                             ;   in Loop: Header=BB620_18 Depth=2
	ds_load_b32 v39, v29
	s_wait_alu 0xfffe
	s_or_b32 exec_lo, exec_lo, s6
	s_and_saveexec_b32 s6, s1
	s_cbranch_execz .LBB620_38
.LBB620_58:                             ;   in Loop: Header=BB620_18 Depth=2
	s_wait_dscnt 0x0
	ds_bpermute_b32 v40, v35, v39
	s_wait_dscnt 0x0
	v_add_f32_e32 v39, v39, v40
	ds_bpermute_b32 v40, v36, v39
	s_wait_dscnt 0x0
	v_add_f32_e32 v39, v39, v40
	;; [unrolled: 3-line block ×3, first 2 shown]
	s_wait_alu 0xfffe
	s_or_b32 exec_lo, exec_lo, s6
	s_and_saveexec_b32 s6, s1
	s_cbranch_execnz .LBB620_39
	s_branch .LBB620_40
.LBB620_59:                             ;   in Loop: Header=BB620_18 Depth=2
	ds_load_b32 v38, v29
	s_wait_alu 0xfffe
	s_or_b32 exec_lo, exec_lo, s6
	s_and_saveexec_b32 s6, s1
	s_cbranch_execz .LBB620_44
.LBB620_60:                             ;   in Loop: Header=BB620_18 Depth=2
	s_wait_dscnt 0x0
	ds_bpermute_b32 v40, v35, v38
	s_wait_dscnt 0x0
	v_add_f32_e32 v38, v38, v40
	ds_bpermute_b32 v40, v36, v38
	s_wait_dscnt 0x0
	v_add_f32_e32 v38, v38, v40
	;; [unrolled: 3-line block ×3, first 2 shown]
	s_wait_alu 0xfffe
	s_or_b32 exec_lo, exec_lo, s6
	s_and_saveexec_b32 s6, s0
	s_cbranch_execz .LBB620_17
.LBB620_61:                             ;   in Loop: Header=BB620_18 Depth=2
	s_mul_i32 s7, s11, s30
	v_dual_mul_f32 v27, s22, v27 :: v_dual_mul_f32 v28, s22, v28
	s_wait_alu 0xfffe
	s_add_co_i32 s34, s7, s24
	s_wait_alu 0xfffe
	s_lshl_b64 s[56:57], s[34:35], 2
	s_add_co_i32 s34, s34, s30
	s_wait_alu 0xfffe
	s_add_nc_u64 s[56:57], s[48:49], s[56:57]
	s_lshl_b64 s[66:67], s[34:35], 2
	s_add_co_i32 s34, s34, s30
	s_wait_alu 0xfffe
	s_add_nc_u64 s[66:67], s[48:49], s[66:67]
	s_clause 0x1
	global_store_b32 v0, v27, s[56:57]
	global_store_b32 v0, v28, s[66:67]
	s_wait_dscnt 0x0
	v_dual_mul_f32 v27, s22, v39 :: v_dual_mul_f32 v28, s22, v38
	s_lshl_b64 s[56:57], s[34:35], 2
	s_add_co_i32 s34, s34, s30
	s_wait_alu 0xfffe
	s_add_nc_u64 s[56:57], s[48:49], s[56:57]
	s_lshl_b64 s[66:67], s[34:35], 2
	s_wait_alu 0xfffe
	s_add_nc_u64 s[66:67], s[48:49], s[66:67]
	s_clause 0x1
	global_store_b32 v0, v27, s[56:57]
	global_store_b32 v0, v28, s[66:67]
	s_branch .LBB620_17
.LBB620_62:                             ;   in Loop: Header=BB620_18 Depth=2
	v_dual_mov_b32 v38, 0 :: v_dual_mov_b32 v39, 0
	v_dual_mov_b32 v40, 0 :: v_dual_mov_b32 v41, 0
.LBB620_63:                             ;   in Loop: Header=BB620_18 Depth=2
	s_or_b32 exec_lo, exec_lo, s25
	s_wait_alu 0xfffe
	s_or_b32 exec_lo, exec_lo, s20
	s_and_saveexec_b32 s6, s1
	s_cbranch_execnz .LBB620_21
	s_branch .LBB620_22
.LBB620_64:                             ;   in Loop: Header=BB620_3 Depth=1
	v_mov_b32_e32 v3, v0
	v_dual_mov_b32 v1, v0 :: v_dual_mov_b32 v2, v0
	s_mov_b32 s11, 0
	s_delay_alu instid0(VALU_DEP_2) | instskip(NEXT) | instid1(VALU_DEP_2)
	v_mov_b32_e32 v4, v3
	v_mov_b32_e32 v3, v2
	s_delay_alu instid0(VALU_DEP_3)
	v_mov_b32_e32 v2, v1
	v_mov_b32_e32 v1, v0
.LBB620_65:                             ;   in Loop: Header=BB620_3 Depth=1
	s_cmp_ge_i32 s11, s21
	s_cbranch_scc1 .LBB620_2
; %bb.66:                               ;   in Loop: Header=BB620_3 Depth=1
	v_cmp_gt_u32_e32 vcc_lo, 24, v31
	s_add_nc_u64 s[8:9], s[48:49], s[46:47]
	s_mul_i32 s48, s26, s11
	s_mov_b32 s34, s11
	s_wait_alu 0xfffd
	v_cndmask_b32_e64 v19, 0, 8, vcc_lo
	v_cmp_gt_u32_e32 vcc_lo, 28, v31
	s_delay_alu instid0(VALU_DEP_2) | instskip(SKIP_3) | instid1(VALU_DEP_2)
	v_add_lshl_u32 v34, v19, v31, 2
	s_wait_alu 0xfffd
	v_cndmask_b32_e64 v20, 0, 4, vcc_lo
	v_cmp_gt_u32_e32 vcc_lo, 30, v31
	v_add_lshl_u32 v35, v20, v31, 2
	s_wait_alu 0xfffd
	v_cndmask_b32_e64 v21, 0, 2, vcc_lo
	v_cmp_ne_u32_e32 vcc_lo, 31, v31
	s_delay_alu instid0(VALU_DEP_2)
	v_add_lshl_u32 v36, v21, v31, 2
	s_wait_alu 0xfffd
	v_add_co_ci_u32_e64 v22, null, 0, v31, vcc_lo
	v_add_co_u32 v19, vcc_lo, v17, v9
	s_wait_alu 0xfffd
	v_add_co_ci_u32_e64 v20, null, v18, v10, vcc_lo
	v_add_co_u32 v21, vcc_lo, v17, v11
	v_lshlrev_b32_e32 v37, 2, v22
	s_wait_alu 0xfffd
	v_add_co_ci_u32_e64 v22, null, v18, v12, vcc_lo
	v_add_co_u32 v23, vcc_lo, v17, v13
	s_wait_alu 0xfffd
	v_add_co_ci_u32_e64 v24, null, v18, v14, vcc_lo
	v_add_co_u32 v25, vcc_lo, v17, v15
	s_wait_alu 0xfffd
	v_add_co_ci_u32_e64 v26, null, v18, v16, vcc_lo
	s_branch .LBB620_68
.LBB620_67:                             ;   in Loop: Header=BB620_68 Depth=2
	s_wait_alu 0xfffe
	s_or_b32 exec_lo, exec_lo, s6
	s_add_co_i32 s34, s34, 1
	s_add_co_i32 s48, s48, s26
	s_wait_alu 0xfffe
	s_cmp_ge_i32 s34, s21
	s_cbranch_scc1 .LBB620_2
.LBB620_68:                             ;   Parent Loop BB620_3 Depth=1
                                        ; =>  This Loop Header: Depth=2
                                        ;       Child Loop BB620_81 Depth 3
                                        ;       Child Loop BB620_84 Depth 3
	s_wait_dscnt 0x0
	v_mov_b32_e32 v38, s35
	s_and_saveexec_b32 s6, s4
	s_wait_alu 0xfffe
	s_xor_b32 s6, exec_lo, s6
	s_cbranch_execnz .LBB620_77
; %bb.69:                               ;   in Loop: Header=BB620_68 Depth=2
	s_wait_alu 0xfffe
	s_and_not1_saveexec_b32 s11, s6
	s_cbranch_execnz .LBB620_78
.LBB620_70:                             ;   in Loop: Header=BB620_68 Depth=2
	s_or_b32 exec_lo, exec_lo, s11
	s_and_saveexec_b32 s6, s1
.LBB620_71:                             ;   in Loop: Header=BB620_68 Depth=2
	ds_store_b32 v29, v0
.LBB620_72:                             ;   in Loop: Header=BB620_68 Depth=2
	s_wait_alu 0xfffe
	s_or_b32 exec_lo, exec_lo, s6
	ds_bpermute_b32 v27, v6, v38
	s_wait_storecnt 0x0
	s_wait_loadcnt_dscnt 0x0
	s_barrier_signal -1
	s_barrier_wait -1
	global_inv scope:SCOPE_SE
	v_add_f32_e32 v27, v38, v27
	ds_bpermute_b32 v28, v34, v27
	s_wait_dscnt 0x0
	v_add_f32_e32 v27, v27, v28
	ds_bpermute_b32 v28, v35, v27
	s_wait_dscnt 0x0
	;; [unrolled: 3-line block ×3, first 2 shown]
	v_add_f32_e32 v27, v27, v28
	ds_bpermute_b32 v28, v37, v27
	s_and_saveexec_b32 s6, s3
	s_cbranch_execz .LBB620_74
; %bb.73:                               ;   in Loop: Header=BB620_68 Depth=2
	s_wait_dscnt 0x0
	v_add_f32_e32 v27, v27, v28
	ds_store_b32 v30, v27
.LBB620_74:                             ;   in Loop: Header=BB620_68 Depth=2
	s_wait_alu 0xfffe
	s_or_b32 exec_lo, exec_lo, s6
	v_mov_b32_e32 v27, 0
	s_wait_loadcnt_dscnt 0x0
	s_barrier_signal -1
	s_barrier_wait -1
	global_inv scope:SCOPE_SE
	s_and_saveexec_b32 s6, s2
	s_cbranch_execnz .LBB620_86
; %bb.75:                               ;   in Loop: Header=BB620_68 Depth=2
	s_wait_alu 0xfffe
	s_or_b32 exec_lo, exec_lo, s6
	s_and_saveexec_b32 s6, s1
	s_cbranch_execnz .LBB620_87
.LBB620_76:                             ;   in Loop: Header=BB620_68 Depth=2
	s_wait_alu 0xfffe
	s_or_b32 exec_lo, exec_lo, s6
	s_and_saveexec_b32 s6, s0
	s_cbranch_execz .LBB620_67
	s_branch .LBB620_88
.LBB620_77:                             ;   in Loop: Header=BB620_68 Depth=2
	s_mul_i32 s50, s34, s26
	s_wait_alu 0xfffe
	s_ashr_i32 s51, s50, 31
	s_wait_alu 0xfffe
	s_lshl_b64 s[50:51], s[50:51], 1
	s_wait_alu 0xfffe
	v_add_co_u32 v1, vcc_lo, v32, s50
	s_wait_alu 0xfffd
	v_add_co_ci_u32_e64 v2, null, s51, v33, vcc_lo
	flat_load_u16 v3, v[19:20]
	flat_load_b64 v[27:28], v[1:2]
	s_clause 0x2
	flat_load_u16 v2, v[21:22]
	flat_load_u16 v4, v[23:24]
	;; [unrolled: 1-line block ×3, first 2 shown]
	s_wait_loadcnt_dscnt 0x404
	v_lshlrev_b32_e32 v1, 16, v3
	s_wait_loadcnt_dscnt 0x303
	v_lshlrev_b32_e32 v3, 16, v27
	;; [unrolled: 2-line block ×3, first 2 shown]
	v_and_b32_e32 v27, 0xffff0000, v27
	s_delay_alu instid0(VALU_DEP_3)
	v_fma_f32 v38, v1, v3, 0
	s_wait_loadcnt_dscnt 0x101
	v_lshlrev_b32_e32 v3, 16, v4
	s_wait_loadcnt_dscnt 0x0
	v_lshlrev_b32_e32 v4, 16, v39
	v_dual_fmac_f32 v38, v2, v27 :: v_dual_lshlrev_b32 v27, 16, v28
	v_and_b32_e32 v28, 0xffff0000, v28
	s_delay_alu instid0(VALU_DEP_2) | instskip(NEXT) | instid1(VALU_DEP_1)
	v_fmac_f32_e32 v38, v3, v27
	v_fmac_f32_e32 v38, v4, v28
	s_and_not1_saveexec_b32 s11, s6
	s_cbranch_execz .LBB620_70
.LBB620_78:                             ;   in Loop: Header=BB620_68 Depth=2
	s_and_saveexec_b32 s20, s5
	s_cbranch_execz .LBB620_85
; %bb.79:                               ;   in Loop: Header=BB620_68 Depth=2
	s_and_not1_b32 vcc_lo, exec_lo, s64
	s_wait_alu 0xfffe
	s_cbranch_vccnz .LBB620_82
; %bb.80:                               ;   in Loop: Header=BB620_68 Depth=2
	v_mov_b32_e32 v27, v5
	s_mov_b64 s[50:51], 0
.LBB620_81:                             ;   Parent Loop BB620_3 Depth=1
                                        ;     Parent Loop BB620_68 Depth=2
                                        ; =>    This Inner Loop Header: Depth=3
	s_delay_alu instid0(VALU_DEP_1) | instskip(SKIP_2) | instid1(VALU_DEP_1)
	v_ashrrev_i32_e32 v28, 31, v27
	s_wait_alu 0xfffe
	s_cmp_eq_u32 s50, 3
	v_lshlrev_b64_e32 v[39:40], 1, v[27:28]
	s_delay_alu instid0(VALU_DEP_1) | instskip(SKIP_1) | instid1(VALU_DEP_2)
	v_add_co_u32 v39, vcc_lo, v17, v39
	s_wait_alu 0xfffd
	v_add_co_ci_u32_e64 v40, null, v18, v40, vcc_lo
	s_cselect_b32 vcc_lo, -1, 0
	s_cmp_eq_u32 s50, 2
	s_cselect_b32 s6, -1, 0
	flat_load_u16 v28, v[39:40]
	s_cmp_eq_u32 s50, 1
	s_cselect_b32 s7, -1, 0
	s_cmp_eq_u32 s50, 0
	s_add_nc_u64 s[50:51], s[50:51], 1
	s_wait_loadcnt_dscnt 0x0
	v_lshlrev_b32_e32 v28, 16, v28
	s_wait_alu 0xfffe
	s_delay_alu instid0(VALU_DEP_1)
	v_dual_cndmask_b32 v4, v4, v28 :: v_dual_add_nc_u32 v27, s33, v27
	s_cselect_b32 vcc_lo, -1, 0
	v_cndmask_b32_e64 v3, v3, v28, s6
	v_cndmask_b32_e64 v2, v2, v28, s7
	s_wait_alu 0xfffe
	v_cndmask_b32_e32 v1, v1, v28, vcc_lo
	s_cmp_eq_u32 s62, s50
	s_cbranch_scc0 .LBB620_81
.LBB620_82:                             ;   in Loop: Header=BB620_68 Depth=2
	s_and_not1_b32 vcc_lo, exec_lo, s64
	s_wait_alu 0xfffe
	s_cbranch_vccnz .LBB620_85
; %bb.83:                               ;   in Loop: Header=BB620_68 Depth=2
	s_ashr_i32 s49, s48, 31
	s_delay_alu instid0(SALU_CYCLE_1)
	s_lshl_b64 s[6:7], s[48:49], 1
	s_wait_alu 0xfffe
	v_add_co_u32 v27, vcc_lo, v32, s6
	s_wait_alu 0xfffd
	v_add_co_ci_u32_e64 v28, null, s7, v33, vcc_lo
	s_mov_b64 s[6:7], 0
.LBB620_84:                             ;   Parent Loop BB620_3 Depth=1
                                        ;     Parent Loop BB620_68 Depth=2
                                        ; =>    This Inner Loop Header: Depth=3
	flat_load_u16 v39, v[27:28]
	s_wait_alu 0xfffe
	s_cmp_eq_u32 s6, 1
	s_cselect_b32 vcc_lo, -1, 0
	s_cmp_eq_u32 s6, 2
	s_wait_alu 0xfffe
	v_cndmask_b32_e32 v40, v1, v2, vcc_lo
	s_cselect_b32 vcc_lo, -1, 0
	s_cmp_eq_u32 s6, 3
	s_add_nc_u64 s[6:7], s[6:7], 1
	s_wait_loadcnt_dscnt 0x0
	v_lshlrev_b32_e32 v39, 16, v39
	s_wait_alu 0xfffe
	v_cndmask_b32_e32 v40, v40, v3, vcc_lo
	s_cselect_b32 vcc_lo, -1, 0
	s_cmp_lg_u32 s62, s6
	s_wait_alu 0xfffe
	s_delay_alu instid0(VALU_DEP_1) | instskip(SKIP_3) | instid1(VALU_DEP_3)
	v_cndmask_b32_e32 v40, v40, v4, vcc_lo
	v_add_co_u32 v27, vcc_lo, v27, 2
	s_wait_alu 0xfffd
	v_add_co_ci_u32_e64 v28, null, 0, v28, vcc_lo
	v_fmac_f32_e32 v38, v40, v39
	s_cbranch_scc1 .LBB620_84
.LBB620_85:                             ;   in Loop: Header=BB620_68 Depth=2
	s_wait_alu 0xfffe
	s_or_b32 exec_lo, exec_lo, s20
	s_delay_alu instid0(SALU_CYCLE_1)
	s_or_b32 exec_lo, exec_lo, s11
	s_and_saveexec_b32 s6, s1
	s_cbranch_execnz .LBB620_71
	s_branch .LBB620_72
.LBB620_86:                             ;   in Loop: Header=BB620_68 Depth=2
	ds_load_b32 v27, v29
	s_wait_alu 0xfffe
	s_or_b32 exec_lo, exec_lo, s6
	s_and_saveexec_b32 s6, s1
	s_cbranch_execz .LBB620_76
.LBB620_87:                             ;   in Loop: Header=BB620_68 Depth=2
	s_wait_dscnt 0x0
	ds_bpermute_b32 v28, v35, v27
	s_wait_dscnt 0x0
	v_add_f32_e32 v27, v27, v28
	ds_bpermute_b32 v28, v36, v27
	s_wait_dscnt 0x0
	v_add_f32_e32 v27, v27, v28
	;; [unrolled: 3-line block ×3, first 2 shown]
	s_wait_alu 0xfffe
	s_or_b32 exec_lo, exec_lo, s6
	s_and_saveexec_b32 s6, s0
	s_cbranch_execz .LBB620_67
.LBB620_88:                             ;   in Loop: Header=BB620_68 Depth=2
	s_mul_u64 s[50:51], s[34:35], s[30:31]
	s_wait_dscnt 0x0
	v_mul_f32_e32 v27, s22, v27
	s_wait_alu 0xfffe
	s_lshl_b64 s[50:51], s[50:51], 2
	s_wait_alu 0xfffe
	s_add_nc_u64 s[50:51], s[8:9], s[50:51]
	global_store_b32 v0, v27, s[50:51]
	s_branch .LBB620_67
.LBB620_89:
	s_endpgm
	.section	.rodata,"a",@progbits
	.p2align	6, 0x0
	.amdhsa_kernel _ZL23rocblas_gemvt_sn_kernelILb1ELi256ELi4EiPK16rocblas_bfloat16ffEviiT4_lPKT3_lilS6_lilPT5_i
		.amdhsa_group_segment_fixed_size 128
		.amdhsa_private_segment_fixed_size 0
		.amdhsa_kernarg_size 360
		.amdhsa_user_sgpr_count 2
		.amdhsa_user_sgpr_dispatch_ptr 0
		.amdhsa_user_sgpr_queue_ptr 0
		.amdhsa_user_sgpr_kernarg_segment_ptr 1
		.amdhsa_user_sgpr_dispatch_id 0
		.amdhsa_user_sgpr_private_segment_size 0
		.amdhsa_wavefront_size32 1
		.amdhsa_uses_dynamic_stack 0
		.amdhsa_enable_private_segment 0
		.amdhsa_system_sgpr_workgroup_id_x 1
		.amdhsa_system_sgpr_workgroup_id_y 0
		.amdhsa_system_sgpr_workgroup_id_z 1
		.amdhsa_system_sgpr_workgroup_info 0
		.amdhsa_system_vgpr_workitem_id 0
		.amdhsa_next_free_vgpr 54
		.amdhsa_next_free_sgpr 70
		.amdhsa_reserve_vcc 1
		.amdhsa_float_round_mode_32 0
		.amdhsa_float_round_mode_16_64 0
		.amdhsa_float_denorm_mode_32 3
		.amdhsa_float_denorm_mode_16_64 3
		.amdhsa_fp16_overflow 0
		.amdhsa_workgroup_processor_mode 1
		.amdhsa_memory_ordered 1
		.amdhsa_forward_progress 1
		.amdhsa_inst_pref_size 38
		.amdhsa_round_robin_scheduling 0
		.amdhsa_exception_fp_ieee_invalid_op 0
		.amdhsa_exception_fp_denorm_src 0
		.amdhsa_exception_fp_ieee_div_zero 0
		.amdhsa_exception_fp_ieee_overflow 0
		.amdhsa_exception_fp_ieee_underflow 0
		.amdhsa_exception_fp_ieee_inexact 0
		.amdhsa_exception_int_div_zero 0
	.end_amdhsa_kernel
	.section	.text._ZL23rocblas_gemvt_sn_kernelILb1ELi256ELi4EiPK16rocblas_bfloat16ffEviiT4_lPKT3_lilS6_lilPT5_i,"axG",@progbits,_ZL23rocblas_gemvt_sn_kernelILb1ELi256ELi4EiPK16rocblas_bfloat16ffEviiT4_lPKT3_lilS6_lilPT5_i,comdat
.Lfunc_end620:
	.size	_ZL23rocblas_gemvt_sn_kernelILb1ELi256ELi4EiPK16rocblas_bfloat16ffEviiT4_lPKT3_lilS6_lilPT5_i, .Lfunc_end620-_ZL23rocblas_gemvt_sn_kernelILb1ELi256ELi4EiPK16rocblas_bfloat16ffEviiT4_lPKT3_lilS6_lilPT5_i
                                        ; -- End function
	.set _ZL23rocblas_gemvt_sn_kernelILb1ELi256ELi4EiPK16rocblas_bfloat16ffEviiT4_lPKT3_lilS6_lilPT5_i.num_vgpr, 54
	.set _ZL23rocblas_gemvt_sn_kernelILb1ELi256ELi4EiPK16rocblas_bfloat16ffEviiT4_lPKT3_lilS6_lilPT5_i.num_agpr, 0
	.set _ZL23rocblas_gemvt_sn_kernelILb1ELi256ELi4EiPK16rocblas_bfloat16ffEviiT4_lPKT3_lilS6_lilPT5_i.numbered_sgpr, 70
	.set _ZL23rocblas_gemvt_sn_kernelILb1ELi256ELi4EiPK16rocblas_bfloat16ffEviiT4_lPKT3_lilS6_lilPT5_i.num_named_barrier, 0
	.set _ZL23rocblas_gemvt_sn_kernelILb1ELi256ELi4EiPK16rocblas_bfloat16ffEviiT4_lPKT3_lilS6_lilPT5_i.private_seg_size, 0
	.set _ZL23rocblas_gemvt_sn_kernelILb1ELi256ELi4EiPK16rocblas_bfloat16ffEviiT4_lPKT3_lilS6_lilPT5_i.uses_vcc, 1
	.set _ZL23rocblas_gemvt_sn_kernelILb1ELi256ELi4EiPK16rocblas_bfloat16ffEviiT4_lPKT3_lilS6_lilPT5_i.uses_flat_scratch, 1
	.set _ZL23rocblas_gemvt_sn_kernelILb1ELi256ELi4EiPK16rocblas_bfloat16ffEviiT4_lPKT3_lilS6_lilPT5_i.has_dyn_sized_stack, 0
	.set _ZL23rocblas_gemvt_sn_kernelILb1ELi256ELi4EiPK16rocblas_bfloat16ffEviiT4_lPKT3_lilS6_lilPT5_i.has_recursion, 0
	.set _ZL23rocblas_gemvt_sn_kernelILb1ELi256ELi4EiPK16rocblas_bfloat16ffEviiT4_lPKT3_lilS6_lilPT5_i.has_indirect_call, 0
	.section	.AMDGPU.csdata,"",@progbits
; Kernel info:
; codeLenInByte = 4748
; TotalNumSgprs: 72
; NumVgprs: 54
; ScratchSize: 0
; MemoryBound: 0
; FloatMode: 240
; IeeeMode: 1
; LDSByteSize: 128 bytes/workgroup (compile time only)
; SGPRBlocks: 0
; VGPRBlocks: 6
; NumSGPRsForWavesPerEU: 72
; NumVGPRsForWavesPerEU: 54
; Occupancy: 16
; WaveLimiterHint : 0
; COMPUTE_PGM_RSRC2:SCRATCH_EN: 0
; COMPUTE_PGM_RSRC2:USER_SGPR: 2
; COMPUTE_PGM_RSRC2:TRAP_HANDLER: 0
; COMPUTE_PGM_RSRC2:TGID_X_EN: 1
; COMPUTE_PGM_RSRC2:TGID_Y_EN: 0
; COMPUTE_PGM_RSRC2:TGID_Z_EN: 1
; COMPUTE_PGM_RSRC2:TIDIG_COMP_CNT: 0
	.section	.text._ZL23rocblas_gemvt_sn_kernelILb1ELi256ELi4ElPK16rocblas_bfloat16ffEviiT4_lPKT3_lilS6_lilPT5_i,"axG",@progbits,_ZL23rocblas_gemvt_sn_kernelILb1ELi256ELi4ElPK16rocblas_bfloat16ffEviiT4_lPKT3_lilS6_lilPT5_i,comdat
	.globl	_ZL23rocblas_gemvt_sn_kernelILb1ELi256ELi4ElPK16rocblas_bfloat16ffEviiT4_lPKT3_lilS6_lilPT5_i ; -- Begin function _ZL23rocblas_gemvt_sn_kernelILb1ELi256ELi4ElPK16rocblas_bfloat16ffEviiT4_lPKT3_lilS6_lilPT5_i
	.p2align	8
	.type	_ZL23rocblas_gemvt_sn_kernelILb1ELi256ELi4ElPK16rocblas_bfloat16ffEviiT4_lPKT3_lilS6_lilPT5_i,@function
_ZL23rocblas_gemvt_sn_kernelILb1ELi256ELi4ElPK16rocblas_bfloat16ffEviiT4_lPKT3_lilS6_lilPT5_i: ; @_ZL23rocblas_gemvt_sn_kernelILb1ELi256ELi4ElPK16rocblas_bfloat16ffEviiT4_lPKT3_lilS6_lilPT5_i
; %bb.0:
	s_load_b32 s23, s[0:1], 0x60
	s_lshr_b32 s10, ttmp7, 16
	s_wait_kmcnt 0x0
	s_cmp_ge_u32 s10, s23
	s_cbranch_scc1 .LBB621_89
; %bb.1:
	s_clause 0x6
	s_load_b32 s26, s[0:1], 0x28
	s_load_b32 s6, s[0:1], 0x48
	s_load_b96 s[20:22], s[0:1], 0x0
	s_load_b128 s[12:15], s[0:1], 0x18
	s_load_b32 s28, s[0:1], 0x68
	s_load_b128 s[16:19], s[0:1], 0x38
	s_load_b64 s[30:31], s[0:1], 0x58
	s_mov_b32 s25, 0
	v_cmp_eq_u32_e64 s0, 0, v0
	s_mov_b32 s29, s25
	v_and_b32_e32 v1, 31, v0
	v_cmp_gt_u32_e64 s1, 32, v0
	v_cmp_gt_u32_e64 s2, 8, v0
	v_lshrrev_b32_e32 v2, 3, v0
	v_mbcnt_lo_u32_b32 v33, -1, 0
	v_cmp_eq_u32_e64 s3, 0, v1
	v_lshlrev_b32_e32 v31, 2, v1
	s_mov_b32 s24, ttmp9
	v_and_b32_e32 v32, 28, v2
	v_lshl_or_b32 v34, v33, 2, 64
	s_wait_kmcnt 0x0
	s_ashr_i32 s27, s26, 31
	s_ashr_i32 s7, s6, 31
	s_cmp_neq_f32 s22, 0
	s_mov_b32 s4, s21
	s_mul_u64 s[40:41], s[26:27], 6
	s_cselect_b32 s33, -1, 0
	s_cmp_eq_f32 s22, 0
	s_cselect_b32 s52, -1, 0
	s_ashr_i32 s5, s21, 31
	s_cmp_gt_i32 s21, 0
	s_mul_u64 s[34:35], s[4:5], s[28:29]
	s_cselect_b32 s4, -1, 0
	s_ashr_i32 s9, s20, 31
	s_and_b32 s53, s0, s4
	s_lshr_b32 s4, s9, 30
	s_lshl_b32 s8, ttmp9, 10
	s_add_co_i32 s4, s20, s4
	v_lshl_or_b32 v0, v0, 2, s8
	s_and_b32 s4, s4, -4
	s_lshr_b32 s5, s5, 30
	s_sub_co_i32 s55, s20, s4
	s_add_co_i32 s5, s21, s5
	v_add_nc_u32_e32 v4, s55, v0
	s_and_b32 s54, s5, -4
	v_add_nc_u32_e32 v3, 4, v0
	v_or_b32_e32 v5, 2, v0
	v_or_b32_e32 v6, 3, v0
	v_cmp_ge_i32_e64 s5, s20, v4
	v_or_b32_e32 v4, 1, v0
	v_cmp_ge_i32_e64 s4, s20, v3
	v_mad_co_i64_i32 v[2:3], null, s6, v0, 0
	v_mad_co_i64_i32 v[11:12], null, s6, v5, 0
	s_delay_alu instid0(VALU_DEP_4)
	v_mad_co_i64_i32 v[9:10], null, s6, v4, 0
	v_mad_co_i64_i32 v[13:14], null, s6, v6, 0
	v_ashrrev_i32_e32 v1, 31, v0
	s_wait_alu 0xfffe
	s_cmp_gt_i32 s54, 0
	v_lshlrev_b64_e32 v[5:6], 1, v[2:3]
	v_lshlrev_b64_e32 v[11:12], 1, v[11:12]
	;; [unrolled: 1-line block ×5, first 2 shown]
	v_mov_b32_e32 v0, 0
	s_cselect_b32 s56, -1, 0
	s_cmp_gt_i32 s55, 0
	s_cselect_b32 s57, -1, 0
	s_lshl_b64 s[36:37], s[28:29], 2
	s_lshl_b64 s[38:39], s[6:7], 1
	;; [unrolled: 1-line block ×8, first 2 shown]
	s_branch .LBB621_3
.LBB621_2:                              ;   in Loop: Header=BB621_3 Depth=1
	s_add_co_i32 s10, s10, 0x10000
	s_delay_alu instid0(SALU_CYCLE_1)
	s_cmp_lt_u32 s10, s23
	s_cbranch_scc0 .LBB621_89
.LBB621_3:                              ; =>This Loop Header: Depth=1
                                        ;     Child Loop BB621_12 Depth 2
                                        ;     Child Loop BB621_18 Depth 2
                                        ;       Child Loop BB621_49 Depth 3
                                        ;       Child Loop BB621_52 Depth 3
                                        ;     Child Loop BB621_68 Depth 2
                                        ;       Child Loop BB621_81 Depth 3
                                        ;       Child Loop BB621_84 Depth 3
	s_mov_b32 s11, s25
	s_and_not1_b32 vcc_lo, exec_lo, s52
	s_mov_b32 s6, -1
	s_wait_alu 0xfffe
	s_cbranch_vccnz .LBB621_5
; %bb.4:                                ;   in Loop: Header=BB621_3 Depth=1
	s_mov_b32 s6, 0
.LBB621_5:                              ;   in Loop: Header=BB621_3 Depth=1
	v_mov_b32_e32 v17, 0
	v_dual_mov_b32 v18, 0 :: v_dual_mov_b32 v1, 0
	v_mov_b32_e32 v2, 0
	s_wait_alu 0xfffe
	s_and_not1_b32 vcc_lo, exec_lo, s6
	s_wait_alu 0xfffe
	s_cbranch_vccnz .LBB621_7
; %bb.6:                                ;   in Loop: Header=BB621_3 Depth=1
	s_lshl_b64 s[6:7], s[10:11], 3
	s_wait_alu 0xfffe
	s_add_nc_u64 s[6:7], s[12:13], s[6:7]
	global_load_b64 v[1:2], v0, s[6:7]
	s_wait_loadcnt 0x0
	v_add_co_u32 v1, vcc_lo, v1, s14
	s_wait_alu 0xfffd
	v_add_co_ci_u32_e64 v2, null, s15, v2, vcc_lo
.LBB621_7:                              ;   in Loop: Header=BB621_3 Depth=1
	s_and_not1_b32 vcc_lo, exec_lo, s33
	s_wait_alu 0xfffe
	s_cbranch_vccnz .LBB621_9
; %bb.8:                                ;   in Loop: Header=BB621_3 Depth=1
	s_lshl_b64 s[6:7], s[10:11], 3
	s_wait_alu 0xfffe
	s_add_nc_u64 s[6:7], s[16:17], s[6:7]
	global_load_b64 v[3:4], v0, s[6:7]
	s_wait_loadcnt 0x0
	v_add_co_u32 v17, vcc_lo, v3, s18
	s_wait_alu 0xfffd
	v_add_co_ci_u32_e64 v18, null, s19, v4, vcc_lo
.LBB621_9:                              ;   in Loop: Header=BB621_3 Depth=1
	s_mul_u64 s[6:7], s[34:35], s[10:11]
	s_and_not1_b32 vcc_lo, exec_lo, s52
	s_wait_alu 0xfffe
	s_lshl_b64 s[6:7], s[6:7], 2
	s_wait_alu 0xfffe
	s_add_nc_u64 s[50:51], s[30:31], s[6:7]
	s_mov_b32 s6, -1
	s_cbranch_vccnz .LBB621_14
; %bb.10:                               ;   in Loop: Header=BB621_3 Depth=1
	s_and_saveexec_b32 s8, s53
	s_cbranch_execz .LBB621_13
; %bb.11:                               ;   in Loop: Header=BB621_3 Depth=1
	s_add_nc_u64 s[6:7], s[50:51], s[48:49]
	s_mov_b32 s9, s21
.LBB621_12:                             ;   Parent Loop BB621_3 Depth=1
                                        ; =>  This Inner Loop Header: Depth=2
	s_wait_alu 0xfffe
	s_add_co_i32 s9, s9, -1
	global_store_b32 v0, v0, s[6:7]
	s_wait_alu 0xfffe
	s_cmp_eq_u32 s9, 0
	s_add_nc_u64 s[6:7], s[6:7], s[36:37]
	s_cbranch_scc0 .LBB621_12
.LBB621_13:                             ;   in Loop: Header=BB621_3 Depth=1
	s_wait_alu 0xfffe
	s_or_b32 exec_lo, exec_lo, s8
	s_mov_b32 s6, 0
.LBB621_14:                             ;   in Loop: Header=BB621_3 Depth=1
	s_wait_alu 0xfffe
	s_and_not1_b32 vcc_lo, exec_lo, s6
	s_wait_alu 0xfffe
	s_cbranch_vccnz .LBB621_2
; %bb.15:                               ;   in Loop: Header=BB621_3 Depth=1
	v_add_co_u32 v15, vcc_lo, v1, v7
	s_wait_alu 0xfffd
	v_add_co_ci_u32_e64 v16, null, v2, v8, vcc_lo
	v_cmp_gt_u32_e64 s9, 24, v33
	v_cmp_gt_u32_e64 s8, 28, v33
	;; [unrolled: 1-line block ×3, first 2 shown]
	v_cmp_ne_u32_e64 s6, 31, v33
	s_and_not1_b32 vcc_lo, exec_lo, s56
	s_add_nc_u64 s[50:51], s[50:51], s[48:49]
	s_wait_alu 0xfffe
	s_cbranch_vccnz .LBB621_64
; %bb.16:                               ;   in Loop: Header=BB621_3 Depth=1
	s_wait_alu 0xf1ff
	v_cndmask_b32_e64 v2, 0, 4, s8
	v_cndmask_b32_e64 v3, 0, 2, s7
	v_add_co_u32 v19, vcc_lo, v17, v5
	v_cndmask_b32_e64 v1, 0, 8, s9
	v_add_co_ci_u32_e64 v4, null, 0, v33, s6
	v_add_lshl_u32 v36, v2, v33, 2
	v_add_lshl_u32 v37, v3, v33, 2
	s_wait_alu 0xfffd
	v_add_co_ci_u32_e64 v20, null, v18, v6, vcc_lo
	v_add_co_u32 v21, vcc_lo, v17, v9
	v_dual_mov_b32 v2, v0 :: v_dual_mov_b32 v3, v0
	s_wait_alu 0xfffd
	v_add_co_ci_u32_e64 v22, null, v18, v10, vcc_lo
	v_add_co_u32 v23, vcc_lo, v17, v11
	v_add_lshl_u32 v35, v1, v33, 2
	v_dual_mov_b32 v1, v0 :: v_dual_lshlrev_b32 v38, 2, v4
	s_wait_alu 0xfffd
	v_add_co_ci_u32_e64 v24, null, v18, v12, vcc_lo
	v_add_co_u32 v25, vcc_lo, v17, v13
	v_mov_b32_e32 v4, v3
	s_wait_alu 0xfffd
	v_add_co_ci_u32_e64 v26, null, v18, v14, vcc_lo
	s_wait_dscnt 0x0
	v_dual_mov_b32 v28, v16 :: v_dual_mov_b32 v27, v15
	v_mov_b32_e32 v3, v2
	v_mov_b32_e32 v2, v1
	;; [unrolled: 1-line block ×3, first 2 shown]
	s_mov_b32 s24, 0
	s_branch .LBB621_18
.LBB621_17:                             ;   in Loop: Header=BB621_18 Depth=2
	s_wait_alu 0xfffe
	s_or_b32 exec_lo, exec_lo, s6
	v_add_co_u32 v27, vcc_lo, v27, s42
	s_wait_alu 0xfffd
	v_add_co_ci_u32_e64 v28, null, s43, v28, vcc_lo
	s_add_co_i32 s24, s24, 4
	s_wait_alu 0xfffe
	s_cmp_ge_i32 s24, s54
	s_cbranch_scc1 .LBB621_65
.LBB621_18:                             ;   Parent Loop BB621_3 Depth=1
                                        ; =>  This Loop Header: Depth=2
                                        ;       Child Loop BB621_49 Depth 3
                                        ;       Child Loop BB621_52 Depth 3
                                        ; implicit-def: $vgpr39
                                        ; implicit-def: $vgpr40
                                        ; implicit-def: $vgpr41
                                        ; implicit-def: $vgpr42
	s_and_saveexec_b32 s6, s4
	s_wait_alu 0xfffe
	s_xor_b32 s6, exec_lo, s6
	s_cbranch_execnz .LBB621_45
; %bb.19:                               ;   in Loop: Header=BB621_18 Depth=2
	s_wait_alu 0xfffe
	s_and_not1_saveexec_b32 s11, s6
	s_cbranch_execnz .LBB621_46
.LBB621_20:                             ;   in Loop: Header=BB621_18 Depth=2
	s_or_b32 exec_lo, exec_lo, s11
	s_and_saveexec_b32 s6, s1
.LBB621_21:                             ;   in Loop: Header=BB621_18 Depth=2
	ds_store_b32 v31, v0
.LBB621_22:                             ;   in Loop: Header=BB621_18 Depth=2
	s_wait_alu 0xfffe
	s_or_b32 exec_lo, exec_lo, s6
	ds_bpermute_b32 v29, v34, v42
	s_wait_storecnt_dscnt 0x0
	s_barrier_signal -1
	s_barrier_wait -1
	global_inv scope:SCOPE_SE
	v_add_f32_e32 v29, v42, v29
	ds_bpermute_b32 v30, v35, v29
	s_wait_dscnt 0x0
	v_add_f32_e32 v29, v29, v30
	ds_bpermute_b32 v30, v36, v29
	s_wait_dscnt 0x0
	;; [unrolled: 3-line block ×3, first 2 shown]
	v_add_f32_e32 v29, v29, v30
	ds_bpermute_b32 v30, v38, v29
	s_and_saveexec_b32 s6, s3
	s_cbranch_execz .LBB621_24
; %bb.23:                               ;   in Loop: Header=BB621_18 Depth=2
	s_wait_dscnt 0x0
	v_add_f32_e32 v29, v29, v30
	ds_store_b32 v32, v29
.LBB621_24:                             ;   in Loop: Header=BB621_18 Depth=2
	s_wait_alu 0xfffe
	s_or_b32 exec_lo, exec_lo, s6
	v_mov_b32_e32 v29, 0
	s_wait_loadcnt_dscnt 0x0
	s_barrier_signal -1
	s_barrier_wait -1
	global_inv scope:SCOPE_SE
	s_and_saveexec_b32 s6, s2
	s_cbranch_execnz .LBB621_53
; %bb.25:                               ;   in Loop: Header=BB621_18 Depth=2
	s_wait_alu 0xfffe
	s_or_b32 exec_lo, exec_lo, s6
	s_and_saveexec_b32 s6, s1
	s_cbranch_execnz .LBB621_54
.LBB621_26:                             ;   in Loop: Header=BB621_18 Depth=2
	s_wait_alu 0xfffe
	s_or_b32 exec_lo, exec_lo, s6
	s_and_saveexec_b32 s6, s1
.LBB621_27:                             ;   in Loop: Header=BB621_18 Depth=2
	ds_store_b32 v31, v0
.LBB621_28:                             ;   in Loop: Header=BB621_18 Depth=2
	s_wait_alu 0xfffe
	s_or_b32 exec_lo, exec_lo, s6
	ds_bpermute_b32 v30, v34, v41
	s_wait_loadcnt_dscnt 0x0
	s_barrier_signal -1
	s_barrier_wait -1
	global_inv scope:SCOPE_SE
	v_add_f32_e32 v30, v41, v30
	ds_bpermute_b32 v41, v35, v30
	s_wait_dscnt 0x0
	v_add_f32_e32 v30, v30, v41
	ds_bpermute_b32 v41, v36, v30
	s_wait_dscnt 0x0
	;; [unrolled: 3-line block ×3, first 2 shown]
	v_add_f32_e32 v30, v30, v41
	ds_bpermute_b32 v41, v38, v30
	s_and_saveexec_b32 s6, s3
	s_cbranch_execz .LBB621_30
; %bb.29:                               ;   in Loop: Header=BB621_18 Depth=2
	s_wait_dscnt 0x0
	v_add_f32_e32 v30, v30, v41
	ds_store_b32 v32, v30
.LBB621_30:                             ;   in Loop: Header=BB621_18 Depth=2
	s_wait_alu 0xfffe
	s_or_b32 exec_lo, exec_lo, s6
	v_mov_b32_e32 v30, 0
	s_wait_loadcnt_dscnt 0x0
	s_barrier_signal -1
	s_barrier_wait -1
	global_inv scope:SCOPE_SE
	s_and_saveexec_b32 s6, s2
	s_cbranch_execnz .LBB621_55
; %bb.31:                               ;   in Loop: Header=BB621_18 Depth=2
	s_wait_alu 0xfffe
	s_or_b32 exec_lo, exec_lo, s6
	s_and_saveexec_b32 s6, s1
	s_cbranch_execnz .LBB621_56
.LBB621_32:                             ;   in Loop: Header=BB621_18 Depth=2
	s_wait_alu 0xfffe
	s_or_b32 exec_lo, exec_lo, s6
	s_and_saveexec_b32 s6, s1
.LBB621_33:                             ;   in Loop: Header=BB621_18 Depth=2
	ds_store_b32 v31, v0
.LBB621_34:                             ;   in Loop: Header=BB621_18 Depth=2
	s_wait_alu 0xfffe
	s_or_b32 exec_lo, exec_lo, s6
	ds_bpermute_b32 v41, v34, v40
	s_wait_loadcnt_dscnt 0x0
	s_barrier_signal -1
	s_barrier_wait -1
	global_inv scope:SCOPE_SE
	v_add_f32_e32 v40, v40, v41
	ds_bpermute_b32 v41, v35, v40
	s_wait_dscnt 0x0
	v_add_f32_e32 v40, v40, v41
	ds_bpermute_b32 v41, v36, v40
	s_wait_dscnt 0x0
	;; [unrolled: 3-line block ×3, first 2 shown]
	v_add_f32_e32 v40, v40, v41
	ds_bpermute_b32 v41, v38, v40
	s_and_saveexec_b32 s6, s3
	s_cbranch_execz .LBB621_36
; %bb.35:                               ;   in Loop: Header=BB621_18 Depth=2
	s_wait_dscnt 0x0
	v_add_f32_e32 v40, v40, v41
	ds_store_b32 v32, v40
.LBB621_36:                             ;   in Loop: Header=BB621_18 Depth=2
	s_wait_alu 0xfffe
	s_or_b32 exec_lo, exec_lo, s6
	v_mov_b32_e32 v40, 0
	s_wait_loadcnt_dscnt 0x0
	s_barrier_signal -1
	s_barrier_wait -1
	global_inv scope:SCOPE_SE
	s_and_saveexec_b32 s6, s2
	s_cbranch_execnz .LBB621_57
; %bb.37:                               ;   in Loop: Header=BB621_18 Depth=2
	s_wait_alu 0xfffe
	s_or_b32 exec_lo, exec_lo, s6
	s_and_saveexec_b32 s6, s1
	s_cbranch_execnz .LBB621_58
.LBB621_38:                             ;   in Loop: Header=BB621_18 Depth=2
	s_wait_alu 0xfffe
	s_or_b32 exec_lo, exec_lo, s6
	s_and_saveexec_b32 s6, s1
.LBB621_39:                             ;   in Loop: Header=BB621_18 Depth=2
	ds_store_b32 v31, v0
.LBB621_40:                             ;   in Loop: Header=BB621_18 Depth=2
	s_wait_alu 0xfffe
	s_or_b32 exec_lo, exec_lo, s6
	ds_bpermute_b32 v41, v34, v39
	s_wait_loadcnt_dscnt 0x0
	s_barrier_signal -1
	s_barrier_wait -1
	global_inv scope:SCOPE_SE
	v_add_f32_e32 v39, v39, v41
	ds_bpermute_b32 v41, v35, v39
	s_wait_dscnt 0x0
	v_add_f32_e32 v39, v39, v41
	ds_bpermute_b32 v41, v36, v39
	s_wait_dscnt 0x0
	;; [unrolled: 3-line block ×3, first 2 shown]
	v_add_f32_e32 v39, v39, v41
	ds_bpermute_b32 v41, v38, v39
	s_and_saveexec_b32 s6, s3
	s_cbranch_execz .LBB621_42
; %bb.41:                               ;   in Loop: Header=BB621_18 Depth=2
	s_wait_dscnt 0x0
	v_add_f32_e32 v39, v39, v41
	ds_store_b32 v32, v39
.LBB621_42:                             ;   in Loop: Header=BB621_18 Depth=2
	s_wait_alu 0xfffe
	s_or_b32 exec_lo, exec_lo, s6
	v_mov_b32_e32 v39, 0
	s_wait_loadcnt_dscnt 0x0
	s_barrier_signal -1
	s_barrier_wait -1
	global_inv scope:SCOPE_SE
	s_and_saveexec_b32 s6, s2
	s_cbranch_execnz .LBB621_59
; %bb.43:                               ;   in Loop: Header=BB621_18 Depth=2
	s_wait_alu 0xfffe
	s_or_b32 exec_lo, exec_lo, s6
	s_and_saveexec_b32 s6, s1
	s_cbranch_execnz .LBB621_60
.LBB621_44:                             ;   in Loop: Header=BB621_18 Depth=2
	s_wait_alu 0xfffe
	s_or_b32 exec_lo, exec_lo, s6
	s_and_saveexec_b32 s6, s0
	s_cbranch_execz .LBB621_17
	s_branch .LBB621_61
.LBB621_45:                             ;   in Loop: Header=BB621_18 Depth=2
	s_mul_u64 s[8:9], s[24:25], s[26:27]
	s_or_b32 s58, s24, 2
	s_wait_alu 0xfffe
	s_lshl_b64 s[8:9], s[8:9], 1
	s_mov_b32 s59, s25
	s_wait_alu 0xfffe
	v_add_co_u32 v1, vcc_lo, v15, s8
	s_wait_alu 0xfffd
	v_add_co_ci_u32_e64 v2, null, s9, v16, vcc_lo
	s_or_b32 s8, s24, 1
	s_mov_b32 s9, s25
	s_wait_alu 0xfffe
	s_mul_u64 s[8:9], s[8:9], s[26:27]
	flat_load_b64 v[29:30], v[1:2]
	s_wait_alu 0xfffe
	s_lshl_b64 s[8:9], s[8:9], 1
	s_clause 0x3
	flat_load_u16 v47, v[19:20]
	flat_load_u16 v48, v[21:22]
	;; [unrolled: 1-line block ×4, first 2 shown]
	s_wait_alu 0xfffe
	v_add_co_u32 v1, vcc_lo, v15, s8
	s_wait_alu 0xfffd
	v_add_co_ci_u32_e64 v2, null, s9, v16, vcc_lo
	s_mul_u64 s[8:9], s[58:59], s[26:27]
	s_or_b32 s58, s24, 3
	s_wait_alu 0xfffe
	s_lshl_b64 s[8:9], s[8:9], 1
	s_mul_u64 s[58:59], s[58:59], s[26:27]
	s_wait_alu 0xfffe
	v_add_co_u32 v3, vcc_lo, v15, s8
	s_wait_alu 0xfffd
	v_add_co_ci_u32_e64 v4, null, s9, v16, vcc_lo
	s_lshl_b64 s[8:9], s[58:59], 1
	s_wait_dscnt 0x5
	s_wait_alu 0xfffe
	v_add_co_u32 v39, vcc_lo, v15, s8
	s_wait_alu 0xfffd
	v_add_co_ci_u32_e64 v40, null, s9, v16, vcc_lo
	s_clause 0x2
	flat_load_b64 v[41:42], v[1:2]
	flat_load_b64 v[43:44], v[3:4]
	;; [unrolled: 1-line block ×3, first 2 shown]
	s_wait_loadcnt_dscnt 0x404
	v_lshlrev_b32_e32 v3, 16, v49
	v_lshlrev_b32_e32 v39, 16, v29
	s_wait_loadcnt_dscnt 0x202
	v_lshlrev_b32_e32 v51, 16, v42
	v_lshlrev_b32_e32 v2, 16, v48
	s_wait_loadcnt_dscnt 0x101
	v_lshlrev_b32_e32 v52, 16, v44
	v_and_b32_e32 v29, 0xffff0000, v29
	v_lshlrev_b32_e32 v1, 16, v47
	v_lshlrev_b32_e32 v40, 16, v41
	v_and_b32_e32 v53, 0xffff0000, v42
	v_and_b32_e32 v49, 0xffff0000, v41
	;; [unrolled: 1-line block ×3, first 2 shown]
	v_fma_f32 v42, v1, v39, 0
	s_delay_alu instid0(VALU_DEP_1)
	v_fmac_f32_e32 v42, v2, v29
	v_fma_f32 v41, v1, v40, 0
	v_lshlrev_b32_e32 v4, 16, v50
	s_wait_loadcnt_dscnt 0x0
	v_and_b32_e32 v50, 0xffff0000, v45
	v_lshlrev_b32_e32 v45, 16, v45
	v_and_b32_e32 v29, 0xffff0000, v46
	v_fmac_f32_e32 v41, v2, v49
	s_delay_alu instid0(VALU_DEP_3) | instskip(SKIP_1) | instid1(VALU_DEP_3)
	v_fma_f32 v39, v45, v1, 0
	v_lshlrev_b32_e32 v45, 16, v46
	v_fmac_f32_e32 v41, v3, v51
	v_lshlrev_b32_e32 v48, 16, v43
	v_and_b32_e32 v43, 0xffff0000, v43
	v_fmac_f32_e32 v39, v2, v50
	s_delay_alu instid0(VALU_DEP_4) | instskip(NEXT) | instid1(VALU_DEP_4)
	v_fmac_f32_e32 v41, v4, v53
	v_fma_f32 v40, v1, v48, 0
	s_delay_alu instid0(VALU_DEP_1) | instskip(NEXT) | instid1(VALU_DEP_1)
	v_fmac_f32_e32 v40, v2, v43
	v_dual_fmac_f32 v39, v45, v3 :: v_dual_fmac_f32 v40, v3, v52
	v_lshlrev_b32_e32 v47, 16, v30
	s_delay_alu instid0(VALU_DEP_2) | instskip(NEXT) | instid1(VALU_DEP_3)
	v_dual_fmac_f32 v39, v4, v29 :: v_dual_and_b32 v30, 0xffff0000, v30
	v_fmac_f32_e32 v40, v4, v44
	s_delay_alu instid0(VALU_DEP_3) | instskip(NEXT) | instid1(VALU_DEP_1)
	v_fmac_f32_e32 v42, v3, v47
	v_fmac_f32_e32 v42, v4, v30
	s_and_not1_saveexec_b32 s11, s6
	s_cbranch_execz .LBB621_20
.LBB621_46:                             ;   in Loop: Header=BB621_18 Depth=2
	s_wait_dscnt 0x0
	v_dual_mov_b32 v39, 0 :: v_dual_mov_b32 v40, 0
	v_dual_mov_b32 v41, 0 :: v_dual_mov_b32 v42, 0
	s_and_saveexec_b32 s20, s5
	s_cbranch_execz .LBB621_63
; %bb.47:                               ;   in Loop: Header=BB621_18 Depth=2
	s_and_not1_b32 vcc_lo, exec_lo, s57
	s_wait_alu 0xfffe
	s_cbranch_vccnz .LBB621_50
; %bb.48:                               ;   in Loop: Header=BB621_18 Depth=2
	v_dual_mov_b32 v30, v20 :: v_dual_mov_b32 v29, v19
	s_mov_b64 s[8:9], 0
.LBB621_49:                             ;   Parent Loop BB621_3 Depth=1
                                        ;     Parent Loop BB621_18 Depth=2
                                        ; =>    This Inner Loop Header: Depth=3
	flat_load_u16 v39, v[29:30]
	s_wait_alu 0xfffe
	s_cmp_eq_u32 s8, 3
	v_add_co_u32 v29, vcc_lo, v29, s38
	s_wait_alu 0xfffd
	v_add_co_ci_u32_e64 v30, null, s39, v30, vcc_lo
	s_cselect_b32 vcc_lo, -1, 0
	s_cmp_eq_u32 s8, 2
	s_cselect_b32 s6, -1, 0
	s_cmp_eq_u32 s8, 1
	s_cselect_b32 s7, -1, 0
	s_cmp_eq_u32 s8, 0
	s_add_nc_u64 s[8:9], s[8:9], 1
	s_wait_loadcnt_dscnt 0x0
	v_lshlrev_b32_e32 v39, 16, v39
	s_wait_alu 0xfffe
	s_delay_alu instid0(VALU_DEP_1)
	v_cndmask_b32_e32 v4, v4, v39, vcc_lo
	s_cselect_b32 vcc_lo, -1, 0
	v_cndmask_b32_e64 v3, v3, v39, s6
	v_cndmask_b32_e64 v2, v2, v39, s7
	s_wait_alu 0xfffe
	v_cndmask_b32_e32 v1, v1, v39, vcc_lo
	s_cmp_eq_u32 s55, s8
	s_cbranch_scc0 .LBB621_49
.LBB621_50:                             ;   in Loop: Header=BB621_18 Depth=2
	s_and_not1_b32 vcc_lo, exec_lo, s57
	s_wait_alu 0xfffe
	s_cbranch_vccnz .LBB621_62
; %bb.51:                               ;   in Loop: Header=BB621_18 Depth=2
	v_dual_mov_b32 v30, v28 :: v_dual_mov_b32 v41, 0
	v_dual_mov_b32 v42, 0 :: v_dual_mov_b32 v29, v27
	;; [unrolled: 1-line block ×3, first 2 shown]
	s_mov_b64 s[8:9], 0
.LBB621_52:                             ;   Parent Loop BB621_3 Depth=1
                                        ;     Parent Loop BB621_18 Depth=2
                                        ; =>    This Inner Loop Header: Depth=3
	s_delay_alu instid0(VALU_DEP_2)
	v_add_co_u32 v43, vcc_lo, v29, s46
	s_wait_alu 0xfffd
	v_add_co_ci_u32_e64 v44, null, s47, v30, vcc_lo
	v_add_co_u32 v45, vcc_lo, v29, s44
	s_wait_alu 0xfffd
	v_add_co_ci_u32_e64 v46, null, s45, v30, vcc_lo
	;; [unrolled: 3-line block ×3, first 2 shown]
	s_clause 0x3
	flat_load_u16 v49, v[29:30]
	flat_load_u16 v43, v[43:44]
	flat_load_u16 v44, v[45:46]
	flat_load_u16 v45, v[47:48]
	s_wait_alu 0xfffe
	s_cmp_eq_u32 s8, 1
	v_add_co_u32 v29, s6, v29, 2
	s_cselect_b32 vcc_lo, -1, 0
	s_cmp_eq_u32 s8, 2
	s_wait_alu 0xfffe
	v_cndmask_b32_e32 v46, v1, v2, vcc_lo
	s_cselect_b32 vcc_lo, -1, 0
	s_cmp_eq_u32 s8, 3
	v_add_co_ci_u32_e64 v30, null, 0, v30, s6
	s_add_nc_u64 s[8:9], s[8:9], 1
	s_wait_loadcnt_dscnt 0x303
	s_wait_alu 0xfffe
	v_dual_cndmask_b32 v46, v46, v3 :: v_dual_lshlrev_b32 v47, 16, v49
	s_cselect_b32 vcc_lo, -1, 0
	s_wait_loadcnt_dscnt 0x202
	v_lshlrev_b32_e32 v43, 16, v43
	s_wait_loadcnt_dscnt 0x0
	v_lshlrev_b32_e32 v45, 16, v45
	s_cmp_lg_u32 s55, s8
	s_wait_alu 0xfffe
	v_cndmask_b32_e32 v46, v46, v4, vcc_lo
	s_delay_alu instid0(VALU_DEP_1) | instskip(SKIP_1) | instid1(VALU_DEP_2)
	v_dual_fmac_f32 v41, v46, v43 :: v_dual_lshlrev_b32 v44, 16, v44
	v_fmac_f32_e32 v42, v46, v47
	v_fmac_f32_e32 v40, v46, v44
	;; [unrolled: 1-line block ×3, first 2 shown]
	s_cbranch_scc1 .LBB621_52
	s_branch .LBB621_63
.LBB621_53:                             ;   in Loop: Header=BB621_18 Depth=2
	ds_load_b32 v29, v31
	s_wait_alu 0xfffe
	s_or_b32 exec_lo, exec_lo, s6
	s_and_saveexec_b32 s6, s1
	s_cbranch_execz .LBB621_26
.LBB621_54:                             ;   in Loop: Header=BB621_18 Depth=2
	s_wait_dscnt 0x0
	ds_bpermute_b32 v30, v36, v29
	s_wait_dscnt 0x0
	v_add_f32_e32 v29, v29, v30
	ds_bpermute_b32 v30, v37, v29
	s_wait_dscnt 0x0
	v_add_f32_e32 v29, v29, v30
	;; [unrolled: 3-line block ×3, first 2 shown]
	s_wait_alu 0xfffe
	s_or_b32 exec_lo, exec_lo, s6
	s_and_saveexec_b32 s6, s1
	s_cbranch_execnz .LBB621_27
	s_branch .LBB621_28
.LBB621_55:                             ;   in Loop: Header=BB621_18 Depth=2
	ds_load_b32 v30, v31
	s_wait_alu 0xfffe
	s_or_b32 exec_lo, exec_lo, s6
	s_and_saveexec_b32 s6, s1
	s_cbranch_execz .LBB621_32
.LBB621_56:                             ;   in Loop: Header=BB621_18 Depth=2
	s_wait_dscnt 0x0
	ds_bpermute_b32 v41, v36, v30
	s_wait_dscnt 0x0
	v_add_f32_e32 v30, v30, v41
	ds_bpermute_b32 v41, v37, v30
	s_wait_dscnt 0x0
	v_add_f32_e32 v30, v30, v41
	;; [unrolled: 3-line block ×3, first 2 shown]
	s_wait_alu 0xfffe
	s_or_b32 exec_lo, exec_lo, s6
	s_and_saveexec_b32 s6, s1
	s_cbranch_execnz .LBB621_33
	s_branch .LBB621_34
.LBB621_57:                             ;   in Loop: Header=BB621_18 Depth=2
	ds_load_b32 v40, v31
	s_wait_alu 0xfffe
	s_or_b32 exec_lo, exec_lo, s6
	s_and_saveexec_b32 s6, s1
	s_cbranch_execz .LBB621_38
.LBB621_58:                             ;   in Loop: Header=BB621_18 Depth=2
	s_wait_dscnt 0x0
	ds_bpermute_b32 v41, v36, v40
	s_wait_dscnt 0x0
	v_add_f32_e32 v40, v40, v41
	ds_bpermute_b32 v41, v37, v40
	s_wait_dscnt 0x0
	v_add_f32_e32 v40, v40, v41
	;; [unrolled: 3-line block ×3, first 2 shown]
	s_wait_alu 0xfffe
	s_or_b32 exec_lo, exec_lo, s6
	s_and_saveexec_b32 s6, s1
	s_cbranch_execnz .LBB621_39
	s_branch .LBB621_40
.LBB621_59:                             ;   in Loop: Header=BB621_18 Depth=2
	ds_load_b32 v39, v31
	s_wait_alu 0xfffe
	s_or_b32 exec_lo, exec_lo, s6
	s_and_saveexec_b32 s6, s1
	s_cbranch_execz .LBB621_44
.LBB621_60:                             ;   in Loop: Header=BB621_18 Depth=2
	s_wait_dscnt 0x0
	ds_bpermute_b32 v41, v36, v39
	s_wait_dscnt 0x0
	v_add_f32_e32 v39, v39, v41
	ds_bpermute_b32 v41, v37, v39
	s_wait_dscnt 0x0
	v_add_f32_e32 v39, v39, v41
	ds_bpermute_b32 v41, v38, v39
	s_wait_dscnt 0x0
	v_add_f32_e32 v39, v39, v41
	s_wait_alu 0xfffe
	s_or_b32 exec_lo, exec_lo, s6
	s_and_saveexec_b32 s6, s0
	s_cbranch_execz .LBB621_17
.LBB621_61:                             ;   in Loop: Header=BB621_18 Depth=2
	s_mul_u64 s[8:9], s[24:25], s[28:29]
	v_dual_mul_f32 v29, s22, v29 :: v_dual_mul_f32 v30, s22, v30
	s_or_b32 s58, s24, 1
	s_mov_b32 s59, s25
	s_wait_alu 0xfffe
	s_lshl_b64 s[8:9], s[8:9], 2
	s_mul_u64 s[58:59], s[58:59], s[28:29]
	s_wait_alu 0xfffe
	s_add_nc_u64 s[8:9], s[50:51], s[8:9]
	s_or_b32 s60, s24, 2
	s_mov_b32 s61, s25
	global_store_b32 v0, v29, s[8:9]
	s_lshl_b64 s[8:9], s[58:59], 2
	s_mul_u64 s[58:59], s[60:61], s[28:29]
	s_or_b32 s60, s24, 3
	s_wait_alu 0xfffe
	s_add_nc_u64 s[8:9], s[50:51], s[8:9]
	s_mul_u64 s[60:61], s[60:61], s[28:29]
	v_mul_f32_e32 v29, s22, v40
	global_store_b32 v0, v30, s[8:9]
	s_lshl_b64 s[8:9], s[58:59], 2
	s_wait_dscnt 0x0
	v_mul_f32_e32 v30, s22, v39
	s_lshl_b64 s[58:59], s[60:61], 2
	s_wait_alu 0xfffe
	s_add_nc_u64 s[8:9], s[50:51], s[8:9]
	s_add_nc_u64 s[58:59], s[50:51], s[58:59]
	s_clause 0x1
	global_store_b32 v0, v29, s[8:9]
	global_store_b32 v0, v30, s[58:59]
	s_branch .LBB621_17
.LBB621_62:                             ;   in Loop: Header=BB621_18 Depth=2
	v_dual_mov_b32 v39, 0 :: v_dual_mov_b32 v40, 0
	v_dual_mov_b32 v41, 0 :: v_dual_mov_b32 v42, 0
.LBB621_63:                             ;   in Loop: Header=BB621_18 Depth=2
	s_wait_alu 0xfffe
	s_or_b32 exec_lo, exec_lo, s20
	s_delay_alu instid0(SALU_CYCLE_1)
	s_or_b32 exec_lo, exec_lo, s11
	s_and_saveexec_b32 s6, s1
	s_cbranch_execnz .LBB621_21
	s_branch .LBB621_22
.LBB621_64:                             ;   in Loop: Header=BB621_3 Depth=1
	v_mov_b32_e32 v3, v0
	v_dual_mov_b32 v1, v0 :: v_dual_mov_b32 v2, v0
	s_mov_b32 s24, 0
	s_delay_alu instid0(VALU_DEP_2) | instskip(NEXT) | instid1(VALU_DEP_2)
	v_mov_b32_e32 v4, v3
	v_mov_b32_e32 v3, v2
	s_delay_alu instid0(VALU_DEP_3)
	v_mov_b32_e32 v2, v1
	v_mov_b32_e32 v1, v0
.LBB621_65:                             ;   in Loop: Header=BB621_3 Depth=1
	s_wait_alu 0xfffe
	s_cmp_ge_i32 s24, s21
	s_cbranch_scc1 .LBB621_2
; %bb.66:                               ;   in Loop: Header=BB621_3 Depth=1
	v_cmp_gt_u32_e32 vcc_lo, 24, v33
	s_wait_alu 0xfffd
	v_cndmask_b32_e64 v19, 0, 8, vcc_lo
	v_cmp_gt_u32_e32 vcc_lo, 28, v33
	s_delay_alu instid0(VALU_DEP_2) | instskip(SKIP_4) | instid1(VALU_DEP_3)
	v_add_lshl_u32 v29, v19, v33, 2
	s_wait_alu 0xfffd
	v_cndmask_b32_e64 v21, 0, 4, vcc_lo
	v_cmp_gt_u32_e32 vcc_lo, 30, v33
	v_mad_co_u64_u32 v[19:20], null, s46, s24, v[15:16]
	v_add_lshl_u32 v30, v21, v33, 2
	s_wait_alu 0xfffd
	v_cndmask_b32_e64 v22, 0, 2, vcc_lo
	v_cmp_ne_u32_e32 vcc_lo, 31, v33
	s_delay_alu instid0(VALU_DEP_2)
	v_add_lshl_u32 v35, v22, v33, 2
	s_wait_alu 0xfffd
	v_add_co_ci_u32_e64 v23, null, 0, v33, vcc_lo
	v_add_co_u32 v21, vcc_lo, v17, v5
	s_wait_alu 0xfffd
	v_add_co_ci_u32_e64 v22, null, v18, v6, vcc_lo
	s_delay_alu instid0(VALU_DEP_3)
	v_lshlrev_b32_e32 v36, 2, v23
	s_wait_dscnt 0x0
	v_mad_co_u64_u32 v[27:28], null, s47, s24, v[20:21]
	v_add_co_u32 v23, vcc_lo, v17, v9
	s_wait_alu 0xfffd
	v_add_co_ci_u32_e64 v24, null, v18, v10, vcc_lo
	v_add_co_u32 v25, vcc_lo, v17, v11
	s_wait_alu 0xfffd
	v_add_co_ci_u32_e64 v26, null, v18, v12, vcc_lo
	;; [unrolled: 3-line block ×3, first 2 shown]
	v_mov_b32_e32 v20, v27
	s_branch .LBB621_68
.LBB621_67:                             ;   in Loop: Header=BB621_68 Depth=2
	s_wait_alu 0xfffe
	s_or_b32 exec_lo, exec_lo, s6
	v_add_co_u32 v19, vcc_lo, v19, s46
	s_wait_alu 0xfffd
	v_add_co_ci_u32_e64 v20, null, s47, v20, vcc_lo
	s_add_co_i32 s24, s24, 1
	s_wait_alu 0xfffe
	s_cmp_ge_i32 s24, s21
	s_cbranch_scc1 .LBB621_2
.LBB621_68:                             ;   Parent Loop BB621_3 Depth=1
                                        ; =>  This Loop Header: Depth=2
                                        ;       Child Loop BB621_81 Depth 3
                                        ;       Child Loop BB621_84 Depth 3
	v_mov_b32_e32 v37, s25
	s_and_saveexec_b32 s6, s4
	s_wait_alu 0xfffe
	s_xor_b32 s6, exec_lo, s6
	s_cbranch_execnz .LBB621_77
; %bb.69:                               ;   in Loop: Header=BB621_68 Depth=2
	s_wait_alu 0xfffe
	s_and_not1_saveexec_b32 s11, s6
	s_cbranch_execnz .LBB621_78
.LBB621_70:                             ;   in Loop: Header=BB621_68 Depth=2
	s_or_b32 exec_lo, exec_lo, s11
	s_and_saveexec_b32 s6, s1
.LBB621_71:                             ;   in Loop: Header=BB621_68 Depth=2
	ds_store_b32 v31, v0
.LBB621_72:                             ;   in Loop: Header=BB621_68 Depth=2
	s_wait_alu 0xfffe
	s_or_b32 exec_lo, exec_lo, s6
	s_wait_dscnt 0x0
	ds_bpermute_b32 v27, v34, v37
	s_wait_storecnt 0x0
	s_wait_loadcnt_dscnt 0x0
	s_barrier_signal -1
	s_barrier_wait -1
	global_inv scope:SCOPE_SE
	v_add_f32_e32 v27, v37, v27
	ds_bpermute_b32 v28, v29, v27
	s_wait_dscnt 0x0
	v_add_f32_e32 v27, v27, v28
	ds_bpermute_b32 v28, v30, v27
	s_wait_dscnt 0x0
	v_add_f32_e32 v27, v27, v28
	ds_bpermute_b32 v28, v35, v27
	s_wait_dscnt 0x0
	v_add_f32_e32 v27, v27, v28
	ds_bpermute_b32 v28, v36, v27
	s_and_saveexec_b32 s6, s3
	s_cbranch_execz .LBB621_74
; %bb.73:                               ;   in Loop: Header=BB621_68 Depth=2
	s_wait_dscnt 0x0
	v_add_f32_e32 v27, v27, v28
	ds_store_b32 v32, v27
.LBB621_74:                             ;   in Loop: Header=BB621_68 Depth=2
	s_wait_alu 0xfffe
	s_or_b32 exec_lo, exec_lo, s6
	v_mov_b32_e32 v27, 0
	s_wait_loadcnt_dscnt 0x0
	s_barrier_signal -1
	s_barrier_wait -1
	global_inv scope:SCOPE_SE
	s_and_saveexec_b32 s6, s2
	s_cbranch_execnz .LBB621_86
; %bb.75:                               ;   in Loop: Header=BB621_68 Depth=2
	s_wait_alu 0xfffe
	s_or_b32 exec_lo, exec_lo, s6
	s_and_saveexec_b32 s6, s1
	s_cbranch_execnz .LBB621_87
.LBB621_76:                             ;   in Loop: Header=BB621_68 Depth=2
	s_wait_alu 0xfffe
	s_or_b32 exec_lo, exec_lo, s6
	s_and_saveexec_b32 s6, s0
	s_cbranch_execz .LBB621_67
	s_branch .LBB621_88
.LBB621_77:                             ;   in Loop: Header=BB621_68 Depth=2
	s_mul_u64 s[8:9], s[24:25], s[26:27]
	s_wait_alu 0xfffe
	s_lshl_b64 s[8:9], s[8:9], 1
	s_wait_alu 0xfffe
	v_add_co_u32 v1, vcc_lo, v15, s8
	s_wait_alu 0xfffd
	v_add_co_ci_u32_e64 v2, null, s9, v16, vcc_lo
	flat_load_u16 v3, v[21:22]
	s_wait_dscnt 0x1
	flat_load_b64 v[27:28], v[1:2]
	s_clause 0x2
	flat_load_u16 v2, v[23:24]
	flat_load_u16 v4, v[25:26]
	;; [unrolled: 1-line block ×3, first 2 shown]
	s_wait_loadcnt_dscnt 0x404
	v_lshlrev_b32_e32 v1, 16, v3
	s_wait_loadcnt_dscnt 0x303
	v_lshlrev_b32_e32 v3, 16, v27
	v_and_b32_e32 v27, 0xffff0000, v27
	s_delay_alu instid0(VALU_DEP_2) | instskip(SKIP_4) | instid1(VALU_DEP_1)
	v_fma_f32 v37, v1, v3, 0
	s_wait_loadcnt_dscnt 0x101
	v_lshlrev_b32_e32 v3, 16, v4
	v_lshlrev_b32_e32 v2, 16, v2
	s_wait_loadcnt_dscnt 0x0
	v_dual_fmac_f32 v37, v2, v27 :: v_dual_lshlrev_b32 v4, 16, v38
	v_lshlrev_b32_e32 v27, 16, v28
	s_delay_alu instid0(VALU_DEP_1) | instskip(NEXT) | instid1(VALU_DEP_1)
	v_dual_fmac_f32 v37, v3, v27 :: v_dual_and_b32 v28, 0xffff0000, v28
	v_fmac_f32_e32 v37, v4, v28
	s_and_not1_saveexec_b32 s11, s6
	s_cbranch_execz .LBB621_70
.LBB621_78:                             ;   in Loop: Header=BB621_68 Depth=2
	s_and_saveexec_b32 s20, s5
	s_cbranch_execz .LBB621_85
; %bb.79:                               ;   in Loop: Header=BB621_68 Depth=2
	s_and_not1_b32 vcc_lo, exec_lo, s57
	s_wait_alu 0xfffe
	s_cbranch_vccnz .LBB621_82
; %bb.80:                               ;   in Loop: Header=BB621_68 Depth=2
	s_wait_dscnt 0x0
	v_dual_mov_b32 v28, v22 :: v_dual_mov_b32 v27, v21
	s_mov_b64 s[8:9], 0
.LBB621_81:                             ;   Parent Loop BB621_3 Depth=1
                                        ;     Parent Loop BB621_68 Depth=2
                                        ; =>    This Inner Loop Header: Depth=3
	flat_load_u16 v38, v[27:28]
	s_wait_alu 0xfffe
	s_cmp_eq_u32 s8, 3
	v_add_co_u32 v27, vcc_lo, v27, s38
	s_wait_alu 0xfffd
	v_add_co_ci_u32_e64 v28, null, s39, v28, vcc_lo
	s_cselect_b32 vcc_lo, -1, 0
	s_cmp_eq_u32 s8, 2
	s_cselect_b32 s6, -1, 0
	s_cmp_eq_u32 s8, 1
	s_cselect_b32 s7, -1, 0
	s_cmp_eq_u32 s8, 0
	s_add_nc_u64 s[8:9], s[8:9], 1
	s_wait_loadcnt_dscnt 0x0
	v_lshlrev_b32_e32 v38, 16, v38
	s_wait_alu 0xfffe
	s_delay_alu instid0(VALU_DEP_1)
	v_cndmask_b32_e32 v4, v4, v38, vcc_lo
	s_cselect_b32 vcc_lo, -1, 0
	v_cndmask_b32_e64 v3, v3, v38, s6
	v_cndmask_b32_e64 v2, v2, v38, s7
	s_wait_alu 0xfffe
	v_cndmask_b32_e32 v1, v1, v38, vcc_lo
	s_cmp_eq_u32 s55, s8
	s_cbranch_scc0 .LBB621_81
.LBB621_82:                             ;   in Loop: Header=BB621_68 Depth=2
	s_and_not1_b32 vcc_lo, exec_lo, s57
	s_wait_alu 0xfffe
	s_cbranch_vccnz .LBB621_85
; %bb.83:                               ;   in Loop: Header=BB621_68 Depth=2
	s_wait_dscnt 0x0
	v_dual_mov_b32 v28, v20 :: v_dual_mov_b32 v27, v19
	s_mov_b64 s[6:7], 0
.LBB621_84:                             ;   Parent Loop BB621_3 Depth=1
                                        ;     Parent Loop BB621_68 Depth=2
                                        ; =>    This Inner Loop Header: Depth=3
	flat_load_u16 v38, v[27:28]
	s_wait_alu 0xfffe
	s_cmp_eq_u32 s6, 1
	s_cselect_b32 vcc_lo, -1, 0
	s_cmp_eq_u32 s6, 2
	s_wait_dscnt 0x1
	s_wait_alu 0xfffe
	v_cndmask_b32_e32 v39, v1, v2, vcc_lo
	s_cselect_b32 vcc_lo, -1, 0
	s_cmp_eq_u32 s6, 3
	s_add_nc_u64 s[6:7], s[6:7], 1
	s_wait_alu 0xfffe
	v_cndmask_b32_e32 v39, v39, v3, vcc_lo
	s_cselect_b32 vcc_lo, -1, 0
	s_cmp_lg_u32 s55, s6
	s_wait_loadcnt_dscnt 0x0
	s_wait_alu 0xfffe
	v_dual_cndmask_b32 v39, v39, v4 :: v_dual_lshlrev_b32 v38, 16, v38
	v_add_co_u32 v27, vcc_lo, v27, 2
	s_wait_alu 0xfffd
	v_add_co_ci_u32_e64 v28, null, 0, v28, vcc_lo
	s_delay_alu instid0(VALU_DEP_3)
	v_fmac_f32_e32 v37, v39, v38
	s_cbranch_scc1 .LBB621_84
.LBB621_85:                             ;   in Loop: Header=BB621_68 Depth=2
	s_wait_alu 0xfffe
	s_or_b32 exec_lo, exec_lo, s20
	s_delay_alu instid0(SALU_CYCLE_1)
	s_or_b32 exec_lo, exec_lo, s11
	s_and_saveexec_b32 s6, s1
	s_cbranch_execnz .LBB621_71
	s_branch .LBB621_72
.LBB621_86:                             ;   in Loop: Header=BB621_68 Depth=2
	ds_load_b32 v27, v31
	s_wait_alu 0xfffe
	s_or_b32 exec_lo, exec_lo, s6
	s_and_saveexec_b32 s6, s1
	s_cbranch_execz .LBB621_76
.LBB621_87:                             ;   in Loop: Header=BB621_68 Depth=2
	s_wait_dscnt 0x0
	ds_bpermute_b32 v28, v30, v27
	s_wait_dscnt 0x0
	v_add_f32_e32 v27, v27, v28
	ds_bpermute_b32 v28, v35, v27
	s_wait_dscnt 0x0
	v_add_f32_e32 v27, v27, v28
	;; [unrolled: 3-line block ×3, first 2 shown]
	s_wait_alu 0xfffe
	s_or_b32 exec_lo, exec_lo, s6
	s_and_saveexec_b32 s6, s0
	s_cbranch_execz .LBB621_67
.LBB621_88:                             ;   in Loop: Header=BB621_68 Depth=2
	s_mul_u64 s[8:9], s[24:25], s[28:29]
	s_wait_dscnt 0x0
	v_mul_f32_e32 v27, s22, v27
	s_wait_alu 0xfffe
	s_lshl_b64 s[8:9], s[8:9], 2
	s_wait_alu 0xfffe
	s_add_nc_u64 s[8:9], s[50:51], s[8:9]
	global_store_b32 v0, v27, s[8:9]
	s_branch .LBB621_67
.LBB621_89:
	s_endpgm
	.section	.rodata,"a",@progbits
	.p2align	6, 0x0
	.amdhsa_kernel _ZL23rocblas_gemvt_sn_kernelILb1ELi256ELi4ElPK16rocblas_bfloat16ffEviiT4_lPKT3_lilS6_lilPT5_i
		.amdhsa_group_segment_fixed_size 128
		.amdhsa_private_segment_fixed_size 0
		.amdhsa_kernarg_size 360
		.amdhsa_user_sgpr_count 2
		.amdhsa_user_sgpr_dispatch_ptr 0
		.amdhsa_user_sgpr_queue_ptr 0
		.amdhsa_user_sgpr_kernarg_segment_ptr 1
		.amdhsa_user_sgpr_dispatch_id 0
		.amdhsa_user_sgpr_private_segment_size 0
		.amdhsa_wavefront_size32 1
		.amdhsa_uses_dynamic_stack 0
		.amdhsa_enable_private_segment 0
		.amdhsa_system_sgpr_workgroup_id_x 1
		.amdhsa_system_sgpr_workgroup_id_y 0
		.amdhsa_system_sgpr_workgroup_id_z 1
		.amdhsa_system_sgpr_workgroup_info 0
		.amdhsa_system_vgpr_workitem_id 0
		.amdhsa_next_free_vgpr 54
		.amdhsa_next_free_sgpr 62
		.amdhsa_reserve_vcc 1
		.amdhsa_float_round_mode_32 0
		.amdhsa_float_round_mode_16_64 0
		.amdhsa_float_denorm_mode_32 3
		.amdhsa_float_denorm_mode_16_64 3
		.amdhsa_fp16_overflow 0
		.amdhsa_workgroup_processor_mode 1
		.amdhsa_memory_ordered 1
		.amdhsa_forward_progress 1
		.amdhsa_inst_pref_size 37
		.amdhsa_round_robin_scheduling 0
		.amdhsa_exception_fp_ieee_invalid_op 0
		.amdhsa_exception_fp_denorm_src 0
		.amdhsa_exception_fp_ieee_div_zero 0
		.amdhsa_exception_fp_ieee_overflow 0
		.amdhsa_exception_fp_ieee_underflow 0
		.amdhsa_exception_fp_ieee_inexact 0
		.amdhsa_exception_int_div_zero 0
	.end_amdhsa_kernel
	.section	.text._ZL23rocblas_gemvt_sn_kernelILb1ELi256ELi4ElPK16rocblas_bfloat16ffEviiT4_lPKT3_lilS6_lilPT5_i,"axG",@progbits,_ZL23rocblas_gemvt_sn_kernelILb1ELi256ELi4ElPK16rocblas_bfloat16ffEviiT4_lPKT3_lilS6_lilPT5_i,comdat
.Lfunc_end621:
	.size	_ZL23rocblas_gemvt_sn_kernelILb1ELi256ELi4ElPK16rocblas_bfloat16ffEviiT4_lPKT3_lilS6_lilPT5_i, .Lfunc_end621-_ZL23rocblas_gemvt_sn_kernelILb1ELi256ELi4ElPK16rocblas_bfloat16ffEviiT4_lPKT3_lilS6_lilPT5_i
                                        ; -- End function
	.set _ZL23rocblas_gemvt_sn_kernelILb1ELi256ELi4ElPK16rocblas_bfloat16ffEviiT4_lPKT3_lilS6_lilPT5_i.num_vgpr, 54
	.set _ZL23rocblas_gemvt_sn_kernelILb1ELi256ELi4ElPK16rocblas_bfloat16ffEviiT4_lPKT3_lilS6_lilPT5_i.num_agpr, 0
	.set _ZL23rocblas_gemvt_sn_kernelILb1ELi256ELi4ElPK16rocblas_bfloat16ffEviiT4_lPKT3_lilS6_lilPT5_i.numbered_sgpr, 62
	.set _ZL23rocblas_gemvt_sn_kernelILb1ELi256ELi4ElPK16rocblas_bfloat16ffEviiT4_lPKT3_lilS6_lilPT5_i.num_named_barrier, 0
	.set _ZL23rocblas_gemvt_sn_kernelILb1ELi256ELi4ElPK16rocblas_bfloat16ffEviiT4_lPKT3_lilS6_lilPT5_i.private_seg_size, 0
	.set _ZL23rocblas_gemvt_sn_kernelILb1ELi256ELi4ElPK16rocblas_bfloat16ffEviiT4_lPKT3_lilS6_lilPT5_i.uses_vcc, 1
	.set _ZL23rocblas_gemvt_sn_kernelILb1ELi256ELi4ElPK16rocblas_bfloat16ffEviiT4_lPKT3_lilS6_lilPT5_i.uses_flat_scratch, 1
	.set _ZL23rocblas_gemvt_sn_kernelILb1ELi256ELi4ElPK16rocblas_bfloat16ffEviiT4_lPKT3_lilS6_lilPT5_i.has_dyn_sized_stack, 0
	.set _ZL23rocblas_gemvt_sn_kernelILb1ELi256ELi4ElPK16rocblas_bfloat16ffEviiT4_lPKT3_lilS6_lilPT5_i.has_recursion, 0
	.set _ZL23rocblas_gemvt_sn_kernelILb1ELi256ELi4ElPK16rocblas_bfloat16ffEviiT4_lPKT3_lilS6_lilPT5_i.has_indirect_call, 0
	.section	.AMDGPU.csdata,"",@progbits
; Kernel info:
; codeLenInByte = 4672
; TotalNumSgprs: 64
; NumVgprs: 54
; ScratchSize: 0
; MemoryBound: 0
; FloatMode: 240
; IeeeMode: 1
; LDSByteSize: 128 bytes/workgroup (compile time only)
; SGPRBlocks: 0
; VGPRBlocks: 6
; NumSGPRsForWavesPerEU: 64
; NumVGPRsForWavesPerEU: 54
; Occupancy: 16
; WaveLimiterHint : 0
; COMPUTE_PGM_RSRC2:SCRATCH_EN: 0
; COMPUTE_PGM_RSRC2:USER_SGPR: 2
; COMPUTE_PGM_RSRC2:TRAP_HANDLER: 0
; COMPUTE_PGM_RSRC2:TGID_X_EN: 1
; COMPUTE_PGM_RSRC2:TGID_Y_EN: 0
; COMPUTE_PGM_RSRC2:TGID_Z_EN: 1
; COMPUTE_PGM_RSRC2:TIDIG_COMP_CNT: 0
	.section	.text._ZL20rocblas_gemvt_kernelILb1ELi256EPK16rocblas_bfloat16PKfKPS0_EviiT2_lPKT1_lilSA_lilS7_lPT3_lili,"axG",@progbits,_ZL20rocblas_gemvt_kernelILb1ELi256EPK16rocblas_bfloat16PKfKPS0_EviiT2_lPKT1_lilSA_lilS7_lPT3_lili,comdat
	.globl	_ZL20rocblas_gemvt_kernelILb1ELi256EPK16rocblas_bfloat16PKfKPS0_EviiT2_lPKT1_lilSA_lilS7_lPT3_lili ; -- Begin function _ZL20rocblas_gemvt_kernelILb1ELi256EPK16rocblas_bfloat16PKfKPS0_EviiT2_lPKT1_lilSA_lilS7_lPT3_lili
	.p2align	8
	.type	_ZL20rocblas_gemvt_kernelILb1ELi256EPK16rocblas_bfloat16PKfKPS0_EviiT2_lPKT1_lilSA_lilS7_lPT3_lili,@function
_ZL20rocblas_gemvt_kernelILb1ELi256EPK16rocblas_bfloat16PKfKPS0_EviiT2_lPKT1_lilSA_lilS7_lPT3_lili: ; @_ZL20rocblas_gemvt_kernelILb1ELi256EPK16rocblas_bfloat16PKfKPS0_EviiT2_lPKT1_lilSA_lilS7_lPT3_lili
; %bb.0:
	s_load_b32 s33, s[0:1], 0x88
	s_lshr_b32 s10, ttmp7, 16
	s_wait_kmcnt 0x0
	s_cmp_ge_u32 s10, s33
	s_cbranch_scc1 .LBB622_70
; %bb.1:
	s_clause 0x6
	s_load_b32 s4, s[0:1], 0x28
	s_load_b32 s36, s[0:1], 0x48
	s_load_b32 s8, s[0:1], 0x0
	s_load_b32 s6, s[0:1], 0x78
	s_load_b128 s[28:31], s[0:1], 0x38
	s_load_b256 s[12:19], s[0:1], 0x8
	s_load_b256 s[20:27], s[0:1], 0x58
	s_mov_b32 s2, ttmp9
	s_ashr_i32 s3, ttmp9, 31
	v_cmp_eq_u32_e64 s0, 0, v0
	v_dual_mov_b32 v12, 0 :: v_dual_lshlrev_b32 v13, 2, v0
	v_cmp_gt_u32_e64 s1, 0x80, v0
	s_mov_b32 s11, 0
	s_wait_kmcnt 0x0
	s_ashr_i32 s5, s4, 31
	v_mad_co_i64_i32 v[1:2], null, s36, v0, 0
	s_ashr_i32 s9, s8, 31
	s_ashr_i32 s7, s6, 31
	s_lshr_b32 s9, s9, 24
	v_cmp_gt_i32_e32 vcc_lo, s8, v0
	s_add_co_i32 s9, s8, s9
	s_mul_u64 s[38:39], s[6:7], s[2:3]
	s_wait_alu 0xfffe
	s_and_b32 s34, s9, 0xffffff00
	s_mul_u64 s[40:41], s[4:5], s[2:3]
	v_or_b32_e32 v3, s34, v0
	v_cndmask_b32_e32 v5, 0, v0, vcc_lo
	s_ashr_i32 s37, s36, 31
	s_cmp_gt_i32 s8, 0xff
	v_cmp_gt_u32_e64 s3, 64, v0
	v_cmp_gt_i32_e64 s2, s8, v3
	v_mad_co_i64_i32 v[3:4], null, s36, v3, 0
	v_cmp_gt_u32_e64 s4, 32, v0
	v_cmp_gt_u32_e64 s5, 16, v0
	;; [unrolled: 1-line block ×5, first 2 shown]
	v_lshlrev_b64_e32 v[0:1], 1, v[1:2]
	v_lshlrev_b64_e32 v[2:3], 1, v[3:4]
	v_lshlrev_b32_e32 v14, 1, v5
	s_cselect_b32 s44, -1, 0
	s_ashr_i32 s35, s34, 31
	s_wait_alu 0xfffe
	s_lshl_b64 s[36:37], s[36:37], 9
	s_lshl_b64 s[18:19], s[18:19], 1
	;; [unrolled: 1-line block ×7, first 2 shown]
	s_branch .LBB622_4
.LBB622_2:                              ;   in Loop: Header=BB622_4 Depth=1
	s_wait_alu 0xfffe
	s_or_b32 exec_lo, exec_lo, s9
.LBB622_3:                              ;   in Loop: Header=BB622_4 Depth=1
	s_add_co_i32 s10, s10, 0x10000
	s_delay_alu instid0(SALU_CYCLE_1)
	s_cmp_lt_u32 s10, s33
	s_cbranch_scc0 .LBB622_70
.LBB622_4:                              ; =>This Loop Header: Depth=1
                                        ;     Child Loop BB622_23 Depth 2
	s_mul_u64 s[46:47], s[14:15], s[10:11]
	s_mul_u64 s[48:49], s[22:23], s[10:11]
	s_wait_alu 0xfffe
	s_lshl_b64 s[46:47], s[46:47], 2
	s_lshl_b64 s[48:49], s[48:49], 2
	s_wait_alu 0xfffe
	s_add_nc_u64 s[46:47], s[12:13], s[46:47]
	s_add_nc_u64 s[48:49], s[20:21], s[48:49]
	s_clause 0x1
	global_load_b32 v4, v12, s[46:47]
	global_load_b32 v5, v12, s[48:49]
	s_wait_loadcnt 0x1
	v_cmp_eq_f32_e32 vcc_lo, 0, v4
	s_wait_loadcnt 0x0
	v_cmp_eq_f32_e64 s9, 1.0, v5
	v_readfirstlane_b32 s45, v4
	s_and_b32 s35, vcc_lo, s9
	v_readfirstlane_b32 s9, v5
	s_wait_alu 0xfffe
	s_and_b32 vcc_lo, exec_lo, s35
	s_wait_alu 0xfffe
	s_cbranch_vccnz .LBB622_3
; %bb.5:                                ;   in Loop: Header=BB622_4 Depth=1
	s_cmp_neq_f32 s45, 0
	v_mov_b32_e32 v4, 0
	v_dual_mov_b32 v5, 0 :: v_dual_mov_b32 v6, 0
	s_cselect_b32 s46, -1, 0
	s_cmp_eq_f32 s45, 0
	v_mov_b32_e32 v7, 0
	s_cselect_b32 s35, -1, 0
	s_wait_alu 0xfffe
	s_and_b32 vcc_lo, exec_lo, s35
	s_wait_alu 0xfffe
	s_cbranch_vccnz .LBB622_7
; %bb.6:                                ;   in Loop: Header=BB622_4 Depth=1
	s_lshl_b64 s[48:49], s[10:11], 3
	s_delay_alu instid0(SALU_CYCLE_1)
	s_add_nc_u64 s[48:49], s[16:17], s[48:49]
	global_load_b64 v[6:7], v12, s[48:49]
	s_wait_loadcnt 0x0
	v_add_co_u32 v6, vcc_lo, v6, s18
	s_wait_alu 0xfffd
	v_add_co_ci_u32_e64 v7, null, s19, v7, vcc_lo
.LBB622_7:                              ;   in Loop: Header=BB622_4 Depth=1
	s_and_not1_b32 vcc_lo, exec_lo, s46
	s_wait_alu 0xfffe
	s_cbranch_vccnz .LBB622_9
; %bb.8:                                ;   in Loop: Header=BB622_4 Depth=1
	s_lshl_b64 s[46:47], s[10:11], 3
	s_wait_alu 0xfffe
	s_add_nc_u64 s[46:47], s[28:29], s[46:47]
	global_load_b64 v[4:5], v12, s[46:47]
	s_wait_loadcnt 0x0
	v_add_co_u32 v4, vcc_lo, v4, s30
	s_wait_alu 0xfffd
	v_add_co_ci_u32_e64 v5, null, s31, v5, vcc_lo
.LBB622_9:                              ;   in Loop: Header=BB622_4 Depth=1
	s_lshl_b64 s[46:47], s[10:11], 3
	s_wait_alu 0xfffe
	s_add_nc_u64 s[46:47], s[24:25], s[46:47]
	global_load_b64 v[8:9], v12, s[46:47]
	s_wait_loadcnt 0x0
	v_add_co_u32 v15, vcc_lo, v8, s26
	s_wait_alu 0xfffd
	v_add_co_ci_u32_e64 v16, null, s27, v9, vcc_lo
	s_and_not1_b32 vcc_lo, exec_lo, s35
	s_wait_alu 0xfffe
	s_cbranch_vccnz .LBB622_17
; %bb.10:                               ;   in Loop: Header=BB622_4 Depth=1
	s_mov_b32 s46, 0
	s_mov_b32 s35, 0
                                        ; implicit-def: $vgpr8
	s_and_saveexec_b32 s47, s0
	s_cbranch_execz .LBB622_18
; %bb.11:                               ;   in Loop: Header=BB622_4 Depth=1
	s_cmp_eq_f32 s9, 0
	s_cbranch_scc1 .LBB622_19
; %bb.12:                               ;   in Loop: Header=BB622_4 Depth=1
	v_add_co_u32 v8, vcc_lo, v15, s38
	s_wait_alu 0xfffd
	v_add_co_ci_u32_e64 v9, null, s39, v16, vcc_lo
	flat_load_u16 v8, v[8:9]
	s_wait_loadcnt_dscnt 0x0
	v_lshlrev_b32_e32 v8, 16, v8
	s_delay_alu instid0(VALU_DEP_1) | instskip(NEXT) | instid1(VALU_DEP_1)
	v_mul_f32_e32 v8, s9, v8
	v_and_b32_e32 v9, 0x7f800000, v8
	s_delay_alu instid0(VALU_DEP_1)
	v_cmp_ne_u32_e32 vcc_lo, 0x7f800000, v9
                                        ; implicit-def: $vgpr9
	s_and_saveexec_b32 s35, vcc_lo
	s_wait_alu 0xfffe
	s_xor_b32 s35, exec_lo, s35
; %bb.13:                               ;   in Loop: Header=BB622_4 Depth=1
	v_bfe_u32 v9, v8, 16, 1
	s_delay_alu instid0(VALU_DEP_1)
	v_add3_u32 v9, v8, v9, 0x7fff
                                        ; implicit-def: $vgpr8
; %bb.14:                               ;   in Loop: Header=BB622_4 Depth=1
	s_wait_alu 0xfffe
	s_and_not1_saveexec_b32 s35, s35
; %bb.15:                               ;   in Loop: Header=BB622_4 Depth=1
	v_and_b32_e32 v9, 0xffff, v8
	v_or_b32_e32 v10, 0x10000, v8
	s_delay_alu instid0(VALU_DEP_2) | instskip(SKIP_1) | instid1(VALU_DEP_2)
	v_cmp_eq_u32_e32 vcc_lo, 0, v9
	s_wait_alu 0xfffd
	v_cndmask_b32_e32 v9, v10, v8, vcc_lo
; %bb.16:                               ;   in Loop: Header=BB622_4 Depth=1
	s_wait_alu 0xfffe
	s_or_b32 exec_lo, exec_lo, s35
	s_delay_alu instid0(VALU_DEP_1) | instskip(SKIP_2) | instid1(SALU_CYCLE_1)
	v_lshrrev_b32_e32 v8, 16, v9
	s_mov_b32 s35, exec_lo
	s_or_b32 exec_lo, exec_lo, s47
	s_and_b32 vcc_lo, exec_lo, s46
	s_wait_alu 0xfffe
	s_cbranch_vccnz .LBB622_20
	s_branch .LBB622_68
.LBB622_17:                             ;   in Loop: Header=BB622_4 Depth=1
	s_mov_b32 s35, 0
                                        ; implicit-def: $vgpr8
	s_cbranch_execnz .LBB622_20
	s_branch .LBB622_68
.LBB622_18:                             ;   in Loop: Header=BB622_4 Depth=1
	s_wait_alu 0xfffe
	s_or_b32 exec_lo, exec_lo, s47
	s_delay_alu instid0(SALU_CYCLE_1)
	s_and_b32 vcc_lo, exec_lo, s46
	s_wait_alu 0xfffe
	s_cbranch_vccnz .LBB622_20
	s_branch .LBB622_68
.LBB622_19:                             ;   in Loop: Header=BB622_4 Depth=1
	v_mov_b32_e32 v8, 0
	s_mov_b32 s35, exec_lo
	s_wait_alu 0xfffe
	s_or_b32 exec_lo, exec_lo, s47
	s_delay_alu instid0(SALU_CYCLE_1)
	s_and_b32 vcc_lo, exec_lo, s46
	s_wait_alu 0xfffe
	s_cbranch_vccz .LBB622_68
.LBB622_20:                             ;   in Loop: Header=BB622_4 Depth=1
	v_add_co_u32 v6, vcc_lo, v6, v14
	s_wait_alu 0xfffd
	v_add_co_ci_u32_e64 v7, null, 0, v7, vcc_lo
	v_mov_b32_e32 v17, 0
	s_delay_alu instid0(VALU_DEP_3) | instskip(SKIP_1) | instid1(VALU_DEP_3)
	v_add_co_u32 v6, vcc_lo, v6, s40
	s_wait_alu 0xfffd
	v_add_co_ci_u32_e64 v7, null, s41, v7, vcc_lo
	s_and_not1_b32 vcc_lo, exec_lo, s44
	s_wait_alu 0xfffe
	s_cbranch_vccnz .LBB622_27
; %bb.21:                               ;   in Loop: Header=BB622_4 Depth=1
	v_add_co_u32 v8, vcc_lo, v4, v0
	v_mov_b32_e32 v11, v7
	s_wait_alu 0xfffd
	v_add_co_ci_u32_e64 v9, null, v5, v1, vcc_lo
	v_dual_mov_b32 v17, 0 :: v_dual_mov_b32 v10, v6
	s_mov_b32 s46, 0
	s_branch .LBB622_23
.LBB622_22:                             ;   in Loop: Header=BB622_23 Depth=2
	s_wait_alu 0xfffe
	s_or_b32 exec_lo, exec_lo, s47
	s_delay_alu instid0(VALU_DEP_1)
	v_and_b32_e32 v18, 0xffff0000, v19
	v_add_co_u32 v8, vcc_lo, v8, s36
	s_wait_alu 0xfffd
	v_add_co_ci_u32_e64 v9, null, s37, v9, vcc_lo
	v_add_co_u32 v10, vcc_lo, 0x200, v10
	v_add_f32_e32 v17, v17, v18
	s_wait_alu 0xfffd
	v_add_co_ci_u32_e64 v11, null, 0, v11, vcc_lo
	s_addk_co_i32 s46, 0x100
	s_wait_alu 0xfffe
	s_cmp_ge_i32 s46, s34
	s_cbranch_scc1 .LBB622_27
.LBB622_23:                             ;   Parent Loop BB622_4 Depth=1
                                        ; =>  This Inner Loop Header: Depth=2
	flat_load_u16 v18, v[8:9]
	flat_load_u16 v19, v[10:11]
	s_wait_loadcnt_dscnt 0x101
	v_lshlrev_b32_e32 v18, 16, v18
	s_wait_loadcnt_dscnt 0x0
	v_lshlrev_b32_e32 v19, 16, v19
	s_delay_alu instid0(VALU_DEP_1) | instskip(NEXT) | instid1(VALU_DEP_1)
	v_mul_f32_e32 v18, v19, v18
	v_and_b32_e32 v19, 0x7f800000, v18
	s_delay_alu instid0(VALU_DEP_1)
	v_cmp_ne_u32_e32 vcc_lo, 0x7f800000, v19
                                        ; implicit-def: $vgpr19
	s_and_saveexec_b32 s47, vcc_lo
	s_wait_alu 0xfffe
	s_xor_b32 s47, exec_lo, s47
; %bb.24:                               ;   in Loop: Header=BB622_23 Depth=2
	v_bfe_u32 v19, v18, 16, 1
	s_delay_alu instid0(VALU_DEP_1)
	v_add3_u32 v19, v18, v19, 0x7fff
                                        ; implicit-def: $vgpr18
; %bb.25:                               ;   in Loop: Header=BB622_23 Depth=2
	s_wait_alu 0xfffe
	s_and_not1_saveexec_b32 s47, s47
	s_cbranch_execz .LBB622_22
; %bb.26:                               ;   in Loop: Header=BB622_23 Depth=2
	v_and_b32_e32 v19, 0xffff, v18
	v_or_b32_e32 v20, 0x10000, v18
	s_delay_alu instid0(VALU_DEP_2) | instskip(SKIP_1) | instid1(VALU_DEP_2)
	v_cmp_eq_u32_e32 vcc_lo, 0, v19
	s_wait_alu 0xfffd
	v_cndmask_b32_e32 v19, v20, v18, vcc_lo
	s_branch .LBB622_22
.LBB622_27:                             ;   in Loop: Header=BB622_4 Depth=1
	s_and_saveexec_b32 s46, s2
	s_cbranch_execz .LBB622_33
; %bb.28:                               ;   in Loop: Header=BB622_4 Depth=1
	v_add_co_u32 v4, vcc_lo, v4, v2
	s_wait_alu 0xfffd
	v_add_co_ci_u32_e64 v5, null, v5, v3, vcc_lo
	v_add_co_u32 v6, vcc_lo, v6, s42
	s_wait_alu 0xfffd
	v_add_co_ci_u32_e64 v7, null, s43, v7, vcc_lo
	flat_load_u16 v4, v[4:5]
	flat_load_u16 v5, v[6:7]
	s_wait_loadcnt_dscnt 0x101
	v_lshlrev_b32_e32 v4, 16, v4
	s_wait_loadcnt_dscnt 0x0
	v_lshlrev_b32_e32 v5, 16, v5
	s_delay_alu instid0(VALU_DEP_1) | instskip(NEXT) | instid1(VALU_DEP_1)
	v_mul_f32_e32 v4, v5, v4
	v_and_b32_e32 v5, 0x7f800000, v4
	s_delay_alu instid0(VALU_DEP_1)
	v_cmp_ne_u32_e32 vcc_lo, 0x7f800000, v5
                                        ; implicit-def: $vgpr5
	s_and_saveexec_b32 s47, vcc_lo
	s_wait_alu 0xfffe
	s_xor_b32 s47, exec_lo, s47
; %bb.29:                               ;   in Loop: Header=BB622_4 Depth=1
	v_bfe_u32 v5, v4, 16, 1
	s_delay_alu instid0(VALU_DEP_1)
	v_add3_u32 v5, v4, v5, 0x7fff
                                        ; implicit-def: $vgpr4
; %bb.30:                               ;   in Loop: Header=BB622_4 Depth=1
	s_wait_alu 0xfffe
	s_and_not1_saveexec_b32 s47, s47
; %bb.31:                               ;   in Loop: Header=BB622_4 Depth=1
	v_and_b32_e32 v5, 0xffff, v4
	v_or_b32_e32 v6, 0x10000, v4
	s_delay_alu instid0(VALU_DEP_2) | instskip(SKIP_1) | instid1(VALU_DEP_2)
	v_cmp_eq_u32_e32 vcc_lo, 0, v5
	s_wait_alu 0xfffd
	v_cndmask_b32_e32 v5, v6, v4, vcc_lo
; %bb.32:                               ;   in Loop: Header=BB622_4 Depth=1
	s_wait_alu 0xfffe
	s_or_b32 exec_lo, exec_lo, s47
	s_delay_alu instid0(VALU_DEP_1) | instskip(NEXT) | instid1(VALU_DEP_1)
	v_and_b32_e32 v4, 0xffff0000, v5
	v_add_f32_e32 v17, v17, v4
.LBB622_33:                             ;   in Loop: Header=BB622_4 Depth=1
	s_wait_alu 0xfffe
	s_or_b32 exec_lo, exec_lo, s46
	ds_store_b32 v13, v17
	s_wait_dscnt 0x0
	s_barrier_signal -1
	s_barrier_wait -1
	global_inv scope:SCOPE_SE
	s_and_saveexec_b32 s46, s1
	s_cbranch_execz .LBB622_35
; %bb.34:                               ;   in Loop: Header=BB622_4 Depth=1
	ds_load_2addr_stride64_b32 v[4:5], v13 offset1:2
	s_wait_dscnt 0x0
	v_add_f32_e32 v4, v5, v4
	ds_store_b32 v13, v4
.LBB622_35:                             ;   in Loop: Header=BB622_4 Depth=1
	s_wait_alu 0xfffe
	s_or_b32 exec_lo, exec_lo, s46
	s_wait_loadcnt_dscnt 0x0
	s_barrier_signal -1
	s_barrier_wait -1
	global_inv scope:SCOPE_SE
	s_and_saveexec_b32 s46, s3
	s_cbranch_execz .LBB622_37
; %bb.36:                               ;   in Loop: Header=BB622_4 Depth=1
	ds_load_2addr_stride64_b32 v[4:5], v13 offset1:1
	s_wait_dscnt 0x0
	v_add_f32_e32 v4, v5, v4
	ds_store_b32 v13, v4
.LBB622_37:                             ;   in Loop: Header=BB622_4 Depth=1
	s_wait_alu 0xfffe
	s_or_b32 exec_lo, exec_lo, s46
	s_wait_loadcnt_dscnt 0x0
	s_barrier_signal -1
	s_barrier_wait -1
	global_inv scope:SCOPE_SE
	s_and_saveexec_b32 s46, s4
	s_cbranch_execz .LBB622_39
; %bb.38:                               ;   in Loop: Header=BB622_4 Depth=1
	ds_load_2addr_b32 v[4:5], v13 offset1:32
	s_wait_dscnt 0x0
	v_add_f32_e32 v4, v5, v4
	ds_store_b32 v13, v4
.LBB622_39:                             ;   in Loop: Header=BB622_4 Depth=1
	s_wait_alu 0xfffe
	s_or_b32 exec_lo, exec_lo, s46
	s_wait_loadcnt_dscnt 0x0
	s_barrier_signal -1
	s_barrier_wait -1
	global_inv scope:SCOPE_SE
	s_and_saveexec_b32 s46, s5
	s_cbranch_execz .LBB622_41
; %bb.40:                               ;   in Loop: Header=BB622_4 Depth=1
	ds_load_2addr_b32 v[4:5], v13 offset1:16
	s_wait_dscnt 0x0
	v_add_f32_e32 v4, v5, v4
	ds_store_b32 v13, v4
.LBB622_41:                             ;   in Loop: Header=BB622_4 Depth=1
	;; [unrolled: 14-line block ×5, first 2 shown]
	s_wait_alu 0xfffe
	s_or_b32 exec_lo, exec_lo, s46
	s_wait_loadcnt_dscnt 0x0
	s_barrier_signal -1
	s_barrier_wait -1
	global_inv scope:SCOPE_SE
	s_and_saveexec_b32 s46, s0
	s_cbranch_execz .LBB622_49
; %bb.48:                               ;   in Loop: Header=BB622_4 Depth=1
	ds_load_b64 v[4:5], v12
	s_wait_dscnt 0x0
	v_add_f32_e32 v4, v5, v4
	ds_store_b32 v12, v4
.LBB622_49:                             ;   in Loop: Header=BB622_4 Depth=1
	s_wait_alu 0xfffe
	s_or_b32 exec_lo, exec_lo, s46
	s_wait_loadcnt_dscnt 0x0
	s_barrier_signal -1
	s_barrier_wait -1
	global_inv scope:SCOPE_SE
                                        ; implicit-def: $vgpr8
	s_and_saveexec_b32 s46, s0
	s_cbranch_execz .LBB622_67
; %bb.50:                               ;   in Loop: Header=BB622_4 Depth=1
	ds_load_b32 v4, v12
	s_cmp_eq_f32 s9, 0
	s_wait_dscnt 0x0
	v_readfirstlane_b32 s47, v4
	s_mul_f32 s45, s45, s47
	s_cbranch_scc0 .LBB622_56
; %bb.51:                               ;   in Loop: Header=BB622_4 Depth=1
	s_wait_alu 0xfffe
	s_delay_alu instid0(SALU_CYCLE_1)
	s_and_b32 s47, s45, 0x7f800000
	s_mov_b32 s48, -1
	s_wait_alu 0xfffe
	s_cmp_eq_u32 s47, 0x7f800000
                                        ; implicit-def: $sgpr47
	s_cbranch_scc1 .LBB622_53
; %bb.52:                               ;   in Loop: Header=BB622_4 Depth=1
	s_bfe_u32 s47, s45, 0x10010
	s_mov_b32 s48, 0
	s_wait_alu 0xfffe
	s_add_co_i32 s47, s45, s47
	s_wait_alu 0xfffe
	s_addk_co_i32 s47, 0x7fff
.LBB622_53:                             ;   in Loop: Header=BB622_4 Depth=1
	s_and_not1_b32 vcc_lo, exec_lo, s48
	s_wait_alu 0xfffe
	s_cbranch_vccnz .LBB622_55
; %bb.54:                               ;   in Loop: Header=BB622_4 Depth=1
	s_and_b32 s47, s45, 0xffff
	s_or_b32 s48, s45, 0x10000
	s_wait_alu 0xfffe
	s_cmp_eq_u32 s47, 0
	s_cselect_b32 s47, s45, s48
.LBB622_55:                             ;   in Loop: Header=BB622_4 Depth=1
	s_wait_alu 0xfffe
	v_mov_b32_e32 v4, s47
	s_cbranch_execz .LBB622_57
	s_branch .LBB622_66
.LBB622_56:                             ;   in Loop: Header=BB622_4 Depth=1
                                        ; implicit-def: $sgpr47
	v_mov_b32_e32 v4, s47
.LBB622_57:                             ;   in Loop: Header=BB622_4 Depth=1
	v_add_co_u32 v4, vcc_lo, v15, s38
	s_wait_alu 0xfffd
	v_add_co_ci_u32_e64 v5, null, s39, v16, vcc_lo
	flat_load_u16 v4, v[4:5]
	s_wait_loadcnt_dscnt 0x0
	v_lshlrev_b32_e32 v4, 16, v4
	s_delay_alu instid0(VALU_DEP_1) | instskip(NEXT) | instid1(VALU_DEP_1)
	v_mul_f32_e32 v4, s9, v4
	v_and_b32_e32 v5, 0x7f800000, v4
	s_delay_alu instid0(VALU_DEP_1)
	v_cmp_ne_u32_e32 vcc_lo, 0x7f800000, v5
                                        ; implicit-def: $vgpr5
	s_and_saveexec_b32 s9, vcc_lo
	s_wait_alu 0xfffe
	s_xor_b32 s9, exec_lo, s9
; %bb.58:                               ;   in Loop: Header=BB622_4 Depth=1
	v_bfe_u32 v5, v4, 16, 1
	s_delay_alu instid0(VALU_DEP_1)
	v_add3_u32 v5, v4, v5, 0x7fff
                                        ; implicit-def: $vgpr4
; %bb.59:                               ;   in Loop: Header=BB622_4 Depth=1
	s_wait_alu 0xfffe
	s_and_not1_saveexec_b32 s9, s9
; %bb.60:                               ;   in Loop: Header=BB622_4 Depth=1
	v_and_b32_e32 v5, 0xffff, v4
	v_or_b32_e32 v6, 0x10000, v4
	s_delay_alu instid0(VALU_DEP_2) | instskip(SKIP_1) | instid1(VALU_DEP_2)
	v_cmp_eq_u32_e32 vcc_lo, 0, v5
	s_wait_alu 0xfffd
	v_cndmask_b32_e32 v5, v6, v4, vcc_lo
; %bb.61:                               ;   in Loop: Header=BB622_4 Depth=1
	s_wait_alu 0xfffe
	s_or_b32 exec_lo, exec_lo, s9
	s_delay_alu instid0(VALU_DEP_1) | instskip(NEXT) | instid1(VALU_DEP_1)
	v_and_b32_e32 v4, 0xffff0000, v5
	v_add_f32_e32 v5, s45, v4
	s_delay_alu instid0(VALU_DEP_1) | instskip(NEXT) | instid1(VALU_DEP_1)
	v_and_b32_e32 v4, 0x7f800000, v5
	v_cmp_ne_u32_e32 vcc_lo, 0x7f800000, v4
                                        ; implicit-def: $vgpr4
	s_and_saveexec_b32 s9, vcc_lo
	s_wait_alu 0xfffe
	s_xor_b32 s9, exec_lo, s9
; %bb.62:                               ;   in Loop: Header=BB622_4 Depth=1
	v_bfe_u32 v4, v5, 16, 1
	s_delay_alu instid0(VALU_DEP_1)
	v_add3_u32 v4, v5, v4, 0x7fff
                                        ; implicit-def: $vgpr5
; %bb.63:                               ;   in Loop: Header=BB622_4 Depth=1
	s_wait_alu 0xfffe
	s_and_not1_saveexec_b32 s9, s9
; %bb.64:                               ;   in Loop: Header=BB622_4 Depth=1
	v_and_b32_e32 v4, 0xffff, v5
	v_or_b32_e32 v6, 0x10000, v5
	s_delay_alu instid0(VALU_DEP_2) | instskip(SKIP_1) | instid1(VALU_DEP_2)
	v_cmp_eq_u32_e32 vcc_lo, 0, v4
	s_wait_alu 0xfffd
	v_cndmask_b32_e32 v4, v6, v5, vcc_lo
; %bb.65:                               ;   in Loop: Header=BB622_4 Depth=1
	s_wait_alu 0xfffe
	s_or_b32 exec_lo, exec_lo, s9
.LBB622_66:                             ;   in Loop: Header=BB622_4 Depth=1
	s_delay_alu instid0(VALU_DEP_1)
	v_lshrrev_b32_e32 v8, 16, v4
	s_or_b32 s35, s35, exec_lo
.LBB622_67:                             ;   in Loop: Header=BB622_4 Depth=1
	s_wait_alu 0xfffe
	s_or_b32 exec_lo, exec_lo, s46
.LBB622_68:                             ;   in Loop: Header=BB622_4 Depth=1
	s_wait_alu 0xfffe
	s_and_saveexec_b32 s9, s35
	s_cbranch_execz .LBB622_2
; %bb.69:                               ;   in Loop: Header=BB622_4 Depth=1
	v_add_co_u32 v4, vcc_lo, v15, s38
	s_wait_alu 0xfffd
	v_add_co_ci_u32_e64 v5, null, s39, v16, vcc_lo
	flat_store_b16 v[4:5], v8
	s_branch .LBB622_2
.LBB622_70:
	s_endpgm
	.section	.rodata,"a",@progbits
	.p2align	6, 0x0
	.amdhsa_kernel _ZL20rocblas_gemvt_kernelILb1ELi256EPK16rocblas_bfloat16PKfKPS0_EviiT2_lPKT1_lilSA_lilS7_lPT3_lili
		.amdhsa_group_segment_fixed_size 1024
		.amdhsa_private_segment_fixed_size 0
		.amdhsa_kernarg_size 140
		.amdhsa_user_sgpr_count 2
		.amdhsa_user_sgpr_dispatch_ptr 0
		.amdhsa_user_sgpr_queue_ptr 0
		.amdhsa_user_sgpr_kernarg_segment_ptr 1
		.amdhsa_user_sgpr_dispatch_id 0
		.amdhsa_user_sgpr_private_segment_size 0
		.amdhsa_wavefront_size32 1
		.amdhsa_uses_dynamic_stack 0
		.amdhsa_enable_private_segment 0
		.amdhsa_system_sgpr_workgroup_id_x 1
		.amdhsa_system_sgpr_workgroup_id_y 0
		.amdhsa_system_sgpr_workgroup_id_z 1
		.amdhsa_system_sgpr_workgroup_info 0
		.amdhsa_system_vgpr_workitem_id 0
		.amdhsa_next_free_vgpr 21
		.amdhsa_next_free_sgpr 50
		.amdhsa_reserve_vcc 1
		.amdhsa_float_round_mode_32 0
		.amdhsa_float_round_mode_16_64 0
		.amdhsa_float_denorm_mode_32 3
		.amdhsa_float_denorm_mode_16_64 3
		.amdhsa_fp16_overflow 0
		.amdhsa_workgroup_processor_mode 1
		.amdhsa_memory_ordered 1
		.amdhsa_forward_progress 1
		.amdhsa_inst_pref_size 20
		.amdhsa_round_robin_scheduling 0
		.amdhsa_exception_fp_ieee_invalid_op 0
		.amdhsa_exception_fp_denorm_src 0
		.amdhsa_exception_fp_ieee_div_zero 0
		.amdhsa_exception_fp_ieee_overflow 0
		.amdhsa_exception_fp_ieee_underflow 0
		.amdhsa_exception_fp_ieee_inexact 0
		.amdhsa_exception_int_div_zero 0
	.end_amdhsa_kernel
	.section	.text._ZL20rocblas_gemvt_kernelILb1ELi256EPK16rocblas_bfloat16PKfKPS0_EviiT2_lPKT1_lilSA_lilS7_lPT3_lili,"axG",@progbits,_ZL20rocblas_gemvt_kernelILb1ELi256EPK16rocblas_bfloat16PKfKPS0_EviiT2_lPKT1_lilSA_lilS7_lPT3_lili,comdat
.Lfunc_end622:
	.size	_ZL20rocblas_gemvt_kernelILb1ELi256EPK16rocblas_bfloat16PKfKPS0_EviiT2_lPKT1_lilSA_lilS7_lPT3_lili, .Lfunc_end622-_ZL20rocblas_gemvt_kernelILb1ELi256EPK16rocblas_bfloat16PKfKPS0_EviiT2_lPKT1_lilSA_lilS7_lPT3_lili
                                        ; -- End function
	.set _ZL20rocblas_gemvt_kernelILb1ELi256EPK16rocblas_bfloat16PKfKPS0_EviiT2_lPKT1_lilSA_lilS7_lPT3_lili.num_vgpr, 21
	.set _ZL20rocblas_gemvt_kernelILb1ELi256EPK16rocblas_bfloat16PKfKPS0_EviiT2_lPKT1_lilSA_lilS7_lPT3_lili.num_agpr, 0
	.set _ZL20rocblas_gemvt_kernelILb1ELi256EPK16rocblas_bfloat16PKfKPS0_EviiT2_lPKT1_lilSA_lilS7_lPT3_lili.numbered_sgpr, 50
	.set _ZL20rocblas_gemvt_kernelILb1ELi256EPK16rocblas_bfloat16PKfKPS0_EviiT2_lPKT1_lilSA_lilS7_lPT3_lili.num_named_barrier, 0
	.set _ZL20rocblas_gemvt_kernelILb1ELi256EPK16rocblas_bfloat16PKfKPS0_EviiT2_lPKT1_lilSA_lilS7_lPT3_lili.private_seg_size, 0
	.set _ZL20rocblas_gemvt_kernelILb1ELi256EPK16rocblas_bfloat16PKfKPS0_EviiT2_lPKT1_lilSA_lilS7_lPT3_lili.uses_vcc, 1
	.set _ZL20rocblas_gemvt_kernelILb1ELi256EPK16rocblas_bfloat16PKfKPS0_EviiT2_lPKT1_lilSA_lilS7_lPT3_lili.uses_flat_scratch, 0
	.set _ZL20rocblas_gemvt_kernelILb1ELi256EPK16rocblas_bfloat16PKfKPS0_EviiT2_lPKT1_lilSA_lilS7_lPT3_lili.has_dyn_sized_stack, 0
	.set _ZL20rocblas_gemvt_kernelILb1ELi256EPK16rocblas_bfloat16PKfKPS0_EviiT2_lPKT1_lilSA_lilS7_lPT3_lili.has_recursion, 0
	.set _ZL20rocblas_gemvt_kernelILb1ELi256EPK16rocblas_bfloat16PKfKPS0_EviiT2_lPKT1_lilSA_lilS7_lPT3_lili.has_indirect_call, 0
	.section	.AMDGPU.csdata,"",@progbits
; Kernel info:
; codeLenInByte = 2560
; TotalNumSgprs: 52
; NumVgprs: 21
; ScratchSize: 0
; MemoryBound: 0
; FloatMode: 240
; IeeeMode: 1
; LDSByteSize: 1024 bytes/workgroup (compile time only)
; SGPRBlocks: 0
; VGPRBlocks: 2
; NumSGPRsForWavesPerEU: 52
; NumVGPRsForWavesPerEU: 21
; Occupancy: 16
; WaveLimiterHint : 1
; COMPUTE_PGM_RSRC2:SCRATCH_EN: 0
; COMPUTE_PGM_RSRC2:USER_SGPR: 2
; COMPUTE_PGM_RSRC2:TRAP_HANDLER: 0
; COMPUTE_PGM_RSRC2:TGID_X_EN: 1
; COMPUTE_PGM_RSRC2:TGID_Y_EN: 0
; COMPUTE_PGM_RSRC2:TGID_Z_EN: 1
; COMPUTE_PGM_RSRC2:TIDIG_COMP_CNT: 0
	.section	.text._ZL20rocblas_gemvt_kernelILb1ELi256EPK16rocblas_bfloat16fKPS0_EviiT2_lPKT1_lilS8_lilS5_lPT3_lili,"axG",@progbits,_ZL20rocblas_gemvt_kernelILb1ELi256EPK16rocblas_bfloat16fKPS0_EviiT2_lPKT1_lilS8_lilS5_lPT3_lili,comdat
	.globl	_ZL20rocblas_gemvt_kernelILb1ELi256EPK16rocblas_bfloat16fKPS0_EviiT2_lPKT1_lilS8_lilS5_lPT3_lili ; -- Begin function _ZL20rocblas_gemvt_kernelILb1ELi256EPK16rocblas_bfloat16fKPS0_EviiT2_lPKT1_lilS8_lilS5_lPT3_lili
	.p2align	8
	.type	_ZL20rocblas_gemvt_kernelILb1ELi256EPK16rocblas_bfloat16fKPS0_EviiT2_lPKT1_lilS8_lilS5_lPT3_lili,@function
_ZL20rocblas_gemvt_kernelILb1ELi256EPK16rocblas_bfloat16fKPS0_EviiT2_lPKT1_lilS8_lilS5_lPT3_lili: ; @_ZL20rocblas_gemvt_kernelILb1ELi256EPK16rocblas_bfloat16fKPS0_EviiT2_lPKT1_lilS8_lilS5_lPT3_lili
; %bb.0:
	s_load_b32 s33, s[0:1], 0x88
	s_lshr_b32 s10, ttmp7, 16
	s_wait_kmcnt 0x0
	s_cmp_ge_u32 s10, s33
	s_cbranch_scc1 .LBB623_73
; %bb.1:
	s_clause 0x8
	s_load_b32 s26, s[0:1], 0x28
	s_load_b32 s28, s[0:1], 0x48
	s_load_b32 s30, s[0:1], 0x78
	s_load_b32 s36, s[0:1], 0x8
	s_load_b32 s37, s[0:1], 0x58
	s_load_b128 s[12:15], s[0:1], 0x18
	s_load_b32 s42, s[0:1], 0x0
	s_load_b128 s[16:19], s[0:1], 0x38
	s_load_b128 s[20:23], s[0:1], 0x68
	v_cmp_eq_u32_e64 s0, 0, v0
	v_dual_mov_b32 v13, 0 :: v_dual_lshlrev_b32 v14, 2, v0
	v_cmp_gt_u32_e64 s1, 0x80, v0
	v_cmp_gt_u32_e64 s2, 64, v0
	;; [unrolled: 1-line block ×5, first 2 shown]
	s_mov_b32 s8, ttmp9
	s_mov_b32 s11, 0
	s_wait_kmcnt 0x0
	s_ashr_i32 s27, s26, 31
	s_ashr_i32 s29, s28, 31
	;; [unrolled: 1-line block ×3, first 2 shown]
	s_cmp_eq_f32 s36, 0
	v_cmp_gt_i32_e32 vcc_lo, s42, v0
	v_mad_co_i64_i32 v[1:2], null, s28, v0, 0
	s_cselect_b32 s38, -1, 0
	s_cmp_neq_f32 s37, 1.0
	v_cndmask_b32_e32 v5, 0, v0, vcc_lo
	s_cselect_b32 s3, -1, 0
	s_cmp_neq_f32 s36, 0
	v_lshlrev_b64_e32 v[1:2], 1, v[1:2]
	s_cselect_b32 s4, -1, 0
	s_delay_alu instid0(SALU_CYCLE_1)
	s_or_b32 s39, s4, s3
	s_cmp_neq_f32 s37, 0
	v_cndmask_b32_e64 v15, 0, 1, s4
	v_cmp_gt_u32_e64 s3, 32, v0
	v_cmp_gt_u32_e64 s4, 16, v0
	s_cselect_b32 s40, -1, 0
	s_cmp_eq_f32 s37, 0
	s_cselect_b32 s41, -1, 0
	s_ashr_i32 s9, s42, 31
	s_delay_alu instid0(SALU_CYCLE_1) | instskip(NEXT) | instid1(SALU_CYCLE_1)
	s_lshr_b32 s9, s9, 24
	s_add_co_i32 s24, s42, s9
	s_ashr_i32 s9, ttmp9, 31
	s_and_b32 s24, s24, 0xffffff00
	s_cmp_gt_i32 s42, 0xff
	v_or_b32_e32 v0, s24, v0
	s_mul_u64 s[30:31], s[30:31], s[8:9]
	s_mul_u64 s[34:35], s[26:27], s[8:9]
	s_cselect_b32 s9, -1, 0
	s_ashr_i32 s25, s24, 31
	v_mad_co_i64_i32 v[3:4], null, s28, v0, 0
	v_cmp_gt_i32_e64 s8, s42, v0
	v_lshlrev_b32_e32 v0, 1, v5
	s_lshl_b64 s[26:27], s[28:29], 9
	s_lshl_b64 s[14:15], s[14:15], 1
	;; [unrolled: 1-line block ×4, first 2 shown]
	v_lshlrev_b64_e32 v[3:4], 1, v[3:4]
	s_lshl_b64 s[28:29], s[30:31], 1
	s_lshl_b64 s[30:31], s[34:35], 1
	s_wait_alu 0xfffe
	s_lshl_b64 s[34:35], s[24:25], 1
	s_branch .LBB623_4
.LBB623_2:                              ;   in Loop: Header=BB623_4 Depth=1
	s_wait_alu 0xfffe
	s_or_b32 exec_lo, exec_lo, s42
.LBB623_3:                              ;   in Loop: Header=BB623_4 Depth=1
	s_add_co_i32 s10, s10, 0x10000
	s_delay_alu instid0(SALU_CYCLE_1)
	s_cmp_lt_u32 s10, s33
	s_cbranch_scc0 .LBB623_73
.LBB623_4:                              ; =>This Loop Header: Depth=1
                                        ;     Child Loop BB623_26 Depth 2
	s_and_not1_b32 vcc_lo, exec_lo, s39
	s_wait_alu 0xfffe
	s_cbranch_vccnz .LBB623_3
; %bb.5:                                ;   in Loop: Header=BB623_4 Depth=1
	s_and_not1_b32 vcc_lo, exec_lo, s38
	s_wait_alu 0xfffe
	s_cbranch_vccnz .LBB623_7
; %bb.6:                                ;   in Loop: Header=BB623_4 Depth=1
	s_mov_b32 s25, 0
	s_branch .LBB623_8
.LBB623_7:                              ;   in Loop: Header=BB623_4 Depth=1
	s_mov_b32 s25, -1
.LBB623_8:                              ;   in Loop: Header=BB623_4 Depth=1
	v_mov_b32_e32 v5, 0
	v_dual_mov_b32 v6, 0 :: v_dual_mov_b32 v7, 0
	v_mov_b32_e32 v8, 0
	s_wait_alu 0xfffe
	s_and_not1_b32 vcc_lo, exec_lo, s25
	s_wait_alu 0xfffe
	s_cbranch_vccnz .LBB623_10
; %bb.9:                                ;   in Loop: Header=BB623_4 Depth=1
	s_lshl_b64 s[42:43], s[10:11], 3
	s_wait_alu 0xfffe
	s_add_nc_u64 s[42:43], s[12:13], s[42:43]
	global_load_b64 v[7:8], v13, s[42:43]
	s_wait_loadcnt 0x0
	v_add_co_u32 v7, vcc_lo, v7, s14
	s_wait_alu 0xfffd
	v_add_co_ci_u32_e64 v8, null, s15, v8, vcc_lo
.LBB623_10:                             ;   in Loop: Header=BB623_4 Depth=1
	v_cmp_ne_u32_e32 vcc_lo, 1, v15
	s_cbranch_vccnz .LBB623_12
; %bb.11:                               ;   in Loop: Header=BB623_4 Depth=1
	s_lshl_b64 s[42:43], s[10:11], 3
	s_wait_alu 0xfffe
	s_add_nc_u64 s[42:43], s[16:17], s[42:43]
	global_load_b64 v[5:6], v13, s[42:43]
	s_wait_loadcnt 0x0
	v_add_co_u32 v5, vcc_lo, v5, s18
	s_wait_alu 0xfffd
	v_add_co_ci_u32_e64 v6, null, s19, v6, vcc_lo
.LBB623_12:                             ;   in Loop: Header=BB623_4 Depth=1
	s_lshl_b64 s[42:43], s[10:11], 3
	s_wait_alu 0xfffe
	s_add_nc_u64 s[42:43], s[20:21], s[42:43]
	global_load_b64 v[9:10], v13, s[42:43]
	s_wait_loadcnt 0x0
	v_add_co_u32 v16, vcc_lo, v9, s22
	s_wait_alu 0xfffd
	v_add_co_ci_u32_e64 v17, null, s23, v10, vcc_lo
	s_and_not1_b32 vcc_lo, exec_lo, s38
	s_wait_alu 0xfffe
	s_cbranch_vccnz .LBB623_20
; %bb.13:                               ;   in Loop: Header=BB623_4 Depth=1
	s_mov_b32 s42, 0
	s_mov_b32 s25, 0
                                        ; implicit-def: $vgpr9
	s_and_saveexec_b32 s43, s0
	s_cbranch_execz .LBB623_21
; %bb.14:                               ;   in Loop: Header=BB623_4 Depth=1
	s_and_not1_b32 vcc_lo, exec_lo, s40
	s_wait_alu 0xfffe
	s_cbranch_vccnz .LBB623_22
; %bb.15:                               ;   in Loop: Header=BB623_4 Depth=1
	v_add_co_u32 v9, vcc_lo, v16, s28
	s_wait_alu 0xfffd
	v_add_co_ci_u32_e64 v10, null, s29, v17, vcc_lo
	flat_load_u16 v9, v[9:10]
	s_wait_loadcnt_dscnt 0x0
	v_lshlrev_b32_e32 v9, 16, v9
	s_delay_alu instid0(VALU_DEP_1) | instskip(NEXT) | instid1(VALU_DEP_1)
	v_mul_f32_e32 v9, s37, v9
	v_and_b32_e32 v10, 0x7f800000, v9
	s_delay_alu instid0(VALU_DEP_1)
	v_cmp_ne_u32_e32 vcc_lo, 0x7f800000, v10
                                        ; implicit-def: $vgpr10
	s_and_saveexec_b32 s25, vcc_lo
	s_wait_alu 0xfffe
	s_xor_b32 s25, exec_lo, s25
; %bb.16:                               ;   in Loop: Header=BB623_4 Depth=1
	v_bfe_u32 v10, v9, 16, 1
	s_delay_alu instid0(VALU_DEP_1)
	v_add3_u32 v10, v9, v10, 0x7fff
                                        ; implicit-def: $vgpr9
; %bb.17:                               ;   in Loop: Header=BB623_4 Depth=1
	s_wait_alu 0xfffe
	s_and_not1_saveexec_b32 s25, s25
; %bb.18:                               ;   in Loop: Header=BB623_4 Depth=1
	v_and_b32_e32 v10, 0xffff, v9
	v_or_b32_e32 v11, 0x10000, v9
	s_delay_alu instid0(VALU_DEP_2) | instskip(SKIP_1) | instid1(VALU_DEP_2)
	v_cmp_eq_u32_e32 vcc_lo, 0, v10
	s_wait_alu 0xfffd
	v_cndmask_b32_e32 v10, v11, v9, vcc_lo
; %bb.19:                               ;   in Loop: Header=BB623_4 Depth=1
	s_wait_alu 0xfffe
	s_or_b32 exec_lo, exec_lo, s25
	s_delay_alu instid0(VALU_DEP_1) | instskip(SKIP_2) | instid1(SALU_CYCLE_1)
	v_lshrrev_b32_e32 v9, 16, v10
	s_mov_b32 s25, exec_lo
	s_or_b32 exec_lo, exec_lo, s43
	s_and_b32 vcc_lo, exec_lo, s42
	s_wait_alu 0xfffe
	s_cbranch_vccnz .LBB623_23
	s_branch .LBB623_71
.LBB623_20:                             ;   in Loop: Header=BB623_4 Depth=1
	s_mov_b32 s25, 0
                                        ; implicit-def: $vgpr9
	s_cbranch_execnz .LBB623_23
	s_branch .LBB623_71
.LBB623_21:                             ;   in Loop: Header=BB623_4 Depth=1
	s_wait_alu 0xfffe
	s_or_b32 exec_lo, exec_lo, s43
	s_delay_alu instid0(SALU_CYCLE_1)
	s_and_b32 vcc_lo, exec_lo, s42
	s_wait_alu 0xfffe
	s_cbranch_vccnz .LBB623_23
	s_branch .LBB623_71
.LBB623_22:                             ;   in Loop: Header=BB623_4 Depth=1
	v_mov_b32_e32 v9, 0
	s_mov_b32 s25, exec_lo
	s_or_b32 exec_lo, exec_lo, s43
	s_delay_alu instid0(SALU_CYCLE_1)
	s_and_b32 vcc_lo, exec_lo, s42
	s_wait_alu 0xfffe
	s_cbranch_vccz .LBB623_71
.LBB623_23:                             ;   in Loop: Header=BB623_4 Depth=1
	v_add_co_u32 v7, vcc_lo, v7, v0
	s_wait_alu 0xfffd
	v_add_co_ci_u32_e64 v8, null, 0, v8, vcc_lo
	v_mov_b32_e32 v18, 0
	s_delay_alu instid0(VALU_DEP_3) | instskip(SKIP_1) | instid1(VALU_DEP_3)
	v_add_co_u32 v7, vcc_lo, v7, s30
	s_wait_alu 0xfffd
	v_add_co_ci_u32_e64 v8, null, s31, v8, vcc_lo
	s_and_not1_b32 vcc_lo, exec_lo, s9
	s_wait_alu 0xfffe
	s_cbranch_vccnz .LBB623_30
; %bb.24:                               ;   in Loop: Header=BB623_4 Depth=1
	v_add_co_u32 v9, vcc_lo, v5, v1
	v_mov_b32_e32 v12, v8
	s_wait_alu 0xfffd
	v_add_co_ci_u32_e64 v10, null, v6, v2, vcc_lo
	v_dual_mov_b32 v18, 0 :: v_dual_mov_b32 v11, v7
	s_mov_b32 s42, 0
	s_branch .LBB623_26
.LBB623_25:                             ;   in Loop: Header=BB623_26 Depth=2
	s_wait_alu 0xfffe
	s_or_b32 exec_lo, exec_lo, s43
	s_delay_alu instid0(VALU_DEP_1)
	v_and_b32_e32 v19, 0xffff0000, v20
	v_add_co_u32 v9, vcc_lo, v9, s26
	s_wait_alu 0xfffd
	v_add_co_ci_u32_e64 v10, null, s27, v10, vcc_lo
	v_add_co_u32 v11, vcc_lo, 0x200, v11
	v_add_f32_e32 v18, v18, v19
	s_wait_alu 0xfffd
	v_add_co_ci_u32_e64 v12, null, 0, v12, vcc_lo
	s_addk_co_i32 s42, 0x100
	s_wait_alu 0xfffe
	s_cmp_ge_i32 s42, s24
	s_cbranch_scc1 .LBB623_30
.LBB623_26:                             ;   Parent Loop BB623_4 Depth=1
                                        ; =>  This Inner Loop Header: Depth=2
	flat_load_u16 v19, v[9:10]
	flat_load_u16 v20, v[11:12]
	s_wait_loadcnt_dscnt 0x101
	v_lshlrev_b32_e32 v19, 16, v19
	s_wait_loadcnt_dscnt 0x0
	v_lshlrev_b32_e32 v20, 16, v20
	s_delay_alu instid0(VALU_DEP_1) | instskip(NEXT) | instid1(VALU_DEP_1)
	v_mul_f32_e32 v19, v20, v19
	v_and_b32_e32 v20, 0x7f800000, v19
	s_delay_alu instid0(VALU_DEP_1)
	v_cmp_ne_u32_e32 vcc_lo, 0x7f800000, v20
                                        ; implicit-def: $vgpr20
	s_and_saveexec_b32 s43, vcc_lo
	s_wait_alu 0xfffe
	s_xor_b32 s43, exec_lo, s43
; %bb.27:                               ;   in Loop: Header=BB623_26 Depth=2
	v_bfe_u32 v20, v19, 16, 1
	s_delay_alu instid0(VALU_DEP_1)
	v_add3_u32 v20, v19, v20, 0x7fff
                                        ; implicit-def: $vgpr19
; %bb.28:                               ;   in Loop: Header=BB623_26 Depth=2
	s_wait_alu 0xfffe
	s_and_not1_saveexec_b32 s43, s43
	s_cbranch_execz .LBB623_25
; %bb.29:                               ;   in Loop: Header=BB623_26 Depth=2
	v_and_b32_e32 v20, 0xffff, v19
	v_or_b32_e32 v21, 0x10000, v19
	s_delay_alu instid0(VALU_DEP_2) | instskip(SKIP_1) | instid1(VALU_DEP_2)
	v_cmp_eq_u32_e32 vcc_lo, 0, v20
	s_wait_alu 0xfffd
	v_cndmask_b32_e32 v20, v21, v19, vcc_lo
	s_branch .LBB623_25
.LBB623_30:                             ;   in Loop: Header=BB623_4 Depth=1
	s_and_saveexec_b32 s42, s8
	s_cbranch_execz .LBB623_36
; %bb.31:                               ;   in Loop: Header=BB623_4 Depth=1
	v_add_co_u32 v5, vcc_lo, v5, v3
	s_wait_alu 0xfffd
	v_add_co_ci_u32_e64 v6, null, v6, v4, vcc_lo
	v_add_co_u32 v7, vcc_lo, v7, s34
	s_wait_alu 0xfffd
	v_add_co_ci_u32_e64 v8, null, s35, v8, vcc_lo
	flat_load_u16 v5, v[5:6]
	flat_load_u16 v6, v[7:8]
	s_wait_loadcnt_dscnt 0x101
	v_lshlrev_b32_e32 v5, 16, v5
	s_wait_loadcnt_dscnt 0x0
	v_lshlrev_b32_e32 v6, 16, v6
	s_delay_alu instid0(VALU_DEP_1) | instskip(NEXT) | instid1(VALU_DEP_1)
	v_mul_f32_e32 v5, v6, v5
	v_and_b32_e32 v6, 0x7f800000, v5
	s_delay_alu instid0(VALU_DEP_1)
	v_cmp_ne_u32_e32 vcc_lo, 0x7f800000, v6
                                        ; implicit-def: $vgpr6
	s_and_saveexec_b32 s43, vcc_lo
	s_wait_alu 0xfffe
	s_xor_b32 s43, exec_lo, s43
; %bb.32:                               ;   in Loop: Header=BB623_4 Depth=1
	v_bfe_u32 v6, v5, 16, 1
	s_delay_alu instid0(VALU_DEP_1)
	v_add3_u32 v6, v5, v6, 0x7fff
                                        ; implicit-def: $vgpr5
; %bb.33:                               ;   in Loop: Header=BB623_4 Depth=1
	s_wait_alu 0xfffe
	s_and_not1_saveexec_b32 s43, s43
; %bb.34:                               ;   in Loop: Header=BB623_4 Depth=1
	v_and_b32_e32 v6, 0xffff, v5
	v_or_b32_e32 v7, 0x10000, v5
	s_delay_alu instid0(VALU_DEP_2) | instskip(SKIP_1) | instid1(VALU_DEP_2)
	v_cmp_eq_u32_e32 vcc_lo, 0, v6
	s_wait_alu 0xfffd
	v_cndmask_b32_e32 v6, v7, v5, vcc_lo
; %bb.35:                               ;   in Loop: Header=BB623_4 Depth=1
	s_wait_alu 0xfffe
	s_or_b32 exec_lo, exec_lo, s43
	s_delay_alu instid0(VALU_DEP_1) | instskip(NEXT) | instid1(VALU_DEP_1)
	v_and_b32_e32 v5, 0xffff0000, v6
	v_add_f32_e32 v18, v18, v5
.LBB623_36:                             ;   in Loop: Header=BB623_4 Depth=1
	s_wait_alu 0xfffe
	s_or_b32 exec_lo, exec_lo, s42
	ds_store_b32 v14, v18
	s_wait_dscnt 0x0
	s_barrier_signal -1
	s_barrier_wait -1
	global_inv scope:SCOPE_SE
	s_and_saveexec_b32 s42, s1
	s_cbranch_execz .LBB623_38
; %bb.37:                               ;   in Loop: Header=BB623_4 Depth=1
	ds_load_2addr_stride64_b32 v[5:6], v14 offset1:2
	s_wait_dscnt 0x0
	v_add_f32_e32 v5, v6, v5
	ds_store_b32 v14, v5
.LBB623_38:                             ;   in Loop: Header=BB623_4 Depth=1
	s_wait_alu 0xfffe
	s_or_b32 exec_lo, exec_lo, s42
	s_wait_loadcnt_dscnt 0x0
	s_barrier_signal -1
	s_barrier_wait -1
	global_inv scope:SCOPE_SE
	s_and_saveexec_b32 s42, s2
	s_cbranch_execz .LBB623_40
; %bb.39:                               ;   in Loop: Header=BB623_4 Depth=1
	ds_load_2addr_stride64_b32 v[5:6], v14 offset1:1
	s_wait_dscnt 0x0
	v_add_f32_e32 v5, v6, v5
	ds_store_b32 v14, v5
.LBB623_40:                             ;   in Loop: Header=BB623_4 Depth=1
	s_wait_alu 0xfffe
	s_or_b32 exec_lo, exec_lo, s42
	s_wait_loadcnt_dscnt 0x0
	s_barrier_signal -1
	s_barrier_wait -1
	global_inv scope:SCOPE_SE
	s_and_saveexec_b32 s42, s3
	s_cbranch_execz .LBB623_42
; %bb.41:                               ;   in Loop: Header=BB623_4 Depth=1
	ds_load_2addr_b32 v[5:6], v14 offset1:32
	s_wait_dscnt 0x0
	v_add_f32_e32 v5, v6, v5
	ds_store_b32 v14, v5
.LBB623_42:                             ;   in Loop: Header=BB623_4 Depth=1
	s_wait_alu 0xfffe
	s_or_b32 exec_lo, exec_lo, s42
	s_wait_loadcnt_dscnt 0x0
	s_barrier_signal -1
	s_barrier_wait -1
	global_inv scope:SCOPE_SE
	s_and_saveexec_b32 s42, s4
	s_cbranch_execz .LBB623_44
; %bb.43:                               ;   in Loop: Header=BB623_4 Depth=1
	ds_load_2addr_b32 v[5:6], v14 offset1:16
	s_wait_dscnt 0x0
	v_add_f32_e32 v5, v6, v5
	ds_store_b32 v14, v5
.LBB623_44:                             ;   in Loop: Header=BB623_4 Depth=1
	s_wait_alu 0xfffe
	s_or_b32 exec_lo, exec_lo, s42
	s_wait_loadcnt_dscnt 0x0
	s_barrier_signal -1
	s_barrier_wait -1
	global_inv scope:SCOPE_SE
	s_and_saveexec_b32 s42, s5
	s_cbranch_execz .LBB623_46
; %bb.45:                               ;   in Loop: Header=BB623_4 Depth=1
	ds_load_2addr_b32 v[5:6], v14 offset1:8
	s_wait_dscnt 0x0
	v_add_f32_e32 v5, v6, v5
	ds_store_b32 v14, v5
.LBB623_46:                             ;   in Loop: Header=BB623_4 Depth=1
	s_wait_alu 0xfffe
	s_or_b32 exec_lo, exec_lo, s42
	s_wait_loadcnt_dscnt 0x0
	s_barrier_signal -1
	s_barrier_wait -1
	global_inv scope:SCOPE_SE
	s_and_saveexec_b32 s42, s6
	s_cbranch_execz .LBB623_48
; %bb.47:                               ;   in Loop: Header=BB623_4 Depth=1
	ds_load_2addr_b32 v[5:6], v14 offset1:4
	s_wait_dscnt 0x0
	v_add_f32_e32 v5, v6, v5
	ds_store_b32 v14, v5
.LBB623_48:                             ;   in Loop: Header=BB623_4 Depth=1
	s_wait_alu 0xfffe
	s_or_b32 exec_lo, exec_lo, s42
	s_wait_loadcnt_dscnt 0x0
	s_barrier_signal -1
	s_barrier_wait -1
	global_inv scope:SCOPE_SE
	s_and_saveexec_b32 s42, s7
	s_cbranch_execz .LBB623_50
; %bb.49:                               ;   in Loop: Header=BB623_4 Depth=1
	ds_load_2addr_b32 v[5:6], v14 offset1:2
	s_wait_dscnt 0x0
	v_add_f32_e32 v5, v6, v5
	ds_store_b32 v14, v5
.LBB623_50:                             ;   in Loop: Header=BB623_4 Depth=1
	s_wait_alu 0xfffe
	s_or_b32 exec_lo, exec_lo, s42
	s_wait_loadcnt_dscnt 0x0
	s_barrier_signal -1
	s_barrier_wait -1
	global_inv scope:SCOPE_SE
	s_and_saveexec_b32 s42, s0
	s_cbranch_execz .LBB623_52
; %bb.51:                               ;   in Loop: Header=BB623_4 Depth=1
	ds_load_b64 v[5:6], v13
	s_wait_dscnt 0x0
	v_add_f32_e32 v5, v6, v5
	ds_store_b32 v13, v5
.LBB623_52:                             ;   in Loop: Header=BB623_4 Depth=1
	s_wait_alu 0xfffe
	s_or_b32 exec_lo, exec_lo, s42
	s_wait_loadcnt_dscnt 0x0
	s_barrier_signal -1
	s_barrier_wait -1
	global_inv scope:SCOPE_SE
                                        ; implicit-def: $vgpr9
	s_and_saveexec_b32 s42, s0
	s_cbranch_execz .LBB623_70
; %bb.53:                               ;   in Loop: Header=BB623_4 Depth=1
	ds_load_b32 v5, v13
	s_and_b32 vcc_lo, exec_lo, s41
	s_mov_b32 s45, -1
                                        ; implicit-def: $sgpr44
	s_wait_dscnt 0x0
	v_readfirstlane_b32 s43, v5
	s_mul_f32 s43, s36, s43
	s_wait_alu 0xfffe
	s_cbranch_vccz .LBB623_59
; %bb.54:                               ;   in Loop: Header=BB623_4 Depth=1
	s_delay_alu instid0(SALU_CYCLE_1)
	s_and_b32 s44, s43, 0x7f800000
	s_wait_alu 0xfffe
	s_cmp_eq_u32 s44, 0x7f800000
                                        ; implicit-def: $sgpr44
	s_cbranch_scc1 .LBB623_56
; %bb.55:                               ;   in Loop: Header=BB623_4 Depth=1
	s_bfe_u32 s44, s43, 0x10010
	s_mov_b32 s45, 0
	s_wait_alu 0xfffe
	s_add_co_i32 s44, s43, s44
	s_wait_alu 0xfffe
	s_addk_co_i32 s44, 0x7fff
.LBB623_56:                             ;   in Loop: Header=BB623_4 Depth=1
	s_and_not1_b32 vcc_lo, exec_lo, s45
	s_wait_alu 0xfffe
	s_cbranch_vccnz .LBB623_58
; %bb.57:                               ;   in Loop: Header=BB623_4 Depth=1
	s_and_b32 s44, s43, 0xffff
	s_or_b32 s45, s43, 0x10000
	s_wait_alu 0xfffe
	s_cmp_eq_u32 s44, 0
	s_cselect_b32 s44, s43, s45
.LBB623_58:                             ;   in Loop: Header=BB623_4 Depth=1
	s_mov_b32 s45, 0
.LBB623_59:                             ;   in Loop: Header=BB623_4 Depth=1
	s_wait_alu 0xfffe
	v_mov_b32_e32 v5, s44
	s_and_not1_b32 vcc_lo, exec_lo, s45
	s_wait_alu 0xfffe
	s_cbranch_vccnz .LBB623_69
; %bb.60:                               ;   in Loop: Header=BB623_4 Depth=1
	v_add_co_u32 v5, vcc_lo, v16, s28
	s_wait_alu 0xfffd
	v_add_co_ci_u32_e64 v6, null, s29, v17, vcc_lo
	flat_load_u16 v5, v[5:6]
	s_wait_loadcnt_dscnt 0x0
	v_lshlrev_b32_e32 v5, 16, v5
	s_delay_alu instid0(VALU_DEP_1) | instskip(NEXT) | instid1(VALU_DEP_1)
	v_mul_f32_e32 v5, s37, v5
	v_and_b32_e32 v6, 0x7f800000, v5
	s_delay_alu instid0(VALU_DEP_1)
	v_cmp_ne_u32_e32 vcc_lo, 0x7f800000, v6
                                        ; implicit-def: $vgpr6
	s_and_saveexec_b32 s44, vcc_lo
	s_wait_alu 0xfffe
	s_xor_b32 s44, exec_lo, s44
; %bb.61:                               ;   in Loop: Header=BB623_4 Depth=1
	v_bfe_u32 v6, v5, 16, 1
	s_delay_alu instid0(VALU_DEP_1)
	v_add3_u32 v6, v5, v6, 0x7fff
                                        ; implicit-def: $vgpr5
; %bb.62:                               ;   in Loop: Header=BB623_4 Depth=1
	s_wait_alu 0xfffe
	s_and_not1_saveexec_b32 s44, s44
; %bb.63:                               ;   in Loop: Header=BB623_4 Depth=1
	v_and_b32_e32 v6, 0xffff, v5
	v_or_b32_e32 v7, 0x10000, v5
	s_delay_alu instid0(VALU_DEP_2) | instskip(SKIP_1) | instid1(VALU_DEP_2)
	v_cmp_eq_u32_e32 vcc_lo, 0, v6
	s_wait_alu 0xfffd
	v_cndmask_b32_e32 v6, v7, v5, vcc_lo
; %bb.64:                               ;   in Loop: Header=BB623_4 Depth=1
	s_wait_alu 0xfffe
	s_or_b32 exec_lo, exec_lo, s44
	s_delay_alu instid0(VALU_DEP_1) | instskip(NEXT) | instid1(VALU_DEP_1)
	v_and_b32_e32 v5, 0xffff0000, v6
	v_add_f32_e32 v6, s43, v5
	s_delay_alu instid0(VALU_DEP_1) | instskip(NEXT) | instid1(VALU_DEP_1)
	v_and_b32_e32 v5, 0x7f800000, v6
	v_cmp_ne_u32_e32 vcc_lo, 0x7f800000, v5
                                        ; implicit-def: $vgpr5
	s_and_saveexec_b32 s43, vcc_lo
	s_wait_alu 0xfffe
	s_xor_b32 s43, exec_lo, s43
; %bb.65:                               ;   in Loop: Header=BB623_4 Depth=1
	v_bfe_u32 v5, v6, 16, 1
	s_delay_alu instid0(VALU_DEP_1)
	v_add3_u32 v5, v6, v5, 0x7fff
                                        ; implicit-def: $vgpr6
; %bb.66:                               ;   in Loop: Header=BB623_4 Depth=1
	s_wait_alu 0xfffe
	s_and_not1_saveexec_b32 s43, s43
; %bb.67:                               ;   in Loop: Header=BB623_4 Depth=1
	v_and_b32_e32 v5, 0xffff, v6
	v_or_b32_e32 v7, 0x10000, v6
	s_delay_alu instid0(VALU_DEP_2) | instskip(SKIP_1) | instid1(VALU_DEP_2)
	v_cmp_eq_u32_e32 vcc_lo, 0, v5
	s_wait_alu 0xfffd
	v_cndmask_b32_e32 v5, v7, v6, vcc_lo
; %bb.68:                               ;   in Loop: Header=BB623_4 Depth=1
	s_wait_alu 0xfffe
	s_or_b32 exec_lo, exec_lo, s43
.LBB623_69:                             ;   in Loop: Header=BB623_4 Depth=1
	s_delay_alu instid0(VALU_DEP_1)
	v_lshrrev_b32_e32 v9, 16, v5
	s_or_b32 s25, s25, exec_lo
.LBB623_70:                             ;   in Loop: Header=BB623_4 Depth=1
	s_wait_alu 0xfffe
	s_or_b32 exec_lo, exec_lo, s42
.LBB623_71:                             ;   in Loop: Header=BB623_4 Depth=1
	s_wait_alu 0xfffe
	s_and_saveexec_b32 s42, s25
	s_cbranch_execz .LBB623_2
; %bb.72:                               ;   in Loop: Header=BB623_4 Depth=1
	v_add_co_u32 v5, vcc_lo, v16, s28
	s_wait_alu 0xfffd
	v_add_co_ci_u32_e64 v6, null, s29, v17, vcc_lo
	flat_store_b16 v[5:6], v9
	s_branch .LBB623_2
.LBB623_73:
	s_endpgm
	.section	.rodata,"a",@progbits
	.p2align	6, 0x0
	.amdhsa_kernel _ZL20rocblas_gemvt_kernelILb1ELi256EPK16rocblas_bfloat16fKPS0_EviiT2_lPKT1_lilS8_lilS5_lPT3_lili
		.amdhsa_group_segment_fixed_size 1024
		.amdhsa_private_segment_fixed_size 0
		.amdhsa_kernarg_size 140
		.amdhsa_user_sgpr_count 2
		.amdhsa_user_sgpr_dispatch_ptr 0
		.amdhsa_user_sgpr_queue_ptr 0
		.amdhsa_user_sgpr_kernarg_segment_ptr 1
		.amdhsa_user_sgpr_dispatch_id 0
		.amdhsa_user_sgpr_private_segment_size 0
		.amdhsa_wavefront_size32 1
		.amdhsa_uses_dynamic_stack 0
		.amdhsa_enable_private_segment 0
		.amdhsa_system_sgpr_workgroup_id_x 1
		.amdhsa_system_sgpr_workgroup_id_y 0
		.amdhsa_system_sgpr_workgroup_id_z 1
		.amdhsa_system_sgpr_workgroup_info 0
		.amdhsa_system_vgpr_workitem_id 0
		.amdhsa_next_free_vgpr 22
		.amdhsa_next_free_sgpr 46
		.amdhsa_reserve_vcc 1
		.amdhsa_float_round_mode_32 0
		.amdhsa_float_round_mode_16_64 0
		.amdhsa_float_denorm_mode_32 3
		.amdhsa_float_denorm_mode_16_64 3
		.amdhsa_fp16_overflow 0
		.amdhsa_workgroup_processor_mode 1
		.amdhsa_memory_ordered 1
		.amdhsa_forward_progress 1
		.amdhsa_inst_pref_size 20
		.amdhsa_round_robin_scheduling 0
		.amdhsa_exception_fp_ieee_invalid_op 0
		.amdhsa_exception_fp_denorm_src 0
		.amdhsa_exception_fp_ieee_div_zero 0
		.amdhsa_exception_fp_ieee_overflow 0
		.amdhsa_exception_fp_ieee_underflow 0
		.amdhsa_exception_fp_ieee_inexact 0
		.amdhsa_exception_int_div_zero 0
	.end_amdhsa_kernel
	.section	.text._ZL20rocblas_gemvt_kernelILb1ELi256EPK16rocblas_bfloat16fKPS0_EviiT2_lPKT1_lilS8_lilS5_lPT3_lili,"axG",@progbits,_ZL20rocblas_gemvt_kernelILb1ELi256EPK16rocblas_bfloat16fKPS0_EviiT2_lPKT1_lilS8_lilS5_lPT3_lili,comdat
.Lfunc_end623:
	.size	_ZL20rocblas_gemvt_kernelILb1ELi256EPK16rocblas_bfloat16fKPS0_EviiT2_lPKT1_lilS8_lilS5_lPT3_lili, .Lfunc_end623-_ZL20rocblas_gemvt_kernelILb1ELi256EPK16rocblas_bfloat16fKPS0_EviiT2_lPKT1_lilS8_lilS5_lPT3_lili
                                        ; -- End function
	.set _ZL20rocblas_gemvt_kernelILb1ELi256EPK16rocblas_bfloat16fKPS0_EviiT2_lPKT1_lilS8_lilS5_lPT3_lili.num_vgpr, 22
	.set _ZL20rocblas_gemvt_kernelILb1ELi256EPK16rocblas_bfloat16fKPS0_EviiT2_lPKT1_lilS8_lilS5_lPT3_lili.num_agpr, 0
	.set _ZL20rocblas_gemvt_kernelILb1ELi256EPK16rocblas_bfloat16fKPS0_EviiT2_lPKT1_lilS8_lilS5_lPT3_lili.numbered_sgpr, 46
	.set _ZL20rocblas_gemvt_kernelILb1ELi256EPK16rocblas_bfloat16fKPS0_EviiT2_lPKT1_lilS8_lilS5_lPT3_lili.num_named_barrier, 0
	.set _ZL20rocblas_gemvt_kernelILb1ELi256EPK16rocblas_bfloat16fKPS0_EviiT2_lPKT1_lilS8_lilS5_lPT3_lili.private_seg_size, 0
	.set _ZL20rocblas_gemvt_kernelILb1ELi256EPK16rocblas_bfloat16fKPS0_EviiT2_lPKT1_lilS8_lilS5_lPT3_lili.uses_vcc, 1
	.set _ZL20rocblas_gemvt_kernelILb1ELi256EPK16rocblas_bfloat16fKPS0_EviiT2_lPKT1_lilS8_lilS5_lPT3_lili.uses_flat_scratch, 0
	.set _ZL20rocblas_gemvt_kernelILb1ELi256EPK16rocblas_bfloat16fKPS0_EviiT2_lPKT1_lilS8_lilS5_lPT3_lili.has_dyn_sized_stack, 0
	.set _ZL20rocblas_gemvt_kernelILb1ELi256EPK16rocblas_bfloat16fKPS0_EviiT2_lPKT1_lilS8_lilS5_lPT3_lili.has_recursion, 0
	.set _ZL20rocblas_gemvt_kernelILb1ELi256EPK16rocblas_bfloat16fKPS0_EviiT2_lPKT1_lilS8_lilS5_lPT3_lili.has_indirect_call, 0
	.section	.AMDGPU.csdata,"",@progbits
; Kernel info:
; codeLenInByte = 2544
; TotalNumSgprs: 48
; NumVgprs: 22
; ScratchSize: 0
; MemoryBound: 0
; FloatMode: 240
; IeeeMode: 1
; LDSByteSize: 1024 bytes/workgroup (compile time only)
; SGPRBlocks: 0
; VGPRBlocks: 2
; NumSGPRsForWavesPerEU: 48
; NumVGPRsForWavesPerEU: 22
; Occupancy: 16
; WaveLimiterHint : 1
; COMPUTE_PGM_RSRC2:SCRATCH_EN: 0
; COMPUTE_PGM_RSRC2:USER_SGPR: 2
; COMPUTE_PGM_RSRC2:TRAP_HANDLER: 0
; COMPUTE_PGM_RSRC2:TGID_X_EN: 1
; COMPUTE_PGM_RSRC2:TGID_Y_EN: 0
; COMPUTE_PGM_RSRC2:TGID_Z_EN: 1
; COMPUTE_PGM_RSRC2:TIDIG_COMP_CNT: 0
	.section	.text._ZL32rocblas_gemvt_warp_reduce_kernelILb1ELi1024EiPK16rocblas_bfloat16PKfKPS0_EviiT3_lPKT2_lT1_lSA_lSB_lS7_lPT4_lSB_li,"axG",@progbits,_ZL32rocblas_gemvt_warp_reduce_kernelILb1ELi1024EiPK16rocblas_bfloat16PKfKPS0_EviiT3_lPKT2_lT1_lSA_lSB_lS7_lPT4_lSB_li,comdat
	.globl	_ZL32rocblas_gemvt_warp_reduce_kernelILb1ELi1024EiPK16rocblas_bfloat16PKfKPS0_EviiT3_lPKT2_lT1_lSA_lSB_lS7_lPT4_lSB_li ; -- Begin function _ZL32rocblas_gemvt_warp_reduce_kernelILb1ELi1024EiPK16rocblas_bfloat16PKfKPS0_EviiT3_lPKT2_lT1_lSA_lSB_lS7_lPT4_lSB_li
	.p2align	8
	.type	_ZL32rocblas_gemvt_warp_reduce_kernelILb1ELi1024EiPK16rocblas_bfloat16PKfKPS0_EviiT3_lPKT2_lT1_lSA_lSB_lS7_lPT4_lSB_li,@function
_ZL32rocblas_gemvt_warp_reduce_kernelILb1ELi1024EiPK16rocblas_bfloat16PKfKPS0_EviiT3_lPKT2_lT1_lSA_lSB_lS7_lPT4_lSB_li: ; @_ZL32rocblas_gemvt_warp_reduce_kernelILb1ELi1024EiPK16rocblas_bfloat16PKfKPS0_EviiT3_lPKT2_lT1_lSA_lSB_lS7_lPT4_lSB_li
; %bb.0:
	s_load_b32 s7, s[0:1], 0x88
	s_lshr_b32 s28, ttmp7, 16
	s_wait_kmcnt 0x0
	s_cmp_ge_u32 s28, s7
	s_cbranch_scc1 .LBB624_63
; %bb.1:
	s_clause 0x6
	s_load_b32 s4, s[0:1], 0x0
	s_load_b32 s3, s[0:1], 0x78
	s_load_b256 s[8:15], s[0:1], 0x8
	s_load_b32 s5, s[0:1], 0x28
	s_load_b128 s[24:27], s[0:1], 0x38
	s_load_b32 s6, s[0:1], 0x48
	s_load_b256 s[16:23], s[0:1], 0x58
	v_lshrrev_b32_e32 v2, 3, v0
	v_and_b32_e32 v1, 31, v0
	v_mov_b32_e32 v11, 0
	v_mbcnt_lo_u32_b32 v15, -1, 0
	v_cmp_eq_u32_e64 s0, 0, v0
	v_and_b32_e32 v13, 0x7c, v2
	v_lshlrev_b32_e32 v12, 2, v1
	v_cmp_gt_u32_e64 s1, 32, v0
	v_lshl_or_b32 v17, v15, 2, 64
	s_mov_b32 s29, 0
	s_wait_kmcnt 0x0
	s_ashr_i32 s2, s4, 31
	v_cmp_gt_i32_e32 vcc_lo, s4, v0
	s_lshr_b32 s2, s2, 22
	s_mul_i32 s34, s3, ttmp9
	s_add_co_i32 s30, s4, s2
	v_cmp_eq_u32_e64 s2, 0, v1
	s_and_b32 s30, s30, 0xfffffc00
	v_cndmask_b32_e32 v3, 0, v0, vcc_lo
	v_or_b32_e32 v2, s30, v0
	v_mul_lo_u32 v14, v0, s6
	s_mul_i32 s36, s5, ttmp9
	v_cmp_gt_i32_e64 s3, s30, v0
	v_lshlrev_b32_e32 v16, 1, v3
	v_mul_lo_u32 v1, s6, v2
	v_cmp_gt_i32_e64 s4, s4, v2
	s_ashr_i32 s35, s34, 31
	s_ashr_i32 s37, s36, 31
	;; [unrolled: 1-line block ×3, first 2 shown]
	s_lshl_b32 s33, s6, 10
	s_lshl_b64 s[14:15], s[14:15], 1
	s_lshl_b64 s[26:27], s[26:27], 1
	v_ashrrev_i32_e32 v2, 31, v1
	s_lshl_b64 s[22:23], s[22:23], 1
	s_lshl_b64 s[34:35], s[34:35], 1
	;; [unrolled: 1-line block ×3, first 2 shown]
	s_wait_alu 0xfffe
	s_lshl_b64 s[38:39], s[30:31], 1
	v_lshlrev_b64_e32 v[1:2], 1, v[1:2]
	s_branch .LBB624_4
.LBB624_2:                              ;   in Loop: Header=BB624_4 Depth=1
	s_wait_alu 0xfffe
	s_or_b32 exec_lo, exec_lo, s5
.LBB624_3:                              ;   in Loop: Header=BB624_4 Depth=1
	s_add_co_i32 s28, s28, 0x10000
	s_delay_alu instid0(SALU_CYCLE_1)
	s_cmp_lt_u32 s28, s7
	s_cbranch_scc0 .LBB624_63
.LBB624_4:                              ; =>This Loop Header: Depth=1
                                        ;     Child Loop BB624_31 Depth 2
	s_mul_u64 s[40:41], s[10:11], s[28:29]
	s_mul_u64 s[42:43], s[18:19], s[28:29]
	s_lshl_b64 s[40:41], s[40:41], 2
	s_lshl_b64 s[42:43], s[42:43], 2
	s_add_nc_u64 s[40:41], s[8:9], s[40:41]
	s_add_nc_u64 s[42:43], s[16:17], s[42:43]
	s_clause 0x1
	global_load_b32 v20, v11, s[40:41]
	global_load_b32 v3, v11, s[42:43]
	s_wait_loadcnt 0x1
	v_cmp_eq_f32_e64 s5, 0, v20
	s_wait_loadcnt 0x0
	v_cmp_eq_f32_e32 vcc_lo, 1.0, v3
	v_readfirstlane_b32 s31, v3
	s_and_b32 s6, s5, vcc_lo
	s_wait_alu 0xfffe
	s_and_b32 vcc_lo, exec_lo, s6
	s_wait_alu 0xfffe
	s_cbranch_vccnz .LBB624_3
; %bb.5:                                ;   in Loop: Header=BB624_4 Depth=1
	v_mov_b32_e32 v3, 0
	v_dual_mov_b32 v4, 0 :: v_dual_mov_b32 v5, 0
	v_cmp_neq_f32_e64 s6, 0, v20
	v_mov_b32_e32 v6, 0
	s_and_b32 vcc_lo, exec_lo, s5
	s_wait_alu 0xfffe
	s_cbranch_vccnz .LBB624_7
; %bb.6:                                ;   in Loop: Header=BB624_4 Depth=1
	s_lshl_b64 s[40:41], s[28:29], 3
	s_delay_alu instid0(SALU_CYCLE_1)
	s_add_nc_u64 s[40:41], s[12:13], s[40:41]
	global_load_b64 v[5:6], v11, s[40:41]
	s_wait_loadcnt 0x0
	v_add_co_u32 v5, vcc_lo, v5, s14
	s_wait_alu 0xfffd
	v_add_co_ci_u32_e64 v6, null, s15, v6, vcc_lo
.LBB624_7:                              ;   in Loop: Header=BB624_4 Depth=1
	s_and_not1_b32 vcc_lo, exec_lo, s6
	s_wait_alu 0xfffe
	s_cbranch_vccnz .LBB624_9
; %bb.8:                                ;   in Loop: Header=BB624_4 Depth=1
	s_lshl_b64 s[40:41], s[28:29], 3
	s_delay_alu instid0(SALU_CYCLE_1)
	s_add_nc_u64 s[40:41], s[24:25], s[40:41]
	global_load_b64 v[3:4], v11, s[40:41]
	s_wait_loadcnt 0x0
	v_add_co_u32 v3, vcc_lo, v3, s26
	s_wait_alu 0xfffd
	v_add_co_ci_u32_e64 v4, null, s27, v4, vcc_lo
.LBB624_9:                              ;   in Loop: Header=BB624_4 Depth=1
	s_lshl_b64 s[40:41], s[28:29], 3
	s_delay_alu instid0(SALU_CYCLE_1)
	s_add_nc_u64 s[40:41], s[20:21], s[40:41]
	s_wait_dscnt 0x0
	global_load_b64 v[7:8], v11, s[40:41]
	s_wait_loadcnt 0x0
	v_add_co_u32 v18, vcc_lo, v7, s22
	s_wait_alu 0xfffd
	v_add_co_ci_u32_e64 v19, null, s23, v8, vcc_lo
	s_and_not1_b32 vcc_lo, exec_lo, s5
	s_wait_alu 0xfffe
	s_cbranch_vccnz .LBB624_17
; %bb.10:                               ;   in Loop: Header=BB624_4 Depth=1
	s_mov_b32 s5, 0
	s_mov_b32 s6, 0
                                        ; implicit-def: $vgpr7
	s_and_saveexec_b32 s40, s0
	s_cbranch_execz .LBB624_18
; %bb.11:                               ;   in Loop: Header=BB624_4 Depth=1
	s_cmp_eq_f32 s31, 0
	s_cbranch_scc1 .LBB624_19
; %bb.12:                               ;   in Loop: Header=BB624_4 Depth=1
	v_add_co_u32 v7, vcc_lo, v18, s34
	s_wait_alu 0xfffd
	v_add_co_ci_u32_e64 v8, null, s35, v19, vcc_lo
	flat_load_u16 v7, v[7:8]
	s_wait_loadcnt_dscnt 0x0
	v_lshlrev_b32_e32 v7, 16, v7
	s_delay_alu instid0(VALU_DEP_1) | instskip(NEXT) | instid1(VALU_DEP_1)
	v_mul_f32_e32 v7, s31, v7
	v_and_b32_e32 v8, 0x7f800000, v7
	s_delay_alu instid0(VALU_DEP_1)
	v_cmp_ne_u32_e32 vcc_lo, 0x7f800000, v8
                                        ; implicit-def: $vgpr8
	s_and_saveexec_b32 s6, vcc_lo
	s_wait_alu 0xfffe
	s_xor_b32 s6, exec_lo, s6
; %bb.13:                               ;   in Loop: Header=BB624_4 Depth=1
	v_bfe_u32 v8, v7, 16, 1
	s_delay_alu instid0(VALU_DEP_1)
	v_add3_u32 v8, v7, v8, 0x7fff
                                        ; implicit-def: $vgpr7
; %bb.14:                               ;   in Loop: Header=BB624_4 Depth=1
	s_wait_alu 0xfffe
	s_and_not1_saveexec_b32 s6, s6
; %bb.15:                               ;   in Loop: Header=BB624_4 Depth=1
	v_and_b32_e32 v8, 0xffff, v7
	v_or_b32_e32 v9, 0x10000, v7
	s_delay_alu instid0(VALU_DEP_2) | instskip(SKIP_1) | instid1(VALU_DEP_2)
	v_cmp_eq_u32_e32 vcc_lo, 0, v8
	s_wait_alu 0xfffd
	v_cndmask_b32_e32 v8, v9, v7, vcc_lo
; %bb.16:                               ;   in Loop: Header=BB624_4 Depth=1
	s_wait_alu 0xfffe
	s_or_b32 exec_lo, exec_lo, s6
	s_delay_alu instid0(VALU_DEP_1) | instskip(SKIP_2) | instid1(SALU_CYCLE_1)
	v_lshrrev_b32_e32 v7, 16, v8
	s_mov_b32 s6, exec_lo
	s_or_b32 exec_lo, exec_lo, s40
	s_and_b32 vcc_lo, exec_lo, s5
	s_wait_alu 0xfffe
	s_cbranch_vccnz .LBB624_20
	s_branch .LBB624_61
.LBB624_17:                             ;   in Loop: Header=BB624_4 Depth=1
	s_mov_b32 s6, 0
                                        ; implicit-def: $vgpr7
	s_cbranch_execnz .LBB624_20
	s_branch .LBB624_61
.LBB624_18:                             ;   in Loop: Header=BB624_4 Depth=1
	s_or_b32 exec_lo, exec_lo, s40
	s_wait_alu 0xfffe
	s_and_b32 vcc_lo, exec_lo, s5
	s_wait_alu 0xfffe
	s_cbranch_vccnz .LBB624_20
	s_branch .LBB624_61
.LBB624_19:                             ;   in Loop: Header=BB624_4 Depth=1
	v_mov_b32_e32 v7, 0
	s_mov_b32 s6, exec_lo
	s_or_b32 exec_lo, exec_lo, s40
	s_wait_alu 0xfffe
	s_and_b32 vcc_lo, exec_lo, s5
	s_wait_alu 0xfffe
	s_cbranch_vccz .LBB624_61
.LBB624_20:                             ;   in Loop: Header=BB624_4 Depth=1
	v_add_co_u32 v5, vcc_lo, v5, v16
	s_wait_alu 0xfffd
	v_add_co_ci_u32_e64 v6, null, 0, v6, vcc_lo
	v_mov_b32_e32 v21, 0
	s_delay_alu instid0(VALU_DEP_3) | instskip(SKIP_1) | instid1(VALU_DEP_3)
	v_add_co_u32 v5, vcc_lo, v5, s36
	s_wait_alu 0xfffd
	v_add_co_ci_u32_e64 v6, null, s37, v6, vcc_lo
	s_and_saveexec_b32 s40, s3
	s_cbranch_execnz .LBB624_29
; %bb.21:                               ;   in Loop: Header=BB624_4 Depth=1
	s_or_b32 exec_lo, exec_lo, s40
	s_and_saveexec_b32 s5, s4
	s_cbranch_execnz .LBB624_44
.LBB624_22:                             ;   in Loop: Header=BB624_4 Depth=1
	s_wait_alu 0xfffe
	s_or_b32 exec_lo, exec_lo, s5
	s_and_saveexec_b32 s5, s1
.LBB624_23:                             ;   in Loop: Header=BB624_4 Depth=1
	ds_store_b32 v12, v11
.LBB624_24:                             ;   in Loop: Header=BB624_4 Depth=1
	s_wait_alu 0xfffe
	s_or_b32 exec_lo, exec_lo, s5
	ds_bpermute_b32 v4, v17, v21
	v_cmp_gt_u32_e32 vcc_lo, 24, v15
	s_wait_dscnt 0x0
	s_barrier_signal -1
	s_barrier_wait -1
	global_inv scope:SCOPE_SE
	s_wait_alu 0xfffd
	v_cndmask_b32_e64 v3, 0, 8, vcc_lo
	v_cmp_gt_u32_e32 vcc_lo, 28, v15
	s_delay_alu instid0(VALU_DEP_2)
	v_add_lshl_u32 v3, v3, v15, 2
	v_add_f32_e32 v5, v21, v4
	s_wait_alu 0xfffd
	v_cndmask_b32_e64 v4, 0, 4, vcc_lo
	v_cmp_gt_u32_e32 vcc_lo, 30, v15
	ds_bpermute_b32 v6, v3, v5
	v_add_lshl_u32 v4, v4, v15, 2
	s_wait_dscnt 0x0
	v_add_f32_e32 v6, v5, v6
	s_wait_alu 0xfffd
	v_cndmask_b32_e64 v5, 0, 2, vcc_lo
	v_cmp_ne_u32_e32 vcc_lo, 31, v15
	ds_bpermute_b32 v7, v4, v6
	v_add_lshl_u32 v5, v5, v15, 2
	s_wait_alu 0xfffd
	v_add_co_ci_u32_e64 v8, null, 0, v15, vcc_lo
	s_wait_dscnt 0x0
	v_add_f32_e32 v6, v6, v7
	ds_bpermute_b32 v7, v5, v6
	s_wait_dscnt 0x0
	v_dual_add_f32 v7, v6, v7 :: v_dual_lshlrev_b32 v6, 2, v8
	ds_bpermute_b32 v8, v6, v7
	s_and_saveexec_b32 s5, s2
	s_cbranch_execz .LBB624_26
; %bb.25:                               ;   in Loop: Header=BB624_4 Depth=1
	s_wait_dscnt 0x0
	v_add_f32_e32 v7, v7, v8
	ds_store_b32 v13, v7
.LBB624_26:                             ;   in Loop: Header=BB624_4 Depth=1
	s_wait_alu 0xfffe
	s_or_b32 exec_lo, exec_lo, s5
	s_wait_dscnt 0x0
	v_mov_b32_e32 v8, 0
	s_wait_loadcnt 0x0
	s_barrier_signal -1
	s_barrier_wait -1
	global_inv scope:SCOPE_SE
	s_and_saveexec_b32 s5, s1
	s_cbranch_execnz .LBB624_35
; %bb.27:                               ;   in Loop: Header=BB624_4 Depth=1
	s_wait_alu 0xfffe
	s_or_b32 exec_lo, exec_lo, s5
	s_and_saveexec_b32 s5, s1
	s_cbranch_execnz .LBB624_36
.LBB624_28:                             ;   in Loop: Header=BB624_4 Depth=1
	s_wait_alu 0xfffe
	s_or_b32 exec_lo, exec_lo, s5
                                        ; implicit-def: $vgpr7
	s_and_saveexec_b32 s5, s0
	s_cbranch_execnz .LBB624_37
	s_branch .LBB624_60
.LBB624_29:                             ;   in Loop: Header=BB624_4 Depth=1
	v_dual_mov_b32 v21, 0 :: v_dual_mov_b32 v8, v6
	v_dual_mov_b32 v7, v5 :: v_dual_mov_b32 v22, v0
	v_mov_b32_e32 v9, v14
	s_mov_b32 s41, 0
	s_branch .LBB624_31
.LBB624_30:                             ;   in Loop: Header=BB624_31 Depth=2
	s_wait_alu 0xfffe
	s_or_b32 exec_lo, exec_lo, s5
	v_add_nc_u32_e32 v22, 0x400, v22
	v_and_b32_e32 v10, 0xffff0000, v23
	v_add_co_u32 v7, s5, 0x800, v7
	v_add_nc_u32_e32 v9, s33, v9
	s_delay_alu instid0(VALU_DEP_4) | instskip(NEXT) | instid1(VALU_DEP_4)
	v_cmp_le_i32_e32 vcc_lo, s30, v22
	v_add_f32_e32 v21, v21, v10
	s_wait_alu 0xf1ff
	v_add_co_ci_u32_e64 v8, null, 0, v8, s5
	s_or_b32 s41, vcc_lo, s41
	s_delay_alu instid0(SALU_CYCLE_1)
	s_and_not1_b32 exec_lo, exec_lo, s41
	s_cbranch_execz .LBB624_43
.LBB624_31:                             ;   Parent Loop BB624_4 Depth=1
                                        ; =>  This Inner Loop Header: Depth=2
	s_delay_alu instid0(VALU_DEP_1) | instskip(NEXT) | instid1(VALU_DEP_1)
	v_ashrrev_i32_e32 v10, 31, v9
	v_lshlrev_b64_e32 v[23:24], 1, v[9:10]
	s_delay_alu instid0(VALU_DEP_1) | instskip(SKIP_1) | instid1(VALU_DEP_2)
	v_add_co_u32 v23, vcc_lo, v3, v23
	s_wait_alu 0xfffd
	v_add_co_ci_u32_e64 v24, null, v4, v24, vcc_lo
	flat_load_u16 v10, v[7:8]
	flat_load_u16 v23, v[23:24]
	s_wait_loadcnt_dscnt 0x101
	v_lshlrev_b32_e32 v10, 16, v10
	s_wait_loadcnt_dscnt 0x0
	v_lshlrev_b32_e32 v23, 16, v23
	s_delay_alu instid0(VALU_DEP_1) | instskip(NEXT) | instid1(VALU_DEP_1)
	v_mul_f32_e32 v10, v10, v23
	v_and_b32_e32 v23, 0x7f800000, v10
	s_delay_alu instid0(VALU_DEP_1)
	v_cmp_ne_u32_e32 vcc_lo, 0x7f800000, v23
                                        ; implicit-def: $vgpr23
	s_and_saveexec_b32 s5, vcc_lo
	s_wait_alu 0xfffe
	s_xor_b32 s5, exec_lo, s5
; %bb.32:                               ;   in Loop: Header=BB624_31 Depth=2
	v_bfe_u32 v23, v10, 16, 1
	s_delay_alu instid0(VALU_DEP_1)
	v_add3_u32 v23, v10, v23, 0x7fff
                                        ; implicit-def: $vgpr10
; %bb.33:                               ;   in Loop: Header=BB624_31 Depth=2
	s_wait_alu 0xfffe
	s_and_not1_saveexec_b32 s5, s5
	s_cbranch_execz .LBB624_30
; %bb.34:                               ;   in Loop: Header=BB624_31 Depth=2
	v_and_b32_e32 v23, 0xffff, v10
	v_or_b32_e32 v24, 0x10000, v10
	s_delay_alu instid0(VALU_DEP_2) | instskip(SKIP_1) | instid1(VALU_DEP_2)
	v_cmp_eq_u32_e32 vcc_lo, 0, v23
	s_wait_alu 0xfffd
	v_cndmask_b32_e32 v23, v24, v10, vcc_lo
	s_branch .LBB624_30
.LBB624_35:                             ;   in Loop: Header=BB624_4 Depth=1
	ds_load_b32 v8, v12
	s_wait_alu 0xfffe
	s_or_b32 exec_lo, exec_lo, s5
	s_and_saveexec_b32 s5, s1
	s_cbranch_execz .LBB624_28
.LBB624_36:                             ;   in Loop: Header=BB624_4 Depth=1
	s_wait_dscnt 0x0
	ds_bpermute_b32 v7, v17, v8
	s_wait_dscnt 0x0
	v_add_f32_e32 v7, v8, v7
	ds_bpermute_b32 v3, v3, v7
	s_wait_dscnt 0x0
	v_add_f32_e32 v3, v7, v3
	;; [unrolled: 3-line block ×5, first 2 shown]
	s_wait_alu 0xfffe
	s_or_b32 exec_lo, exec_lo, s5
                                        ; implicit-def: $vgpr7
	s_and_saveexec_b32 s5, s0
	s_cbranch_execz .LBB624_60
.LBB624_37:                             ;   in Loop: Header=BB624_4 Depth=1
	s_wait_dscnt 0x0
	v_mul_f32_e32 v3, v20, v8
	s_cmp_eq_f32 s31, 0
	s_cbranch_scc0 .LBB624_49
; %bb.38:                               ;   in Loop: Header=BB624_4 Depth=1
	s_delay_alu instid0(VALU_DEP_1) | instskip(NEXT) | instid1(VALU_DEP_1)
	v_and_b32_e32 v4, 0x7f800000, v3
	v_cmp_ne_u32_e32 vcc_lo, 0x7f800000, v4
                                        ; implicit-def: $vgpr4
	s_and_saveexec_b32 s40, vcc_lo
	s_delay_alu instid0(SALU_CYCLE_1)
	s_xor_b32 s40, exec_lo, s40
; %bb.39:                               ;   in Loop: Header=BB624_4 Depth=1
	v_bfe_u32 v4, v3, 16, 1
	s_delay_alu instid0(VALU_DEP_1)
	v_add3_u32 v4, v3, v4, 0x7fff
; %bb.40:                               ;   in Loop: Header=BB624_4 Depth=1
	s_and_not1_saveexec_b32 s40, s40
; %bb.41:                               ;   in Loop: Header=BB624_4 Depth=1
	v_and_b32_e32 v4, 0xffff, v3
	v_or_b32_e32 v5, 0x10000, v3
	s_delay_alu instid0(VALU_DEP_2) | instskip(SKIP_1) | instid1(VALU_DEP_2)
	v_cmp_eq_u32_e32 vcc_lo, 0, v4
	s_wait_alu 0xfffd
	v_cndmask_b32_e32 v4, v5, v3, vcc_lo
; %bb.42:                               ;   in Loop: Header=BB624_4 Depth=1
	s_or_b32 exec_lo, exec_lo, s40
	s_cbranch_execz .LBB624_50
	s_branch .LBB624_59
.LBB624_43:                             ;   in Loop: Header=BB624_4 Depth=1
	s_or_b32 exec_lo, exec_lo, s41
	s_delay_alu instid0(SALU_CYCLE_1)
	s_or_b32 exec_lo, exec_lo, s40
	s_and_saveexec_b32 s5, s4
	s_cbranch_execz .LBB624_22
.LBB624_44:                             ;   in Loop: Header=BB624_4 Depth=1
	v_add_co_u32 v3, vcc_lo, v3, v1
	s_wait_alu 0xfffd
	v_add_co_ci_u32_e64 v4, null, v4, v2, vcc_lo
	v_add_co_u32 v5, vcc_lo, v5, s38
	s_wait_alu 0xfffd
	v_add_co_ci_u32_e64 v6, null, s39, v6, vcc_lo
	flat_load_u16 v3, v[3:4]
	flat_load_u16 v4, v[5:6]
	s_wait_loadcnt_dscnt 0x101
	v_lshlrev_b32_e32 v3, 16, v3
	s_wait_loadcnt_dscnt 0x0
	v_lshlrev_b32_e32 v4, 16, v4
	s_delay_alu instid0(VALU_DEP_1) | instskip(NEXT) | instid1(VALU_DEP_1)
	v_mul_f32_e32 v3, v4, v3
	v_and_b32_e32 v4, 0x7f800000, v3
	s_delay_alu instid0(VALU_DEP_1) | instskip(SKIP_1) | instid1(SALU_CYCLE_1)
	v_cmp_ne_u32_e32 vcc_lo, 0x7f800000, v4
                                        ; implicit-def: $vgpr4
	s_and_saveexec_b32 s40, vcc_lo
	s_xor_b32 s40, exec_lo, s40
; %bb.45:                               ;   in Loop: Header=BB624_4 Depth=1
	v_bfe_u32 v4, v3, 16, 1
	s_delay_alu instid0(VALU_DEP_1)
	v_add3_u32 v4, v3, v4, 0x7fff
                                        ; implicit-def: $vgpr3
; %bb.46:                               ;   in Loop: Header=BB624_4 Depth=1
	s_and_not1_saveexec_b32 s40, s40
; %bb.47:                               ;   in Loop: Header=BB624_4 Depth=1
	v_and_b32_e32 v4, 0xffff, v3
	v_or_b32_e32 v5, 0x10000, v3
	s_delay_alu instid0(VALU_DEP_2) | instskip(SKIP_1) | instid1(VALU_DEP_2)
	v_cmp_eq_u32_e32 vcc_lo, 0, v4
	s_wait_alu 0xfffd
	v_cndmask_b32_e32 v4, v5, v3, vcc_lo
; %bb.48:                               ;   in Loop: Header=BB624_4 Depth=1
	s_or_b32 exec_lo, exec_lo, s40
	s_delay_alu instid0(VALU_DEP_1) | instskip(NEXT) | instid1(VALU_DEP_1)
	v_and_b32_e32 v3, 0xffff0000, v4
	v_add_f32_e32 v21, v21, v3
	s_wait_alu 0xfffe
	s_or_b32 exec_lo, exec_lo, s5
	s_and_saveexec_b32 s5, s1
	s_cbranch_execnz .LBB624_23
	s_branch .LBB624_24
.LBB624_49:                             ;   in Loop: Header=BB624_4 Depth=1
                                        ; implicit-def: $vgpr4
.LBB624_50:                             ;   in Loop: Header=BB624_4 Depth=1
	v_add_co_u32 v4, vcc_lo, v18, s34
	s_wait_alu 0xfffd
	v_add_co_ci_u32_e64 v5, null, s35, v19, vcc_lo
	flat_load_u16 v4, v[4:5]
	s_wait_loadcnt_dscnt 0x0
	v_lshlrev_b32_e32 v4, 16, v4
	s_delay_alu instid0(VALU_DEP_1) | instskip(NEXT) | instid1(VALU_DEP_1)
	v_mul_f32_e32 v4, s31, v4
	v_and_b32_e32 v5, 0x7f800000, v4
	s_delay_alu instid0(VALU_DEP_1)
	v_cmp_ne_u32_e32 vcc_lo, 0x7f800000, v5
                                        ; implicit-def: $vgpr5
	s_and_saveexec_b32 s31, vcc_lo
	s_wait_alu 0xfffe
	s_xor_b32 s31, exec_lo, s31
; %bb.51:                               ;   in Loop: Header=BB624_4 Depth=1
	v_bfe_u32 v5, v4, 16, 1
	s_delay_alu instid0(VALU_DEP_1)
	v_add3_u32 v5, v4, v5, 0x7fff
                                        ; implicit-def: $vgpr4
; %bb.52:                               ;   in Loop: Header=BB624_4 Depth=1
	s_wait_alu 0xfffe
	s_and_not1_saveexec_b32 s31, s31
; %bb.53:                               ;   in Loop: Header=BB624_4 Depth=1
	v_and_b32_e32 v5, 0xffff, v4
	v_or_b32_e32 v6, 0x10000, v4
	s_delay_alu instid0(VALU_DEP_2) | instskip(SKIP_1) | instid1(VALU_DEP_2)
	v_cmp_eq_u32_e32 vcc_lo, 0, v5
	s_wait_alu 0xfffd
	v_cndmask_b32_e32 v5, v6, v4, vcc_lo
; %bb.54:                               ;   in Loop: Header=BB624_4 Depth=1
	s_wait_alu 0xfffe
	s_or_b32 exec_lo, exec_lo, s31
	s_delay_alu instid0(VALU_DEP_1) | instskip(NEXT) | instid1(VALU_DEP_1)
	v_and_b32_e32 v4, 0xffff0000, v5
	v_add_f32_e32 v3, v3, v4
	s_delay_alu instid0(VALU_DEP_1) | instskip(NEXT) | instid1(VALU_DEP_1)
	v_and_b32_e32 v4, 0x7f800000, v3
	v_cmp_ne_u32_e32 vcc_lo, 0x7f800000, v4
                                        ; implicit-def: $vgpr4
	s_and_saveexec_b32 s31, vcc_lo
	s_wait_alu 0xfffe
	s_xor_b32 s31, exec_lo, s31
; %bb.55:                               ;   in Loop: Header=BB624_4 Depth=1
	v_bfe_u32 v4, v3, 16, 1
	s_delay_alu instid0(VALU_DEP_1)
	v_add3_u32 v4, v3, v4, 0x7fff
                                        ; implicit-def: $vgpr3
; %bb.56:                               ;   in Loop: Header=BB624_4 Depth=1
	s_wait_alu 0xfffe
	s_and_not1_saveexec_b32 s31, s31
; %bb.57:                               ;   in Loop: Header=BB624_4 Depth=1
	v_and_b32_e32 v4, 0xffff, v3
	v_or_b32_e32 v5, 0x10000, v3
	s_delay_alu instid0(VALU_DEP_2) | instskip(SKIP_1) | instid1(VALU_DEP_2)
	v_cmp_eq_u32_e32 vcc_lo, 0, v4
	s_wait_alu 0xfffd
	v_cndmask_b32_e32 v4, v5, v3, vcc_lo
; %bb.58:                               ;   in Loop: Header=BB624_4 Depth=1
	s_wait_alu 0xfffe
	s_or_b32 exec_lo, exec_lo, s31
.LBB624_59:                             ;   in Loop: Header=BB624_4 Depth=1
	s_delay_alu instid0(VALU_DEP_1)
	v_lshrrev_b32_e32 v7, 16, v4
	s_or_b32 s6, s6, exec_lo
.LBB624_60:                             ;   in Loop: Header=BB624_4 Depth=1
	s_wait_alu 0xfffe
	s_or_b32 exec_lo, exec_lo, s5
.LBB624_61:                             ;   in Loop: Header=BB624_4 Depth=1
	s_wait_alu 0xfffe
	s_and_saveexec_b32 s5, s6
	s_cbranch_execz .LBB624_2
; %bb.62:                               ;   in Loop: Header=BB624_4 Depth=1
	v_add_co_u32 v3, vcc_lo, v18, s34
	s_wait_alu 0xfffd
	v_add_co_ci_u32_e64 v4, null, s35, v19, vcc_lo
	flat_store_b16 v[3:4], v7
	s_branch .LBB624_2
.LBB624_63:
	s_endpgm
	.section	.rodata,"a",@progbits
	.p2align	6, 0x0
	.amdhsa_kernel _ZL32rocblas_gemvt_warp_reduce_kernelILb1ELi1024EiPK16rocblas_bfloat16PKfKPS0_EviiT3_lPKT2_lT1_lSA_lSB_lS7_lPT4_lSB_li
		.amdhsa_group_segment_fixed_size 128
		.amdhsa_private_segment_fixed_size 0
		.amdhsa_kernarg_size 140
		.amdhsa_user_sgpr_count 2
		.amdhsa_user_sgpr_dispatch_ptr 0
		.amdhsa_user_sgpr_queue_ptr 0
		.amdhsa_user_sgpr_kernarg_segment_ptr 1
		.amdhsa_user_sgpr_dispatch_id 0
		.amdhsa_user_sgpr_private_segment_size 0
		.amdhsa_wavefront_size32 1
		.amdhsa_uses_dynamic_stack 0
		.amdhsa_enable_private_segment 0
		.amdhsa_system_sgpr_workgroup_id_x 1
		.amdhsa_system_sgpr_workgroup_id_y 0
		.amdhsa_system_sgpr_workgroup_id_z 1
		.amdhsa_system_sgpr_workgroup_info 0
		.amdhsa_system_vgpr_workitem_id 0
		.amdhsa_next_free_vgpr 25
		.amdhsa_next_free_sgpr 44
		.amdhsa_reserve_vcc 1
		.amdhsa_float_round_mode_32 0
		.amdhsa_float_round_mode_16_64 0
		.amdhsa_float_denorm_mode_32 3
		.amdhsa_float_denorm_mode_16_64 3
		.amdhsa_fp16_overflow 0
		.amdhsa_workgroup_processor_mode 1
		.amdhsa_memory_ordered 1
		.amdhsa_forward_progress 1
		.amdhsa_inst_pref_size 19
		.amdhsa_round_robin_scheduling 0
		.amdhsa_exception_fp_ieee_invalid_op 0
		.amdhsa_exception_fp_denorm_src 0
		.amdhsa_exception_fp_ieee_div_zero 0
		.amdhsa_exception_fp_ieee_overflow 0
		.amdhsa_exception_fp_ieee_underflow 0
		.amdhsa_exception_fp_ieee_inexact 0
		.amdhsa_exception_int_div_zero 0
	.end_amdhsa_kernel
	.section	.text._ZL32rocblas_gemvt_warp_reduce_kernelILb1ELi1024EiPK16rocblas_bfloat16PKfKPS0_EviiT3_lPKT2_lT1_lSA_lSB_lS7_lPT4_lSB_li,"axG",@progbits,_ZL32rocblas_gemvt_warp_reduce_kernelILb1ELi1024EiPK16rocblas_bfloat16PKfKPS0_EviiT3_lPKT2_lT1_lSA_lSB_lS7_lPT4_lSB_li,comdat
.Lfunc_end624:
	.size	_ZL32rocblas_gemvt_warp_reduce_kernelILb1ELi1024EiPK16rocblas_bfloat16PKfKPS0_EviiT3_lPKT2_lT1_lSA_lSB_lS7_lPT4_lSB_li, .Lfunc_end624-_ZL32rocblas_gemvt_warp_reduce_kernelILb1ELi1024EiPK16rocblas_bfloat16PKfKPS0_EviiT3_lPKT2_lT1_lSA_lSB_lS7_lPT4_lSB_li
                                        ; -- End function
	.set _ZL32rocblas_gemvt_warp_reduce_kernelILb1ELi1024EiPK16rocblas_bfloat16PKfKPS0_EviiT3_lPKT2_lT1_lSA_lSB_lS7_lPT4_lSB_li.num_vgpr, 25
	.set _ZL32rocblas_gemvt_warp_reduce_kernelILb1ELi1024EiPK16rocblas_bfloat16PKfKPS0_EviiT3_lPKT2_lT1_lSA_lSB_lS7_lPT4_lSB_li.num_agpr, 0
	.set _ZL32rocblas_gemvt_warp_reduce_kernelILb1ELi1024EiPK16rocblas_bfloat16PKfKPS0_EviiT3_lPKT2_lT1_lSA_lSB_lS7_lPT4_lSB_li.numbered_sgpr, 44
	.set _ZL32rocblas_gemvt_warp_reduce_kernelILb1ELi1024EiPK16rocblas_bfloat16PKfKPS0_EviiT3_lPKT2_lT1_lSA_lSB_lS7_lPT4_lSB_li.num_named_barrier, 0
	.set _ZL32rocblas_gemvt_warp_reduce_kernelILb1ELi1024EiPK16rocblas_bfloat16PKfKPS0_EviiT3_lPKT2_lT1_lSA_lSB_lS7_lPT4_lSB_li.private_seg_size, 0
	.set _ZL32rocblas_gemvt_warp_reduce_kernelILb1ELi1024EiPK16rocblas_bfloat16PKfKPS0_EviiT3_lPKT2_lT1_lSA_lSB_lS7_lPT4_lSB_li.uses_vcc, 1
	.set _ZL32rocblas_gemvt_warp_reduce_kernelILb1ELi1024EiPK16rocblas_bfloat16PKfKPS0_EviiT3_lPKT2_lT1_lSA_lSB_lS7_lPT4_lSB_li.uses_flat_scratch, 0
	.set _ZL32rocblas_gemvt_warp_reduce_kernelILb1ELi1024EiPK16rocblas_bfloat16PKfKPS0_EviiT3_lPKT2_lT1_lSA_lSB_lS7_lPT4_lSB_li.has_dyn_sized_stack, 0
	.set _ZL32rocblas_gemvt_warp_reduce_kernelILb1ELi1024EiPK16rocblas_bfloat16PKfKPS0_EviiT3_lPKT2_lT1_lSA_lSB_lS7_lPT4_lSB_li.has_recursion, 0
	.set _ZL32rocblas_gemvt_warp_reduce_kernelILb1ELi1024EiPK16rocblas_bfloat16PKfKPS0_EviiT3_lPKT2_lT1_lSA_lSB_lS7_lPT4_lSB_li.has_indirect_call, 0
	.section	.AMDGPU.csdata,"",@progbits
; Kernel info:
; codeLenInByte = 2404
; TotalNumSgprs: 46
; NumVgprs: 25
; ScratchSize: 0
; MemoryBound: 0
; FloatMode: 240
; IeeeMode: 1
; LDSByteSize: 128 bytes/workgroup (compile time only)
; SGPRBlocks: 0
; VGPRBlocks: 3
; NumSGPRsForWavesPerEU: 46
; NumVGPRsForWavesPerEU: 25
; Occupancy: 16
; WaveLimiterHint : 1
; COMPUTE_PGM_RSRC2:SCRATCH_EN: 0
; COMPUTE_PGM_RSRC2:USER_SGPR: 2
; COMPUTE_PGM_RSRC2:TRAP_HANDLER: 0
; COMPUTE_PGM_RSRC2:TGID_X_EN: 1
; COMPUTE_PGM_RSRC2:TGID_Y_EN: 0
; COMPUTE_PGM_RSRC2:TGID_Z_EN: 1
; COMPUTE_PGM_RSRC2:TIDIG_COMP_CNT: 0
	.section	.text._ZL32rocblas_gemvt_warp_reduce_kernelILb1ELi1024ElPK16rocblas_bfloat16PKfKPS0_EviiT3_lPKT2_lT1_lSA_lSB_lS7_lPT4_lSB_li,"axG",@progbits,_ZL32rocblas_gemvt_warp_reduce_kernelILb1ELi1024ElPK16rocblas_bfloat16PKfKPS0_EviiT3_lPKT2_lT1_lSA_lSB_lS7_lPT4_lSB_li,comdat
	.globl	_ZL32rocblas_gemvt_warp_reduce_kernelILb1ELi1024ElPK16rocblas_bfloat16PKfKPS0_EviiT3_lPKT2_lT1_lSA_lSB_lS7_lPT4_lSB_li ; -- Begin function _ZL32rocblas_gemvt_warp_reduce_kernelILb1ELi1024ElPK16rocblas_bfloat16PKfKPS0_EviiT3_lPKT2_lT1_lSA_lSB_lS7_lPT4_lSB_li
	.p2align	8
	.type	_ZL32rocblas_gemvt_warp_reduce_kernelILb1ELi1024ElPK16rocblas_bfloat16PKfKPS0_EviiT3_lPKT2_lT1_lSA_lSB_lS7_lPT4_lSB_li,@function
_ZL32rocblas_gemvt_warp_reduce_kernelILb1ELi1024ElPK16rocblas_bfloat16PKfKPS0_EviiT3_lPKT2_lT1_lSA_lSB_lS7_lPT4_lSB_li: ; @_ZL32rocblas_gemvt_warp_reduce_kernelILb1ELi1024ElPK16rocblas_bfloat16PKfKPS0_EviiT3_lPKT2_lT1_lSA_lSB_lS7_lPT4_lSB_li
; %bb.0:
	s_load_b32 s7, s[0:1], 0x88
	s_lshr_b32 s28, ttmp7, 16
	s_wait_kmcnt 0x0
	s_cmp_ge_u32 s28, s7
	s_cbranch_scc1 .LBB625_63
; %bb.1:
	s_clause 0x6
	s_load_b32 s6, s[0:1], 0x0
	s_load_b64 s[36:37], s[0:1], 0x48
	s_load_b256 s[8:15], s[0:1], 0x8
	s_load_b64 s[34:35], s[0:1], 0x78
	s_load_b64 s[38:39], s[0:1], 0x28
	s_load_b128 s[24:27], s[0:1], 0x38
	s_load_b256 s[16:23], s[0:1], 0x58
	v_and_b32_e32 v3, 31, v0
	v_lshrrev_b32_e32 v4, 3, v0
	v_mov_b32_e32 v13, 0
	v_mbcnt_lo_u32_b32 v14, -1, 0
	s_mov_b32 s4, ttmp9
	s_ashr_i32 s5, ttmp9, 31
	v_and_b32_e32 v16, 0x7c, v4
	v_cmp_eq_u32_e64 s0, 0, v0
	v_cmp_gt_u32_e64 s1, 32, v0
	v_lshl_or_b32 v18, v14, 2, 64
	s_mov_b32 s29, 0
	s_wait_kmcnt 0x0
	s_ashr_i32 s2, s6, 31
	v_mad_co_u64_u32 v[1:2], null, s36, v0, 0
	s_lshr_b32 s3, s2, 22
	v_cmp_eq_u32_e64 s2, 0, v3
	s_add_co_i32 s3, s6, s3
	v_cmp_gt_i32_e32 vcc_lo, s6, v0
	s_and_b32 s30, s3, 0xfffffc00
	v_lshlrev_b32_e32 v15, 2, v3
	v_or_b32_e32 v5, s30, v0
	v_mad_co_u64_u32 v[2:3], null, s37, v0, v[2:3]
	s_ashr_i32 s31, s30, 31
	v_cndmask_b32_e32 v6, 0, v0, vcc_lo
	v_mul_lo_u32 v7, s37, v5
	v_mad_co_u64_u32 v[3:4], null, s36, v5, 0
	s_wait_alu 0xfffe
	s_mul_i32 s3, s36, s31
	v_lshlrev_b64_e32 v[1:2], 1, v[1:2]
	s_mul_u64 s[40:41], s[34:35], s[4:5]
	s_mul_u64 s[38:39], s[38:39], s[4:5]
	v_cmp_gt_i32_e64 s4, s6, v5
	v_lshlrev_b32_e32 v17, 1, v6
	v_add3_u32 v4, v4, s3, v7
	v_cmp_gt_i32_e64 s3, s30, v0
	s_lshl_b64 s[34:35], s[36:37], 11
	s_lshl_b64 s[14:15], s[14:15], 1
	s_lshl_b64 s[26:27], s[26:27], 1
	v_lshlrev_b64_e32 v[3:4], 1, v[3:4]
	s_lshl_b64 s[22:23], s[22:23], 1
	s_lshl_b64 s[36:37], s[40:41], 1
	;; [unrolled: 1-line block ×4, first 2 shown]
	s_branch .LBB625_4
.LBB625_2:                              ;   in Loop: Header=BB625_4 Depth=1
	s_wait_alu 0xfffe
	s_or_b32 exec_lo, exec_lo, s5
.LBB625_3:                              ;   in Loop: Header=BB625_4 Depth=1
	s_add_co_i32 s28, s28, 0x10000
	s_delay_alu instid0(SALU_CYCLE_1)
	s_cmp_lt_u32 s28, s7
	s_cbranch_scc0 .LBB625_63
.LBB625_4:                              ; =>This Loop Header: Depth=1
                                        ;     Child Loop BB625_31 Depth 2
	s_mul_u64 s[42:43], s[10:11], s[28:29]
	s_mul_u64 s[44:45], s[18:19], s[28:29]
	s_lshl_b64 s[42:43], s[42:43], 2
	s_lshl_b64 s[44:45], s[44:45], 2
	s_add_nc_u64 s[42:43], s[8:9], s[42:43]
	s_add_nc_u64 s[44:45], s[16:17], s[44:45]
	s_clause 0x1
	global_load_b32 v21, v13, s[42:43]
	global_load_b32 v5, v13, s[44:45]
	s_wait_loadcnt 0x1
	v_cmp_eq_f32_e64 s5, 0, v21
	s_wait_loadcnt 0x0
	v_cmp_eq_f32_e32 vcc_lo, 1.0, v5
	v_readfirstlane_b32 s31, v5
	s_and_b32 s6, s5, vcc_lo
	s_wait_alu 0xfffe
	s_and_b32 vcc_lo, exec_lo, s6
	s_wait_alu 0xfffe
	s_cbranch_vccnz .LBB625_3
; %bb.5:                                ;   in Loop: Header=BB625_4 Depth=1
	v_mov_b32_e32 v5, 0
	v_dual_mov_b32 v6, 0 :: v_dual_mov_b32 v7, 0
	v_cmp_neq_f32_e64 s6, 0, v21
	v_mov_b32_e32 v8, 0
	s_and_b32 vcc_lo, exec_lo, s5
	s_wait_alu 0xfffe
	s_cbranch_vccnz .LBB625_7
; %bb.6:                                ;   in Loop: Header=BB625_4 Depth=1
	s_lshl_b64 s[42:43], s[28:29], 3
	s_delay_alu instid0(SALU_CYCLE_1)
	s_add_nc_u64 s[42:43], s[12:13], s[42:43]
	global_load_b64 v[7:8], v13, s[42:43]
	s_wait_loadcnt 0x0
	v_add_co_u32 v7, vcc_lo, v7, s14
	s_wait_alu 0xfffd
	v_add_co_ci_u32_e64 v8, null, s15, v8, vcc_lo
.LBB625_7:                              ;   in Loop: Header=BB625_4 Depth=1
	s_and_not1_b32 vcc_lo, exec_lo, s6
	s_wait_alu 0xfffe
	s_cbranch_vccnz .LBB625_9
; %bb.8:                                ;   in Loop: Header=BB625_4 Depth=1
	s_lshl_b64 s[42:43], s[28:29], 3
	s_delay_alu instid0(SALU_CYCLE_1)
	s_add_nc_u64 s[42:43], s[24:25], s[42:43]
	global_load_b64 v[5:6], v13, s[42:43]
	s_wait_loadcnt 0x0
	v_add_co_u32 v5, vcc_lo, v5, s26
	s_wait_alu 0xfffd
	v_add_co_ci_u32_e64 v6, null, s27, v6, vcc_lo
.LBB625_9:                              ;   in Loop: Header=BB625_4 Depth=1
	s_lshl_b64 s[42:43], s[28:29], 3
	s_delay_alu instid0(SALU_CYCLE_1)
	s_add_nc_u64 s[42:43], s[20:21], s[42:43]
	s_wait_dscnt 0x0
	global_load_b64 v[9:10], v13, s[42:43]
	s_wait_loadcnt 0x0
	v_add_co_u32 v19, vcc_lo, v9, s22
	s_wait_alu 0xfffd
	v_add_co_ci_u32_e64 v20, null, s23, v10, vcc_lo
	s_and_not1_b32 vcc_lo, exec_lo, s5
	s_wait_alu 0xfffe
	s_cbranch_vccnz .LBB625_17
; %bb.10:                               ;   in Loop: Header=BB625_4 Depth=1
	s_mov_b32 s5, 0
	s_mov_b32 s6, 0
                                        ; implicit-def: $vgpr9
	s_and_saveexec_b32 s33, s0
	s_cbranch_execz .LBB625_18
; %bb.11:                               ;   in Loop: Header=BB625_4 Depth=1
	s_cmp_eq_f32 s31, 0
	s_cbranch_scc1 .LBB625_19
; %bb.12:                               ;   in Loop: Header=BB625_4 Depth=1
	v_add_co_u32 v9, vcc_lo, v19, s36
	s_wait_alu 0xfffd
	v_add_co_ci_u32_e64 v10, null, s37, v20, vcc_lo
	flat_load_u16 v9, v[9:10]
	s_wait_loadcnt_dscnt 0x0
	v_lshlrev_b32_e32 v9, 16, v9
	s_delay_alu instid0(VALU_DEP_1) | instskip(NEXT) | instid1(VALU_DEP_1)
	v_mul_f32_e32 v9, s31, v9
	v_and_b32_e32 v10, 0x7f800000, v9
	s_delay_alu instid0(VALU_DEP_1)
	v_cmp_ne_u32_e32 vcc_lo, 0x7f800000, v10
                                        ; implicit-def: $vgpr10
	s_and_saveexec_b32 s6, vcc_lo
	s_wait_alu 0xfffe
	s_xor_b32 s6, exec_lo, s6
; %bb.13:                               ;   in Loop: Header=BB625_4 Depth=1
	v_bfe_u32 v10, v9, 16, 1
	s_delay_alu instid0(VALU_DEP_1)
	v_add3_u32 v10, v9, v10, 0x7fff
                                        ; implicit-def: $vgpr9
; %bb.14:                               ;   in Loop: Header=BB625_4 Depth=1
	s_wait_alu 0xfffe
	s_and_not1_saveexec_b32 s6, s6
; %bb.15:                               ;   in Loop: Header=BB625_4 Depth=1
	v_and_b32_e32 v10, 0xffff, v9
	v_or_b32_e32 v11, 0x10000, v9
	s_delay_alu instid0(VALU_DEP_2) | instskip(SKIP_1) | instid1(VALU_DEP_2)
	v_cmp_eq_u32_e32 vcc_lo, 0, v10
	s_wait_alu 0xfffd
	v_cndmask_b32_e32 v10, v11, v9, vcc_lo
; %bb.16:                               ;   in Loop: Header=BB625_4 Depth=1
	s_wait_alu 0xfffe
	s_or_b32 exec_lo, exec_lo, s6
	s_delay_alu instid0(VALU_DEP_1) | instskip(SKIP_2) | instid1(SALU_CYCLE_1)
	v_lshrrev_b32_e32 v9, 16, v10
	s_mov_b32 s6, exec_lo
	s_or_b32 exec_lo, exec_lo, s33
	s_and_b32 vcc_lo, exec_lo, s5
	s_wait_alu 0xfffe
	s_cbranch_vccnz .LBB625_20
	s_branch .LBB625_61
.LBB625_17:                             ;   in Loop: Header=BB625_4 Depth=1
	s_mov_b32 s6, 0
                                        ; implicit-def: $vgpr9
	s_cbranch_execnz .LBB625_20
	s_branch .LBB625_61
.LBB625_18:                             ;   in Loop: Header=BB625_4 Depth=1
	s_or_b32 exec_lo, exec_lo, s33
	s_wait_alu 0xfffe
	s_and_b32 vcc_lo, exec_lo, s5
	s_wait_alu 0xfffe
	s_cbranch_vccnz .LBB625_20
	s_branch .LBB625_61
.LBB625_19:                             ;   in Loop: Header=BB625_4 Depth=1
	v_mov_b32_e32 v9, 0
	s_mov_b32 s6, exec_lo
	s_or_b32 exec_lo, exec_lo, s33
	s_wait_alu 0xfffe
	s_and_b32 vcc_lo, exec_lo, s5
	s_wait_alu 0xfffe
	s_cbranch_vccz .LBB625_61
.LBB625_20:                             ;   in Loop: Header=BB625_4 Depth=1
	v_add_co_u32 v7, vcc_lo, v7, v17
	s_wait_alu 0xfffd
	v_add_co_ci_u32_e64 v8, null, 0, v8, vcc_lo
	v_mov_b32_e32 v22, 0
	s_delay_alu instid0(VALU_DEP_3) | instskip(SKIP_1) | instid1(VALU_DEP_3)
	v_add_co_u32 v7, vcc_lo, v7, s38
	s_wait_alu 0xfffd
	v_add_co_ci_u32_e64 v8, null, s39, v8, vcc_lo
	s_and_saveexec_b32 s33, s3
	s_cbranch_execnz .LBB625_29
; %bb.21:                               ;   in Loop: Header=BB625_4 Depth=1
	s_or_b32 exec_lo, exec_lo, s33
	s_and_saveexec_b32 s5, s4
	s_cbranch_execnz .LBB625_44
.LBB625_22:                             ;   in Loop: Header=BB625_4 Depth=1
	s_wait_alu 0xfffe
	s_or_b32 exec_lo, exec_lo, s5
	s_and_saveexec_b32 s5, s1
.LBB625_23:                             ;   in Loop: Header=BB625_4 Depth=1
	ds_store_b32 v15, v13
.LBB625_24:                             ;   in Loop: Header=BB625_4 Depth=1
	s_wait_alu 0xfffe
	s_or_b32 exec_lo, exec_lo, s5
	ds_bpermute_b32 v6, v18, v22
	v_cmp_gt_u32_e32 vcc_lo, 24, v14
	s_wait_dscnt 0x0
	s_barrier_signal -1
	s_barrier_wait -1
	global_inv scope:SCOPE_SE
	s_wait_alu 0xfffd
	v_cndmask_b32_e64 v5, 0, 8, vcc_lo
	v_cmp_gt_u32_e32 vcc_lo, 28, v14
	s_delay_alu instid0(VALU_DEP_2)
	v_add_lshl_u32 v5, v5, v14, 2
	v_add_f32_e32 v7, v22, v6
	s_wait_alu 0xfffd
	v_cndmask_b32_e64 v6, 0, 4, vcc_lo
	v_cmp_gt_u32_e32 vcc_lo, 30, v14
	ds_bpermute_b32 v8, v5, v7
	v_add_lshl_u32 v6, v6, v14, 2
	s_wait_dscnt 0x0
	v_add_f32_e32 v8, v7, v8
	s_wait_alu 0xfffd
	v_cndmask_b32_e64 v7, 0, 2, vcc_lo
	v_cmp_ne_u32_e32 vcc_lo, 31, v14
	ds_bpermute_b32 v9, v6, v8
	v_add_lshl_u32 v7, v7, v14, 2
	s_wait_alu 0xfffd
	v_add_co_ci_u32_e64 v10, null, 0, v14, vcc_lo
	s_wait_dscnt 0x0
	v_add_f32_e32 v8, v8, v9
	ds_bpermute_b32 v9, v7, v8
	s_wait_dscnt 0x0
	v_dual_add_f32 v9, v8, v9 :: v_dual_lshlrev_b32 v8, 2, v10
	ds_bpermute_b32 v10, v8, v9
	s_and_saveexec_b32 s5, s2
	s_cbranch_execz .LBB625_26
; %bb.25:                               ;   in Loop: Header=BB625_4 Depth=1
	s_wait_dscnt 0x0
	v_add_f32_e32 v9, v9, v10
	ds_store_b32 v16, v9
.LBB625_26:                             ;   in Loop: Header=BB625_4 Depth=1
	s_wait_alu 0xfffe
	s_or_b32 exec_lo, exec_lo, s5
	s_wait_dscnt 0x0
	v_mov_b32_e32 v10, 0
	s_wait_loadcnt 0x0
	s_barrier_signal -1
	s_barrier_wait -1
	global_inv scope:SCOPE_SE
	s_and_saveexec_b32 s5, s1
	s_cbranch_execnz .LBB625_35
; %bb.27:                               ;   in Loop: Header=BB625_4 Depth=1
	s_wait_alu 0xfffe
	s_or_b32 exec_lo, exec_lo, s5
	s_and_saveexec_b32 s5, s1
	s_cbranch_execnz .LBB625_36
.LBB625_28:                             ;   in Loop: Header=BB625_4 Depth=1
	s_wait_alu 0xfffe
	s_or_b32 exec_lo, exec_lo, s5
                                        ; implicit-def: $vgpr9
	s_and_saveexec_b32 s5, s0
	s_cbranch_execnz .LBB625_37
	s_branch .LBB625_60
.LBB625_29:                             ;   in Loop: Header=BB625_4 Depth=1
	v_add_co_u32 v9, vcc_lo, v5, v1
	v_dual_mov_b32 v12, v8 :: v_dual_mov_b32 v23, v0
	s_wait_alu 0xfffd
	v_add_co_ci_u32_e64 v10, null, v6, v2, vcc_lo
	v_dual_mov_b32 v22, 0 :: v_dual_mov_b32 v11, v7
	s_mov_b32 s42, 0
	s_branch .LBB625_31
.LBB625_30:                             ;   in Loop: Header=BB625_31 Depth=2
	s_wait_alu 0xfffe
	s_or_b32 exec_lo, exec_lo, s5
	s_delay_alu instid0(VALU_DEP_1)
	v_and_b32_e32 v24, 0xffff0000, v25
	v_add_nc_u32_e32 v23, 0x400, v23
	v_add_co_u32 v11, vcc_lo, 0x800, v11
	s_wait_alu 0xfffd
	v_add_co_ci_u32_e64 v12, null, 0, v12, vcc_lo
	v_add_f32_e32 v22, v22, v24
	v_cmp_le_i32_e32 vcc_lo, s30, v23
	v_add_co_u32 v9, s5, v9, s34
	s_wait_alu 0xf1ff
	v_add_co_ci_u32_e64 v10, null, s35, v10, s5
	s_or_b32 s42, vcc_lo, s42
	s_delay_alu instid0(SALU_CYCLE_1)
	s_and_not1_b32 exec_lo, exec_lo, s42
	s_cbranch_execz .LBB625_43
.LBB625_31:                             ;   Parent Loop BB625_4 Depth=1
                                        ; =>  This Inner Loop Header: Depth=2
	flat_load_u16 v24, v[9:10]
	flat_load_u16 v25, v[11:12]
	s_wait_loadcnt_dscnt 0x101
	v_lshlrev_b32_e32 v24, 16, v24
	s_wait_loadcnt_dscnt 0x0
	v_lshlrev_b32_e32 v25, 16, v25
	s_delay_alu instid0(VALU_DEP_1) | instskip(NEXT) | instid1(VALU_DEP_1)
	v_mul_f32_e32 v24, v25, v24
	v_and_b32_e32 v25, 0x7f800000, v24
	s_delay_alu instid0(VALU_DEP_1)
	v_cmp_ne_u32_e32 vcc_lo, 0x7f800000, v25
                                        ; implicit-def: $vgpr25
	s_and_saveexec_b32 s5, vcc_lo
	s_wait_alu 0xfffe
	s_xor_b32 s5, exec_lo, s5
; %bb.32:                               ;   in Loop: Header=BB625_31 Depth=2
	v_bfe_u32 v25, v24, 16, 1
	s_delay_alu instid0(VALU_DEP_1)
	v_add3_u32 v25, v24, v25, 0x7fff
                                        ; implicit-def: $vgpr24
; %bb.33:                               ;   in Loop: Header=BB625_31 Depth=2
	s_wait_alu 0xfffe
	s_and_not1_saveexec_b32 s5, s5
	s_cbranch_execz .LBB625_30
; %bb.34:                               ;   in Loop: Header=BB625_31 Depth=2
	v_and_b32_e32 v25, 0xffff, v24
	v_or_b32_e32 v26, 0x10000, v24
	s_delay_alu instid0(VALU_DEP_2) | instskip(SKIP_1) | instid1(VALU_DEP_2)
	v_cmp_eq_u32_e32 vcc_lo, 0, v25
	s_wait_alu 0xfffd
	v_cndmask_b32_e32 v25, v26, v24, vcc_lo
	s_branch .LBB625_30
.LBB625_35:                             ;   in Loop: Header=BB625_4 Depth=1
	ds_load_b32 v10, v15
	s_wait_alu 0xfffe
	s_or_b32 exec_lo, exec_lo, s5
	s_and_saveexec_b32 s5, s1
	s_cbranch_execz .LBB625_28
.LBB625_36:                             ;   in Loop: Header=BB625_4 Depth=1
	s_wait_dscnt 0x0
	ds_bpermute_b32 v9, v18, v10
	s_wait_dscnt 0x0
	v_add_f32_e32 v9, v10, v9
	ds_bpermute_b32 v5, v5, v9
	s_wait_dscnt 0x0
	v_add_f32_e32 v5, v9, v5
	;; [unrolled: 3-line block ×5, first 2 shown]
	s_wait_alu 0xfffe
	s_or_b32 exec_lo, exec_lo, s5
                                        ; implicit-def: $vgpr9
	s_and_saveexec_b32 s5, s0
	s_cbranch_execz .LBB625_60
.LBB625_37:                             ;   in Loop: Header=BB625_4 Depth=1
	s_wait_dscnt 0x0
	v_mul_f32_e32 v5, v21, v10
	s_cmp_eq_f32 s31, 0
	s_cbranch_scc0 .LBB625_49
; %bb.38:                               ;   in Loop: Header=BB625_4 Depth=1
	s_delay_alu instid0(VALU_DEP_1) | instskip(NEXT) | instid1(VALU_DEP_1)
	v_and_b32_e32 v6, 0x7f800000, v5
	v_cmp_ne_u32_e32 vcc_lo, 0x7f800000, v6
                                        ; implicit-def: $vgpr6
	s_and_saveexec_b32 s33, vcc_lo
	s_delay_alu instid0(SALU_CYCLE_1)
	s_xor_b32 s33, exec_lo, s33
; %bb.39:                               ;   in Loop: Header=BB625_4 Depth=1
	v_bfe_u32 v6, v5, 16, 1
	s_delay_alu instid0(VALU_DEP_1)
	v_add3_u32 v6, v5, v6, 0x7fff
; %bb.40:                               ;   in Loop: Header=BB625_4 Depth=1
	s_and_not1_saveexec_b32 s33, s33
; %bb.41:                               ;   in Loop: Header=BB625_4 Depth=1
	v_and_b32_e32 v6, 0xffff, v5
	v_or_b32_e32 v7, 0x10000, v5
	s_delay_alu instid0(VALU_DEP_2) | instskip(SKIP_1) | instid1(VALU_DEP_2)
	v_cmp_eq_u32_e32 vcc_lo, 0, v6
	s_wait_alu 0xfffd
	v_cndmask_b32_e32 v6, v7, v5, vcc_lo
; %bb.42:                               ;   in Loop: Header=BB625_4 Depth=1
	s_or_b32 exec_lo, exec_lo, s33
	s_cbranch_execz .LBB625_50
	s_branch .LBB625_59
.LBB625_43:                             ;   in Loop: Header=BB625_4 Depth=1
	s_or_b32 exec_lo, exec_lo, s42
	s_delay_alu instid0(SALU_CYCLE_1)
	s_or_b32 exec_lo, exec_lo, s33
	s_and_saveexec_b32 s5, s4
	s_cbranch_execz .LBB625_22
.LBB625_44:                             ;   in Loop: Header=BB625_4 Depth=1
	v_add_co_u32 v5, vcc_lo, v5, v3
	s_wait_alu 0xfffd
	v_add_co_ci_u32_e64 v6, null, v6, v4, vcc_lo
	v_add_co_u32 v7, vcc_lo, v7, s40
	s_wait_alu 0xfffd
	v_add_co_ci_u32_e64 v8, null, s41, v8, vcc_lo
	flat_load_u16 v5, v[5:6]
	flat_load_u16 v6, v[7:8]
	s_wait_loadcnt_dscnt 0x101
	v_lshlrev_b32_e32 v5, 16, v5
	s_wait_loadcnt_dscnt 0x0
	v_lshlrev_b32_e32 v6, 16, v6
	s_delay_alu instid0(VALU_DEP_1) | instskip(NEXT) | instid1(VALU_DEP_1)
	v_mul_f32_e32 v5, v6, v5
	v_and_b32_e32 v6, 0x7f800000, v5
	s_delay_alu instid0(VALU_DEP_1) | instskip(SKIP_1) | instid1(SALU_CYCLE_1)
	v_cmp_ne_u32_e32 vcc_lo, 0x7f800000, v6
                                        ; implicit-def: $vgpr6
	s_and_saveexec_b32 s33, vcc_lo
	s_xor_b32 s33, exec_lo, s33
; %bb.45:                               ;   in Loop: Header=BB625_4 Depth=1
	v_bfe_u32 v6, v5, 16, 1
	s_delay_alu instid0(VALU_DEP_1)
	v_add3_u32 v6, v5, v6, 0x7fff
                                        ; implicit-def: $vgpr5
; %bb.46:                               ;   in Loop: Header=BB625_4 Depth=1
	s_and_not1_saveexec_b32 s33, s33
; %bb.47:                               ;   in Loop: Header=BB625_4 Depth=1
	v_and_b32_e32 v6, 0xffff, v5
	v_or_b32_e32 v7, 0x10000, v5
	s_delay_alu instid0(VALU_DEP_2) | instskip(SKIP_1) | instid1(VALU_DEP_2)
	v_cmp_eq_u32_e32 vcc_lo, 0, v6
	s_wait_alu 0xfffd
	v_cndmask_b32_e32 v6, v7, v5, vcc_lo
; %bb.48:                               ;   in Loop: Header=BB625_4 Depth=1
	s_or_b32 exec_lo, exec_lo, s33
	s_delay_alu instid0(VALU_DEP_1) | instskip(NEXT) | instid1(VALU_DEP_1)
	v_and_b32_e32 v5, 0xffff0000, v6
	v_add_f32_e32 v22, v22, v5
	s_wait_alu 0xfffe
	s_or_b32 exec_lo, exec_lo, s5
	s_and_saveexec_b32 s5, s1
	s_cbranch_execnz .LBB625_23
	s_branch .LBB625_24
.LBB625_49:                             ;   in Loop: Header=BB625_4 Depth=1
                                        ; implicit-def: $vgpr6
.LBB625_50:                             ;   in Loop: Header=BB625_4 Depth=1
	v_add_co_u32 v6, vcc_lo, v19, s36
	s_wait_alu 0xfffd
	v_add_co_ci_u32_e64 v7, null, s37, v20, vcc_lo
	flat_load_u16 v6, v[6:7]
	s_wait_loadcnt_dscnt 0x0
	v_lshlrev_b32_e32 v6, 16, v6
	s_delay_alu instid0(VALU_DEP_1) | instskip(NEXT) | instid1(VALU_DEP_1)
	v_mul_f32_e32 v6, s31, v6
	v_and_b32_e32 v7, 0x7f800000, v6
	s_delay_alu instid0(VALU_DEP_1)
	v_cmp_ne_u32_e32 vcc_lo, 0x7f800000, v7
                                        ; implicit-def: $vgpr7
	s_and_saveexec_b32 s31, vcc_lo
	s_wait_alu 0xfffe
	s_xor_b32 s31, exec_lo, s31
; %bb.51:                               ;   in Loop: Header=BB625_4 Depth=1
	v_bfe_u32 v7, v6, 16, 1
	s_delay_alu instid0(VALU_DEP_1)
	v_add3_u32 v7, v6, v7, 0x7fff
                                        ; implicit-def: $vgpr6
; %bb.52:                               ;   in Loop: Header=BB625_4 Depth=1
	s_wait_alu 0xfffe
	s_and_not1_saveexec_b32 s31, s31
; %bb.53:                               ;   in Loop: Header=BB625_4 Depth=1
	v_and_b32_e32 v7, 0xffff, v6
	v_or_b32_e32 v8, 0x10000, v6
	s_delay_alu instid0(VALU_DEP_2) | instskip(SKIP_1) | instid1(VALU_DEP_2)
	v_cmp_eq_u32_e32 vcc_lo, 0, v7
	s_wait_alu 0xfffd
	v_cndmask_b32_e32 v7, v8, v6, vcc_lo
; %bb.54:                               ;   in Loop: Header=BB625_4 Depth=1
	s_wait_alu 0xfffe
	s_or_b32 exec_lo, exec_lo, s31
	s_delay_alu instid0(VALU_DEP_1) | instskip(NEXT) | instid1(VALU_DEP_1)
	v_and_b32_e32 v6, 0xffff0000, v7
	v_add_f32_e32 v5, v5, v6
	s_delay_alu instid0(VALU_DEP_1) | instskip(NEXT) | instid1(VALU_DEP_1)
	v_and_b32_e32 v6, 0x7f800000, v5
	v_cmp_ne_u32_e32 vcc_lo, 0x7f800000, v6
                                        ; implicit-def: $vgpr6
	s_and_saveexec_b32 s31, vcc_lo
	s_wait_alu 0xfffe
	s_xor_b32 s31, exec_lo, s31
; %bb.55:                               ;   in Loop: Header=BB625_4 Depth=1
	v_bfe_u32 v6, v5, 16, 1
	s_delay_alu instid0(VALU_DEP_1)
	v_add3_u32 v6, v5, v6, 0x7fff
                                        ; implicit-def: $vgpr5
; %bb.56:                               ;   in Loop: Header=BB625_4 Depth=1
	s_wait_alu 0xfffe
	s_and_not1_saveexec_b32 s31, s31
; %bb.57:                               ;   in Loop: Header=BB625_4 Depth=1
	v_and_b32_e32 v6, 0xffff, v5
	v_or_b32_e32 v7, 0x10000, v5
	s_delay_alu instid0(VALU_DEP_2) | instskip(SKIP_1) | instid1(VALU_DEP_2)
	v_cmp_eq_u32_e32 vcc_lo, 0, v6
	s_wait_alu 0xfffd
	v_cndmask_b32_e32 v6, v7, v5, vcc_lo
; %bb.58:                               ;   in Loop: Header=BB625_4 Depth=1
	s_wait_alu 0xfffe
	s_or_b32 exec_lo, exec_lo, s31
.LBB625_59:                             ;   in Loop: Header=BB625_4 Depth=1
	s_delay_alu instid0(VALU_DEP_1)
	v_lshrrev_b32_e32 v9, 16, v6
	s_wait_alu 0xfffe
	s_or_b32 s6, s6, exec_lo
.LBB625_60:                             ;   in Loop: Header=BB625_4 Depth=1
	s_wait_alu 0xfffe
	s_or_b32 exec_lo, exec_lo, s5
.LBB625_61:                             ;   in Loop: Header=BB625_4 Depth=1
	s_wait_alu 0xfffe
	s_and_saveexec_b32 s5, s6
	s_cbranch_execz .LBB625_2
; %bb.62:                               ;   in Loop: Header=BB625_4 Depth=1
	v_add_co_u32 v5, vcc_lo, v19, s36
	s_wait_alu 0xfffd
	v_add_co_ci_u32_e64 v6, null, s37, v20, vcc_lo
	flat_store_b16 v[5:6], v9
	s_branch .LBB625_2
.LBB625_63:
	s_endpgm
	.section	.rodata,"a",@progbits
	.p2align	6, 0x0
	.amdhsa_kernel _ZL32rocblas_gemvt_warp_reduce_kernelILb1ELi1024ElPK16rocblas_bfloat16PKfKPS0_EviiT3_lPKT2_lT1_lSA_lSB_lS7_lPT4_lSB_li
		.amdhsa_group_segment_fixed_size 128
		.amdhsa_private_segment_fixed_size 0
		.amdhsa_kernarg_size 140
		.amdhsa_user_sgpr_count 2
		.amdhsa_user_sgpr_dispatch_ptr 0
		.amdhsa_user_sgpr_queue_ptr 0
		.amdhsa_user_sgpr_kernarg_segment_ptr 1
		.amdhsa_user_sgpr_dispatch_id 0
		.amdhsa_user_sgpr_private_segment_size 0
		.amdhsa_wavefront_size32 1
		.amdhsa_uses_dynamic_stack 0
		.amdhsa_enable_private_segment 0
		.amdhsa_system_sgpr_workgroup_id_x 1
		.amdhsa_system_sgpr_workgroup_id_y 0
		.amdhsa_system_sgpr_workgroup_id_z 1
		.amdhsa_system_sgpr_workgroup_info 0
		.amdhsa_system_vgpr_workitem_id 0
		.amdhsa_next_free_vgpr 27
		.amdhsa_next_free_sgpr 46
		.amdhsa_reserve_vcc 1
		.amdhsa_float_round_mode_32 0
		.amdhsa_float_round_mode_16_64 0
		.amdhsa_float_denorm_mode_32 3
		.amdhsa_float_denorm_mode_16_64 3
		.amdhsa_fp16_overflow 0
		.amdhsa_workgroup_processor_mode 1
		.amdhsa_memory_ordered 1
		.amdhsa_forward_progress 1
		.amdhsa_inst_pref_size 19
		.amdhsa_round_robin_scheduling 0
		.amdhsa_exception_fp_ieee_invalid_op 0
		.amdhsa_exception_fp_denorm_src 0
		.amdhsa_exception_fp_ieee_div_zero 0
		.amdhsa_exception_fp_ieee_overflow 0
		.amdhsa_exception_fp_ieee_underflow 0
		.amdhsa_exception_fp_ieee_inexact 0
		.amdhsa_exception_int_div_zero 0
	.end_amdhsa_kernel
	.section	.text._ZL32rocblas_gemvt_warp_reduce_kernelILb1ELi1024ElPK16rocblas_bfloat16PKfKPS0_EviiT3_lPKT2_lT1_lSA_lSB_lS7_lPT4_lSB_li,"axG",@progbits,_ZL32rocblas_gemvt_warp_reduce_kernelILb1ELi1024ElPK16rocblas_bfloat16PKfKPS0_EviiT3_lPKT2_lT1_lSA_lSB_lS7_lPT4_lSB_li,comdat
.Lfunc_end625:
	.size	_ZL32rocblas_gemvt_warp_reduce_kernelILb1ELi1024ElPK16rocblas_bfloat16PKfKPS0_EviiT3_lPKT2_lT1_lSA_lSB_lS7_lPT4_lSB_li, .Lfunc_end625-_ZL32rocblas_gemvt_warp_reduce_kernelILb1ELi1024ElPK16rocblas_bfloat16PKfKPS0_EviiT3_lPKT2_lT1_lSA_lSB_lS7_lPT4_lSB_li
                                        ; -- End function
	.set _ZL32rocblas_gemvt_warp_reduce_kernelILb1ELi1024ElPK16rocblas_bfloat16PKfKPS0_EviiT3_lPKT2_lT1_lSA_lSB_lS7_lPT4_lSB_li.num_vgpr, 27
	.set _ZL32rocblas_gemvt_warp_reduce_kernelILb1ELi1024ElPK16rocblas_bfloat16PKfKPS0_EviiT3_lPKT2_lT1_lSA_lSB_lS7_lPT4_lSB_li.num_agpr, 0
	.set _ZL32rocblas_gemvt_warp_reduce_kernelILb1ELi1024ElPK16rocblas_bfloat16PKfKPS0_EviiT3_lPKT2_lT1_lSA_lSB_lS7_lPT4_lSB_li.numbered_sgpr, 46
	.set _ZL32rocblas_gemvt_warp_reduce_kernelILb1ELi1024ElPK16rocblas_bfloat16PKfKPS0_EviiT3_lPKT2_lT1_lSA_lSB_lS7_lPT4_lSB_li.num_named_barrier, 0
	.set _ZL32rocblas_gemvt_warp_reduce_kernelILb1ELi1024ElPK16rocblas_bfloat16PKfKPS0_EviiT3_lPKT2_lT1_lSA_lSB_lS7_lPT4_lSB_li.private_seg_size, 0
	.set _ZL32rocblas_gemvt_warp_reduce_kernelILb1ELi1024ElPK16rocblas_bfloat16PKfKPS0_EviiT3_lPKT2_lT1_lSA_lSB_lS7_lPT4_lSB_li.uses_vcc, 1
	.set _ZL32rocblas_gemvt_warp_reduce_kernelILb1ELi1024ElPK16rocblas_bfloat16PKfKPS0_EviiT3_lPKT2_lT1_lSA_lSB_lS7_lPT4_lSB_li.uses_flat_scratch, 0
	.set _ZL32rocblas_gemvt_warp_reduce_kernelILb1ELi1024ElPK16rocblas_bfloat16PKfKPS0_EviiT3_lPKT2_lT1_lSA_lSB_lS7_lPT4_lSB_li.has_dyn_sized_stack, 0
	.set _ZL32rocblas_gemvt_warp_reduce_kernelILb1ELi1024ElPK16rocblas_bfloat16PKfKPS0_EviiT3_lPKT2_lT1_lSA_lSB_lS7_lPT4_lSB_li.has_recursion, 0
	.set _ZL32rocblas_gemvt_warp_reduce_kernelILb1ELi1024ElPK16rocblas_bfloat16PKfKPS0_EviiT3_lPKT2_lT1_lSA_lSB_lS7_lPT4_lSB_li.has_indirect_call, 0
	.section	.AMDGPU.csdata,"",@progbits
; Kernel info:
; codeLenInByte = 2432
; TotalNumSgprs: 48
; NumVgprs: 27
; ScratchSize: 0
; MemoryBound: 0
; FloatMode: 240
; IeeeMode: 1
; LDSByteSize: 128 bytes/workgroup (compile time only)
; SGPRBlocks: 0
; VGPRBlocks: 3
; NumSGPRsForWavesPerEU: 48
; NumVGPRsForWavesPerEU: 27
; Occupancy: 16
; WaveLimiterHint : 1
; COMPUTE_PGM_RSRC2:SCRATCH_EN: 0
; COMPUTE_PGM_RSRC2:USER_SGPR: 2
; COMPUTE_PGM_RSRC2:TRAP_HANDLER: 0
; COMPUTE_PGM_RSRC2:TGID_X_EN: 1
; COMPUTE_PGM_RSRC2:TGID_Y_EN: 0
; COMPUTE_PGM_RSRC2:TGID_Z_EN: 1
; COMPUTE_PGM_RSRC2:TIDIG_COMP_CNT: 0
	.section	.text._ZL32rocblas_gemvt_warp_reduce_kernelILb1ELi1024EiPK16rocblas_bfloat16fKPS0_EviiT3_lPKT2_lT1_lS8_lS9_lS5_lPT4_lS9_li,"axG",@progbits,_ZL32rocblas_gemvt_warp_reduce_kernelILb1ELi1024EiPK16rocblas_bfloat16fKPS0_EviiT3_lPKT2_lT1_lS8_lS9_lS5_lPT4_lS9_li,comdat
	.globl	_ZL32rocblas_gemvt_warp_reduce_kernelILb1ELi1024EiPK16rocblas_bfloat16fKPS0_EviiT3_lPKT2_lT1_lS8_lS9_lS5_lPT4_lS9_li ; -- Begin function _ZL32rocblas_gemvt_warp_reduce_kernelILb1ELi1024EiPK16rocblas_bfloat16fKPS0_EviiT3_lPKT2_lT1_lS8_lS9_lS5_lPT4_lS9_li
	.p2align	8
	.type	_ZL32rocblas_gemvt_warp_reduce_kernelILb1ELi1024EiPK16rocblas_bfloat16fKPS0_EviiT3_lPKT2_lT1_lS8_lS9_lS5_lPT4_lS9_li,@function
_ZL32rocblas_gemvt_warp_reduce_kernelILb1ELi1024EiPK16rocblas_bfloat16fKPS0_EviiT3_lPKT2_lT1_lS8_lS9_lS5_lPT4_lS9_li: ; @_ZL32rocblas_gemvt_warp_reduce_kernelILb1ELi1024EiPK16rocblas_bfloat16fKPS0_EviiT3_lPKT2_lT1_lS8_lS9_lS5_lPT4_lS9_li
; %bb.0:
	s_load_b32 s28, s[0:1], 0x88
	s_lshr_b32 s6, ttmp7, 16
	s_wait_kmcnt 0x0
	s_cmp_ge_u32 s6, s28
	s_cbranch_scc1 .LBB626_66
; %bb.1:
	s_clause 0x8
	s_load_b32 s29, s[0:1], 0x8
	s_load_b32 s30, s[0:1], 0x58
	s_load_b128 s[8:11], s[0:1], 0x18
	s_load_b32 s3, s[0:1], 0x28
	s_load_b32 s4, s[0:1], 0x0
	s_load_b128 s[12:15], s[0:1], 0x38
	s_load_b32 s5, s[0:1], 0x48
	s_load_b128 s[16:19], s[0:1], 0x68
	s_load_b32 s20, s[0:1], 0x78
	v_lshrrev_b32_e32 v2, 3, v0
	v_dual_mov_b32 v12, 0 :: v_dual_and_b32 v1, 31, v0
	v_mbcnt_lo_u32_b32 v16, -1, 0
	v_cmp_gt_u32_e64 s1, 32, v0
	s_mov_b32 s7, 0
	v_lshlrev_b32_e32 v13, 2, v1
	v_lshl_or_b32 v18, v16, 2, 64
	s_wait_kmcnt 0x0
	s_cmp_eq_f32 s29, 0
	v_cmp_gt_i32_e32 vcc_lo, s4, v0
	v_and_b32_e32 v14, 0x7c, v2
	s_cselect_b32 s31, -1, 0
	s_cmp_neq_f32 s30, 1.0
	s_mul_i32 s22, s20, ttmp9
	v_cndmask_b32_e32 v3, 0, v0, vcc_lo
	v_mul_lo_u32 v15, v0, s5
	s_cselect_b32 s2, -1, 0
	s_cmp_neq_f32 s29, 0
	s_mul_i32 s24, s3, ttmp9
	v_lshlrev_b32_e32 v17, 1, v3
	s_cselect_b32 s0, -1, 0
	s_delay_alu instid0(SALU_CYCLE_1)
	s_or_b32 s33, s0, s2
	s_cmp_neq_f32 s30, 0
	v_cmp_eq_u32_e64 s2, 0, v1
	v_cndmask_b32_e64 v11, 0, 1, s0
	v_cmp_eq_u32_e64 s0, 0, v0
	s_cselect_b32 s34, -1, 0
	s_cmp_eq_f32 s30, 0
	s_cselect_b32 s35, -1, 0
	s_ashr_i32 s21, s4, 31
	s_ashr_i32 s23, s22, 31
	s_lshr_b32 s21, s21, 22
	s_ashr_i32 s25, s24, 31
	s_add_co_i32 s21, s4, s21
	s_lshl_b32 s36, s5, 10
	s_and_b32 s20, s21, 0xfffffc00
	s_lshl_b64 s[10:11], s[10:11], 1
	v_or_b32_e32 v2, s20, v0
	v_cmp_gt_i32_e64 s3, s20, v0
	s_ashr_i32 s21, s20, 31
	s_lshl_b64 s[14:15], s[14:15], 1
	s_lshl_b64 s[18:19], s[18:19], 1
	v_mul_lo_u32 v1, s5, v2
	v_cmp_gt_i32_e64 s4, s4, v2
	s_lshl_b64 s[22:23], s[22:23], 1
	s_lshl_b64 s[24:25], s[24:25], 1
	s_wait_alu 0xfffe
	s_lshl_b64 s[26:27], s[20:21], 1
	v_ashrrev_i32_e32 v2, 31, v1
	s_delay_alu instid0(VALU_DEP_1)
	v_lshlrev_b64_e32 v[1:2], 1, v[1:2]
	s_branch .LBB626_4
.LBB626_2:                              ;   in Loop: Header=BB626_4 Depth=1
	s_wait_alu 0xfffe
	s_or_b32 exec_lo, exec_lo, s5
.LBB626_3:                              ;   in Loop: Header=BB626_4 Depth=1
	s_add_co_i32 s6, s6, 0x10000
	s_delay_alu instid0(SALU_CYCLE_1)
	s_cmp_lt_u32 s6, s28
	s_cbranch_scc0 .LBB626_66
.LBB626_4:                              ; =>This Loop Header: Depth=1
                                        ;     Child Loop BB626_34 Depth 2
	s_and_not1_b32 vcc_lo, exec_lo, s33
	s_wait_alu 0xfffe
	s_cbranch_vccnz .LBB626_3
; %bb.5:                                ;   in Loop: Header=BB626_4 Depth=1
	s_and_not1_b32 vcc_lo, exec_lo, s31
	s_wait_alu 0xfffe
	s_cbranch_vccnz .LBB626_7
; %bb.6:                                ;   in Loop: Header=BB626_4 Depth=1
	s_mov_b32 s5, 0
	s_branch .LBB626_8
.LBB626_7:                              ;   in Loop: Header=BB626_4 Depth=1
	s_mov_b32 s5, -1
.LBB626_8:                              ;   in Loop: Header=BB626_4 Depth=1
	v_mov_b32_e32 v3, 0
	v_dual_mov_b32 v4, 0 :: v_dual_mov_b32 v5, 0
	v_mov_b32_e32 v6, 0
	s_wait_alu 0xfffe
	s_and_not1_b32 vcc_lo, exec_lo, s5
	s_wait_alu 0xfffe
	s_cbranch_vccnz .LBB626_10
; %bb.9:                                ;   in Loop: Header=BB626_4 Depth=1
	s_lshl_b64 s[38:39], s[6:7], 3
	s_delay_alu instid0(SALU_CYCLE_1)
	s_add_nc_u64 s[38:39], s[8:9], s[38:39]
	global_load_b64 v[5:6], v12, s[38:39]
	s_wait_loadcnt 0x0
	v_add_co_u32 v5, vcc_lo, v5, s10
	s_wait_alu 0xfffd
	v_add_co_ci_u32_e64 v6, null, s11, v6, vcc_lo
.LBB626_10:                             ;   in Loop: Header=BB626_4 Depth=1
	v_cmp_ne_u32_e32 vcc_lo, 1, v11
	s_cbranch_vccnz .LBB626_12
; %bb.11:                               ;   in Loop: Header=BB626_4 Depth=1
	s_lshl_b64 s[38:39], s[6:7], 3
	s_delay_alu instid0(SALU_CYCLE_1)
	s_add_nc_u64 s[38:39], s[12:13], s[38:39]
	global_load_b64 v[3:4], v12, s[38:39]
	s_wait_loadcnt 0x0
	v_add_co_u32 v3, vcc_lo, v3, s14
	s_wait_alu 0xfffd
	v_add_co_ci_u32_e64 v4, null, s15, v4, vcc_lo
.LBB626_12:                             ;   in Loop: Header=BB626_4 Depth=1
	s_lshl_b64 s[38:39], s[6:7], 3
	s_delay_alu instid0(SALU_CYCLE_1)
	s_add_nc_u64 s[38:39], s[16:17], s[38:39]
	s_wait_dscnt 0x0
	global_load_b64 v[7:8], v12, s[38:39]
	s_wait_loadcnt 0x0
	v_add_co_u32 v19, vcc_lo, v7, s18
	s_wait_alu 0xfffd
	v_add_co_ci_u32_e64 v20, null, s19, v8, vcc_lo
	s_and_not1_b32 vcc_lo, exec_lo, s31
	s_wait_alu 0xfffe
	s_cbranch_vccnz .LBB626_20
; %bb.13:                               ;   in Loop: Header=BB626_4 Depth=1
	s_mov_b32 s5, 0
	s_mov_b32 s21, 0
                                        ; implicit-def: $vgpr7
	s_and_saveexec_b32 s37, s0
	s_cbranch_execz .LBB626_21
; %bb.14:                               ;   in Loop: Header=BB626_4 Depth=1
	s_and_not1_b32 vcc_lo, exec_lo, s34
	s_wait_alu 0xfffe
	s_cbranch_vccnz .LBB626_22
; %bb.15:                               ;   in Loop: Header=BB626_4 Depth=1
	v_add_co_u32 v7, vcc_lo, v19, s22
	s_wait_alu 0xfffd
	v_add_co_ci_u32_e64 v8, null, s23, v20, vcc_lo
	flat_load_u16 v7, v[7:8]
	s_wait_loadcnt_dscnt 0x0
	v_lshlrev_b32_e32 v7, 16, v7
	s_delay_alu instid0(VALU_DEP_1) | instskip(NEXT) | instid1(VALU_DEP_1)
	v_mul_f32_e32 v7, s30, v7
	v_and_b32_e32 v8, 0x7f800000, v7
	s_delay_alu instid0(VALU_DEP_1)
	v_cmp_ne_u32_e32 vcc_lo, 0x7f800000, v8
                                        ; implicit-def: $vgpr8
	s_and_saveexec_b32 s21, vcc_lo
	s_wait_alu 0xfffe
	s_xor_b32 s21, exec_lo, s21
; %bb.16:                               ;   in Loop: Header=BB626_4 Depth=1
	v_bfe_u32 v8, v7, 16, 1
	s_delay_alu instid0(VALU_DEP_1)
	v_add3_u32 v8, v7, v8, 0x7fff
                                        ; implicit-def: $vgpr7
; %bb.17:                               ;   in Loop: Header=BB626_4 Depth=1
	s_wait_alu 0xfffe
	s_and_not1_saveexec_b32 s21, s21
; %bb.18:                               ;   in Loop: Header=BB626_4 Depth=1
	v_and_b32_e32 v8, 0xffff, v7
	v_or_b32_e32 v9, 0x10000, v7
	s_delay_alu instid0(VALU_DEP_2) | instskip(SKIP_1) | instid1(VALU_DEP_2)
	v_cmp_eq_u32_e32 vcc_lo, 0, v8
	s_wait_alu 0xfffd
	v_cndmask_b32_e32 v8, v9, v7, vcc_lo
; %bb.19:                               ;   in Loop: Header=BB626_4 Depth=1
	s_wait_alu 0xfffe
	s_or_b32 exec_lo, exec_lo, s21
	s_delay_alu instid0(VALU_DEP_1) | instskip(SKIP_2) | instid1(SALU_CYCLE_1)
	v_lshrrev_b32_e32 v7, 16, v8
	s_mov_b32 s21, exec_lo
	s_or_b32 exec_lo, exec_lo, s37
	s_and_b32 vcc_lo, exec_lo, s5
	s_wait_alu 0xfffe
	s_cbranch_vccnz .LBB626_23
	s_branch .LBB626_58
.LBB626_20:                             ;   in Loop: Header=BB626_4 Depth=1
	s_mov_b32 s21, 0
                                        ; implicit-def: $vgpr7
	s_cbranch_execnz .LBB626_23
	s_branch .LBB626_58
.LBB626_21:                             ;   in Loop: Header=BB626_4 Depth=1
	s_wait_alu 0xfffe
	s_or_b32 exec_lo, exec_lo, s37
	s_delay_alu instid0(SALU_CYCLE_1)
	s_and_b32 vcc_lo, exec_lo, s5
	s_wait_alu 0xfffe
	s_cbranch_vccnz .LBB626_23
	s_branch .LBB626_58
.LBB626_22:                             ;   in Loop: Header=BB626_4 Depth=1
	v_mov_b32_e32 v7, 0
	s_mov_b32 s21, exec_lo
	s_or_b32 exec_lo, exec_lo, s37
	s_delay_alu instid0(SALU_CYCLE_1)
	s_and_b32 vcc_lo, exec_lo, s5
	s_wait_alu 0xfffe
	s_cbranch_vccz .LBB626_58
.LBB626_23:                             ;   in Loop: Header=BB626_4 Depth=1
	v_add_co_u32 v5, vcc_lo, v5, v17
	s_wait_alu 0xfffd
	v_add_co_ci_u32_e64 v6, null, 0, v6, vcc_lo
	v_mov_b32_e32 v21, 0
	s_delay_alu instid0(VALU_DEP_3) | instskip(SKIP_1) | instid1(VALU_DEP_3)
	v_add_co_u32 v5, vcc_lo, v5, s24
	s_wait_alu 0xfffd
	v_add_co_ci_u32_e64 v6, null, s25, v6, vcc_lo
	s_and_saveexec_b32 s37, s3
	s_cbranch_execnz .LBB626_32
; %bb.24:                               ;   in Loop: Header=BB626_4 Depth=1
	s_wait_alu 0xfffe
	s_or_b32 exec_lo, exec_lo, s37
	s_and_saveexec_b32 s5, s4
	s_cbranch_execnz .LBB626_61
.LBB626_25:                             ;   in Loop: Header=BB626_4 Depth=1
	s_wait_alu 0xfffe
	s_or_b32 exec_lo, exec_lo, s5
	s_and_saveexec_b32 s5, s1
.LBB626_26:                             ;   in Loop: Header=BB626_4 Depth=1
	ds_store_b32 v13, v12
.LBB626_27:                             ;   in Loop: Header=BB626_4 Depth=1
	s_wait_alu 0xfffe
	s_or_b32 exec_lo, exec_lo, s5
	ds_bpermute_b32 v4, v18, v21
	v_cmp_gt_u32_e32 vcc_lo, 24, v16
	s_wait_dscnt 0x0
	s_barrier_signal -1
	s_barrier_wait -1
	global_inv scope:SCOPE_SE
	s_wait_alu 0xfffd
	v_cndmask_b32_e64 v3, 0, 8, vcc_lo
	v_cmp_gt_u32_e32 vcc_lo, 28, v16
	s_delay_alu instid0(VALU_DEP_2)
	v_add_lshl_u32 v3, v3, v16, 2
	v_add_f32_e32 v5, v21, v4
	s_wait_alu 0xfffd
	v_cndmask_b32_e64 v4, 0, 4, vcc_lo
	v_cmp_gt_u32_e32 vcc_lo, 30, v16
	ds_bpermute_b32 v6, v3, v5
	v_add_lshl_u32 v4, v4, v16, 2
	s_wait_dscnt 0x0
	v_add_f32_e32 v6, v5, v6
	s_wait_alu 0xfffd
	v_cndmask_b32_e64 v5, 0, 2, vcc_lo
	v_cmp_ne_u32_e32 vcc_lo, 31, v16
	ds_bpermute_b32 v7, v4, v6
	v_add_lshl_u32 v5, v5, v16, 2
	s_wait_alu 0xfffd
	v_add_co_ci_u32_e64 v8, null, 0, v16, vcc_lo
	s_wait_dscnt 0x0
	v_add_f32_e32 v6, v6, v7
	ds_bpermute_b32 v7, v5, v6
	s_wait_dscnt 0x0
	v_dual_add_f32 v7, v6, v7 :: v_dual_lshlrev_b32 v6, 2, v8
	ds_bpermute_b32 v8, v6, v7
	s_and_saveexec_b32 s5, s2
	s_cbranch_execz .LBB626_29
; %bb.28:                               ;   in Loop: Header=BB626_4 Depth=1
	s_wait_dscnt 0x0
	v_add_f32_e32 v7, v7, v8
	ds_store_b32 v14, v7
.LBB626_29:                             ;   in Loop: Header=BB626_4 Depth=1
	s_wait_alu 0xfffe
	s_or_b32 exec_lo, exec_lo, s5
	s_wait_dscnt 0x0
	v_mov_b32_e32 v8, 0
	s_wait_loadcnt 0x0
	s_barrier_signal -1
	s_barrier_wait -1
	global_inv scope:SCOPE_SE
	s_and_saveexec_b32 s5, s1
	s_cbranch_execnz .LBB626_38
; %bb.30:                               ;   in Loop: Header=BB626_4 Depth=1
	s_wait_alu 0xfffe
	s_or_b32 exec_lo, exec_lo, s5
	s_and_saveexec_b32 s5, s1
	s_cbranch_execnz .LBB626_39
.LBB626_31:                             ;   in Loop: Header=BB626_4 Depth=1
	s_wait_alu 0xfffe
	s_or_b32 exec_lo, exec_lo, s5
                                        ; implicit-def: $vgpr7
	s_and_saveexec_b32 s5, s0
	s_cbranch_execnz .LBB626_40
	s_branch .LBB626_57
.LBB626_32:                             ;   in Loop: Header=BB626_4 Depth=1
	v_dual_mov_b32 v21, 0 :: v_dual_mov_b32 v8, v6
	v_dual_mov_b32 v7, v5 :: v_dual_mov_b32 v22, v0
	v_mov_b32_e32 v9, v15
	s_mov_b32 s38, 0
	s_branch .LBB626_34
.LBB626_33:                             ;   in Loop: Header=BB626_34 Depth=2
	s_wait_alu 0xfffe
	s_or_b32 exec_lo, exec_lo, s5
	v_add_nc_u32_e32 v22, 0x400, v22
	v_and_b32_e32 v10, 0xffff0000, v23
	v_add_co_u32 v7, s5, 0x800, v7
	v_add_nc_u32_e32 v9, s36, v9
	s_delay_alu instid0(VALU_DEP_4) | instskip(NEXT) | instid1(VALU_DEP_4)
	v_cmp_le_i32_e32 vcc_lo, s20, v22
	v_add_f32_e32 v21, v21, v10
	s_wait_alu 0xf1ff
	v_add_co_ci_u32_e64 v8, null, 0, v8, s5
	s_or_b32 s38, vcc_lo, s38
	s_delay_alu instid0(SALU_CYCLE_1)
	s_and_not1_b32 exec_lo, exec_lo, s38
	s_cbranch_execz .LBB626_60
.LBB626_34:                             ;   Parent Loop BB626_4 Depth=1
                                        ; =>  This Inner Loop Header: Depth=2
	s_delay_alu instid0(VALU_DEP_1) | instskip(NEXT) | instid1(VALU_DEP_1)
	v_ashrrev_i32_e32 v10, 31, v9
	v_lshlrev_b64_e32 v[23:24], 1, v[9:10]
	s_delay_alu instid0(VALU_DEP_1) | instskip(SKIP_1) | instid1(VALU_DEP_2)
	v_add_co_u32 v23, vcc_lo, v3, v23
	s_wait_alu 0xfffd
	v_add_co_ci_u32_e64 v24, null, v4, v24, vcc_lo
	flat_load_u16 v10, v[7:8]
	flat_load_u16 v23, v[23:24]
	s_wait_loadcnt_dscnt 0x101
	v_lshlrev_b32_e32 v10, 16, v10
	s_wait_loadcnt_dscnt 0x0
	v_lshlrev_b32_e32 v23, 16, v23
	s_delay_alu instid0(VALU_DEP_1) | instskip(NEXT) | instid1(VALU_DEP_1)
	v_mul_f32_e32 v10, v10, v23
	v_and_b32_e32 v23, 0x7f800000, v10
	s_delay_alu instid0(VALU_DEP_1)
	v_cmp_ne_u32_e32 vcc_lo, 0x7f800000, v23
                                        ; implicit-def: $vgpr23
	s_and_saveexec_b32 s5, vcc_lo
	s_wait_alu 0xfffe
	s_xor_b32 s5, exec_lo, s5
; %bb.35:                               ;   in Loop: Header=BB626_34 Depth=2
	v_bfe_u32 v23, v10, 16, 1
	s_delay_alu instid0(VALU_DEP_1)
	v_add3_u32 v23, v10, v23, 0x7fff
                                        ; implicit-def: $vgpr10
; %bb.36:                               ;   in Loop: Header=BB626_34 Depth=2
	s_wait_alu 0xfffe
	s_and_not1_saveexec_b32 s5, s5
	s_cbranch_execz .LBB626_33
; %bb.37:                               ;   in Loop: Header=BB626_34 Depth=2
	v_and_b32_e32 v23, 0xffff, v10
	v_or_b32_e32 v24, 0x10000, v10
	s_delay_alu instid0(VALU_DEP_2) | instskip(SKIP_1) | instid1(VALU_DEP_2)
	v_cmp_eq_u32_e32 vcc_lo, 0, v23
	s_wait_alu 0xfffd
	v_cndmask_b32_e32 v23, v24, v10, vcc_lo
	s_branch .LBB626_33
.LBB626_38:                             ;   in Loop: Header=BB626_4 Depth=1
	ds_load_b32 v8, v13
	s_wait_alu 0xfffe
	s_or_b32 exec_lo, exec_lo, s5
	s_and_saveexec_b32 s5, s1
	s_cbranch_execz .LBB626_31
.LBB626_39:                             ;   in Loop: Header=BB626_4 Depth=1
	s_wait_dscnt 0x0
	ds_bpermute_b32 v7, v18, v8
	s_wait_dscnt 0x0
	v_add_f32_e32 v7, v8, v7
	ds_bpermute_b32 v3, v3, v7
	s_wait_dscnt 0x0
	v_add_f32_e32 v3, v7, v3
	;; [unrolled: 3-line block ×5, first 2 shown]
	s_wait_alu 0xfffe
	s_or_b32 exec_lo, exec_lo, s5
                                        ; implicit-def: $vgpr7
	s_and_saveexec_b32 s5, s0
	s_cbranch_execz .LBB626_57
.LBB626_40:                             ;   in Loop: Header=BB626_4 Depth=1
	s_wait_dscnt 0x0
	v_mul_f32_e32 v3, s29, v8
	s_and_b32 vcc_lo, exec_lo, s35
	s_mov_b32 s37, -1
                                        ; implicit-def: $vgpr4
	s_wait_alu 0xfffe
	s_cbranch_vccz .LBB626_46
; %bb.41:                               ;   in Loop: Header=BB626_4 Depth=1
	v_and_b32_e32 v4, 0x7f800000, v3
	s_delay_alu instid0(VALU_DEP_1)
	v_cmp_ne_u32_e32 vcc_lo, 0x7f800000, v4
                                        ; implicit-def: $vgpr4
	s_and_saveexec_b32 s37, vcc_lo
	s_wait_alu 0xfffe
	s_xor_b32 s37, exec_lo, s37
; %bb.42:                               ;   in Loop: Header=BB626_4 Depth=1
	v_bfe_u32 v4, v3, 16, 1
	s_delay_alu instid0(VALU_DEP_1)
	v_add3_u32 v4, v3, v4, 0x7fff
; %bb.43:                               ;   in Loop: Header=BB626_4 Depth=1
	s_wait_alu 0xfffe
	s_and_not1_saveexec_b32 s37, s37
; %bb.44:                               ;   in Loop: Header=BB626_4 Depth=1
	v_and_b32_e32 v4, 0xffff, v3
	v_or_b32_e32 v5, 0x10000, v3
	s_delay_alu instid0(VALU_DEP_2) | instskip(SKIP_1) | instid1(VALU_DEP_2)
	v_cmp_eq_u32_e32 vcc_lo, 0, v4
	s_wait_alu 0xfffd
	v_cndmask_b32_e32 v4, v5, v3, vcc_lo
; %bb.45:                               ;   in Loop: Header=BB626_4 Depth=1
	s_wait_alu 0xfffe
	s_or_b32 exec_lo, exec_lo, s37
	s_mov_b32 s37, 0
.LBB626_46:                             ;   in Loop: Header=BB626_4 Depth=1
	s_wait_alu 0xfffe
	s_and_not1_b32 vcc_lo, exec_lo, s37
	s_wait_alu 0xfffe
	s_cbranch_vccnz .LBB626_56
; %bb.47:                               ;   in Loop: Header=BB626_4 Depth=1
	v_add_co_u32 v4, vcc_lo, v19, s22
	s_wait_alu 0xfffd
	v_add_co_ci_u32_e64 v5, null, s23, v20, vcc_lo
	flat_load_u16 v4, v[4:5]
	s_wait_loadcnt_dscnt 0x0
	v_lshlrev_b32_e32 v4, 16, v4
	s_delay_alu instid0(VALU_DEP_1) | instskip(NEXT) | instid1(VALU_DEP_1)
	v_mul_f32_e32 v4, s30, v4
	v_and_b32_e32 v5, 0x7f800000, v4
	s_delay_alu instid0(VALU_DEP_1)
	v_cmp_ne_u32_e32 vcc_lo, 0x7f800000, v5
                                        ; implicit-def: $vgpr5
	s_and_saveexec_b32 s37, vcc_lo
	s_wait_alu 0xfffe
	s_xor_b32 s37, exec_lo, s37
; %bb.48:                               ;   in Loop: Header=BB626_4 Depth=1
	v_bfe_u32 v5, v4, 16, 1
	s_delay_alu instid0(VALU_DEP_1)
	v_add3_u32 v5, v4, v5, 0x7fff
                                        ; implicit-def: $vgpr4
; %bb.49:                               ;   in Loop: Header=BB626_4 Depth=1
	s_wait_alu 0xfffe
	s_and_not1_saveexec_b32 s37, s37
; %bb.50:                               ;   in Loop: Header=BB626_4 Depth=1
	v_and_b32_e32 v5, 0xffff, v4
	v_or_b32_e32 v6, 0x10000, v4
	s_delay_alu instid0(VALU_DEP_2) | instskip(SKIP_1) | instid1(VALU_DEP_2)
	v_cmp_eq_u32_e32 vcc_lo, 0, v5
	s_wait_alu 0xfffd
	v_cndmask_b32_e32 v5, v6, v4, vcc_lo
; %bb.51:                               ;   in Loop: Header=BB626_4 Depth=1
	s_wait_alu 0xfffe
	s_or_b32 exec_lo, exec_lo, s37
	s_delay_alu instid0(VALU_DEP_1) | instskip(NEXT) | instid1(VALU_DEP_1)
	v_and_b32_e32 v4, 0xffff0000, v5
	v_add_f32_e32 v3, v3, v4
	s_delay_alu instid0(VALU_DEP_1) | instskip(NEXT) | instid1(VALU_DEP_1)
	v_and_b32_e32 v4, 0x7f800000, v3
	v_cmp_ne_u32_e32 vcc_lo, 0x7f800000, v4
                                        ; implicit-def: $vgpr4
	s_and_saveexec_b32 s37, vcc_lo
	s_wait_alu 0xfffe
	s_xor_b32 s37, exec_lo, s37
; %bb.52:                               ;   in Loop: Header=BB626_4 Depth=1
	v_bfe_u32 v4, v3, 16, 1
	s_delay_alu instid0(VALU_DEP_1)
	v_add3_u32 v4, v3, v4, 0x7fff
                                        ; implicit-def: $vgpr3
; %bb.53:                               ;   in Loop: Header=BB626_4 Depth=1
	s_wait_alu 0xfffe
	s_and_not1_saveexec_b32 s37, s37
; %bb.54:                               ;   in Loop: Header=BB626_4 Depth=1
	v_and_b32_e32 v4, 0xffff, v3
	v_or_b32_e32 v5, 0x10000, v3
	s_delay_alu instid0(VALU_DEP_2) | instskip(SKIP_1) | instid1(VALU_DEP_2)
	v_cmp_eq_u32_e32 vcc_lo, 0, v4
	s_wait_alu 0xfffd
	v_cndmask_b32_e32 v4, v5, v3, vcc_lo
; %bb.55:                               ;   in Loop: Header=BB626_4 Depth=1
	s_wait_alu 0xfffe
	s_or_b32 exec_lo, exec_lo, s37
.LBB626_56:                             ;   in Loop: Header=BB626_4 Depth=1
	s_delay_alu instid0(VALU_DEP_1)
	v_lshrrev_b32_e32 v7, 16, v4
	s_or_b32 s21, s21, exec_lo
.LBB626_57:                             ;   in Loop: Header=BB626_4 Depth=1
	s_wait_alu 0xfffe
	s_or_b32 exec_lo, exec_lo, s5
.LBB626_58:                             ;   in Loop: Header=BB626_4 Depth=1
	s_wait_alu 0xfffe
	s_and_saveexec_b32 s5, s21
	s_cbranch_execz .LBB626_2
; %bb.59:                               ;   in Loop: Header=BB626_4 Depth=1
	v_add_co_u32 v3, vcc_lo, v19, s22
	s_wait_alu 0xfffd
	v_add_co_ci_u32_e64 v4, null, s23, v20, vcc_lo
	flat_store_b16 v[3:4], v7
	s_branch .LBB626_2
.LBB626_60:                             ;   in Loop: Header=BB626_4 Depth=1
	s_or_b32 exec_lo, exec_lo, s38
	s_delay_alu instid0(SALU_CYCLE_1)
	s_or_b32 exec_lo, exec_lo, s37
	s_and_saveexec_b32 s5, s4
	s_cbranch_execz .LBB626_25
.LBB626_61:                             ;   in Loop: Header=BB626_4 Depth=1
	v_add_co_u32 v3, vcc_lo, v3, v1
	s_wait_alu 0xfffd
	v_add_co_ci_u32_e64 v4, null, v4, v2, vcc_lo
	v_add_co_u32 v5, vcc_lo, v5, s26
	s_wait_alu 0xfffd
	v_add_co_ci_u32_e64 v6, null, s27, v6, vcc_lo
	flat_load_u16 v3, v[3:4]
	flat_load_u16 v4, v[5:6]
	s_wait_loadcnt_dscnt 0x101
	v_lshlrev_b32_e32 v3, 16, v3
	s_wait_loadcnt_dscnt 0x0
	v_lshlrev_b32_e32 v4, 16, v4
	s_delay_alu instid0(VALU_DEP_1) | instskip(NEXT) | instid1(VALU_DEP_1)
	v_mul_f32_e32 v3, v4, v3
	v_and_b32_e32 v4, 0x7f800000, v3
	s_delay_alu instid0(VALU_DEP_1)
	v_cmp_ne_u32_e32 vcc_lo, 0x7f800000, v4
                                        ; implicit-def: $vgpr4
	s_and_saveexec_b32 s37, vcc_lo
	s_wait_alu 0xfffe
	s_xor_b32 s37, exec_lo, s37
; %bb.62:                               ;   in Loop: Header=BB626_4 Depth=1
	v_bfe_u32 v4, v3, 16, 1
	s_delay_alu instid0(VALU_DEP_1)
	v_add3_u32 v4, v3, v4, 0x7fff
                                        ; implicit-def: $vgpr3
; %bb.63:                               ;   in Loop: Header=BB626_4 Depth=1
	s_wait_alu 0xfffe
	s_and_not1_saveexec_b32 s37, s37
; %bb.64:                               ;   in Loop: Header=BB626_4 Depth=1
	v_and_b32_e32 v4, 0xffff, v3
	v_or_b32_e32 v5, 0x10000, v3
	s_delay_alu instid0(VALU_DEP_2) | instskip(SKIP_1) | instid1(VALU_DEP_2)
	v_cmp_eq_u32_e32 vcc_lo, 0, v4
	s_wait_alu 0xfffd
	v_cndmask_b32_e32 v4, v5, v3, vcc_lo
; %bb.65:                               ;   in Loop: Header=BB626_4 Depth=1
	s_wait_alu 0xfffe
	s_or_b32 exec_lo, exec_lo, s37
	s_delay_alu instid0(VALU_DEP_1) | instskip(NEXT) | instid1(VALU_DEP_1)
	v_and_b32_e32 v3, 0xffff0000, v4
	v_add_f32_e32 v21, v21, v3
	s_or_b32 exec_lo, exec_lo, s5
	s_and_saveexec_b32 s5, s1
	s_cbranch_execnz .LBB626_26
	s_branch .LBB626_27
.LBB626_66:
	s_endpgm
	.section	.rodata,"a",@progbits
	.p2align	6, 0x0
	.amdhsa_kernel _ZL32rocblas_gemvt_warp_reduce_kernelILb1ELi1024EiPK16rocblas_bfloat16fKPS0_EviiT3_lPKT2_lT1_lS8_lS9_lS5_lPT4_lS9_li
		.amdhsa_group_segment_fixed_size 128
		.amdhsa_private_segment_fixed_size 0
		.amdhsa_kernarg_size 140
		.amdhsa_user_sgpr_count 2
		.amdhsa_user_sgpr_dispatch_ptr 0
		.amdhsa_user_sgpr_queue_ptr 0
		.amdhsa_user_sgpr_kernarg_segment_ptr 1
		.amdhsa_user_sgpr_dispatch_id 0
		.amdhsa_user_sgpr_private_segment_size 0
		.amdhsa_wavefront_size32 1
		.amdhsa_uses_dynamic_stack 0
		.amdhsa_enable_private_segment 0
		.amdhsa_system_sgpr_workgroup_id_x 1
		.amdhsa_system_sgpr_workgroup_id_y 0
		.amdhsa_system_sgpr_workgroup_id_z 1
		.amdhsa_system_sgpr_workgroup_info 0
		.amdhsa_system_vgpr_workitem_id 0
		.amdhsa_next_free_vgpr 25
		.amdhsa_next_free_sgpr 40
		.amdhsa_reserve_vcc 1
		.amdhsa_float_round_mode_32 0
		.amdhsa_float_round_mode_16_64 0
		.amdhsa_float_denorm_mode_32 3
		.amdhsa_float_denorm_mode_16_64 3
		.amdhsa_fp16_overflow 0
		.amdhsa_workgroup_processor_mode 1
		.amdhsa_memory_ordered 1
		.amdhsa_forward_progress 1
		.amdhsa_inst_pref_size 20
		.amdhsa_round_robin_scheduling 0
		.amdhsa_exception_fp_ieee_invalid_op 0
		.amdhsa_exception_fp_denorm_src 0
		.amdhsa_exception_fp_ieee_div_zero 0
		.amdhsa_exception_fp_ieee_overflow 0
		.amdhsa_exception_fp_ieee_underflow 0
		.amdhsa_exception_fp_ieee_inexact 0
		.amdhsa_exception_int_div_zero 0
	.end_amdhsa_kernel
	.section	.text._ZL32rocblas_gemvt_warp_reduce_kernelILb1ELi1024EiPK16rocblas_bfloat16fKPS0_EviiT3_lPKT2_lT1_lS8_lS9_lS5_lPT4_lS9_li,"axG",@progbits,_ZL32rocblas_gemvt_warp_reduce_kernelILb1ELi1024EiPK16rocblas_bfloat16fKPS0_EviiT3_lPKT2_lT1_lS8_lS9_lS5_lPT4_lS9_li,comdat
.Lfunc_end626:
	.size	_ZL32rocblas_gemvt_warp_reduce_kernelILb1ELi1024EiPK16rocblas_bfloat16fKPS0_EviiT3_lPKT2_lT1_lS8_lS9_lS5_lPT4_lS9_li, .Lfunc_end626-_ZL32rocblas_gemvt_warp_reduce_kernelILb1ELi1024EiPK16rocblas_bfloat16fKPS0_EviiT3_lPKT2_lT1_lS8_lS9_lS5_lPT4_lS9_li
                                        ; -- End function
	.set _ZL32rocblas_gemvt_warp_reduce_kernelILb1ELi1024EiPK16rocblas_bfloat16fKPS0_EviiT3_lPKT2_lT1_lS8_lS9_lS5_lPT4_lS9_li.num_vgpr, 25
	.set _ZL32rocblas_gemvt_warp_reduce_kernelILb1ELi1024EiPK16rocblas_bfloat16fKPS0_EviiT3_lPKT2_lT1_lS8_lS9_lS5_lPT4_lS9_li.num_agpr, 0
	.set _ZL32rocblas_gemvt_warp_reduce_kernelILb1ELi1024EiPK16rocblas_bfloat16fKPS0_EviiT3_lPKT2_lT1_lS8_lS9_lS5_lPT4_lS9_li.numbered_sgpr, 40
	.set _ZL32rocblas_gemvt_warp_reduce_kernelILb1ELi1024EiPK16rocblas_bfloat16fKPS0_EviiT3_lPKT2_lT1_lS8_lS9_lS5_lPT4_lS9_li.num_named_barrier, 0
	.set _ZL32rocblas_gemvt_warp_reduce_kernelILb1ELi1024EiPK16rocblas_bfloat16fKPS0_EviiT3_lPKT2_lT1_lS8_lS9_lS5_lPT4_lS9_li.private_seg_size, 0
	.set _ZL32rocblas_gemvt_warp_reduce_kernelILb1ELi1024EiPK16rocblas_bfloat16fKPS0_EviiT3_lPKT2_lT1_lS8_lS9_lS5_lPT4_lS9_li.uses_vcc, 1
	.set _ZL32rocblas_gemvt_warp_reduce_kernelILb1ELi1024EiPK16rocblas_bfloat16fKPS0_EviiT3_lPKT2_lT1_lS8_lS9_lS5_lPT4_lS9_li.uses_flat_scratch, 0
	.set _ZL32rocblas_gemvt_warp_reduce_kernelILb1ELi1024EiPK16rocblas_bfloat16fKPS0_EviiT3_lPKT2_lT1_lS8_lS9_lS5_lPT4_lS9_li.has_dyn_sized_stack, 0
	.set _ZL32rocblas_gemvt_warp_reduce_kernelILb1ELi1024EiPK16rocblas_bfloat16fKPS0_EviiT3_lPKT2_lT1_lS8_lS9_lS5_lPT4_lS9_li.has_recursion, 0
	.set _ZL32rocblas_gemvt_warp_reduce_kernelILb1ELi1024EiPK16rocblas_bfloat16fKPS0_EviiT3_lPKT2_lT1_lS8_lS9_lS5_lPT4_lS9_li.has_indirect_call, 0
	.section	.AMDGPU.csdata,"",@progbits
; Kernel info:
; codeLenInByte = 2460
; TotalNumSgprs: 42
; NumVgprs: 25
; ScratchSize: 0
; MemoryBound: 0
; FloatMode: 240
; IeeeMode: 1
; LDSByteSize: 128 bytes/workgroup (compile time only)
; SGPRBlocks: 0
; VGPRBlocks: 3
; NumSGPRsForWavesPerEU: 42
; NumVGPRsForWavesPerEU: 25
; Occupancy: 16
; WaveLimiterHint : 1
; COMPUTE_PGM_RSRC2:SCRATCH_EN: 0
; COMPUTE_PGM_RSRC2:USER_SGPR: 2
; COMPUTE_PGM_RSRC2:TRAP_HANDLER: 0
; COMPUTE_PGM_RSRC2:TGID_X_EN: 1
; COMPUTE_PGM_RSRC2:TGID_Y_EN: 0
; COMPUTE_PGM_RSRC2:TGID_Z_EN: 1
; COMPUTE_PGM_RSRC2:TIDIG_COMP_CNT: 0
	.section	.text._ZL32rocblas_gemvt_warp_reduce_kernelILb1ELi1024ElPK16rocblas_bfloat16fKPS0_EviiT3_lPKT2_lT1_lS8_lS9_lS5_lPT4_lS9_li,"axG",@progbits,_ZL32rocblas_gemvt_warp_reduce_kernelILb1ELi1024ElPK16rocblas_bfloat16fKPS0_EviiT3_lPKT2_lT1_lS8_lS9_lS5_lPT4_lS9_li,comdat
	.globl	_ZL32rocblas_gemvt_warp_reduce_kernelILb1ELi1024ElPK16rocblas_bfloat16fKPS0_EviiT3_lPKT2_lT1_lS8_lS9_lS5_lPT4_lS9_li ; -- Begin function _ZL32rocblas_gemvt_warp_reduce_kernelILb1ELi1024ElPK16rocblas_bfloat16fKPS0_EviiT3_lPKT2_lT1_lS8_lS9_lS5_lPT4_lS9_li
	.p2align	8
	.type	_ZL32rocblas_gemvt_warp_reduce_kernelILb1ELi1024ElPK16rocblas_bfloat16fKPS0_EviiT3_lPKT2_lT1_lS8_lS9_lS5_lPT4_lS9_li,@function
_ZL32rocblas_gemvt_warp_reduce_kernelILb1ELi1024ElPK16rocblas_bfloat16fKPS0_EviiT3_lPKT2_lT1_lS8_lS9_lS5_lPT4_lS9_li: ; @_ZL32rocblas_gemvt_warp_reduce_kernelILb1ELi1024ElPK16rocblas_bfloat16fKPS0_EviiT3_lPKT2_lT1_lS8_lS9_lS5_lPT4_lS9_li
; %bb.0:
	s_load_b32 s30, s[0:1], 0x88
	s_lshr_b32 s6, ttmp7, 16
	s_wait_kmcnt 0x0
	s_cmp_ge_u32 s6, s30
	s_cbranch_scc1 .LBB627_66
; %bb.1:
	s_clause 0x8
	s_load_b32 s31, s[0:1], 0x8
	s_load_b32 s33, s[0:1], 0x58
	s_load_b64 s[24:25], s[0:1], 0x48
	s_load_b32 s38, s[0:1], 0x0
	s_load_b128 s[8:11], s[0:1], 0x18
	s_load_b64 s[26:27], s[0:1], 0x28
	s_load_b128 s[12:15], s[0:1], 0x38
	s_load_b64 s[28:29], s[0:1], 0x78
	s_load_b128 s[16:19], s[0:1], 0x68
	v_and_b32_e32 v3, 31, v0
	v_lshrrev_b32_e32 v4, 3, v0
	v_mov_b32_e32 v13, 0
	s_mov_b32 s4, ttmp9
	v_mbcnt_lo_u32_b32 v17, -1, 0
	v_lshlrev_b32_e32 v15, 2, v3
	v_and_b32_e32 v16, 0x7c, v4
	v_cmp_eq_u32_e64 s0, 0, v0
	s_mov_b32 s7, 0
	v_lshl_or_b32 v19, v17, 2, 64
	s_wait_kmcnt 0x0
	s_cmp_eq_f32 s31, 0
	v_mad_co_u64_u32 v[1:2], null, s24, v0, 0
	s_cselect_b32 s34, -1, 0
	s_cmp_neq_f32 s33, 1.0
	v_cmp_gt_i32_e32 vcc_lo, s38, v0
	s_cselect_b32 s1, -1, 0
	s_cmp_neq_f32 s31, 0
	v_cndmask_b32_e32 v5, 0, v0, vcc_lo
	s_cselect_b32 s2, -1, 0
	s_delay_alu instid0(SALU_CYCLE_1)
	s_or_b32 s35, s2, s1
	s_cmp_neq_f32 s33, 0
	v_cndmask_b32_e64 v14, 0, 1, s2
	v_cmp_eq_u32_e64 s2, 0, v3
	v_mad_co_u64_u32 v[2:3], null, s25, v0, v[2:3]
	s_cselect_b32 s36, -1, 0
	s_cmp_eq_f32 s33, 0
	v_cmp_gt_u32_e64 s1, 32, v0
	v_lshlrev_b32_e32 v18, 1, v5
	s_cselect_b32 s37, -1, 0
	s_ashr_i32 s3, s38, 31
	s_ashr_i32 s5, ttmp9, 31
	s_wait_alu 0xfffe
	s_lshr_b32 s3, s3, 22
	s_mul_u64 s[28:29], s[28:29], s[4:5]
	s_wait_alu 0xfffe
	s_add_co_i32 s3, s38, s3
	s_mul_u64 s[26:27], s[26:27], s[4:5]
	s_wait_alu 0xfffe
	s_and_b32 s20, s3, 0xfffffc00
	v_lshlrev_b64_e32 v[1:2], 1, v[1:2]
	v_or_b32_e32 v6, s20, v0
	s_ashr_i32 s21, s20, 31
	v_cmp_gt_i32_e64 s3, s20, v0
	s_wait_alu 0xfffe
	s_mul_i32 s5, s24, s21
	s_lshl_b64 s[22:23], s[24:25], 11
	v_mul_lo_u32 v7, s25, v6
	v_mad_co_u64_u32 v[3:4], null, s24, v6, 0
	v_cmp_gt_i32_e64 s4, s38, v6
	s_lshl_b64 s[10:11], s[10:11], 1
	s_lshl_b64 s[14:15], s[14:15], 1
	;; [unrolled: 1-line block ×5, first 2 shown]
	v_add3_u32 v4, v4, s5, v7
	s_lshl_b64 s[28:29], s[20:21], 1
	s_delay_alu instid0(VALU_DEP_1)
	v_lshlrev_b64_e32 v[3:4], 1, v[3:4]
	s_branch .LBB627_4
.LBB627_2:                              ;   in Loop: Header=BB627_4 Depth=1
	s_wait_alu 0xfffe
	s_or_b32 exec_lo, exec_lo, s5
.LBB627_3:                              ;   in Loop: Header=BB627_4 Depth=1
	s_add_co_i32 s6, s6, 0x10000
	s_delay_alu instid0(SALU_CYCLE_1)
	s_cmp_lt_u32 s6, s30
	s_cbranch_scc0 .LBB627_66
.LBB627_4:                              ; =>This Loop Header: Depth=1
                                        ;     Child Loop BB627_34 Depth 2
	s_and_not1_b32 vcc_lo, exec_lo, s35
	s_wait_alu 0xfffe
	s_cbranch_vccnz .LBB627_3
; %bb.5:                                ;   in Loop: Header=BB627_4 Depth=1
	s_and_not1_b32 vcc_lo, exec_lo, s34
	s_wait_alu 0xfffe
	s_cbranch_vccnz .LBB627_7
; %bb.6:                                ;   in Loop: Header=BB627_4 Depth=1
	s_mov_b32 s5, 0
	s_branch .LBB627_8
.LBB627_7:                              ;   in Loop: Header=BB627_4 Depth=1
	s_mov_b32 s5, -1
.LBB627_8:                              ;   in Loop: Header=BB627_4 Depth=1
	v_mov_b32_e32 v5, 0
	v_dual_mov_b32 v6, 0 :: v_dual_mov_b32 v7, 0
	v_mov_b32_e32 v8, 0
	s_wait_alu 0xfffe
	s_and_not1_b32 vcc_lo, exec_lo, s5
	s_wait_alu 0xfffe
	s_cbranch_vccnz .LBB627_10
; %bb.9:                                ;   in Loop: Header=BB627_4 Depth=1
	s_lshl_b64 s[38:39], s[6:7], 3
	s_wait_alu 0xfffe
	s_add_nc_u64 s[38:39], s[8:9], s[38:39]
	global_load_b64 v[7:8], v13, s[38:39]
	s_wait_loadcnt 0x0
	v_add_co_u32 v7, vcc_lo, v7, s10
	s_wait_alu 0xfffd
	v_add_co_ci_u32_e64 v8, null, s11, v8, vcc_lo
.LBB627_10:                             ;   in Loop: Header=BB627_4 Depth=1
	v_cmp_ne_u32_e32 vcc_lo, 1, v14
	s_cbranch_vccnz .LBB627_12
; %bb.11:                               ;   in Loop: Header=BB627_4 Depth=1
	s_lshl_b64 s[38:39], s[6:7], 3
	s_wait_alu 0xfffe
	s_add_nc_u64 s[38:39], s[12:13], s[38:39]
	global_load_b64 v[5:6], v13, s[38:39]
	s_wait_loadcnt 0x0
	v_add_co_u32 v5, vcc_lo, v5, s14
	s_wait_alu 0xfffd
	v_add_co_ci_u32_e64 v6, null, s15, v6, vcc_lo
.LBB627_12:                             ;   in Loop: Header=BB627_4 Depth=1
	s_lshl_b64 s[38:39], s[6:7], 3
	s_wait_alu 0xfffe
	s_add_nc_u64 s[38:39], s[16:17], s[38:39]
	s_wait_dscnt 0x0
	global_load_b64 v[9:10], v13, s[38:39]
	s_wait_loadcnt 0x0
	v_add_co_u32 v20, vcc_lo, v9, s18
	s_wait_alu 0xfffd
	v_add_co_ci_u32_e64 v21, null, s19, v10, vcc_lo
	s_and_not1_b32 vcc_lo, exec_lo, s34
	s_wait_alu 0xfffe
	s_cbranch_vccnz .LBB627_20
; %bb.13:                               ;   in Loop: Header=BB627_4 Depth=1
	s_mov_b32 s5, 0
	s_mov_b32 s21, 0
                                        ; implicit-def: $vgpr9
	s_and_saveexec_b32 s38, s0
	s_cbranch_execz .LBB627_21
; %bb.14:                               ;   in Loop: Header=BB627_4 Depth=1
	s_and_not1_b32 vcc_lo, exec_lo, s36
	s_wait_alu 0xfffe
	s_cbranch_vccnz .LBB627_22
; %bb.15:                               ;   in Loop: Header=BB627_4 Depth=1
	v_add_co_u32 v9, vcc_lo, v20, s24
	s_wait_alu 0xfffd
	v_add_co_ci_u32_e64 v10, null, s25, v21, vcc_lo
	flat_load_u16 v9, v[9:10]
	s_wait_loadcnt_dscnt 0x0
	v_lshlrev_b32_e32 v9, 16, v9
	s_delay_alu instid0(VALU_DEP_1) | instskip(NEXT) | instid1(VALU_DEP_1)
	v_mul_f32_e32 v9, s33, v9
	v_and_b32_e32 v10, 0x7f800000, v9
	s_delay_alu instid0(VALU_DEP_1)
	v_cmp_ne_u32_e32 vcc_lo, 0x7f800000, v10
                                        ; implicit-def: $vgpr10
	s_and_saveexec_b32 s21, vcc_lo
	s_wait_alu 0xfffe
	s_xor_b32 s21, exec_lo, s21
; %bb.16:                               ;   in Loop: Header=BB627_4 Depth=1
	v_bfe_u32 v10, v9, 16, 1
	s_delay_alu instid0(VALU_DEP_1)
	v_add3_u32 v10, v9, v10, 0x7fff
                                        ; implicit-def: $vgpr9
; %bb.17:                               ;   in Loop: Header=BB627_4 Depth=1
	s_wait_alu 0xfffe
	s_and_not1_saveexec_b32 s21, s21
; %bb.18:                               ;   in Loop: Header=BB627_4 Depth=1
	v_and_b32_e32 v10, 0xffff, v9
	v_or_b32_e32 v11, 0x10000, v9
	s_delay_alu instid0(VALU_DEP_2) | instskip(SKIP_1) | instid1(VALU_DEP_2)
	v_cmp_eq_u32_e32 vcc_lo, 0, v10
	s_wait_alu 0xfffd
	v_cndmask_b32_e32 v10, v11, v9, vcc_lo
; %bb.19:                               ;   in Loop: Header=BB627_4 Depth=1
	s_wait_alu 0xfffe
	s_or_b32 exec_lo, exec_lo, s21
	s_delay_alu instid0(VALU_DEP_1) | instskip(SKIP_2) | instid1(SALU_CYCLE_1)
	v_lshrrev_b32_e32 v9, 16, v10
	s_mov_b32 s21, exec_lo
	s_or_b32 exec_lo, exec_lo, s38
	s_and_b32 vcc_lo, exec_lo, s5
	s_wait_alu 0xfffe
	s_cbranch_vccnz .LBB627_23
	s_branch .LBB627_58
.LBB627_20:                             ;   in Loop: Header=BB627_4 Depth=1
	s_mov_b32 s21, 0
                                        ; implicit-def: $vgpr9
	s_cbranch_execnz .LBB627_23
	s_branch .LBB627_58
.LBB627_21:                             ;   in Loop: Header=BB627_4 Depth=1
	s_wait_alu 0xfffe
	s_or_b32 exec_lo, exec_lo, s38
	s_delay_alu instid0(SALU_CYCLE_1)
	s_and_b32 vcc_lo, exec_lo, s5
	s_wait_alu 0xfffe
	s_cbranch_vccnz .LBB627_23
	s_branch .LBB627_58
.LBB627_22:                             ;   in Loop: Header=BB627_4 Depth=1
	v_mov_b32_e32 v9, 0
	s_mov_b32 s21, exec_lo
	s_or_b32 exec_lo, exec_lo, s38
	s_delay_alu instid0(SALU_CYCLE_1)
	s_and_b32 vcc_lo, exec_lo, s5
	s_wait_alu 0xfffe
	s_cbranch_vccz .LBB627_58
.LBB627_23:                             ;   in Loop: Header=BB627_4 Depth=1
	v_add_co_u32 v7, vcc_lo, v7, v18
	s_wait_alu 0xfffd
	v_add_co_ci_u32_e64 v8, null, 0, v8, vcc_lo
	v_mov_b32_e32 v22, 0
	s_delay_alu instid0(VALU_DEP_3) | instskip(SKIP_1) | instid1(VALU_DEP_3)
	v_add_co_u32 v7, vcc_lo, v7, s26
	s_wait_alu 0xfffd
	v_add_co_ci_u32_e64 v8, null, s27, v8, vcc_lo
	s_and_saveexec_b32 s38, s3
	s_cbranch_execnz .LBB627_32
; %bb.24:                               ;   in Loop: Header=BB627_4 Depth=1
	s_wait_alu 0xfffe
	s_or_b32 exec_lo, exec_lo, s38
	s_and_saveexec_b32 s5, s4
	s_cbranch_execnz .LBB627_61
.LBB627_25:                             ;   in Loop: Header=BB627_4 Depth=1
	s_wait_alu 0xfffe
	s_or_b32 exec_lo, exec_lo, s5
	s_and_saveexec_b32 s5, s1
.LBB627_26:                             ;   in Loop: Header=BB627_4 Depth=1
	ds_store_b32 v15, v13
.LBB627_27:                             ;   in Loop: Header=BB627_4 Depth=1
	s_wait_alu 0xfffe
	s_or_b32 exec_lo, exec_lo, s5
	ds_bpermute_b32 v6, v19, v22
	v_cmp_gt_u32_e32 vcc_lo, 24, v17
	s_wait_dscnt 0x0
	s_barrier_signal -1
	s_barrier_wait -1
	global_inv scope:SCOPE_SE
	s_wait_alu 0xfffd
	v_cndmask_b32_e64 v5, 0, 8, vcc_lo
	v_cmp_gt_u32_e32 vcc_lo, 28, v17
	s_delay_alu instid0(VALU_DEP_2)
	v_add_lshl_u32 v5, v5, v17, 2
	v_add_f32_e32 v7, v22, v6
	s_wait_alu 0xfffd
	v_cndmask_b32_e64 v6, 0, 4, vcc_lo
	v_cmp_gt_u32_e32 vcc_lo, 30, v17
	ds_bpermute_b32 v8, v5, v7
	v_add_lshl_u32 v6, v6, v17, 2
	s_wait_dscnt 0x0
	v_add_f32_e32 v8, v7, v8
	s_wait_alu 0xfffd
	v_cndmask_b32_e64 v7, 0, 2, vcc_lo
	v_cmp_ne_u32_e32 vcc_lo, 31, v17
	ds_bpermute_b32 v9, v6, v8
	v_add_lshl_u32 v7, v7, v17, 2
	s_wait_alu 0xfffd
	v_add_co_ci_u32_e64 v10, null, 0, v17, vcc_lo
	s_wait_dscnt 0x0
	v_add_f32_e32 v8, v8, v9
	ds_bpermute_b32 v9, v7, v8
	s_wait_dscnt 0x0
	v_dual_add_f32 v9, v8, v9 :: v_dual_lshlrev_b32 v8, 2, v10
	ds_bpermute_b32 v10, v8, v9
	s_and_saveexec_b32 s5, s2
	s_cbranch_execz .LBB627_29
; %bb.28:                               ;   in Loop: Header=BB627_4 Depth=1
	s_wait_dscnt 0x0
	v_add_f32_e32 v9, v9, v10
	ds_store_b32 v16, v9
.LBB627_29:                             ;   in Loop: Header=BB627_4 Depth=1
	s_wait_alu 0xfffe
	s_or_b32 exec_lo, exec_lo, s5
	s_wait_dscnt 0x0
	v_mov_b32_e32 v10, 0
	s_wait_loadcnt 0x0
	s_barrier_signal -1
	s_barrier_wait -1
	global_inv scope:SCOPE_SE
	s_and_saveexec_b32 s5, s1
	s_cbranch_execnz .LBB627_38
; %bb.30:                               ;   in Loop: Header=BB627_4 Depth=1
	s_wait_alu 0xfffe
	s_or_b32 exec_lo, exec_lo, s5
	s_and_saveexec_b32 s5, s1
	s_cbranch_execnz .LBB627_39
.LBB627_31:                             ;   in Loop: Header=BB627_4 Depth=1
	s_wait_alu 0xfffe
	s_or_b32 exec_lo, exec_lo, s5
                                        ; implicit-def: $vgpr9
	s_and_saveexec_b32 s5, s0
	s_cbranch_execnz .LBB627_40
	s_branch .LBB627_57
.LBB627_32:                             ;   in Loop: Header=BB627_4 Depth=1
	v_add_co_u32 v9, vcc_lo, v5, v1
	v_dual_mov_b32 v12, v8 :: v_dual_mov_b32 v23, v0
	s_wait_alu 0xfffd
	v_add_co_ci_u32_e64 v10, null, v6, v2, vcc_lo
	v_dual_mov_b32 v22, 0 :: v_dual_mov_b32 v11, v7
	s_mov_b32 s39, 0
	s_branch .LBB627_34
.LBB627_33:                             ;   in Loop: Header=BB627_34 Depth=2
	s_wait_alu 0xfffe
	s_or_b32 exec_lo, exec_lo, s5
	s_delay_alu instid0(VALU_DEP_1)
	v_and_b32_e32 v24, 0xffff0000, v25
	v_add_nc_u32_e32 v23, 0x400, v23
	v_add_co_u32 v11, vcc_lo, 0x800, v11
	s_wait_alu 0xfffd
	v_add_co_ci_u32_e64 v12, null, 0, v12, vcc_lo
	v_add_f32_e32 v22, v22, v24
	v_cmp_le_i32_e32 vcc_lo, s20, v23
	v_add_co_u32 v9, s5, v9, s22
	s_wait_alu 0xf1ff
	v_add_co_ci_u32_e64 v10, null, s23, v10, s5
	s_or_b32 s39, vcc_lo, s39
	s_wait_alu 0xfffe
	s_and_not1_b32 exec_lo, exec_lo, s39
	s_cbranch_execz .LBB627_60
.LBB627_34:                             ;   Parent Loop BB627_4 Depth=1
                                        ; =>  This Inner Loop Header: Depth=2
	flat_load_u16 v24, v[9:10]
	flat_load_u16 v25, v[11:12]
	s_wait_loadcnt_dscnt 0x101
	v_lshlrev_b32_e32 v24, 16, v24
	s_wait_loadcnt_dscnt 0x0
	v_lshlrev_b32_e32 v25, 16, v25
	s_delay_alu instid0(VALU_DEP_1) | instskip(NEXT) | instid1(VALU_DEP_1)
	v_mul_f32_e32 v24, v25, v24
	v_and_b32_e32 v25, 0x7f800000, v24
	s_delay_alu instid0(VALU_DEP_1)
	v_cmp_ne_u32_e32 vcc_lo, 0x7f800000, v25
                                        ; implicit-def: $vgpr25
	s_and_saveexec_b32 s5, vcc_lo
	s_wait_alu 0xfffe
	s_xor_b32 s5, exec_lo, s5
; %bb.35:                               ;   in Loop: Header=BB627_34 Depth=2
	v_bfe_u32 v25, v24, 16, 1
	s_delay_alu instid0(VALU_DEP_1)
	v_add3_u32 v25, v24, v25, 0x7fff
                                        ; implicit-def: $vgpr24
; %bb.36:                               ;   in Loop: Header=BB627_34 Depth=2
	s_wait_alu 0xfffe
	s_and_not1_saveexec_b32 s5, s5
	s_cbranch_execz .LBB627_33
; %bb.37:                               ;   in Loop: Header=BB627_34 Depth=2
	v_and_b32_e32 v25, 0xffff, v24
	v_or_b32_e32 v26, 0x10000, v24
	s_delay_alu instid0(VALU_DEP_2) | instskip(SKIP_1) | instid1(VALU_DEP_2)
	v_cmp_eq_u32_e32 vcc_lo, 0, v25
	s_wait_alu 0xfffd
	v_cndmask_b32_e32 v25, v26, v24, vcc_lo
	s_branch .LBB627_33
.LBB627_38:                             ;   in Loop: Header=BB627_4 Depth=1
	ds_load_b32 v10, v15
	s_wait_alu 0xfffe
	s_or_b32 exec_lo, exec_lo, s5
	s_and_saveexec_b32 s5, s1
	s_cbranch_execz .LBB627_31
.LBB627_39:                             ;   in Loop: Header=BB627_4 Depth=1
	s_wait_dscnt 0x0
	ds_bpermute_b32 v9, v19, v10
	s_wait_dscnt 0x0
	v_add_f32_e32 v9, v10, v9
	ds_bpermute_b32 v5, v5, v9
	s_wait_dscnt 0x0
	v_add_f32_e32 v5, v9, v5
	ds_bpermute_b32 v6, v6, v5
	s_wait_dscnt 0x0
	v_add_f32_e32 v5, v5, v6
	ds_bpermute_b32 v6, v7, v5
	s_wait_dscnt 0x0
	v_add_f32_e32 v5, v5, v6
	ds_bpermute_b32 v6, v8, v5
	s_wait_dscnt 0x0
	v_add_f32_e32 v10, v5, v6
	s_wait_alu 0xfffe
	s_or_b32 exec_lo, exec_lo, s5
                                        ; implicit-def: $vgpr9
	s_and_saveexec_b32 s5, s0
	s_cbranch_execz .LBB627_57
.LBB627_40:                             ;   in Loop: Header=BB627_4 Depth=1
	s_wait_dscnt 0x0
	v_mul_f32_e32 v5, s31, v10
	s_and_b32 vcc_lo, exec_lo, s37
	s_mov_b32 s38, -1
                                        ; implicit-def: $vgpr6
	s_wait_alu 0xfffe
	s_cbranch_vccz .LBB627_46
; %bb.41:                               ;   in Loop: Header=BB627_4 Depth=1
	v_and_b32_e32 v6, 0x7f800000, v5
	s_delay_alu instid0(VALU_DEP_1)
	v_cmp_ne_u32_e32 vcc_lo, 0x7f800000, v6
                                        ; implicit-def: $vgpr6
	s_and_saveexec_b32 s38, vcc_lo
	s_wait_alu 0xfffe
	s_xor_b32 s38, exec_lo, s38
; %bb.42:                               ;   in Loop: Header=BB627_4 Depth=1
	v_bfe_u32 v6, v5, 16, 1
	s_delay_alu instid0(VALU_DEP_1)
	v_add3_u32 v6, v5, v6, 0x7fff
; %bb.43:                               ;   in Loop: Header=BB627_4 Depth=1
	s_wait_alu 0xfffe
	s_and_not1_saveexec_b32 s38, s38
; %bb.44:                               ;   in Loop: Header=BB627_4 Depth=1
	v_and_b32_e32 v6, 0xffff, v5
	v_or_b32_e32 v7, 0x10000, v5
	s_delay_alu instid0(VALU_DEP_2) | instskip(SKIP_1) | instid1(VALU_DEP_2)
	v_cmp_eq_u32_e32 vcc_lo, 0, v6
	s_wait_alu 0xfffd
	v_cndmask_b32_e32 v6, v7, v5, vcc_lo
; %bb.45:                               ;   in Loop: Header=BB627_4 Depth=1
	s_wait_alu 0xfffe
	s_or_b32 exec_lo, exec_lo, s38
	s_mov_b32 s38, 0
.LBB627_46:                             ;   in Loop: Header=BB627_4 Depth=1
	s_wait_alu 0xfffe
	s_and_not1_b32 vcc_lo, exec_lo, s38
	s_wait_alu 0xfffe
	s_cbranch_vccnz .LBB627_56
; %bb.47:                               ;   in Loop: Header=BB627_4 Depth=1
	v_add_co_u32 v6, vcc_lo, v20, s24
	s_wait_alu 0xfffd
	v_add_co_ci_u32_e64 v7, null, s25, v21, vcc_lo
	flat_load_u16 v6, v[6:7]
	s_wait_loadcnt_dscnt 0x0
	v_lshlrev_b32_e32 v6, 16, v6
	s_delay_alu instid0(VALU_DEP_1) | instskip(NEXT) | instid1(VALU_DEP_1)
	v_mul_f32_e32 v6, s33, v6
	v_and_b32_e32 v7, 0x7f800000, v6
	s_delay_alu instid0(VALU_DEP_1)
	v_cmp_ne_u32_e32 vcc_lo, 0x7f800000, v7
                                        ; implicit-def: $vgpr7
	s_and_saveexec_b32 s38, vcc_lo
	s_wait_alu 0xfffe
	s_xor_b32 s38, exec_lo, s38
; %bb.48:                               ;   in Loop: Header=BB627_4 Depth=1
	v_bfe_u32 v7, v6, 16, 1
	s_delay_alu instid0(VALU_DEP_1)
	v_add3_u32 v7, v6, v7, 0x7fff
                                        ; implicit-def: $vgpr6
; %bb.49:                               ;   in Loop: Header=BB627_4 Depth=1
	s_wait_alu 0xfffe
	s_and_not1_saveexec_b32 s38, s38
; %bb.50:                               ;   in Loop: Header=BB627_4 Depth=1
	v_and_b32_e32 v7, 0xffff, v6
	v_or_b32_e32 v8, 0x10000, v6
	s_delay_alu instid0(VALU_DEP_2) | instskip(SKIP_1) | instid1(VALU_DEP_2)
	v_cmp_eq_u32_e32 vcc_lo, 0, v7
	s_wait_alu 0xfffd
	v_cndmask_b32_e32 v7, v8, v6, vcc_lo
; %bb.51:                               ;   in Loop: Header=BB627_4 Depth=1
	s_wait_alu 0xfffe
	s_or_b32 exec_lo, exec_lo, s38
	s_delay_alu instid0(VALU_DEP_1) | instskip(NEXT) | instid1(VALU_DEP_1)
	v_and_b32_e32 v6, 0xffff0000, v7
	v_add_f32_e32 v5, v5, v6
	s_delay_alu instid0(VALU_DEP_1) | instskip(NEXT) | instid1(VALU_DEP_1)
	v_and_b32_e32 v6, 0x7f800000, v5
	v_cmp_ne_u32_e32 vcc_lo, 0x7f800000, v6
                                        ; implicit-def: $vgpr6
	s_and_saveexec_b32 s38, vcc_lo
	s_wait_alu 0xfffe
	s_xor_b32 s38, exec_lo, s38
; %bb.52:                               ;   in Loop: Header=BB627_4 Depth=1
	v_bfe_u32 v6, v5, 16, 1
	s_delay_alu instid0(VALU_DEP_1)
	v_add3_u32 v6, v5, v6, 0x7fff
                                        ; implicit-def: $vgpr5
; %bb.53:                               ;   in Loop: Header=BB627_4 Depth=1
	s_wait_alu 0xfffe
	s_and_not1_saveexec_b32 s38, s38
; %bb.54:                               ;   in Loop: Header=BB627_4 Depth=1
	v_and_b32_e32 v6, 0xffff, v5
	v_or_b32_e32 v7, 0x10000, v5
	s_delay_alu instid0(VALU_DEP_2) | instskip(SKIP_1) | instid1(VALU_DEP_2)
	v_cmp_eq_u32_e32 vcc_lo, 0, v6
	s_wait_alu 0xfffd
	v_cndmask_b32_e32 v6, v7, v5, vcc_lo
; %bb.55:                               ;   in Loop: Header=BB627_4 Depth=1
	s_wait_alu 0xfffe
	s_or_b32 exec_lo, exec_lo, s38
.LBB627_56:                             ;   in Loop: Header=BB627_4 Depth=1
	s_delay_alu instid0(VALU_DEP_1)
	v_lshrrev_b32_e32 v9, 16, v6
	s_or_b32 s21, s21, exec_lo
.LBB627_57:                             ;   in Loop: Header=BB627_4 Depth=1
	s_wait_alu 0xfffe
	s_or_b32 exec_lo, exec_lo, s5
.LBB627_58:                             ;   in Loop: Header=BB627_4 Depth=1
	s_wait_alu 0xfffe
	s_and_saveexec_b32 s5, s21
	s_cbranch_execz .LBB627_2
; %bb.59:                               ;   in Loop: Header=BB627_4 Depth=1
	v_add_co_u32 v5, vcc_lo, v20, s24
	s_wait_alu 0xfffd
	v_add_co_ci_u32_e64 v6, null, s25, v21, vcc_lo
	flat_store_b16 v[5:6], v9
	s_branch .LBB627_2
.LBB627_60:                             ;   in Loop: Header=BB627_4 Depth=1
	s_or_b32 exec_lo, exec_lo, s39
	s_delay_alu instid0(SALU_CYCLE_1)
	s_or_b32 exec_lo, exec_lo, s38
	s_and_saveexec_b32 s5, s4
	s_cbranch_execz .LBB627_25
.LBB627_61:                             ;   in Loop: Header=BB627_4 Depth=1
	v_add_co_u32 v5, vcc_lo, v5, v3
	s_wait_alu 0xfffd
	v_add_co_ci_u32_e64 v6, null, v6, v4, vcc_lo
	v_add_co_u32 v7, vcc_lo, v7, s28
	s_wait_alu 0xfffd
	v_add_co_ci_u32_e64 v8, null, s29, v8, vcc_lo
	flat_load_u16 v5, v[5:6]
	flat_load_u16 v6, v[7:8]
	s_wait_loadcnt_dscnt 0x101
	v_lshlrev_b32_e32 v5, 16, v5
	s_wait_loadcnt_dscnt 0x0
	v_lshlrev_b32_e32 v6, 16, v6
	s_delay_alu instid0(VALU_DEP_1) | instskip(NEXT) | instid1(VALU_DEP_1)
	v_mul_f32_e32 v5, v6, v5
	v_and_b32_e32 v6, 0x7f800000, v5
	s_delay_alu instid0(VALU_DEP_1)
	v_cmp_ne_u32_e32 vcc_lo, 0x7f800000, v6
                                        ; implicit-def: $vgpr6
	s_and_saveexec_b32 s38, vcc_lo
	s_wait_alu 0xfffe
	s_xor_b32 s38, exec_lo, s38
; %bb.62:                               ;   in Loop: Header=BB627_4 Depth=1
	v_bfe_u32 v6, v5, 16, 1
	s_delay_alu instid0(VALU_DEP_1)
	v_add3_u32 v6, v5, v6, 0x7fff
                                        ; implicit-def: $vgpr5
; %bb.63:                               ;   in Loop: Header=BB627_4 Depth=1
	s_wait_alu 0xfffe
	s_and_not1_saveexec_b32 s38, s38
; %bb.64:                               ;   in Loop: Header=BB627_4 Depth=1
	v_and_b32_e32 v6, 0xffff, v5
	v_or_b32_e32 v7, 0x10000, v5
	s_delay_alu instid0(VALU_DEP_2) | instskip(SKIP_1) | instid1(VALU_DEP_2)
	v_cmp_eq_u32_e32 vcc_lo, 0, v6
	s_wait_alu 0xfffd
	v_cndmask_b32_e32 v6, v7, v5, vcc_lo
; %bb.65:                               ;   in Loop: Header=BB627_4 Depth=1
	s_wait_alu 0xfffe
	s_or_b32 exec_lo, exec_lo, s38
	s_delay_alu instid0(VALU_DEP_1) | instskip(NEXT) | instid1(VALU_DEP_1)
	v_and_b32_e32 v5, 0xffff0000, v6
	v_add_f32_e32 v22, v22, v5
	s_or_b32 exec_lo, exec_lo, s5
	s_and_saveexec_b32 s5, s1
	s_cbranch_execnz .LBB627_26
	s_branch .LBB627_27
.LBB627_66:
	s_endpgm
	.section	.rodata,"a",@progbits
	.p2align	6, 0x0
	.amdhsa_kernel _ZL32rocblas_gemvt_warp_reduce_kernelILb1ELi1024ElPK16rocblas_bfloat16fKPS0_EviiT3_lPKT2_lT1_lS8_lS9_lS5_lPT4_lS9_li
		.amdhsa_group_segment_fixed_size 128
		.amdhsa_private_segment_fixed_size 0
		.amdhsa_kernarg_size 140
		.amdhsa_user_sgpr_count 2
		.amdhsa_user_sgpr_dispatch_ptr 0
		.amdhsa_user_sgpr_queue_ptr 0
		.amdhsa_user_sgpr_kernarg_segment_ptr 1
		.amdhsa_user_sgpr_dispatch_id 0
		.amdhsa_user_sgpr_private_segment_size 0
		.amdhsa_wavefront_size32 1
		.amdhsa_uses_dynamic_stack 0
		.amdhsa_enable_private_segment 0
		.amdhsa_system_sgpr_workgroup_id_x 1
		.amdhsa_system_sgpr_workgroup_id_y 0
		.amdhsa_system_sgpr_workgroup_id_z 1
		.amdhsa_system_sgpr_workgroup_info 0
		.amdhsa_system_vgpr_workitem_id 0
		.amdhsa_next_free_vgpr 27
		.amdhsa_next_free_sgpr 40
		.amdhsa_reserve_vcc 1
		.amdhsa_float_round_mode_32 0
		.amdhsa_float_round_mode_16_64 0
		.amdhsa_float_denorm_mode_32 3
		.amdhsa_float_denorm_mode_16_64 3
		.amdhsa_fp16_overflow 0
		.amdhsa_workgroup_processor_mode 1
		.amdhsa_memory_ordered 1
		.amdhsa_forward_progress 1
		.amdhsa_inst_pref_size 20
		.amdhsa_round_robin_scheduling 0
		.amdhsa_exception_fp_ieee_invalid_op 0
		.amdhsa_exception_fp_denorm_src 0
		.amdhsa_exception_fp_ieee_div_zero 0
		.amdhsa_exception_fp_ieee_overflow 0
		.amdhsa_exception_fp_ieee_underflow 0
		.amdhsa_exception_fp_ieee_inexact 0
		.amdhsa_exception_int_div_zero 0
	.end_amdhsa_kernel
	.section	.text._ZL32rocblas_gemvt_warp_reduce_kernelILb1ELi1024ElPK16rocblas_bfloat16fKPS0_EviiT3_lPKT2_lT1_lS8_lS9_lS5_lPT4_lS9_li,"axG",@progbits,_ZL32rocblas_gemvt_warp_reduce_kernelILb1ELi1024ElPK16rocblas_bfloat16fKPS0_EviiT3_lPKT2_lT1_lS8_lS9_lS5_lPT4_lS9_li,comdat
.Lfunc_end627:
	.size	_ZL32rocblas_gemvt_warp_reduce_kernelILb1ELi1024ElPK16rocblas_bfloat16fKPS0_EviiT3_lPKT2_lT1_lS8_lS9_lS5_lPT4_lS9_li, .Lfunc_end627-_ZL32rocblas_gemvt_warp_reduce_kernelILb1ELi1024ElPK16rocblas_bfloat16fKPS0_EviiT3_lPKT2_lT1_lS8_lS9_lS5_lPT4_lS9_li
                                        ; -- End function
	.set _ZL32rocblas_gemvt_warp_reduce_kernelILb1ELi1024ElPK16rocblas_bfloat16fKPS0_EviiT3_lPKT2_lT1_lS8_lS9_lS5_lPT4_lS9_li.num_vgpr, 27
	.set _ZL32rocblas_gemvt_warp_reduce_kernelILb1ELi1024ElPK16rocblas_bfloat16fKPS0_EviiT3_lPKT2_lT1_lS8_lS9_lS5_lPT4_lS9_li.num_agpr, 0
	.set _ZL32rocblas_gemvt_warp_reduce_kernelILb1ELi1024ElPK16rocblas_bfloat16fKPS0_EviiT3_lPKT2_lT1_lS8_lS9_lS5_lPT4_lS9_li.numbered_sgpr, 40
	.set _ZL32rocblas_gemvt_warp_reduce_kernelILb1ELi1024ElPK16rocblas_bfloat16fKPS0_EviiT3_lPKT2_lT1_lS8_lS9_lS5_lPT4_lS9_li.num_named_barrier, 0
	.set _ZL32rocblas_gemvt_warp_reduce_kernelILb1ELi1024ElPK16rocblas_bfloat16fKPS0_EviiT3_lPKT2_lT1_lS8_lS9_lS5_lPT4_lS9_li.private_seg_size, 0
	.set _ZL32rocblas_gemvt_warp_reduce_kernelILb1ELi1024ElPK16rocblas_bfloat16fKPS0_EviiT3_lPKT2_lT1_lS8_lS9_lS5_lPT4_lS9_li.uses_vcc, 1
	.set _ZL32rocblas_gemvt_warp_reduce_kernelILb1ELi1024ElPK16rocblas_bfloat16fKPS0_EviiT3_lPKT2_lT1_lS8_lS9_lS5_lPT4_lS9_li.uses_flat_scratch, 0
	.set _ZL32rocblas_gemvt_warp_reduce_kernelILb1ELi1024ElPK16rocblas_bfloat16fKPS0_EviiT3_lPKT2_lT1_lS8_lS9_lS5_lPT4_lS9_li.has_dyn_sized_stack, 0
	.set _ZL32rocblas_gemvt_warp_reduce_kernelILb1ELi1024ElPK16rocblas_bfloat16fKPS0_EviiT3_lPKT2_lT1_lS8_lS9_lS5_lPT4_lS9_li.has_recursion, 0
	.set _ZL32rocblas_gemvt_warp_reduce_kernelILb1ELi1024ElPK16rocblas_bfloat16fKPS0_EviiT3_lPKT2_lT1_lS8_lS9_lS5_lPT4_lS9_li.has_indirect_call, 0
	.section	.AMDGPU.csdata,"",@progbits
; Kernel info:
; codeLenInByte = 2496
; TotalNumSgprs: 42
; NumVgprs: 27
; ScratchSize: 0
; MemoryBound: 0
; FloatMode: 240
; IeeeMode: 1
; LDSByteSize: 128 bytes/workgroup (compile time only)
; SGPRBlocks: 0
; VGPRBlocks: 3
; NumSGPRsForWavesPerEU: 42
; NumVGPRsForWavesPerEU: 27
; Occupancy: 16
; WaveLimiterHint : 1
; COMPUTE_PGM_RSRC2:SCRATCH_EN: 0
; COMPUTE_PGM_RSRC2:USER_SGPR: 2
; COMPUTE_PGM_RSRC2:TRAP_HANDLER: 0
; COMPUTE_PGM_RSRC2:TGID_X_EN: 1
; COMPUTE_PGM_RSRC2:TGID_Y_EN: 0
; COMPUTE_PGM_RSRC2:TGID_Z_EN: 1
; COMPUTE_PGM_RSRC2:TIDIG_COMP_CNT: 0
	.section	.text._ZL34rocblas_gemvn_sm_mn_batched_kernelILi32ELi24E16rocblas_bfloat16PKffEviiT2_lPKT1_lilS6_lilS3_lPT3_lili,"axG",@progbits,_ZL34rocblas_gemvn_sm_mn_batched_kernelILi32ELi24E16rocblas_bfloat16PKffEviiT2_lPKT1_lilS6_lilS3_lPT3_lili,comdat
	.globl	_ZL34rocblas_gemvn_sm_mn_batched_kernelILi32ELi24E16rocblas_bfloat16PKffEviiT2_lPKT1_lilS6_lilS3_lPT3_lili ; -- Begin function _ZL34rocblas_gemvn_sm_mn_batched_kernelILi32ELi24E16rocblas_bfloat16PKffEviiT2_lPKT1_lilS6_lilS3_lPT3_lili
	.p2align	8
	.type	_ZL34rocblas_gemvn_sm_mn_batched_kernelILi32ELi24E16rocblas_bfloat16PKffEviiT2_lPKT1_lilS6_lilS3_lPT3_lili,@function
_ZL34rocblas_gemvn_sm_mn_batched_kernelILi32ELi24E16rocblas_bfloat16PKffEviiT2_lPKT1_lilS6_lilS3_lPT3_lili: ; @_ZL34rocblas_gemvn_sm_mn_batched_kernelILi32ELi24E16rocblas_bfloat16PKffEviiT2_lPKT1_lilS6_lilS3_lPT3_lili
; %bb.0:
	s_endpgm
	.section	.rodata,"a",@progbits
	.p2align	6, 0x0
	.amdhsa_kernel _ZL34rocblas_gemvn_sm_mn_batched_kernelILi32ELi24E16rocblas_bfloat16PKffEviiT2_lPKT1_lilS6_lilS3_lPT3_lili
		.amdhsa_group_segment_fixed_size 0
		.amdhsa_private_segment_fixed_size 0
		.amdhsa_kernarg_size 140
		.amdhsa_user_sgpr_count 2
		.amdhsa_user_sgpr_dispatch_ptr 0
		.amdhsa_user_sgpr_queue_ptr 0
		.amdhsa_user_sgpr_kernarg_segment_ptr 1
		.amdhsa_user_sgpr_dispatch_id 0
		.amdhsa_user_sgpr_private_segment_size 0
		.amdhsa_wavefront_size32 1
		.amdhsa_uses_dynamic_stack 0
		.amdhsa_enable_private_segment 0
		.amdhsa_system_sgpr_workgroup_id_x 1
		.amdhsa_system_sgpr_workgroup_id_y 0
		.amdhsa_system_sgpr_workgroup_id_z 0
		.amdhsa_system_sgpr_workgroup_info 0
		.amdhsa_system_vgpr_workitem_id 0
		.amdhsa_next_free_vgpr 1
		.amdhsa_next_free_sgpr 1
		.amdhsa_reserve_vcc 0
		.amdhsa_float_round_mode_32 0
		.amdhsa_float_round_mode_16_64 0
		.amdhsa_float_denorm_mode_32 3
		.amdhsa_float_denorm_mode_16_64 3
		.amdhsa_fp16_overflow 0
		.amdhsa_workgroup_processor_mode 1
		.amdhsa_memory_ordered 1
		.amdhsa_forward_progress 1
		.amdhsa_inst_pref_size 1
		.amdhsa_round_robin_scheduling 0
		.amdhsa_exception_fp_ieee_invalid_op 0
		.amdhsa_exception_fp_denorm_src 0
		.amdhsa_exception_fp_ieee_div_zero 0
		.amdhsa_exception_fp_ieee_overflow 0
		.amdhsa_exception_fp_ieee_underflow 0
		.amdhsa_exception_fp_ieee_inexact 0
		.amdhsa_exception_int_div_zero 0
	.end_amdhsa_kernel
	.section	.text._ZL34rocblas_gemvn_sm_mn_batched_kernelILi32ELi24E16rocblas_bfloat16PKffEviiT2_lPKT1_lilS6_lilS3_lPT3_lili,"axG",@progbits,_ZL34rocblas_gemvn_sm_mn_batched_kernelILi32ELi24E16rocblas_bfloat16PKffEviiT2_lPKT1_lilS6_lilS3_lPT3_lili,comdat
.Lfunc_end628:
	.size	_ZL34rocblas_gemvn_sm_mn_batched_kernelILi32ELi24E16rocblas_bfloat16PKffEviiT2_lPKT1_lilS6_lilS3_lPT3_lili, .Lfunc_end628-_ZL34rocblas_gemvn_sm_mn_batched_kernelILi32ELi24E16rocblas_bfloat16PKffEviiT2_lPKT1_lilS6_lilS3_lPT3_lili
                                        ; -- End function
	.set _ZL34rocblas_gemvn_sm_mn_batched_kernelILi32ELi24E16rocblas_bfloat16PKffEviiT2_lPKT1_lilS6_lilS3_lPT3_lili.num_vgpr, 0
	.set _ZL34rocblas_gemvn_sm_mn_batched_kernelILi32ELi24E16rocblas_bfloat16PKffEviiT2_lPKT1_lilS6_lilS3_lPT3_lili.num_agpr, 0
	.set _ZL34rocblas_gemvn_sm_mn_batched_kernelILi32ELi24E16rocblas_bfloat16PKffEviiT2_lPKT1_lilS6_lilS3_lPT3_lili.numbered_sgpr, 0
	.set _ZL34rocblas_gemvn_sm_mn_batched_kernelILi32ELi24E16rocblas_bfloat16PKffEviiT2_lPKT1_lilS6_lilS3_lPT3_lili.num_named_barrier, 0
	.set _ZL34rocblas_gemvn_sm_mn_batched_kernelILi32ELi24E16rocblas_bfloat16PKffEviiT2_lPKT1_lilS6_lilS3_lPT3_lili.private_seg_size, 0
	.set _ZL34rocblas_gemvn_sm_mn_batched_kernelILi32ELi24E16rocblas_bfloat16PKffEviiT2_lPKT1_lilS6_lilS3_lPT3_lili.uses_vcc, 0
	.set _ZL34rocblas_gemvn_sm_mn_batched_kernelILi32ELi24E16rocblas_bfloat16PKffEviiT2_lPKT1_lilS6_lilS3_lPT3_lili.uses_flat_scratch, 0
	.set _ZL34rocblas_gemvn_sm_mn_batched_kernelILi32ELi24E16rocblas_bfloat16PKffEviiT2_lPKT1_lilS6_lilS3_lPT3_lili.has_dyn_sized_stack, 0
	.set _ZL34rocblas_gemvn_sm_mn_batched_kernelILi32ELi24E16rocblas_bfloat16PKffEviiT2_lPKT1_lilS6_lilS3_lPT3_lili.has_recursion, 0
	.set _ZL34rocblas_gemvn_sm_mn_batched_kernelILi32ELi24E16rocblas_bfloat16PKffEviiT2_lPKT1_lilS6_lilS3_lPT3_lili.has_indirect_call, 0
	.section	.AMDGPU.csdata,"",@progbits
; Kernel info:
; codeLenInByte = 4
; TotalNumSgprs: 0
; NumVgprs: 0
; ScratchSize: 0
; MemoryBound: 0
; FloatMode: 240
; IeeeMode: 1
; LDSByteSize: 0 bytes/workgroup (compile time only)
; SGPRBlocks: 0
; VGPRBlocks: 0
; NumSGPRsForWavesPerEU: 1
; NumVGPRsForWavesPerEU: 1
; Occupancy: 16
; WaveLimiterHint : 0
; COMPUTE_PGM_RSRC2:SCRATCH_EN: 0
; COMPUTE_PGM_RSRC2:USER_SGPR: 2
; COMPUTE_PGM_RSRC2:TRAP_HANDLER: 0
; COMPUTE_PGM_RSRC2:TGID_X_EN: 1
; COMPUTE_PGM_RSRC2:TGID_Y_EN: 0
; COMPUTE_PGM_RSRC2:TGID_Z_EN: 0
; COMPUTE_PGM_RSRC2:TIDIG_COMP_CNT: 0
	.section	.text._ZL34rocblas_gemvn_sm_mn_batched_kernelILi32ELi24E16rocblas_bfloat16ffEviiT2_lPKT1_lilS4_lilS1_lPT3_lili,"axG",@progbits,_ZL34rocblas_gemvn_sm_mn_batched_kernelILi32ELi24E16rocblas_bfloat16ffEviiT2_lPKT1_lilS4_lilS1_lPT3_lili,comdat
	.globl	_ZL34rocblas_gemvn_sm_mn_batched_kernelILi32ELi24E16rocblas_bfloat16ffEviiT2_lPKT1_lilS4_lilS1_lPT3_lili ; -- Begin function _ZL34rocblas_gemvn_sm_mn_batched_kernelILi32ELi24E16rocblas_bfloat16ffEviiT2_lPKT1_lilS4_lilS1_lPT3_lili
	.p2align	8
	.type	_ZL34rocblas_gemvn_sm_mn_batched_kernelILi32ELi24E16rocblas_bfloat16ffEviiT2_lPKT1_lilS4_lilS1_lPT3_lili,@function
_ZL34rocblas_gemvn_sm_mn_batched_kernelILi32ELi24E16rocblas_bfloat16ffEviiT2_lPKT1_lilS4_lilS1_lPT3_lili: ; @_ZL34rocblas_gemvn_sm_mn_batched_kernelILi32ELi24E16rocblas_bfloat16ffEviiT2_lPKT1_lilS4_lilS1_lPT3_lili
; %bb.0:
	s_endpgm
	.section	.rodata,"a",@progbits
	.p2align	6, 0x0
	.amdhsa_kernel _ZL34rocblas_gemvn_sm_mn_batched_kernelILi32ELi24E16rocblas_bfloat16ffEviiT2_lPKT1_lilS4_lilS1_lPT3_lili
		.amdhsa_group_segment_fixed_size 0
		.amdhsa_private_segment_fixed_size 0
		.amdhsa_kernarg_size 140
		.amdhsa_user_sgpr_count 2
		.amdhsa_user_sgpr_dispatch_ptr 0
		.amdhsa_user_sgpr_queue_ptr 0
		.amdhsa_user_sgpr_kernarg_segment_ptr 1
		.amdhsa_user_sgpr_dispatch_id 0
		.amdhsa_user_sgpr_private_segment_size 0
		.amdhsa_wavefront_size32 1
		.amdhsa_uses_dynamic_stack 0
		.amdhsa_enable_private_segment 0
		.amdhsa_system_sgpr_workgroup_id_x 1
		.amdhsa_system_sgpr_workgroup_id_y 0
		.amdhsa_system_sgpr_workgroup_id_z 0
		.amdhsa_system_sgpr_workgroup_info 0
		.amdhsa_system_vgpr_workitem_id 0
		.amdhsa_next_free_vgpr 1
		.amdhsa_next_free_sgpr 1
		.amdhsa_reserve_vcc 0
		.amdhsa_float_round_mode_32 0
		.amdhsa_float_round_mode_16_64 0
		.amdhsa_float_denorm_mode_32 3
		.amdhsa_float_denorm_mode_16_64 3
		.amdhsa_fp16_overflow 0
		.amdhsa_workgroup_processor_mode 1
		.amdhsa_memory_ordered 1
		.amdhsa_forward_progress 1
		.amdhsa_inst_pref_size 1
		.amdhsa_round_robin_scheduling 0
		.amdhsa_exception_fp_ieee_invalid_op 0
		.amdhsa_exception_fp_denorm_src 0
		.amdhsa_exception_fp_ieee_div_zero 0
		.amdhsa_exception_fp_ieee_overflow 0
		.amdhsa_exception_fp_ieee_underflow 0
		.amdhsa_exception_fp_ieee_inexact 0
		.amdhsa_exception_int_div_zero 0
	.end_amdhsa_kernel
	.section	.text._ZL34rocblas_gemvn_sm_mn_batched_kernelILi32ELi24E16rocblas_bfloat16ffEviiT2_lPKT1_lilS4_lilS1_lPT3_lili,"axG",@progbits,_ZL34rocblas_gemvn_sm_mn_batched_kernelILi32ELi24E16rocblas_bfloat16ffEviiT2_lPKT1_lilS4_lilS1_lPT3_lili,comdat
.Lfunc_end629:
	.size	_ZL34rocblas_gemvn_sm_mn_batched_kernelILi32ELi24E16rocblas_bfloat16ffEviiT2_lPKT1_lilS4_lilS1_lPT3_lili, .Lfunc_end629-_ZL34rocblas_gemvn_sm_mn_batched_kernelILi32ELi24E16rocblas_bfloat16ffEviiT2_lPKT1_lilS4_lilS1_lPT3_lili
                                        ; -- End function
	.set _ZL34rocblas_gemvn_sm_mn_batched_kernelILi32ELi24E16rocblas_bfloat16ffEviiT2_lPKT1_lilS4_lilS1_lPT3_lili.num_vgpr, 0
	.set _ZL34rocblas_gemvn_sm_mn_batched_kernelILi32ELi24E16rocblas_bfloat16ffEviiT2_lPKT1_lilS4_lilS1_lPT3_lili.num_agpr, 0
	.set _ZL34rocblas_gemvn_sm_mn_batched_kernelILi32ELi24E16rocblas_bfloat16ffEviiT2_lPKT1_lilS4_lilS1_lPT3_lili.numbered_sgpr, 0
	.set _ZL34rocblas_gemvn_sm_mn_batched_kernelILi32ELi24E16rocblas_bfloat16ffEviiT2_lPKT1_lilS4_lilS1_lPT3_lili.num_named_barrier, 0
	.set _ZL34rocblas_gemvn_sm_mn_batched_kernelILi32ELi24E16rocblas_bfloat16ffEviiT2_lPKT1_lilS4_lilS1_lPT3_lili.private_seg_size, 0
	.set _ZL34rocblas_gemvn_sm_mn_batched_kernelILi32ELi24E16rocblas_bfloat16ffEviiT2_lPKT1_lilS4_lilS1_lPT3_lili.uses_vcc, 0
	.set _ZL34rocblas_gemvn_sm_mn_batched_kernelILi32ELi24E16rocblas_bfloat16ffEviiT2_lPKT1_lilS4_lilS1_lPT3_lili.uses_flat_scratch, 0
	.set _ZL34rocblas_gemvn_sm_mn_batched_kernelILi32ELi24E16rocblas_bfloat16ffEviiT2_lPKT1_lilS4_lilS1_lPT3_lili.has_dyn_sized_stack, 0
	.set _ZL34rocblas_gemvn_sm_mn_batched_kernelILi32ELi24E16rocblas_bfloat16ffEviiT2_lPKT1_lilS4_lilS1_lPT3_lili.has_recursion, 0
	.set _ZL34rocblas_gemvn_sm_mn_batched_kernelILi32ELi24E16rocblas_bfloat16ffEviiT2_lPKT1_lilS4_lilS1_lPT3_lili.has_indirect_call, 0
	.section	.AMDGPU.csdata,"",@progbits
; Kernel info:
; codeLenInByte = 4
; TotalNumSgprs: 0
; NumVgprs: 0
; ScratchSize: 0
; MemoryBound: 0
; FloatMode: 240
; IeeeMode: 1
; LDSByteSize: 0 bytes/workgroup (compile time only)
; SGPRBlocks: 0
; VGPRBlocks: 0
; NumSGPRsForWavesPerEU: 1
; NumVGPRsForWavesPerEU: 1
; Occupancy: 16
; WaveLimiterHint : 0
; COMPUTE_PGM_RSRC2:SCRATCH_EN: 0
; COMPUTE_PGM_RSRC2:USER_SGPR: 2
; COMPUTE_PGM_RSRC2:TRAP_HANDLER: 0
; COMPUTE_PGM_RSRC2:TGID_X_EN: 1
; COMPUTE_PGM_RSRC2:TGID_Y_EN: 0
; COMPUTE_PGM_RSRC2:TGID_Z_EN: 0
; COMPUTE_PGM_RSRC2:TIDIG_COMP_CNT: 0
	.section	.text._ZL20rocblas_gemvn_kernelILi64ELi4Ei16rocblas_bfloat16PKffEviiT3_lPKT2_lT1_lS6_lS7_lS3_lPT4_lS7_li,"axG",@progbits,_ZL20rocblas_gemvn_kernelILi64ELi4Ei16rocblas_bfloat16PKffEviiT3_lPKT2_lT1_lS6_lS7_lS3_lPT4_lS7_li,comdat
	.globl	_ZL20rocblas_gemvn_kernelILi64ELi4Ei16rocblas_bfloat16PKffEviiT3_lPKT2_lT1_lS6_lS7_lS3_lPT4_lS7_li ; -- Begin function _ZL20rocblas_gemvn_kernelILi64ELi4Ei16rocblas_bfloat16PKffEviiT3_lPKT2_lT1_lS6_lS7_lS3_lPT4_lS7_li
	.p2align	8
	.type	_ZL20rocblas_gemvn_kernelILi64ELi4Ei16rocblas_bfloat16PKffEviiT3_lPKT2_lT1_lS6_lS7_lS3_lPT4_lS7_li,@function
_ZL20rocblas_gemvn_kernelILi64ELi4Ei16rocblas_bfloat16PKffEviiT3_lPKT2_lT1_lS6_lS7_lS3_lPT4_lS7_li: ; @_ZL20rocblas_gemvn_kernelILi64ELi4Ei16rocblas_bfloat16PKffEviiT3_lPKT2_lT1_lS6_lS7_lS3_lPT4_lS7_li
; %bb.0:
	s_load_b64 s[2:3], s[0:1], 0x9c
	s_wait_kmcnt 0x0
	s_lshr_b32 s4, s2, 16
	s_and_b32 s2, s2, 0xffff
	s_and_b32 s3, s3, 0xffff
	s_mul_i32 s2, s4, s2
	s_delay_alu instid0(SALU_CYCLE_1) | instskip(NEXT) | instid1(SALU_CYCLE_1)
	s_mul_i32 s2, s2, s3
	s_cmp_lg_u32 s2, 0x100
	s_cbranch_scc1 .LBB630_53
; %bb.1:
	s_load_b32 s31, s[0:1], 0x88
	s_lshr_b32 s34, ttmp7, 16
	s_wait_kmcnt 0x0
	s_cmp_ge_u32 s34, s31
	s_cbranch_scc1 .LBB630_53
; %bb.2:
	s_clause 0x3
	s_load_b96 s[4:6], s[0:1], 0x70
	s_load_b256 s[8:15], s[0:1], 0x8
	s_load_b96 s[28:30], s[0:1], 0x40
	s_load_b64 s[36:37], s[0:1], 0x0
	v_and_b32_e32 v9, 0x3ff, v0
	v_bfe_u32 v8, v0, 10, 10
	s_clause 0x2
	s_load_b32 s33, s[0:1], 0x28
	s_load_b128 s[24:27], s[0:1], 0x30
	s_load_b256 s[16:23], s[0:1], 0x50
	s_lshl_b32 s42, ttmp9, 8
	v_mov_b32_e32 v1, 0
	v_or_b32_e32 v19, s42, v9
	v_lshl_add_u32 v5, v8, 6, v9
	v_lshlrev_b32_e32 v20, 2, v8
	s_load_b64 s[38:39], s[0:1], 0x80
	s_mov_b32 s35, 0
	v_add_nc_u32_e32 v7, 0x80, v19
	v_add_nc_u32_e32 v0, s42, v5
	v_or_b32_e32 v11, s42, v5
	v_add_nc_u32_e32 v6, 64, v19
	v_add_nc_u32_e32 v10, 0xc0, v19
	v_or_b32_e32 v12, 3, v20
	s_wait_kmcnt 0x0
	v_mad_co_u64_u32 v[2:3], null, s6, v0, 0
	s_lshl_b64 s[2:3], s[14:15], 1
	s_ashr_i32 s1, s6, 31
	s_ashr_i32 s7, s37, 31
	s_add_nc_u64 s[12:13], s[12:13], s[2:3]
	v_cmp_gt_i32_e64 s3, s36, v7
	v_mul_lo_u32 v7, s33, v20
	s_lshl_b64 s[4:5], s[4:5], 2
	s_wait_alu 0xfffe
	s_lshr_b32 s2, s7, 28
	v_mad_co_u64_u32 v[3:4], null, s1, v0, v[3:4]
	v_mul_lo_u32 v4, s6, v11
	v_cmp_gt_i32_e64 s6, s36, v11
	v_mul_lo_u32 v11, v8, s33
	s_add_co_i32 s1, s37, s2
	s_add_nc_u64 s[22:23], s[22:23], s[4:5]
	v_cmp_gt_i32_e64 s2, s36, v6
	v_cmp_gt_i32_e64 s4, s36, v10
	v_lshlrev_b32_e32 v6, 2, v9
	v_or_b32_e32 v10, 2, v20
	v_mul_lo_u32 v13, v8, s30
	s_lshl_b64 s[14:15], s[28:29], 1
	s_ashr_i32 s29, s36, 31
	s_mov_b32 s28, s36
	s_wait_alu 0xfffe
	s_and_b32 s43, s1, -16
	s_add_nc_u64 s[14:15], s[26:27], s[14:15]
	v_cmp_gt_i64_e32 vcc_lo, s[28:29], v[0:1]
	v_lshl_add_u32 v0, v8, 10, v6
	v_lshl_add_u32 v21, v8, 8, v6
	v_add3_u32 v22, v7, s33, v9
	v_mad_co_u64_u32 v[6:7], null, s33, v10, v[9:10]
	s_mov_b32 s26, s30
	s_wait_alu 0xfffe
	s_sub_co_i32 s5, s37, s43
	v_mad_co_u64_u32 v[7:8], null, s33, v12, v[9:10]
	v_lshl_add_u32 v23, v11, 2, v9
	v_mad_co_u64_u32 v[8:9], null, s30, v20, s[26:27]
	v_mul_lo_u32 v24, s30, v10
	v_mul_lo_u32 v25, s30, v12
	s_cmp_gt_i32 s5, 0
	v_cmp_gt_u32_e64 s5, 0x100, v5
	v_lshlrev_b64_e32 v[9:10], 2, v[2:3]
	v_cmp_gt_i32_e64 s0, s36, v19
	v_cmp_gt_i32_e64 s1, s43, v20
	v_ashrrev_i32_e32 v5, 31, v4
	v_lshlrev_b32_e32 v26, 2, v13
	s_cselect_b32 s36, -1, 0
	s_and_b32 s44, s5, vcc_lo
	s_lshl_b32 s45, s33, 4
	s_lshl_b32 s46, s30, 4
	s_branch .LBB630_5
.LBB630_3:                              ;   in Loop: Header=BB630_5 Depth=1
	s_wait_alu 0xfffe
	s_or_b32 exec_lo, exec_lo, s7
.LBB630_4:                              ;   in Loop: Header=BB630_5 Depth=1
	s_add_co_i32 s34, s34, 0x10000
	s_delay_alu instid0(SALU_CYCLE_1)
	s_cmp_lt_u32 s34, s31
	s_cbranch_scc0 .LBB630_53
.LBB630_5:                              ; =>This Loop Header: Depth=1
                                        ;     Child Loop BB630_21 Depth 2
	s_mul_u64 s[26:27], s[10:11], s[34:35]
	s_mul_u64 s[28:29], s[20:21], s[34:35]
	s_wait_alu 0xfffe
	s_lshl_b64 s[26:27], s[26:27], 2
	s_lshl_b64 s[28:29], s[28:29], 2
	s_wait_alu 0xfffe
	s_add_nc_u64 s[26:27], s[8:9], s[26:27]
	s_add_nc_u64 s[28:29], s[18:19], s[28:29]
	s_clause 0x1
	global_load_b32 v27, v1, s[26:27]
	global_load_b32 v11, v1, s[28:29]
	s_wait_loadcnt 0x1
	v_cmp_eq_f32_e32 vcc_lo, 0, v27
	s_wait_loadcnt 0x0
	v_cmp_eq_f32_e64 s7, 1.0, v11
	v_readfirstlane_b32 s47, v11
	s_and_b32 s7, vcc_lo, s7
	s_wait_alu 0xfffe
	s_and_b32 vcc_lo, exec_lo, s7
	s_wait_alu 0xfffe
	s_cbranch_vccnz .LBB630_4
; %bb.6:                                ;   in Loop: Header=BB630_5 Depth=1
	v_cmp_neq_f32_e32 vcc_lo, 0, v27
	s_mul_u64 s[26:27], s[38:39], s[34:35]
	s_wait_alu 0xfffe
	s_lshl_b64 s[26:27], s[26:27], 2
	s_wait_alu 0xfffe
	s_add_nc_u64 s[26:27], s[22:23], s[26:27]
	s_cbranch_vccnz .LBB630_10
; %bb.7:                                ;   in Loop: Header=BB630_5 Depth=1
	s_mov_b32 s7, 0
	s_mov_b32 s48, 0
                                        ; implicit-def: $vgpr13
	s_and_saveexec_b32 s28, s44
	s_cbranch_execz .LBB630_11
; %bb.8:                                ;   in Loop: Header=BB630_5 Depth=1
	s_cmp_eq_f32 s47, 0
	s_cbranch_scc1 .LBB630_13
; %bb.9:                                ;   in Loop: Header=BB630_5 Depth=1
	s_wait_alu 0xfffe
	v_add_co_u32 v11, vcc_lo, s26, v9
	s_wait_alu 0xfffd
	v_add_co_ci_u32_e64 v12, null, s27, v10, vcc_lo
	global_load_b32 v11, v[11:12], off
	s_wait_loadcnt 0x0
	v_mul_f32_e32 v13, s47, v11
	s_branch .LBB630_14
.LBB630_10:                             ;   in Loop: Header=BB630_5 Depth=1
	s_mov_b32 s48, 0
                                        ; implicit-def: $vgpr13
	s_cbranch_execz .LBB630_12
	s_branch .LBB630_15
.LBB630_11:                             ;   in Loop: Header=BB630_5 Depth=1
	s_wait_alu 0xfffe
	s_or_b32 exec_lo, exec_lo, s28
	s_delay_alu instid0(SALU_CYCLE_1)
	s_and_b32 vcc_lo, exec_lo, s7
	s_wait_alu 0xfffe
	s_cbranch_vccnz .LBB630_15
.LBB630_12:                             ;   in Loop: Header=BB630_5 Depth=1
	v_dual_mov_b32 v12, v3 :: v_dual_mov_b32 v11, v2
	s_and_saveexec_b32 s7, s48
	s_cbranch_execz .LBB630_3
	s_branch .LBB630_52
.LBB630_13:                             ;   in Loop: Header=BB630_5 Depth=1
	v_mov_b32_e32 v13, 0
.LBB630_14:                             ;   in Loop: Header=BB630_5 Depth=1
	s_mov_b32 s48, exec_lo
	s_wait_alu 0xfffe
	s_or_b32 exec_lo, exec_lo, s28
	s_delay_alu instid0(SALU_CYCLE_1)
	s_and_b32 vcc_lo, exec_lo, s7
	s_wait_alu 0xfffe
	s_cbranch_vccz .LBB630_12
.LBB630_15:                             ;   in Loop: Header=BB630_5 Depth=1
	s_mul_u64 s[28:29], s[24:25], s[34:35]
	s_mul_u64 s[40:41], s[16:17], s[34:35]
	v_dual_mov_b32 v28, 0 :: v_dual_mov_b32 v29, 0
	v_dual_mov_b32 v32, v20 :: v_dual_mov_b32 v31, 0
	v_mov_b32_e32 v30, 0
	s_wait_alu 0xfffe
	s_lshl_b64 s[28:29], s[28:29], 1
	s_lshl_b64 s[40:41], s[40:41], 1
	s_wait_alu 0xfffe
	s_add_nc_u64 s[28:29], s[12:13], s[28:29]
	s_add_nc_u64 s[40:41], s[14:15], s[40:41]
	s_and_saveexec_b32 s7, s1
	s_cbranch_execz .LBB630_27
; %bb.16:                               ;   in Loop: Header=BB630_5 Depth=1
	v_dual_mov_b32 v28, 0 :: v_dual_mov_b32 v33, v23
	v_dual_mov_b32 v34, v7 :: v_dual_mov_b32 v35, v6
	;; [unrolled: 1-line block ×4, first 2 shown]
	v_mov_b32_e32 v30, 0
	s_mov_b32 s49, 0
	s_mov_b32 s50, 0
	s_branch .LBB630_21
.LBB630_17:                             ;   in Loop: Header=BB630_21 Depth=2
	s_or_b32 exec_lo, exec_lo, s54
	s_wait_loadcnt 0x3
	v_lshlrev_b32_e32 v11, 16, v52
	s_wait_loadcnt 0x2
	v_lshlrev_b32_e32 v12, 16, v51
	s_wait_loadcnt 0x1
	s_delay_alu instid0(VALU_DEP_2) | instskip(NEXT) | instid1(VALU_DEP_1)
	v_dual_fmac_f32 v30, v44, v11 :: v_dual_lshlrev_b32 v11, 16, v50
	v_fmac_f32_e32 v30, v40, v12
	s_wait_loadcnt 0x0
	s_delay_alu instid0(VALU_DEP_1) | instskip(NEXT) | instid1(VALU_DEP_1)
	v_dual_fmac_f32 v30, v42, v11 :: v_dual_lshlrev_b32 v11, 16, v49
	v_fmac_f32_e32 v30, v38, v11
.LBB630_18:                             ;   in Loop: Header=BB630_21 Depth=2
	s_or_b32 exec_lo, exec_lo, s53
	s_wait_loadcnt 0x3
	v_lshlrev_b32_e32 v11, 16, v48
	s_wait_loadcnt 0x2
	v_lshlrev_b32_e32 v12, 16, v47
	s_delay_alu instid0(VALU_DEP_2) | instskip(SKIP_2) | instid1(VALU_DEP_2)
	v_fmac_f32_e32 v29, v44, v11
	s_wait_loadcnt 0x1
	v_lshlrev_b32_e32 v11, 16, v46
	v_fmac_f32_e32 v29, v40, v12
	s_delay_alu instid0(VALU_DEP_1) | instskip(SKIP_2) | instid1(VALU_DEP_1)
	v_fmac_f32_e32 v29, v42, v11
	s_wait_loadcnt 0x0
	v_lshlrev_b32_e32 v11, 16, v45
	v_fmac_f32_e32 v29, v38, v11
.LBB630_19:                             ;   in Loop: Header=BB630_21 Depth=2
	s_or_b32 exec_lo, exec_lo, s52
	s_wait_loadcnt 0x2
	v_lshlrev_b32_e32 v12, 16, v41
	v_lshlrev_b32_e32 v11, 16, v43
	s_delay_alu instid0(VALU_DEP_1) | instskip(SKIP_1) | instid1(VALU_DEP_1)
	v_fmac_f32_e32 v28, v44, v11
	s_wait_loadcnt 0x1
	v_dual_fmac_f32 v28, v40, v12 :: v_dual_lshlrev_b32 v11, 16, v39
	s_wait_loadcnt 0x0
	s_delay_alu instid0(VALU_DEP_1) | instskip(NEXT) | instid1(VALU_DEP_1)
	v_dual_fmac_f32 v28, v42, v11 :: v_dual_lshlrev_b32 v11, 16, v37
	v_fmac_f32_e32 v28, v38, v11
.LBB630_20:                             ;   in Loop: Header=BB630_21 Depth=2
	s_wait_alu 0xfffe
	s_or_b32 exec_lo, exec_lo, s51
	v_add_nc_u32_e32 v32, 16, v32
	v_add_nc_u32_e32 v36, s45, v36
	;; [unrolled: 1-line block ×5, first 2 shown]
	v_cmp_le_i32_e32 vcc_lo, s43, v32
	s_add_co_i32 s50, s50, s46
	s_or_b32 s49, vcc_lo, s49
	s_delay_alu instid0(SALU_CYCLE_1)
	s_and_not1_b32 exec_lo, exec_lo, s49
	s_cbranch_execz .LBB630_26
.LBB630_21:                             ;   Parent Loop BB630_5 Depth=1
                                        ; =>  This Inner Loop Header: Depth=2
	s_and_saveexec_b32 s51, s0
	s_cbranch_execz .LBB630_20
; %bb.22:                               ;   in Loop: Header=BB630_21 Depth=2
	s_wait_alu 0xfffe
	v_add_nc_u32_e32 v11, s50, v26
	v_add_nc_u32_e32 v13, s50, v8
	;; [unrolled: 1-line block ×5, first 2 shown]
	v_ashrrev_i32_e32 v12, 31, v11
	v_ashrrev_i32_e32 v14, 31, v13
	;; [unrolled: 1-line block ×5, first 2 shown]
	v_lshlrev_b64_e32 v[11:12], 1, v[11:12]
	v_lshlrev_b64_e32 v[13:14], 1, v[13:14]
	v_lshlrev_b64_e32 v[15:16], 1, v[15:16]
	v_lshlrev_b64_e32 v[17:18], 1, v[17:18]
	v_add_nc_u32_e32 v39, s42, v36
	v_add_nc_u32_e32 v41, s42, v35
	v_add_co_u32 v11, vcc_lo, s40, v11
	s_wait_alu 0xfffd
	v_add_co_ci_u32_e64 v12, null, s41, v12, vcc_lo
	v_add_co_u32 v13, vcc_lo, s40, v13
	s_wait_alu 0xfffd
	v_add_co_ci_u32_e64 v14, null, s41, v14, vcc_lo
	;; [unrolled: 3-line block ×4, first 2 shown]
	v_lshlrev_b64_e32 v[37:38], 1, v[37:38]
	s_clause 0x3
	global_load_u16 v44, v[11:12], off
	global_load_u16 v45, v[13:14], off
	;; [unrolled: 1-line block ×4, first 2 shown]
	v_add_nc_u32_e32 v15, s42, v34
	v_ashrrev_i32_e32 v40, 31, v39
	v_ashrrev_i32_e32 v42, 31, v41
	v_add_co_u32 v11, vcc_lo, s28, v37
	s_delay_alu instid0(VALU_DEP_4) | instskip(NEXT) | instid1(VALU_DEP_4)
	v_ashrrev_i32_e32 v16, 31, v15
	v_lshlrev_b64_e32 v[13:14], 1, v[39:40]
	s_wait_alu 0xfffd
	v_add_co_ci_u32_e64 v12, null, s29, v38, vcc_lo
	v_lshlrev_b64_e32 v[37:38], 1, v[41:42]
	v_lshlrev_b64_e32 v[15:16], 1, v[15:16]
	s_delay_alu instid0(VALU_DEP_4) | instskip(SKIP_2) | instid1(VALU_DEP_4)
	v_add_co_u32 v17, vcc_lo, s28, v13
	s_wait_alu 0xfffd
	v_add_co_ci_u32_e64 v18, null, s29, v14, vcc_lo
	v_add_co_u32 v13, vcc_lo, s28, v37
	s_wait_alu 0xfffd
	v_add_co_ci_u32_e64 v14, null, s29, v38, vcc_lo
	;; [unrolled: 3-line block ×3, first 2 shown]
	s_clause 0x3
	global_load_u16 v43, v[11:12], off
	global_load_u16 v41, v[17:18], off
	;; [unrolled: 1-line block ×4, first 2 shown]
	s_wait_loadcnt 0x7
	v_lshlrev_b32_e32 v44, 16, v44
	s_wait_loadcnt 0x6
	v_lshlrev_b32_e32 v40, 16, v45
	;; [unrolled: 2-line block ×4, first 2 shown]
	s_and_saveexec_b32 s52, s2
	s_cbranch_execz .LBB630_19
; %bb.23:                               ;   in Loop: Header=BB630_21 Depth=2
	s_clause 0x3
	global_load_u16 v48, v[11:12], off offset:128
	global_load_u16 v47, v[17:18], off offset:128
	global_load_u16 v46, v[13:14], off offset:128
	global_load_u16 v45, v[15:16], off offset:128
	s_and_saveexec_b32 s53, s3
	s_cbranch_execz .LBB630_18
; %bb.24:                               ;   in Loop: Header=BB630_21 Depth=2
	s_clause 0x3
	global_load_u16 v52, v[11:12], off offset:256
	global_load_u16 v51, v[17:18], off offset:256
	global_load_u16 v50, v[13:14], off offset:256
	global_load_u16 v49, v[15:16], off offset:256
	;; [unrolled: 8-line block ×3, first 2 shown]
	s_wait_loadcnt 0x3
	v_lshlrev_b32_e32 v11, 16, v11
	s_wait_loadcnt 0x2
	s_delay_alu instid0(VALU_DEP_1) | instskip(SKIP_3) | instid1(VALU_DEP_2)
	v_dual_fmac_f32 v31, v44, v11 :: v_dual_lshlrev_b32 v12, 16, v12
	s_wait_loadcnt 0x1
	v_lshlrev_b32_e32 v11, 16, v13
	s_wait_loadcnt 0x0
	v_dual_fmac_f32 v31, v40, v12 :: v_dual_lshlrev_b32 v12, 16, v14
	s_delay_alu instid0(VALU_DEP_1) | instskip(NEXT) | instid1(VALU_DEP_1)
	v_fmac_f32_e32 v31, v42, v11
	v_fmac_f32_e32 v31, v38, v12
	s_branch .LBB630_17
.LBB630_26:                             ;   in Loop: Header=BB630_5 Depth=1
	s_or_b32 exec_lo, exec_lo, s49
.LBB630_27:                             ;   in Loop: Header=BB630_5 Depth=1
	s_wait_alu 0xfffe
	s_or_b32 exec_lo, exec_lo, s7
	s_delay_alu instid0(SALU_CYCLE_1)
	s_and_not1_b32 vcc_lo, exec_lo, s36
	s_wait_alu 0xfffe
	s_cbranch_vccnz .LBB630_45
; %bb.28:                               ;   in Loop: Header=BB630_5 Depth=1
	v_cmp_gt_i32_e32 vcc_lo, s37, v32
	v_dual_mov_b32 v34, 0 :: v_dual_mov_b32 v33, 0
	v_or_b32_e32 v11, 1, v32
	v_dual_mov_b32 v36, 0 :: v_dual_mov_b32 v35, 0
	s_and_saveexec_b32 s49, vcc_lo
	s_cbranch_execz .LBB630_36
; %bb.29:                               ;   in Loop: Header=BB630_5 Depth=1
	v_mul_lo_u32 v12, v32, s30
	v_dual_mov_b32 v35, 0 :: v_dual_mov_b32 v34, 0
	v_mov_b32_e32 v33, 0
	s_mov_b32 s50, exec_lo
	s_delay_alu instid0(VALU_DEP_3) | instskip(NEXT) | instid1(VALU_DEP_1)
	v_ashrrev_i32_e32 v13, 31, v12
	v_lshlrev_b64_e32 v[12:13], 1, v[12:13]
	s_delay_alu instid0(VALU_DEP_1) | instskip(SKIP_1) | instid1(VALU_DEP_2)
	v_add_co_u32 v12, s7, s40, v12
	s_wait_alu 0xf1ff
	v_add_co_ci_u32_e64 v13, null, s41, v13, s7
	global_load_u16 v12, v[12:13], off
	v_cmpx_gt_i32_e64 s37, v11
	s_cbranch_execz .LBB630_35
; %bb.30:                               ;   in Loop: Header=BB630_5 Depth=1
	v_mul_lo_u32 v13, v11, s30
	v_dual_mov_b32 v33, 0 :: v_dual_mov_b32 v34, 0
	s_mov_b32 s51, exec_lo
	s_delay_alu instid0(VALU_DEP_2) | instskip(NEXT) | instid1(VALU_DEP_1)
	v_ashrrev_i32_e32 v14, 31, v13
	v_lshlrev_b64_e32 v[13:14], 1, v[13:14]
	s_delay_alu instid0(VALU_DEP_1) | instskip(SKIP_1) | instid1(VALU_DEP_2)
	v_add_co_u32 v13, s7, s40, v13
	s_wait_alu 0xf1ff
	v_add_co_ci_u32_e64 v14, null, s41, v14, s7
	global_load_u16 v13, v[13:14], off
	v_or_b32_e32 v14, 2, v32
	s_delay_alu instid0(VALU_DEP_1)
	v_cmpx_gt_i32_e64 s37, v14
	s_cbranch_execz .LBB630_34
; %bb.31:                               ;   in Loop: Header=BB630_5 Depth=1
	v_mul_lo_u32 v14, v14, s30
	v_mov_b32_e32 v33, 0
	s_mov_b32 s52, exec_lo
	s_delay_alu instid0(VALU_DEP_2) | instskip(NEXT) | instid1(VALU_DEP_1)
	v_ashrrev_i32_e32 v15, 31, v14
	v_lshlrev_b64_e32 v[14:15], 1, v[14:15]
	s_delay_alu instid0(VALU_DEP_1) | instskip(SKIP_1) | instid1(VALU_DEP_2)
	v_add_co_u32 v14, s7, s40, v14
	s_wait_alu 0xf1ff
	v_add_co_ci_u32_e64 v15, null, s41, v15, s7
	global_load_u16 v14, v[14:15], off
	v_or_b32_e32 v15, 3, v32
	s_delay_alu instid0(VALU_DEP_1)
	v_cmpx_gt_i32_e64 s37, v15
	s_cbranch_execz .LBB630_33
; %bb.32:                               ;   in Loop: Header=BB630_5 Depth=1
	v_mul_lo_u32 v15, v15, s30
	s_delay_alu instid0(VALU_DEP_1) | instskip(NEXT) | instid1(VALU_DEP_1)
	v_ashrrev_i32_e32 v16, 31, v15
	v_lshlrev_b64_e32 v[15:16], 1, v[15:16]
	s_delay_alu instid0(VALU_DEP_1) | instskip(SKIP_1) | instid1(VALU_DEP_2)
	v_add_co_u32 v15, s7, s40, v15
	s_wait_alu 0xf1ff
	v_add_co_ci_u32_e64 v16, null, s41, v16, s7
	global_load_u16 v15, v[15:16], off
	s_wait_loadcnt 0x0
	v_lshlrev_b32_e32 v33, 16, v15
.LBB630_33:                             ;   in Loop: Header=BB630_5 Depth=1
	s_or_b32 exec_lo, exec_lo, s52
	s_wait_loadcnt 0x0
	v_lshlrev_b32_e32 v34, 16, v14
.LBB630_34:                             ;   in Loop: Header=BB630_5 Depth=1
	s_wait_alu 0xfffe
	s_or_b32 exec_lo, exec_lo, s51
	s_wait_loadcnt 0x0
	v_lshlrev_b32_e32 v35, 16, v13
.LBB630_35:                             ;   in Loop: Header=BB630_5 Depth=1
	s_wait_alu 0xfffe
	s_or_b32 exec_lo, exec_lo, s50
	s_wait_loadcnt 0x0
	v_lshlrev_b32_e32 v36, 16, v12
.LBB630_36:                             ;   in Loop: Header=BB630_5 Depth=1
	s_or_b32 exec_lo, exec_lo, s49
	s_and_saveexec_b32 s7, s0
	s_cbranch_execz .LBB630_44
; %bb.37:                               ;   in Loop: Header=BB630_5 Depth=1
	v_mul_lo_u32 v13, v32, s33
	v_or_b32_e32 v12, 2, v32
	v_mul_lo_u32 v15, v11, s33
	v_or_b32_e32 v14, 3, v32
	s_delay_alu instid0(VALU_DEP_3) | instskip(NEXT) | instid1(VALU_DEP_2)
	v_mul_lo_u32 v16, v12, s33
	v_mul_lo_u32 v17, v14, s33
	v_cndmask_b32_e32 v13, 0, v13, vcc_lo
	v_cmp_gt_i32_e32 vcc_lo, s37, v11
	s_wait_alu 0xfffd
	v_cndmask_b32_e32 v15, 0, v15, vcc_lo
	v_cmp_gt_i32_e32 vcc_lo, s37, v12
	s_wait_alu 0xfffd
	;; [unrolled: 3-line block ×3, first 2 shown]
	v_dual_cndmask_b32 v14, 0, v17 :: v_dual_add_nc_u32 v11, v13, v19
	v_add_nc_u32_e32 v13, v15, v19
	v_add_nc_u32_e32 v15, v12, v19
	s_delay_alu instid0(VALU_DEP_3) | instskip(NEXT) | instid1(VALU_DEP_4)
	v_ashrrev_i32_e32 v12, 31, v11
	v_add_nc_u32_e32 v17, v14, v19
	s_delay_alu instid0(VALU_DEP_4) | instskip(NEXT) | instid1(VALU_DEP_4)
	v_ashrrev_i32_e32 v14, 31, v13
	v_ashrrev_i32_e32 v16, 31, v15
	s_delay_alu instid0(VALU_DEP_4) | instskip(NEXT) | instid1(VALU_DEP_4)
	v_lshlrev_b64_e32 v[11:12], 1, v[11:12]
	v_ashrrev_i32_e32 v18, 31, v17
	s_delay_alu instid0(VALU_DEP_4) | instskip(NEXT) | instid1(VALU_DEP_4)
	v_lshlrev_b64_e32 v[13:14], 1, v[13:14]
	v_lshlrev_b64_e32 v[37:38], 1, v[15:16]
	s_delay_alu instid0(VALU_DEP_4) | instskip(NEXT) | instid1(VALU_DEP_4)
	v_add_co_u32 v15, vcc_lo, s28, v11
	v_lshlrev_b64_e32 v[39:40], 1, v[17:18]
	s_wait_alu 0xfffd
	v_add_co_ci_u32_e64 v16, null, s29, v12, vcc_lo
	v_add_co_u32 v17, vcc_lo, s28, v13
	s_wait_alu 0xfffd
	v_add_co_ci_u32_e64 v18, null, s29, v14, vcc_lo
	v_add_co_u32 v11, vcc_lo, s28, v37
	;; [unrolled: 3-line block ×3, first 2 shown]
	s_wait_alu 0xfffd
	v_add_co_ci_u32_e64 v14, null, s29, v40, vcc_lo
	s_clause 0x3
	global_load_u16 v39, v[15:16], off
	global_load_u16 v38, v[17:18], off
	global_load_u16 v37, v[11:12], off
	global_load_u16 v32, v[13:14], off
	s_and_saveexec_b32 s28, s2
	s_cbranch_execz .LBB630_43
; %bb.38:                               ;   in Loop: Header=BB630_5 Depth=1
	s_clause 0x3
	global_load_u16 v43, v[15:16], off offset:128
	global_load_u16 v42, v[17:18], off offset:128
	global_load_u16 v41, v[11:12], off offset:128
	global_load_u16 v40, v[13:14], off offset:128
	s_and_saveexec_b32 s29, s3
	s_cbranch_execz .LBB630_42
; %bb.39:                               ;   in Loop: Header=BB630_5 Depth=1
	s_clause 0x3
	global_load_u16 v47, v[15:16], off offset:256
	global_load_u16 v46, v[17:18], off offset:256
	global_load_u16 v45, v[11:12], off offset:256
	global_load_u16 v44, v[13:14], off offset:256
	;; [unrolled: 8-line block ×3, first 2 shown]
	s_wait_loadcnt 0x3
	v_lshlrev_b32_e32 v13, 16, v15
	s_wait_loadcnt 0x2
	v_lshlrev_b32_e32 v14, 16, v16
	;; [unrolled: 2-line block ×3, first 2 shown]
	s_wait_loadcnt 0x0
	v_dual_fmac_f32 v31, v36, v13 :: v_dual_lshlrev_b32 v12, 16, v12
	s_delay_alu instid0(VALU_DEP_1) | instskip(NEXT) | instid1(VALU_DEP_1)
	v_fmac_f32_e32 v31, v35, v14
	v_fmac_f32_e32 v31, v34, v11
	s_delay_alu instid0(VALU_DEP_1)
	v_fmac_f32_e32 v31, v33, v12
.LBB630_41:                             ;   in Loop: Header=BB630_5 Depth=1
	s_wait_alu 0xfffe
	s_or_b32 exec_lo, exec_lo, s40
	s_wait_loadcnt 0x2
	v_lshlrev_b32_e32 v12, 16, v46
	v_lshlrev_b32_e32 v11, 16, v47
	s_wait_loadcnt 0x1
	s_delay_alu instid0(VALU_DEP_1) | instskip(NEXT) | instid1(VALU_DEP_1)
	v_dual_fmac_f32 v30, v36, v11 :: v_dual_lshlrev_b32 v11, 16, v45
	v_fmac_f32_e32 v30, v35, v12
	s_wait_loadcnt 0x0
	s_delay_alu instid0(VALU_DEP_1) | instskip(NEXT) | instid1(VALU_DEP_1)
	v_dual_fmac_f32 v30, v34, v11 :: v_dual_lshlrev_b32 v11, 16, v44
	v_fmac_f32_e32 v30, v33, v11
.LBB630_42:                             ;   in Loop: Header=BB630_5 Depth=1
	s_wait_alu 0xfffe
	s_or_b32 exec_lo, exec_lo, s29
	s_wait_loadcnt 0x3
	v_lshlrev_b32_e32 v11, 16, v43
	s_wait_loadcnt 0x2
	s_delay_alu instid0(VALU_DEP_1) | instskip(SKIP_2) | instid1(VALU_DEP_2)
	v_dual_fmac_f32 v29, v36, v11 :: v_dual_lshlrev_b32 v12, 16, v42
	s_wait_loadcnt 0x1
	v_lshlrev_b32_e32 v11, 16, v41
	v_fmac_f32_e32 v29, v35, v12
	s_delay_alu instid0(VALU_DEP_1) | instskip(SKIP_2) | instid1(VALU_DEP_1)
	v_fmac_f32_e32 v29, v34, v11
	s_wait_loadcnt 0x0
	v_lshlrev_b32_e32 v11, 16, v40
	v_fmac_f32_e32 v29, v33, v11
.LBB630_43:                             ;   in Loop: Header=BB630_5 Depth=1
	s_wait_alu 0xfffe
	s_or_b32 exec_lo, exec_lo, s28
	s_wait_loadcnt 0x2
	v_lshlrev_b32_e32 v12, 16, v38
	v_lshlrev_b32_e32 v11, 16, v39
	s_wait_loadcnt 0x1
	s_delay_alu instid0(VALU_DEP_1) | instskip(NEXT) | instid1(VALU_DEP_1)
	v_dual_fmac_f32 v28, v36, v11 :: v_dual_lshlrev_b32 v11, 16, v37
	v_fmac_f32_e32 v28, v35, v12
	s_wait_loadcnt 0x0
	s_delay_alu instid0(VALU_DEP_1) | instskip(NEXT) | instid1(VALU_DEP_1)
	v_dual_fmac_f32 v28, v34, v11 :: v_dual_lshlrev_b32 v11, 16, v32
	v_fmac_f32_e32 v28, v33, v11
.LBB630_44:                             ;   in Loop: Header=BB630_5 Depth=1
	s_wait_alu 0xfffe
	s_or_b32 exec_lo, exec_lo, s7
.LBB630_45:                             ;   in Loop: Header=BB630_5 Depth=1
	ds_store_2addr_stride64_b32 v0, v28, v29 offset1:1
	ds_store_2addr_stride64_b32 v0, v30, v31 offset0:2 offset1:3
	s_wait_dscnt 0x0
	s_barrier_signal -1
	s_barrier_wait -1
	global_inv scope:SCOPE_SE
                                        ; implicit-def: $vgpr13
	s_and_saveexec_b32 s7, s5
	s_cbranch_execz .LBB630_51
; %bb.46:                               ;   in Loop: Header=BB630_5 Depth=1
	ds_load_2addr_stride64_b32 v[11:12], v21 offset1:4
	ds_load_2addr_stride64_b32 v[13:14], v21 offset0:8 offset1:12
	s_mov_b32 s29, s48
	s_wait_dscnt 0x1
	v_add_f32_e32 v11, v11, v12
	s_wait_dscnt 0x0
	s_delay_alu instid0(VALU_DEP_1) | instskip(NEXT) | instid1(VALU_DEP_1)
	v_add_f32_e32 v11, v13, v11
                                        ; implicit-def: $vgpr13
	v_add_f32_e32 v11, v14, v11
	ds_store_b32 v21, v11
	s_and_saveexec_b32 s28, s6
	s_cbranch_execz .LBB630_50
; %bb.47:                               ;   in Loop: Header=BB630_5 Depth=1
	v_mul_f32_e32 v13, v27, v11
	s_cmp_eq_f32 s47, 0
	s_cbranch_scc1 .LBB630_49
; %bb.48:                               ;   in Loop: Header=BB630_5 Depth=1
	v_lshlrev_b64_e32 v[11:12], 2, v[4:5]
	s_delay_alu instid0(VALU_DEP_1) | instskip(SKIP_1) | instid1(VALU_DEP_2)
	v_add_co_u32 v11, vcc_lo, s26, v11
	s_wait_alu 0xfffd
	v_add_co_ci_u32_e64 v12, null, s27, v12, vcc_lo
	global_load_b32 v11, v[11:12], off
	s_wait_loadcnt 0x0
	v_fmac_f32_e32 v13, s47, v11
.LBB630_49:                             ;   in Loop: Header=BB630_5 Depth=1
	s_or_b32 s29, s48, exec_lo
.LBB630_50:                             ;   in Loop: Header=BB630_5 Depth=1
	s_wait_alu 0xfffe
	s_or_b32 exec_lo, exec_lo, s28
	s_delay_alu instid0(SALU_CYCLE_1)
	s_and_not1_b32 s28, s48, exec_lo
	s_and_b32 s29, s29, exec_lo
	s_wait_alu 0xfffe
	s_or_b32 s48, s28, s29
.LBB630_51:                             ;   in Loop: Header=BB630_5 Depth=1
	s_wait_alu 0xfffe
	s_or_b32 exec_lo, exec_lo, s7
	v_dual_mov_b32 v12, v5 :: v_dual_mov_b32 v11, v4
	s_and_saveexec_b32 s7, s48
	s_cbranch_execz .LBB630_3
.LBB630_52:                             ;   in Loop: Header=BB630_5 Depth=1
	s_delay_alu instid0(VALU_DEP_1) | instskip(SKIP_1) | instid1(VALU_DEP_1)
	v_lshlrev_b64_e32 v[11:12], 2, v[11:12]
	s_wait_alu 0xfffe
	v_add_co_u32 v11, vcc_lo, s26, v11
	s_wait_alu 0xfffd
	s_delay_alu instid0(VALU_DEP_2)
	v_add_co_ci_u32_e64 v12, null, s27, v12, vcc_lo
	global_store_b32 v[11:12], v13, off
	s_branch .LBB630_3
.LBB630_53:
	s_endpgm
	.section	.rodata,"a",@progbits
	.p2align	6, 0x0
	.amdhsa_kernel _ZL20rocblas_gemvn_kernelILi64ELi4Ei16rocblas_bfloat16PKffEviiT3_lPKT2_lT1_lS6_lS7_lS3_lPT4_lS7_li
		.amdhsa_group_segment_fixed_size 4096
		.amdhsa_private_segment_fixed_size 0
		.amdhsa_kernarg_size 400
		.amdhsa_user_sgpr_count 2
		.amdhsa_user_sgpr_dispatch_ptr 0
		.amdhsa_user_sgpr_queue_ptr 0
		.amdhsa_user_sgpr_kernarg_segment_ptr 1
		.amdhsa_user_sgpr_dispatch_id 0
		.amdhsa_user_sgpr_private_segment_size 0
		.amdhsa_wavefront_size32 1
		.amdhsa_uses_dynamic_stack 0
		.amdhsa_enable_private_segment 0
		.amdhsa_system_sgpr_workgroup_id_x 1
		.amdhsa_system_sgpr_workgroup_id_y 0
		.amdhsa_system_sgpr_workgroup_id_z 1
		.amdhsa_system_sgpr_workgroup_info 0
		.amdhsa_system_vgpr_workitem_id 1
		.amdhsa_next_free_vgpr 53
		.amdhsa_next_free_sgpr 55
		.amdhsa_reserve_vcc 1
		.amdhsa_float_round_mode_32 0
		.amdhsa_float_round_mode_16_64 0
		.amdhsa_float_denorm_mode_32 3
		.amdhsa_float_denorm_mode_16_64 3
		.amdhsa_fp16_overflow 0
		.amdhsa_workgroup_processor_mode 1
		.amdhsa_memory_ordered 1
		.amdhsa_forward_progress 1
		.amdhsa_inst_pref_size 26
		.amdhsa_round_robin_scheduling 0
		.amdhsa_exception_fp_ieee_invalid_op 0
		.amdhsa_exception_fp_denorm_src 0
		.amdhsa_exception_fp_ieee_div_zero 0
		.amdhsa_exception_fp_ieee_overflow 0
		.amdhsa_exception_fp_ieee_underflow 0
		.amdhsa_exception_fp_ieee_inexact 0
		.amdhsa_exception_int_div_zero 0
	.end_amdhsa_kernel
	.section	.text._ZL20rocblas_gemvn_kernelILi64ELi4Ei16rocblas_bfloat16PKffEviiT3_lPKT2_lT1_lS6_lS7_lS3_lPT4_lS7_li,"axG",@progbits,_ZL20rocblas_gemvn_kernelILi64ELi4Ei16rocblas_bfloat16PKffEviiT3_lPKT2_lT1_lS6_lS7_lS3_lPT4_lS7_li,comdat
.Lfunc_end630:
	.size	_ZL20rocblas_gemvn_kernelILi64ELi4Ei16rocblas_bfloat16PKffEviiT3_lPKT2_lT1_lS6_lS7_lS3_lPT4_lS7_li, .Lfunc_end630-_ZL20rocblas_gemvn_kernelILi64ELi4Ei16rocblas_bfloat16PKffEviiT3_lPKT2_lT1_lS6_lS7_lS3_lPT4_lS7_li
                                        ; -- End function
	.set _ZL20rocblas_gemvn_kernelILi64ELi4Ei16rocblas_bfloat16PKffEviiT3_lPKT2_lT1_lS6_lS7_lS3_lPT4_lS7_li.num_vgpr, 53
	.set _ZL20rocblas_gemvn_kernelILi64ELi4Ei16rocblas_bfloat16PKffEviiT3_lPKT2_lT1_lS6_lS7_lS3_lPT4_lS7_li.num_agpr, 0
	.set _ZL20rocblas_gemvn_kernelILi64ELi4Ei16rocblas_bfloat16PKffEviiT3_lPKT2_lT1_lS6_lS7_lS3_lPT4_lS7_li.numbered_sgpr, 55
	.set _ZL20rocblas_gemvn_kernelILi64ELi4Ei16rocblas_bfloat16PKffEviiT3_lPKT2_lT1_lS6_lS7_lS3_lPT4_lS7_li.num_named_barrier, 0
	.set _ZL20rocblas_gemvn_kernelILi64ELi4Ei16rocblas_bfloat16PKffEviiT3_lPKT2_lT1_lS6_lS7_lS3_lPT4_lS7_li.private_seg_size, 0
	.set _ZL20rocblas_gemvn_kernelILi64ELi4Ei16rocblas_bfloat16PKffEviiT3_lPKT2_lT1_lS6_lS7_lS3_lPT4_lS7_li.uses_vcc, 1
	.set _ZL20rocblas_gemvn_kernelILi64ELi4Ei16rocblas_bfloat16PKffEviiT3_lPKT2_lT1_lS6_lS7_lS3_lPT4_lS7_li.uses_flat_scratch, 0
	.set _ZL20rocblas_gemvn_kernelILi64ELi4Ei16rocblas_bfloat16PKffEviiT3_lPKT2_lT1_lS6_lS7_lS3_lPT4_lS7_li.has_dyn_sized_stack, 0
	.set _ZL20rocblas_gemvn_kernelILi64ELi4Ei16rocblas_bfloat16PKffEviiT3_lPKT2_lT1_lS6_lS7_lS3_lPT4_lS7_li.has_recursion, 0
	.set _ZL20rocblas_gemvn_kernelILi64ELi4Ei16rocblas_bfloat16PKffEviiT3_lPKT2_lT1_lS6_lS7_lS3_lPT4_lS7_li.has_indirect_call, 0
	.section	.AMDGPU.csdata,"",@progbits
; Kernel info:
; codeLenInByte = 3268
; TotalNumSgprs: 57
; NumVgprs: 53
; ScratchSize: 0
; MemoryBound: 0
; FloatMode: 240
; IeeeMode: 1
; LDSByteSize: 4096 bytes/workgroup (compile time only)
; SGPRBlocks: 0
; VGPRBlocks: 6
; NumSGPRsForWavesPerEU: 57
; NumVGPRsForWavesPerEU: 53
; Occupancy: 16
; WaveLimiterHint : 1
; COMPUTE_PGM_RSRC2:SCRATCH_EN: 0
; COMPUTE_PGM_RSRC2:USER_SGPR: 2
; COMPUTE_PGM_RSRC2:TRAP_HANDLER: 0
; COMPUTE_PGM_RSRC2:TGID_X_EN: 1
; COMPUTE_PGM_RSRC2:TGID_Y_EN: 0
; COMPUTE_PGM_RSRC2:TGID_Z_EN: 1
; COMPUTE_PGM_RSRC2:TIDIG_COMP_CNT: 1
	.section	.text._ZL20rocblas_gemvn_kernelILi64ELi4El16rocblas_bfloat16PKffEviiT3_lPKT2_lT1_lS6_lS7_lS3_lPT4_lS7_li,"axG",@progbits,_ZL20rocblas_gemvn_kernelILi64ELi4El16rocblas_bfloat16PKffEviiT3_lPKT2_lT1_lS6_lS7_lS3_lPT4_lS7_li,comdat
	.globl	_ZL20rocblas_gemvn_kernelILi64ELi4El16rocblas_bfloat16PKffEviiT3_lPKT2_lT1_lS6_lS7_lS3_lPT4_lS7_li ; -- Begin function _ZL20rocblas_gemvn_kernelILi64ELi4El16rocblas_bfloat16PKffEviiT3_lPKT2_lT1_lS6_lS7_lS3_lPT4_lS7_li
	.p2align	8
	.type	_ZL20rocblas_gemvn_kernelILi64ELi4El16rocblas_bfloat16PKffEviiT3_lPKT2_lT1_lS6_lS7_lS3_lPT4_lS7_li,@function
_ZL20rocblas_gemvn_kernelILi64ELi4El16rocblas_bfloat16PKffEviiT3_lPKT2_lT1_lS6_lS7_lS3_lPT4_lS7_li: ; @_ZL20rocblas_gemvn_kernelILi64ELi4El16rocblas_bfloat16PKffEviiT3_lPKT2_lT1_lS6_lS7_lS3_lPT4_lS7_li
; %bb.0:
	s_load_b64 s[2:3], s[0:1], 0x9c
	s_wait_kmcnt 0x0
	s_lshr_b32 s4, s2, 16
	s_and_b32 s2, s2, 0xffff
	s_and_b32 s3, s3, 0xffff
	s_mul_i32 s2, s4, s2
	s_delay_alu instid0(SALU_CYCLE_1) | instskip(NEXT) | instid1(SALU_CYCLE_1)
	s_mul_i32 s2, s2, s3
	s_cmp_lg_u32 s2, 0x100
	s_cbranch_scc1 .LBB631_53
; %bb.1:
	s_load_b32 s33, s[0:1], 0x88
	s_lshr_b32 s10, ttmp7, 16
	s_wait_kmcnt 0x0
	s_cmp_ge_u32 s10, s33
	s_cbranch_scc1 .LBB631_53
; %bb.2:
	s_clause 0x2
	s_load_b512 s[12:27], s[0:1], 0x8
	s_load_b512 s[36:51], s[0:1], 0x48
	s_load_b64 s[8:9], s[0:1], 0x0
	v_and_b32_e32 v5, 0x3ff, v0
	v_bfe_u32 v17, v0, 10, 10
	s_lshl_b32 s34, ttmp9, 8
	v_mov_b32_e32 v1, 0
	s_mov_b32 s11, 0
	v_or_b32_e32 v6, s34, v5
	v_lshlrev_b32_e32 v18, 2, v17
	v_lshl_add_u32 v10, v17, 6, v5
	s_delay_alu instid0(VALU_DEP_3) | instskip(SKIP_1) | instid1(VALU_DEP_4)
	v_add_nc_u32_e32 v8, 0x80, v6
	v_add_nc_u32_e32 v9, 0xc0, v6
	v_or_b32_e32 v20, 3, v18
	s_delay_alu instid0(VALU_DEP_4)
	v_add_nc_u32_e32 v0, s34, v10
	v_or_b32_e32 v21, s34, v10
	v_or_b32_e32 v24, 2, v18
	v_ashrrev_i32_e32 v7, 31, v6
	s_wait_kmcnt 0x0
	s_lshl_b64 s[4:5], s[18:19], 1
	s_lshl_b64 s[18:19], s[26:27], 1
	s_ashr_i32 s28, s9, 31
	s_add_nc_u64 s[16:17], s[16:17], s[4:5]
	s_lshr_b32 s4, s28, 28
	s_lshl_b64 s[6:7], s[46:47], 2
	s_add_co_i32 s4, s9, s4
	s_ashr_i32 s31, s8, 31
	s_and_b32 s52, s4, -16
	v_cmp_gt_i32_e64 s2, s8, v8
	s_sub_co_i32 s5, s9, s52
	v_cmp_gt_i32_e64 s3, s8, v9
	s_cmp_gt_i32 s5, 0
	v_mad_co_u64_u32 v[8:9], null, s36, v17, 0
	v_cmp_gt_u32_e64 s5, 0x100, v10
	v_mad_co_u64_u32 v[10:11], null, s20, v20, 0
	s_mov_b32 s30, s8
	s_add_nc_u64 s[28:29], s[44:45], s[6:7]
	s_cselect_b32 s53, -1, 0
	v_mul_lo_u32 v22, s49, v21
	s_ashr_i32 s6, s34, 31
	v_mad_co_u64_u32 v[28:29], null, s36, v24, 0
	v_mad_co_u64_u32 v[12:13], null, s37, v17, v[9:10]
	v_mov_b32_e32 v9, v11
	v_mad_co_u64_u32 v[13:14], null, s36, v20, 0
	v_mad_co_u64_u32 v[2:3], null, s48, v0, 0
	s_delay_alu instid0(VALU_DEP_3) | instskip(SKIP_1) | instid1(VALU_DEP_4)
	v_mad_co_u64_u32 v[15:16], null, s21, v20, v[9:10]
	v_dual_mov_b32 v9, v12 :: v_dual_add_nc_u32 v4, 64, v6
	v_mov_b32_e32 v12, v14
	v_cmp_gt_i64_e32 vcc_lo, s[30:31], v[0:1]
	s_mul_i32 s7, s48, s6
	s_delay_alu instid0(VALU_DEP_3)
	v_cmp_gt_i32_e64 s1, s8, v4
	v_mad_co_u64_u32 v[3:4], null, s49, v0, v[3:4]
	v_lshlrev_b64_e32 v[8:9], 3, v[8:9]
	v_dual_mov_b32 v11, v15 :: v_dual_lshlrev_b32 v4, 2, v5
	v_mad_co_u64_u32 v[14:15], null, s37, v20, v[12:13]
	v_mad_co_u64_u32 v[15:16], null, s20, v17, 0
	s_delay_alu instid0(VALU_DEP_3)
	v_lshl_add_u32 v0, v17, 10, v4
	v_lshl_add_u32 v19, v17, 8, v4
	v_mad_co_u64_u32 v[4:5], null, s48, v21, 0
	s_and_b32 s54, s5, vcc_lo
	v_add_co_u32 v20, vcc_lo, s24, v8
	v_cmp_gt_i32_e64 s6, s8, v21
	v_add_co_ci_u32_e64 v21, null, s25, v9, vcc_lo
	v_lshlrev_b64_e32 v[8:9], 1, v[10:11]
	v_mad_co_u64_u32 v[11:12], null, s20, v24, 0
	v_mov_b32_e32 v10, v16
	v_add3_u32 v5, v5, s7, v22
	v_mad_co_u64_u32 v[30:31], null, s36, v18, s[36:37]
	v_add_co_u32 v22, vcc_lo, s16, v8
	s_delay_alu instid0(VALU_DEP_4)
	v_mad_co_u64_u32 v[16:17], null, s21, v17, v[10:11]
	s_wait_alu 0xfffd
	v_add_co_ci_u32_e64 v23, null, s17, v9, vcc_lo
	v_lshlrev_b64_e32 v[9:10], 1, v[13:14]
	v_mov_b32_e32 v8, v12
	v_mov_b32_e32 v12, v29
	v_mad_co_u64_u32 v[32:33], null, s20, v18, s[20:21]
	v_cmp_gt_i32_e64 s0, s8, v6
	s_delay_alu instid0(VALU_DEP_4)
	v_mad_co_u64_u32 v[13:14], null, s21, v24, v[8:9]
	v_mov_b32_e32 v8, v31
	v_lshlrev_b64_e32 v[6:7], 1, v[6:7]
	v_cmp_gt_i32_e64 s4, s52, v18
	s_add_nc_u64 s[26:27], s[24:25], s[18:19]
	s_lshl_b64 s[30:31], s[38:39], 1
	s_lshl_b64 s[34:35], s[22:23], 1
	v_mad_co_u64_u32 v[26:27], null, s37, v24, v[12:13]
	v_add_co_u32 v24, vcc_lo, s24, v9
	s_wait_alu 0xfffd
	v_add_co_ci_u32_e64 v25, null, s25, v10, vcc_lo
	v_lshlrev_b64_e32 v[9:10], 3, v[15:16]
	s_delay_alu instid0(VALU_DEP_4) | instskip(SKIP_1) | instid1(VALU_DEP_2)
	v_dual_mov_b32 v12, v13 :: v_dual_mov_b32 v29, v26
	s_lshl_b64 s[44:45], s[20:21], 5
	v_add_co_u32 v26, vcc_lo, s16, v9
	v_mad_co_u64_u32 v[13:14], null, s37, v18, v[8:9]
	s_wait_alu 0xfffd
	v_add_co_ci_u32_e64 v27, null, s17, v10, vcc_lo
	v_lshlrev_b64_e32 v[9:10], 1, v[11:12]
	v_mov_b32_e32 v8, v33
	v_lshlrev_b64_e32 v[14:15], 1, v[28:29]
	v_mov_b32_e32 v31, v13
	s_delay_alu instid0(VALU_DEP_3) | instskip(SKIP_1) | instid1(VALU_DEP_3)
	v_mad_co_u64_u32 v[11:12], null, s21, v18, v[8:9]
	v_add_co_u32 v28, vcc_lo, s16, v9
	v_lshlrev_b64_e32 v[8:9], 1, v[30:31]
	s_wait_alu 0xfffd
	v_add_co_ci_u32_e64 v29, null, s17, v10, vcc_lo
	v_add_co_u32 v30, vcc_lo, s24, v14
	v_mov_b32_e32 v33, v11
	s_wait_alu 0xfffd
	v_add_co_ci_u32_e64 v31, null, s25, v15, vcc_lo
	s_delay_alu instid0(VALU_DEP_2) | instskip(SKIP_4) | instid1(VALU_DEP_4)
	v_lshlrev_b64_e32 v[10:11], 1, v[32:33]
	v_add_co_u32 v32, vcc_lo, s24, v8
	s_wait_alu 0xfffd
	v_add_co_ci_u32_e64 v33, null, s25, v9, vcc_lo
	v_lshlrev_b64_e32 v[8:9], 2, v[2:3]
	v_add_co_u32 v34, vcc_lo, s16, v10
	s_wait_alu 0xfffd
	v_add_co_ci_u32_e64 v35, null, s17, v11, vcc_lo
	s_lshl_b64 s[24:25], s[36:37], 5
	s_branch .LBB631_5
.LBB631_3:                              ;   in Loop: Header=BB631_5 Depth=1
	s_wait_alu 0xfffe
	s_or_b32 exec_lo, exec_lo, s7
.LBB631_4:                              ;   in Loop: Header=BB631_5 Depth=1
	s_add_co_i32 s10, s10, 0x10000
	s_delay_alu instid0(SALU_CYCLE_1)
	s_cmp_lt_u32 s10, s33
	s_cbranch_scc0 .LBB631_53
.LBB631_5:                              ; =>This Loop Header: Depth=1
                                        ;     Child Loop BB631_21 Depth 2
	s_mul_u64 s[46:47], s[14:15], s[10:11]
	s_mul_u64 s[48:49], s[42:43], s[10:11]
	s_wait_alu 0xfffe
	s_lshl_b64 s[46:47], s[46:47], 2
	s_lshl_b64 s[48:49], s[48:49], 2
	s_wait_alu 0xfffe
	s_add_nc_u64 s[46:47], s[12:13], s[46:47]
	s_add_nc_u64 s[48:49], s[40:41], s[48:49]
	s_clause 0x1
	global_load_b32 v36, v1, s[46:47]
	global_load_b32 v10, v1, s[48:49]
	s_wait_loadcnt 0x1
	v_cmp_eq_f32_e32 vcc_lo, 0, v36
	s_wait_loadcnt 0x0
	v_cmp_eq_f32_e64 s7, 1.0, v10
	v_readfirstlane_b32 s55, v10
	s_and_b32 s7, vcc_lo, s7
	s_wait_alu 0xfffe
	s_and_b32 vcc_lo, exec_lo, s7
	s_wait_alu 0xfffe
	s_cbranch_vccnz .LBB631_4
; %bb.6:                                ;   in Loop: Header=BB631_5 Depth=1
	v_cmp_neq_f32_e32 vcc_lo, 0, v36
	s_mul_u64 s[46:47], s[50:51], s[10:11]
	s_wait_alu 0xfffe
	s_lshl_b64 s[46:47], s[46:47], 2
	s_wait_alu 0xfffe
	s_add_nc_u64 s[46:47], s[28:29], s[46:47]
	s_cbranch_vccnz .LBB631_10
; %bb.7:                                ;   in Loop: Header=BB631_5 Depth=1
	s_mov_b32 s7, 0
	s_mov_b32 s56, 0
                                        ; implicit-def: $vgpr12
	s_and_saveexec_b32 s8, s54
	s_cbranch_execz .LBB631_11
; %bb.8:                                ;   in Loop: Header=BB631_5 Depth=1
	s_cmp_eq_f32 s55, 0
	s_cbranch_scc1 .LBB631_13
; %bb.9:                                ;   in Loop: Header=BB631_5 Depth=1
	s_wait_alu 0xfffe
	v_add_co_u32 v10, vcc_lo, s46, v8
	s_wait_alu 0xfffd
	v_add_co_ci_u32_e64 v11, null, s47, v9, vcc_lo
	global_load_b32 v10, v[10:11], off
	s_wait_loadcnt 0x0
	v_mul_f32_e32 v12, s55, v10
	s_branch .LBB631_14
.LBB631_10:                             ;   in Loop: Header=BB631_5 Depth=1
	s_mov_b32 s56, 0
                                        ; implicit-def: $vgpr12
	s_cbranch_execz .LBB631_12
	s_branch .LBB631_15
.LBB631_11:                             ;   in Loop: Header=BB631_5 Depth=1
	s_wait_alu 0xfffe
	s_or_b32 exec_lo, exec_lo, s8
	s_delay_alu instid0(SALU_CYCLE_1)
	s_and_b32 vcc_lo, exec_lo, s7
	s_wait_alu 0xfffe
	s_cbranch_vccnz .LBB631_15
.LBB631_12:                             ;   in Loop: Header=BB631_5 Depth=1
	v_dual_mov_b32 v11, v3 :: v_dual_mov_b32 v10, v2
	s_and_saveexec_b32 s7, s56
	s_cbranch_execz .LBB631_3
	s_branch .LBB631_52
.LBB631_13:                             ;   in Loop: Header=BB631_5 Depth=1
	v_mov_b32_e32 v12, 0
.LBB631_14:                             ;   in Loop: Header=BB631_5 Depth=1
	s_mov_b32 s56, exec_lo
	s_wait_alu 0xfffe
	s_or_b32 exec_lo, exec_lo, s8
	s_delay_alu instid0(SALU_CYCLE_1)
	s_and_b32 vcc_lo, exec_lo, s7
	s_wait_alu 0xfffe
	s_cbranch_vccz .LBB631_12
.LBB631_15:                             ;   in Loop: Header=BB631_5 Depth=1
	v_dual_mov_b32 v37, 0 :: v_dual_mov_b32 v38, 0
	v_dual_mov_b32 v41, v18 :: v_dual_mov_b32 v40, 0
	v_mov_b32_e32 v39, 0
	s_and_saveexec_b32 s8, s4
	s_cbranch_execz .LBB631_27
; %bb.16:                               ;   in Loop: Header=BB631_5 Depth=1
	s_mul_u64 s[48:49], s[30:31], s[10:11]
	s_mul_u64 s[58:59], s[34:35], s[10:11]
	s_wait_alu 0xfffe
	v_add_co_u32 v42, vcc_lo, v20, s48
	s_wait_alu 0xfffd
	v_add_co_ci_u32_e64 v43, null, s49, v21, vcc_lo
	v_add_co_u32 v44, vcc_lo, v22, s58
	s_wait_alu 0xfffd
	v_add_co_ci_u32_e64 v45, null, s59, v23, vcc_lo
	;; [unrolled: 3-line block ×8, first 2 shown]
	v_dual_mov_b32 v37, 0 :: v_dual_mov_b32 v38, 0
	v_dual_mov_b32 v41, v18 :: v_dual_mov_b32 v40, 0
	v_mov_b32_e32 v39, 0
	s_mov_b32 s48, 0
	s_branch .LBB631_21
.LBB631_17:                             ;   in Loop: Header=BB631_21 Depth=2
	s_wait_alu 0xfffe
	s_or_b32 exec_lo, exec_lo, s58
	s_wait_loadcnt 0x2
	v_lshlrev_b32_e32 v11, 16, v72
	v_lshlrev_b32_e32 v10, 16, v73
	s_wait_loadcnt 0x1
	s_delay_alu instid0(VALU_DEP_1) | instskip(NEXT) | instid1(VALU_DEP_1)
	v_dual_fmac_f32 v39, v65, v10 :: v_dual_lshlrev_b32 v10, 16, v71
	v_fmac_f32_e32 v39, v61, v11
	s_delay_alu instid0(VALU_DEP_1) | instskip(SKIP_2) | instid1(VALU_DEP_1)
	v_fmac_f32_e32 v39, v63, v10
	s_wait_loadcnt 0x0
	v_lshlrev_b32_e32 v10, 16, v70
	v_fmac_f32_e32 v39, v59, v10
.LBB631_18:                             ;   in Loop: Header=BB631_21 Depth=2
	s_or_b32 exec_lo, exec_lo, s57
	s_wait_loadcnt 0x3
	v_lshlrev_b32_e32 v10, 16, v69
	s_wait_loadcnt 0x2
	s_delay_alu instid0(VALU_DEP_1) | instskip(SKIP_2) | instid1(VALU_DEP_2)
	v_dual_fmac_f32 v38, v65, v10 :: v_dual_lshlrev_b32 v11, 16, v68
	s_wait_loadcnt 0x1
	v_lshlrev_b32_e32 v10, 16, v67
	v_fmac_f32_e32 v38, v61, v11
	s_delay_alu instid0(VALU_DEP_1) | instskip(SKIP_2) | instid1(VALU_DEP_1)
	v_fmac_f32_e32 v38, v63, v10
	s_wait_loadcnt 0x0
	v_lshlrev_b32_e32 v10, 16, v66
	v_fmac_f32_e32 v38, v59, v10
.LBB631_19:                             ;   in Loop: Header=BB631_21 Depth=2
	s_wait_alu 0xfffe
	s_or_b32 exec_lo, exec_lo, s49
	s_wait_loadcnt 0x2
	v_lshlrev_b32_e32 v11, 16, v62
	v_lshlrev_b32_e32 v10, 16, v64
	s_wait_loadcnt 0x1
	s_delay_alu instid0(VALU_DEP_1) | instskip(NEXT) | instid1(VALU_DEP_1)
	v_dual_fmac_f32 v37, v65, v10 :: v_dual_lshlrev_b32 v10, 16, v60
	v_fmac_f32_e32 v37, v61, v11
	s_delay_alu instid0(VALU_DEP_1) | instskip(SKIP_2) | instid1(VALU_DEP_1)
	v_fmac_f32_e32 v37, v63, v10
	s_wait_loadcnt 0x0
	v_lshlrev_b32_e32 v10, 16, v58
	v_fmac_f32_e32 v37, v59, v10
.LBB631_20:                             ;   in Loop: Header=BB631_21 Depth=2
	s_wait_alu 0xfffe
	s_or_b32 exec_lo, exec_lo, s7
	v_add_co_u32 v42, vcc_lo, v42, s24
	s_wait_alu 0xfffd
	v_add_co_ci_u32_e64 v43, null, s25, v43, vcc_lo
	v_add_co_u32 v44, vcc_lo, v44, s44
	s_wait_alu 0xfffd
	v_add_co_ci_u32_e64 v45, null, s45, v45, vcc_lo
	;; [unrolled: 3-line block ×4, first 2 shown]
	v_add_co_u32 v50, vcc_lo, v50, s44
	v_add_nc_u32_e32 v41, 16, v41
	s_wait_alu 0xfffd
	v_add_co_ci_u32_e64 v51, null, s45, v51, vcc_lo
	v_add_co_u32 v52, vcc_lo, v52, s24
	s_wait_alu 0xfffd
	v_add_co_ci_u32_e64 v53, null, s25, v53, vcc_lo
	v_add_co_u32 v54, vcc_lo, v54, s24
	s_wait_alu 0xfffd
	v_add_co_ci_u32_e64 v55, null, s25, v55, vcc_lo
	v_cmp_le_i32_e32 vcc_lo, s52, v41
	v_add_co_u32 v56, s7, v56, s44
	s_wait_alu 0xf1ff
	v_add_co_ci_u32_e64 v57, null, s45, v57, s7
	s_or_b32 s48, vcc_lo, s48
	s_wait_alu 0xfffe
	s_and_not1_b32 exec_lo, exec_lo, s48
	s_cbranch_execz .LBB631_26
.LBB631_21:                             ;   Parent Loop BB631_5 Depth=1
                                        ; =>  This Inner Loop Header: Depth=2
	s_and_saveexec_b32 s7, s0
	s_cbranch_execz .LBB631_20
; %bb.22:                               ;   in Loop: Header=BB631_21 Depth=2
	v_add_co_u32 v10, vcc_lo, v42, s18
	s_wait_alu 0xfffd
	v_add_co_ci_u32_e64 v11, null, s19, v43, vcc_lo
	v_add_co_u32 v12, vcc_lo, v54, s18
	s_wait_alu 0xfffd
	v_add_co_ci_u32_e64 v13, null, s19, v55, vcc_lo
	;; [unrolled: 3-line block ×4, first 2 shown]
	global_load_u16 v59, v[10:11], off
	global_load_u16 v61, v[12:13], off
	;; [unrolled: 1-line block ×4, first 2 shown]
	v_add_co_u32 v10, vcc_lo, v48, v6
	s_wait_alu 0xfffd
	v_add_co_ci_u32_e64 v11, null, v49, v7, vcc_lo
	v_add_co_u32 v14, vcc_lo, v56, v6
	s_wait_alu 0xfffd
	v_add_co_ci_u32_e64 v15, null, v57, v7, vcc_lo
	;; [unrolled: 3-line block ×4, first 2 shown]
	global_load_u16 v64, v[10:11], off
	global_load_u16 v62, v[14:15], off
	;; [unrolled: 1-line block ×4, first 2 shown]
	s_wait_loadcnt 0x7
	v_lshlrev_b32_e32 v65, 16, v59
	s_wait_loadcnt 0x6
	v_lshlrev_b32_e32 v61, 16, v61
	;; [unrolled: 2-line block ×4, first 2 shown]
	s_and_saveexec_b32 s49, s1
	s_cbranch_execz .LBB631_19
; %bb.23:                               ;   in Loop: Header=BB631_21 Depth=2
	global_load_u16 v69, v[10:11], off offset:128
	global_load_u16 v68, v[14:15], off offset:128
	global_load_u16 v67, v[12:13], off offset:128
	global_load_u16 v66, v[16:17], off offset:128
	s_and_saveexec_b32 s57, s2
	s_cbranch_execz .LBB631_18
; %bb.24:                               ;   in Loop: Header=BB631_21 Depth=2
	global_load_u16 v73, v[10:11], off offset:256
	global_load_u16 v72, v[14:15], off offset:256
	global_load_u16 v71, v[12:13], off offset:256
	global_load_u16 v70, v[16:17], off offset:256
	;; [unrolled: 7-line block ×3, first 2 shown]
	s_wait_loadcnt 0x3
	v_lshlrev_b32_e32 v10, 16, v10
	s_wait_loadcnt 0x2
	s_delay_alu instid0(VALU_DEP_1) | instskip(SKIP_3) | instid1(VALU_DEP_2)
	v_dual_fmac_f32 v40, v65, v10 :: v_dual_lshlrev_b32 v11, 16, v11
	s_wait_loadcnt 0x1
	v_lshlrev_b32_e32 v10, 16, v12
	s_wait_loadcnt 0x0
	v_dual_fmac_f32 v40, v61, v11 :: v_dual_lshlrev_b32 v11, 16, v13
	s_delay_alu instid0(VALU_DEP_1) | instskip(NEXT) | instid1(VALU_DEP_1)
	v_fmac_f32_e32 v40, v63, v10
	v_fmac_f32_e32 v40, v59, v11
	s_branch .LBB631_17
.LBB631_26:                             ;   in Loop: Header=BB631_5 Depth=1
	s_or_b32 exec_lo, exec_lo, s48
.LBB631_27:                             ;   in Loop: Header=BB631_5 Depth=1
	s_wait_alu 0xfffe
	s_or_b32 exec_lo, exec_lo, s8
	s_delay_alu instid0(SALU_CYCLE_1)
	s_and_not1_b32 vcc_lo, exec_lo, s53
	s_wait_alu 0xfffe
	s_cbranch_vccnz .LBB631_45
; %bb.28:                               ;   in Loop: Header=BB631_5 Depth=1
	v_cmp_gt_i32_e32 vcc_lo, s9, v41
	v_dual_mov_b32 v43, 0 :: v_dual_mov_b32 v42, 0
	v_or_b32_e32 v10, 1, v41
	v_dual_mov_b32 v45, 0 :: v_dual_mov_b32 v44, 0
	s_and_saveexec_b32 s8, vcc_lo
	s_cbranch_execz .LBB631_36
; %bb.29:                               ;   in Loop: Header=BB631_5 Depth=1
	v_mad_co_u64_u32 v[11:12], null, s36, v41, 0
	s_mul_u64 s[48:49], s[38:39], s[10:11]
	v_dual_mov_b32 v44, 0 :: v_dual_mov_b32 v43, 0
	s_wait_alu 0xfffe
	s_lshl_b64 s[48:49], s[48:49], 1
	v_mov_b32_e32 v42, 0
	s_wait_alu 0xfffe
	s_add_nc_u64 s[48:49], s[26:27], s[48:49]
	v_mad_co_u64_u32 v[12:13], null, s37, v41, v[12:13]
	s_mov_b32 s57, exec_lo
	v_lshlrev_b64_e32 v[11:12], 1, v[11:12]
	s_wait_alu 0xfffe
	s_delay_alu instid0(VALU_DEP_1) | instskip(SKIP_1) | instid1(VALU_DEP_2)
	v_add_co_u32 v11, s7, s48, v11
	s_wait_alu 0xf1ff
	v_add_co_ci_u32_e64 v12, null, s49, v12, s7
	global_load_u16 v11, v[11:12], off
	v_cmpx_gt_i32_e64 s9, v10
	s_cbranch_execz .LBB631_35
; %bb.30:                               ;   in Loop: Header=BB631_5 Depth=1
	v_mad_co_u64_u32 v[12:13], null, s36, v10, 0
	v_dual_mov_b32 v42, 0 :: v_dual_mov_b32 v43, 0
	s_mov_b32 s58, exec_lo
	s_delay_alu instid0(VALU_DEP_2) | instskip(NEXT) | instid1(VALU_DEP_1)
	v_mad_co_u64_u32 v[13:14], null, s37, v10, v[13:14]
	v_lshlrev_b64_e32 v[12:13], 1, v[12:13]
	s_delay_alu instid0(VALU_DEP_1) | instskip(SKIP_1) | instid1(VALU_DEP_2)
	v_add_co_u32 v12, s7, s48, v12
	s_wait_alu 0xf1ff
	v_add_co_ci_u32_e64 v13, null, s49, v13, s7
	global_load_u16 v12, v[12:13], off
	v_or_b32_e32 v13, 2, v41
	s_delay_alu instid0(VALU_DEP_1)
	v_cmpx_gt_i32_e64 s9, v13
	s_cbranch_execz .LBB631_34
; %bb.31:                               ;   in Loop: Header=BB631_5 Depth=1
	v_mad_co_u64_u32 v[14:15], null, s36, v13, 0
	v_mov_b32_e32 v42, 0
	s_mov_b32 s59, exec_lo
	s_delay_alu instid0(VALU_DEP_2) | instskip(NEXT) | instid1(VALU_DEP_1)
	v_mad_co_u64_u32 v[15:16], null, s37, v13, v[15:16]
	v_lshlrev_b64_e32 v[13:14], 1, v[14:15]
	s_delay_alu instid0(VALU_DEP_1) | instskip(SKIP_1) | instid1(VALU_DEP_2)
	v_add_co_u32 v13, s7, s48, v13
	s_wait_alu 0xf1ff
	v_add_co_ci_u32_e64 v14, null, s49, v14, s7
	global_load_u16 v13, v[13:14], off
	v_or_b32_e32 v14, 3, v41
	s_delay_alu instid0(VALU_DEP_1)
	v_cmpx_gt_i32_e64 s9, v14
	s_cbranch_execz .LBB631_33
; %bb.32:                               ;   in Loop: Header=BB631_5 Depth=1
	v_mad_co_u64_u32 v[15:16], null, s36, v14, 0
	s_delay_alu instid0(VALU_DEP_1) | instskip(NEXT) | instid1(VALU_DEP_1)
	v_mad_co_u64_u32 v[16:17], null, s37, v14, v[16:17]
	v_lshlrev_b64_e32 v[14:15], 1, v[15:16]
	s_delay_alu instid0(VALU_DEP_1) | instskip(SKIP_1) | instid1(VALU_DEP_2)
	v_add_co_u32 v14, s7, s48, v14
	s_wait_alu 0xf1ff
	v_add_co_ci_u32_e64 v15, null, s49, v15, s7
	global_load_u16 v14, v[14:15], off
	s_wait_loadcnt 0x0
	v_lshlrev_b32_e32 v42, 16, v14
.LBB631_33:                             ;   in Loop: Header=BB631_5 Depth=1
	s_wait_alu 0xfffe
	s_or_b32 exec_lo, exec_lo, s59
	s_wait_loadcnt 0x0
	v_lshlrev_b32_e32 v43, 16, v13
.LBB631_34:                             ;   in Loop: Header=BB631_5 Depth=1
	s_wait_alu 0xfffe
	s_or_b32 exec_lo, exec_lo, s58
	s_wait_loadcnt 0x0
	v_lshlrev_b32_e32 v44, 16, v12
.LBB631_35:                             ;   in Loop: Header=BB631_5 Depth=1
	s_or_b32 exec_lo, exec_lo, s57
	s_wait_loadcnt 0x0
	v_lshlrev_b32_e32 v45, 16, v11
.LBB631_36:                             ;   in Loop: Header=BB631_5 Depth=1
	s_wait_alu 0xfffe
	s_or_b32 exec_lo, exec_lo, s8
	s_and_saveexec_b32 s48, s0
	s_cbranch_execz .LBB631_44
; %bb.37:                               ;   in Loop: Header=BB631_5 Depth=1
	v_mad_co_u64_u32 v[11:12], null, s20, v41, 0
	v_mad_co_u64_u32 v[13:14], null, s20, v10, 0
	v_or_b32_e32 v50, 2, v41
	v_or_b32_e32 v51, 3, v41
	s_mul_u64 s[58:59], s[22:23], s[10:11]
	s_wait_alu 0xfffe
	s_lshl_b64 s[58:59], s[58:59], 1
	v_cmp_gt_i32_e64 s7, s9, v50
	s_delay_alu instid0(VALU_DEP_4) | instskip(SKIP_4) | instid1(VALU_DEP_2)
	v_mad_co_u64_u32 v[15:16], null, s21, v41, v[12:13]
	v_mad_co_u64_u32 v[16:17], null, s20, v50, 0
	;; [unrolled: 1-line block ×3, first 2 shown]
	s_wait_alu 0xfffe
	s_add_nc_u64 s[58:59], s[16:17], s[58:59]
	v_dual_cndmask_b32 v12, 0, v15 :: v_dual_mov_b32 v15, v17
	s_delay_alu instid0(VALU_DEP_2) | instskip(NEXT) | instid1(VALU_DEP_2)
	v_mov_b32_e32 v17, v47
	v_mad_co_u64_u32 v[48:49], null, s21, v10, v[14:15]
	v_cndmask_b32_e32 v11, 0, v11, vcc_lo
	v_cmp_gt_i32_e32 vcc_lo, s9, v10
	s_wait_alu 0xfffd
	s_delay_alu instid0(VALU_DEP_3) | instskip(NEXT) | instid1(VALU_DEP_3)
	v_dual_cndmask_b32 v13, 0, v13 :: v_dual_cndmask_b32 v14, 0, v48
	v_lshlrev_b64_e32 v[11:12], 1, v[11:12]
	s_wait_alu 0xfffe
	s_delay_alu instid0(VALU_DEP_1) | instskip(SKIP_1) | instid1(VALU_DEP_2)
	v_add_co_u32 v10, s8, s58, v11
	s_wait_alu 0xf1ff
	v_add_co_ci_u32_e64 v11, null, s59, v12, s8
	v_lshlrev_b64_e32 v[12:13], 1, v[13:14]
	s_delay_alu instid0(VALU_DEP_3) | instskip(SKIP_1) | instid1(VALU_DEP_3)
	v_add_co_u32 v10, vcc_lo, v10, v6
	s_wait_alu 0xfffd
	v_add_co_ci_u32_e64 v11, null, v11, v7, vcc_lo
	v_cmp_gt_i32_e32 vcc_lo, s9, v51
	v_cndmask_b32_e64 v14, 0, v16, s7
	s_wait_alu 0xfffd
	v_cndmask_b32_e32 v46, 0, v46, vcc_lo
	v_mad_co_u64_u32 v[49:50], null, s21, v50, v[15:16]
	v_mad_co_u64_u32 v[16:17], null, s21, v51, v[17:18]
	s_delay_alu instid0(VALU_DEP_2) | instskip(SKIP_1) | instid1(VALU_DEP_3)
	v_cndmask_b32_e64 v15, 0, v49, s7
	v_add_co_u32 v12, s7, s58, v12
	v_cndmask_b32_e32 v47, 0, v16, vcc_lo
	s_wait_alu 0xf1ff
	v_add_co_ci_u32_e64 v13, null, s59, v13, s7
	v_lshlrev_b64_e32 v[14:15], 1, v[14:15]
	v_add_co_u32 v12, vcc_lo, v12, v6
	v_lshlrev_b64_e32 v[16:17], 1, v[46:47]
	s_wait_alu 0xfffd
	v_add_co_ci_u32_e64 v13, null, v13, v7, vcc_lo
	s_delay_alu instid0(VALU_DEP_4)
	v_add_co_u32 v14, vcc_lo, s58, v14
	s_wait_alu 0xfffd
	v_add_co_ci_u32_e64 v15, null, s59, v15, vcc_lo
	v_add_co_u32 v16, vcc_lo, s58, v16
	s_wait_alu 0xfffd
	v_add_co_ci_u32_e64 v17, null, s59, v17, vcc_lo
	;; [unrolled: 3-line block ×4, first 2 shown]
	s_clause 0x3
	global_load_u16 v48, v[10:11], off
	global_load_u16 v47, v[12:13], off
	;; [unrolled: 1-line block ×4, first 2 shown]
	s_and_saveexec_b32 s7, s1
	s_cbranch_execz .LBB631_43
; %bb.38:                               ;   in Loop: Header=BB631_5 Depth=1
	s_clause 0x3
	global_load_u16 v52, v[10:11], off offset:128
	global_load_u16 v51, v[12:13], off offset:128
	global_load_u16 v50, v[14:15], off offset:128
	global_load_u16 v49, v[16:17], off offset:128
	s_and_saveexec_b32 s8, s2
	s_cbranch_execz .LBB631_42
; %bb.39:                               ;   in Loop: Header=BB631_5 Depth=1
	s_clause 0x3
	global_load_u16 v56, v[10:11], off offset:256
	global_load_u16 v55, v[12:13], off offset:256
	global_load_u16 v54, v[14:15], off offset:256
	global_load_u16 v53, v[16:17], off offset:256
	;; [unrolled: 8-line block ×3, first 2 shown]
	s_wait_loadcnt 0x3
	v_lshlrev_b32_e32 v10, 16, v10
	s_wait_loadcnt 0x2
	s_delay_alu instid0(VALU_DEP_1) | instskip(SKIP_3) | instid1(VALU_DEP_2)
	v_dual_fmac_f32 v40, v45, v10 :: v_dual_lshlrev_b32 v11, 16, v11
	s_wait_loadcnt 0x1
	v_lshlrev_b32_e32 v10, 16, v12
	s_wait_loadcnt 0x0
	v_dual_fmac_f32 v40, v44, v11 :: v_dual_lshlrev_b32 v11, 16, v13
	s_delay_alu instid0(VALU_DEP_1) | instskip(NEXT) | instid1(VALU_DEP_1)
	v_fmac_f32_e32 v40, v43, v10
	v_fmac_f32_e32 v40, v42, v11
.LBB631_41:                             ;   in Loop: Header=BB631_5 Depth=1
	s_wait_alu 0xfffe
	s_or_b32 exec_lo, exec_lo, s49
	s_wait_loadcnt 0x2
	v_lshlrev_b32_e32 v11, 16, v55
	v_lshlrev_b32_e32 v10, 16, v56
	s_delay_alu instid0(VALU_DEP_1) | instskip(SKIP_1) | instid1(VALU_DEP_1)
	v_fmac_f32_e32 v39, v45, v10
	s_wait_loadcnt 0x1
	v_dual_fmac_f32 v39, v44, v11 :: v_dual_lshlrev_b32 v10, 16, v54
	s_wait_loadcnt 0x0
	s_delay_alu instid0(VALU_DEP_1) | instskip(NEXT) | instid1(VALU_DEP_1)
	v_dual_fmac_f32 v39, v43, v10 :: v_dual_lshlrev_b32 v10, 16, v53
	v_fmac_f32_e32 v39, v42, v10
.LBB631_42:                             ;   in Loop: Header=BB631_5 Depth=1
	s_wait_alu 0xfffe
	s_or_b32 exec_lo, exec_lo, s8
	s_wait_loadcnt 0x3
	v_lshlrev_b32_e32 v10, 16, v52
	s_wait_loadcnt 0x2
	s_delay_alu instid0(VALU_DEP_1) | instskip(SKIP_2) | instid1(VALU_DEP_2)
	v_dual_fmac_f32 v38, v45, v10 :: v_dual_lshlrev_b32 v11, 16, v51
	s_wait_loadcnt 0x1
	v_lshlrev_b32_e32 v10, 16, v50
	v_fmac_f32_e32 v38, v44, v11
	s_delay_alu instid0(VALU_DEP_1) | instskip(SKIP_2) | instid1(VALU_DEP_1)
	v_fmac_f32_e32 v38, v43, v10
	s_wait_loadcnt 0x0
	v_lshlrev_b32_e32 v10, 16, v49
	v_fmac_f32_e32 v38, v42, v10
.LBB631_43:                             ;   in Loop: Header=BB631_5 Depth=1
	s_wait_alu 0xfffe
	s_or_b32 exec_lo, exec_lo, s7
	s_wait_loadcnt 0x2
	v_lshlrev_b32_e32 v11, 16, v47
	v_lshlrev_b32_e32 v10, 16, v48
	s_delay_alu instid0(VALU_DEP_1) | instskip(SKIP_1) | instid1(VALU_DEP_1)
	v_fmac_f32_e32 v37, v45, v10
	s_wait_loadcnt 0x1
	v_dual_fmac_f32 v37, v44, v11 :: v_dual_lshlrev_b32 v10, 16, v46
	s_wait_loadcnt 0x0
	s_delay_alu instid0(VALU_DEP_1) | instskip(NEXT) | instid1(VALU_DEP_1)
	v_dual_fmac_f32 v37, v43, v10 :: v_dual_lshlrev_b32 v10, 16, v41
	v_fmac_f32_e32 v37, v42, v10
.LBB631_44:                             ;   in Loop: Header=BB631_5 Depth=1
	s_wait_alu 0xfffe
	s_or_b32 exec_lo, exec_lo, s48
.LBB631_45:                             ;   in Loop: Header=BB631_5 Depth=1
	ds_store_2addr_stride64_b32 v0, v37, v38 offset1:1
	ds_store_2addr_stride64_b32 v0, v39, v40 offset0:2 offset1:3
	s_wait_dscnt 0x0
	s_barrier_signal -1
	s_barrier_wait -1
	global_inv scope:SCOPE_SE
                                        ; implicit-def: $vgpr12
	s_and_saveexec_b32 s7, s5
	s_cbranch_execz .LBB631_51
; %bb.46:                               ;   in Loop: Header=BB631_5 Depth=1
	ds_load_2addr_stride64_b32 v[10:11], v19 offset1:4
	ds_load_2addr_stride64_b32 v[12:13], v19 offset0:8 offset1:12
	s_mov_b32 s48, s56
	s_wait_dscnt 0x1
	v_add_f32_e32 v10, v10, v11
	s_wait_dscnt 0x0
	s_delay_alu instid0(VALU_DEP_1) | instskip(NEXT) | instid1(VALU_DEP_1)
	v_add_f32_e32 v10, v12, v10
                                        ; implicit-def: $vgpr12
	v_add_f32_e32 v10, v13, v10
	ds_store_b32 v19, v10
	s_and_saveexec_b32 s8, s6
	s_cbranch_execz .LBB631_50
; %bb.47:                               ;   in Loop: Header=BB631_5 Depth=1
	v_mul_f32_e32 v12, v36, v10
	s_cmp_eq_f32 s55, 0
	s_cbranch_scc1 .LBB631_49
; %bb.48:                               ;   in Loop: Header=BB631_5 Depth=1
	v_lshlrev_b64_e32 v[10:11], 2, v[4:5]
	s_delay_alu instid0(VALU_DEP_1) | instskip(SKIP_1) | instid1(VALU_DEP_2)
	v_add_co_u32 v10, vcc_lo, s46, v10
	s_wait_alu 0xfffd
	v_add_co_ci_u32_e64 v11, null, s47, v11, vcc_lo
	global_load_b32 v10, v[10:11], off
	s_wait_loadcnt 0x0
	v_fmac_f32_e32 v12, s55, v10
.LBB631_49:                             ;   in Loop: Header=BB631_5 Depth=1
	s_or_b32 s48, s56, exec_lo
.LBB631_50:                             ;   in Loop: Header=BB631_5 Depth=1
	s_wait_alu 0xfffe
	s_or_b32 exec_lo, exec_lo, s8
	s_delay_alu instid0(SALU_CYCLE_1)
	s_and_not1_b32 s8, s56, exec_lo
	s_and_b32 s48, s48, exec_lo
	s_wait_alu 0xfffe
	s_or_b32 s56, s8, s48
.LBB631_51:                             ;   in Loop: Header=BB631_5 Depth=1
	s_wait_alu 0xfffe
	s_or_b32 exec_lo, exec_lo, s7
	v_dual_mov_b32 v11, v5 :: v_dual_mov_b32 v10, v4
	s_and_saveexec_b32 s7, s56
	s_cbranch_execz .LBB631_3
.LBB631_52:                             ;   in Loop: Header=BB631_5 Depth=1
	s_delay_alu instid0(VALU_DEP_1) | instskip(SKIP_1) | instid1(VALU_DEP_1)
	v_lshlrev_b64_e32 v[10:11], 2, v[10:11]
	s_wait_alu 0xfffe
	v_add_co_u32 v10, vcc_lo, s46, v10
	s_wait_alu 0xfffd
	s_delay_alu instid0(VALU_DEP_2)
	v_add_co_ci_u32_e64 v11, null, s47, v11, vcc_lo
	global_store_b32 v[10:11], v12, off
	s_branch .LBB631_3
.LBB631_53:
	s_endpgm
	.section	.rodata,"a",@progbits
	.p2align	6, 0x0
	.amdhsa_kernel _ZL20rocblas_gemvn_kernelILi64ELi4El16rocblas_bfloat16PKffEviiT3_lPKT2_lT1_lS6_lS7_lS3_lPT4_lS7_li
		.amdhsa_group_segment_fixed_size 4096
		.amdhsa_private_segment_fixed_size 0
		.amdhsa_kernarg_size 400
		.amdhsa_user_sgpr_count 2
		.amdhsa_user_sgpr_dispatch_ptr 0
		.amdhsa_user_sgpr_queue_ptr 0
		.amdhsa_user_sgpr_kernarg_segment_ptr 1
		.amdhsa_user_sgpr_dispatch_id 0
		.amdhsa_user_sgpr_private_segment_size 0
		.amdhsa_wavefront_size32 1
		.amdhsa_uses_dynamic_stack 0
		.amdhsa_enable_private_segment 0
		.amdhsa_system_sgpr_workgroup_id_x 1
		.amdhsa_system_sgpr_workgroup_id_y 0
		.amdhsa_system_sgpr_workgroup_id_z 1
		.amdhsa_system_sgpr_workgroup_info 0
		.amdhsa_system_vgpr_workitem_id 1
		.amdhsa_next_free_vgpr 74
		.amdhsa_next_free_sgpr 60
		.amdhsa_reserve_vcc 1
		.amdhsa_float_round_mode_32 0
		.amdhsa_float_round_mode_16_64 0
		.amdhsa_float_denorm_mode_32 3
		.amdhsa_float_denorm_mode_16_64 3
		.amdhsa_fp16_overflow 0
		.amdhsa_workgroup_processor_mode 1
		.amdhsa_memory_ordered 1
		.amdhsa_forward_progress 1
		.amdhsa_inst_pref_size 31
		.amdhsa_round_robin_scheduling 0
		.amdhsa_exception_fp_ieee_invalid_op 0
		.amdhsa_exception_fp_denorm_src 0
		.amdhsa_exception_fp_ieee_div_zero 0
		.amdhsa_exception_fp_ieee_overflow 0
		.amdhsa_exception_fp_ieee_underflow 0
		.amdhsa_exception_fp_ieee_inexact 0
		.amdhsa_exception_int_div_zero 0
	.end_amdhsa_kernel
	.section	.text._ZL20rocblas_gemvn_kernelILi64ELi4El16rocblas_bfloat16PKffEviiT3_lPKT2_lT1_lS6_lS7_lS3_lPT4_lS7_li,"axG",@progbits,_ZL20rocblas_gemvn_kernelILi64ELi4El16rocblas_bfloat16PKffEviiT3_lPKT2_lT1_lS6_lS7_lS3_lPT4_lS7_li,comdat
.Lfunc_end631:
	.size	_ZL20rocblas_gemvn_kernelILi64ELi4El16rocblas_bfloat16PKffEviiT3_lPKT2_lT1_lS6_lS7_lS3_lPT4_lS7_li, .Lfunc_end631-_ZL20rocblas_gemvn_kernelILi64ELi4El16rocblas_bfloat16PKffEviiT3_lPKT2_lT1_lS6_lS7_lS3_lPT4_lS7_li
                                        ; -- End function
	.set _ZL20rocblas_gemvn_kernelILi64ELi4El16rocblas_bfloat16PKffEviiT3_lPKT2_lT1_lS6_lS7_lS3_lPT4_lS7_li.num_vgpr, 74
	.set _ZL20rocblas_gemvn_kernelILi64ELi4El16rocblas_bfloat16PKffEviiT3_lPKT2_lT1_lS6_lS7_lS3_lPT4_lS7_li.num_agpr, 0
	.set _ZL20rocblas_gemvn_kernelILi64ELi4El16rocblas_bfloat16PKffEviiT3_lPKT2_lT1_lS6_lS7_lS3_lPT4_lS7_li.numbered_sgpr, 60
	.set _ZL20rocblas_gemvn_kernelILi64ELi4El16rocblas_bfloat16PKffEviiT3_lPKT2_lT1_lS6_lS7_lS3_lPT4_lS7_li.num_named_barrier, 0
	.set _ZL20rocblas_gemvn_kernelILi64ELi4El16rocblas_bfloat16PKffEviiT3_lPKT2_lT1_lS6_lS7_lS3_lPT4_lS7_li.private_seg_size, 0
	.set _ZL20rocblas_gemvn_kernelILi64ELi4El16rocblas_bfloat16PKffEviiT3_lPKT2_lT1_lS6_lS7_lS3_lPT4_lS7_li.uses_vcc, 1
	.set _ZL20rocblas_gemvn_kernelILi64ELi4El16rocblas_bfloat16PKffEviiT3_lPKT2_lT1_lS6_lS7_lS3_lPT4_lS7_li.uses_flat_scratch, 0
	.set _ZL20rocblas_gemvn_kernelILi64ELi4El16rocblas_bfloat16PKffEviiT3_lPKT2_lT1_lS6_lS7_lS3_lPT4_lS7_li.has_dyn_sized_stack, 0
	.set _ZL20rocblas_gemvn_kernelILi64ELi4El16rocblas_bfloat16PKffEviiT3_lPKT2_lT1_lS6_lS7_lS3_lPT4_lS7_li.has_recursion, 0
	.set _ZL20rocblas_gemvn_kernelILi64ELi4El16rocblas_bfloat16PKffEviiT3_lPKT2_lT1_lS6_lS7_lS3_lPT4_lS7_li.has_indirect_call, 0
	.section	.AMDGPU.csdata,"",@progbits
; Kernel info:
; codeLenInByte = 3880
; TotalNumSgprs: 62
; NumVgprs: 74
; ScratchSize: 0
; MemoryBound: 0
; FloatMode: 240
; IeeeMode: 1
; LDSByteSize: 4096 bytes/workgroup (compile time only)
; SGPRBlocks: 0
; VGPRBlocks: 9
; NumSGPRsForWavesPerEU: 62
; NumVGPRsForWavesPerEU: 74
; Occupancy: 16
; WaveLimiterHint : 1
; COMPUTE_PGM_RSRC2:SCRATCH_EN: 0
; COMPUTE_PGM_RSRC2:USER_SGPR: 2
; COMPUTE_PGM_RSRC2:TRAP_HANDLER: 0
; COMPUTE_PGM_RSRC2:TGID_X_EN: 1
; COMPUTE_PGM_RSRC2:TGID_Y_EN: 0
; COMPUTE_PGM_RSRC2:TGID_Z_EN: 1
; COMPUTE_PGM_RSRC2:TIDIG_COMP_CNT: 1
	.section	.text._ZL20rocblas_gemvn_kernelILi64ELi4Ei16rocblas_bfloat16ffEviiT3_lPKT2_lT1_lS4_lS5_lS1_lPT4_lS5_li,"axG",@progbits,_ZL20rocblas_gemvn_kernelILi64ELi4Ei16rocblas_bfloat16ffEviiT3_lPKT2_lT1_lS4_lS5_lS1_lPT4_lS5_li,comdat
	.globl	_ZL20rocblas_gemvn_kernelILi64ELi4Ei16rocblas_bfloat16ffEviiT3_lPKT2_lT1_lS4_lS5_lS1_lPT4_lS5_li ; -- Begin function _ZL20rocblas_gemvn_kernelILi64ELi4Ei16rocblas_bfloat16ffEviiT3_lPKT2_lT1_lS4_lS5_lS1_lPT4_lS5_li
	.p2align	8
	.type	_ZL20rocblas_gemvn_kernelILi64ELi4Ei16rocblas_bfloat16ffEviiT3_lPKT2_lT1_lS4_lS5_lS1_lPT4_lS5_li,@function
_ZL20rocblas_gemvn_kernelILi64ELi4Ei16rocblas_bfloat16ffEviiT3_lPKT2_lT1_lS4_lS5_lS1_lPT4_lS5_li: ; @_ZL20rocblas_gemvn_kernelILi64ELi4Ei16rocblas_bfloat16ffEviiT3_lPKT2_lT1_lS4_lS5_lS1_lPT4_lS5_li
; %bb.0:
	s_load_b64 s[2:3], s[0:1], 0x9c
	s_wait_kmcnt 0x0
	s_lshr_b32 s4, s2, 16
	s_and_b32 s2, s2, 0xffff
	s_and_b32 s3, s3, 0xffff
	s_mul_i32 s2, s4, s2
	s_delay_alu instid0(SALU_CYCLE_1) | instskip(NEXT) | instid1(SALU_CYCLE_1)
	s_mul_i32 s2, s2, s3
	s_cmp_lg_u32 s2, 0x100
	s_cbranch_scc1 .LBB632_53
; %bb.1:
	s_load_b32 s19, s[0:1], 0x88
	s_lshr_b32 s28, ttmp7, 16
	s_wait_kmcnt 0x0
	s_cmp_ge_u32 s28, s19
	s_cbranch_scc1 .LBB632_53
; %bb.2:
	s_clause 0x8
	s_load_b128 s[4:7], s[0:1], 0x18
	s_load_b96 s[16:18], s[0:1], 0x40
	s_load_b128 s[12:15], s[0:1], 0x68
	s_load_b32 s34, s[0:1], 0x78
	s_load_b96 s[20:22], s[0:1], 0x0
	s_load_b32 s23, s[0:1], 0x28
	s_load_b128 s[8:11], s[0:1], 0x30
	s_load_b96 s[24:26], s[0:1], 0x50
	s_load_b64 s[30:31], s[0:1], 0x80
	v_dual_mov_b32 v4, 0 :: v_dual_and_b32 v7, 0x3ff, v0
	v_bfe_u32 v6, v0, 10, 10
	s_mov_b32 s29, 0
	s_delay_alu instid0(VALU_DEP_2) | instskip(NEXT) | instid1(VALU_DEP_2)
	v_lshlrev_b32_e32 v5, 2, v7
	v_lshl_add_u32 v8, v6, 6, v7
	v_lshlrev_b32_e32 v17, 2, v6
	s_delay_alu instid0(VALU_DEP_3)
	v_lshl_add_u32 v18, v6, 10, v5
	s_wait_kmcnt 0x0
	s_lshl_b64 s[0:1], s[6:7], 1
	s_lshl_b64 s[2:3], s[16:17], 1
	;; [unrolled: 1-line block ×3, first 2 shown]
	s_ashr_i32 s35, s34, 31
	s_cmp_eq_f32 s22, 0
	s_add_nc_u64 s[14:15], s[4:5], s[0:1]
	v_mul_lo_u32 v9, s23, v17
	s_mov_b32 s16, s20
	s_cselect_b32 s27, -1, 0
	s_cmp_neq_f32 s22, 0
	s_add_nc_u64 s[10:11], s[10:11], s[2:3]
	s_add_nc_u64 s[12:13], s[12:13], s[6:7]
	v_lshl_add_u32 v20, v6, 8, v5
	s_cselect_b32 s36, -1, 0
	s_cmp_neq_f32 s26, 1.0
	v_add3_u32 v21, v9, s23, v7
	v_or_b32_e32 v9, 3, v17
	s_cselect_b32 s0, -1, 0
	s_lshl_b32 s33, ttmp9, 8
	s_ashr_i32 s17, s20, 31
	v_add_nc_u32_e32 v3, s33, v8
	v_or_b32_e32 v10, s33, v8
	s_or_b32 s38, s36, s0
	s_cmp_neq_f32 s26, 0
	v_or_b32_e32 v19, s33, v7
	v_mad_co_u64_u32 v[0:1], null, s34, v3, 0
	v_mul_lo_u32 v2, s34, v10
	s_cselect_b32 s39, -1, 0
	s_ashr_i32 s1, s21, 31
	v_cmp_gt_i64_e32 vcc_lo, s[16:17], v[3:4]
	s_lshr_b32 s1, s1, 28
	v_add_nc_u32_e32 v11, 64, v19
	s_add_co_i32 s3, s21, s1
	v_cmp_gt_i32_e64 s6, s20, v10
	v_mad_co_u64_u32 v[3:4], null, s35, v3, v[1:2]
	s_and_b32 s40, s3, -16
	v_mul_lo_u32 v10, v6, s23
	s_sub_co_i32 s5, s21, s40
	v_cmp_gt_i32_e64 s1, s20, v11
	s_cmp_gt_i32 s5, 0
	v_cmp_gt_u32_e64 s5, 0x100, v8
	v_or_b32_e32 v8, 2, v17
	v_mul_lo_u32 v11, v6, s18
	v_dual_mov_b32 v1, v3 :: v_dual_add_nc_u32 v12, 0x80, v19
	v_add_nc_u32_e32 v13, 0xc0, v19
	s_delay_alu instid0(VALU_DEP_4)
	v_mad_co_u64_u32 v[4:5], null, s23, v8, v[7:8]
	s_mov_b32 s16, s18
	v_mad_co_u64_u32 v[5:6], null, s23, v9, v[7:8]
	v_lshl_add_u32 v22, v10, 2, v7
	s_wait_alu 0xfffe
	v_mad_co_u64_u32 v[6:7], null, s18, v17, s[16:17]
	v_mul_lo_u32 v23, s18, v8
	v_mul_lo_u32 v24, s18, v9
	v_lshlrev_b64_e32 v[7:8], 2, v[0:1]
	v_cmp_gt_i32_e64 s0, s20, v19
	v_cmp_gt_i32_e64 s2, s20, v12
	;; [unrolled: 1-line block ×4, first 2 shown]
	v_ashrrev_i32_e32 v3, 31, v2
	v_lshlrev_b32_e32 v25, 2, v11
	s_cselect_b32 s20, -1, 0
	s_and_b32 s41, s5, vcc_lo
	s_lshl_b32 s42, s23, 4
	s_lshl_b32 s43, s18, 4
	s_branch .LBB632_5
.LBB632_3:                              ;   in Loop: Header=BB632_5 Depth=1
	s_wait_alu 0xfffe
	s_or_b32 exec_lo, exec_lo, s7
.LBB632_4:                              ;   in Loop: Header=BB632_5 Depth=1
	s_add_co_i32 s28, s28, 0x10000
	s_delay_alu instid0(SALU_CYCLE_1)
	s_cmp_lt_u32 s28, s19
	s_cbranch_scc0 .LBB632_53
.LBB632_5:                              ; =>This Loop Header: Depth=1
                                        ;     Child Loop BB632_21 Depth 2
	s_and_not1_b32 vcc_lo, exec_lo, s38
	s_wait_alu 0xfffe
	s_cbranch_vccnz .LBB632_4
; %bb.6:                                ;   in Loop: Header=BB632_5 Depth=1
	s_mul_u64 s[16:17], s[30:31], s[28:29]
	s_and_not1_b32 vcc_lo, exec_lo, s27
	s_wait_alu 0xfffe
	s_lshl_b64 s[16:17], s[16:17], 2
	s_wait_alu 0xfffe
	s_add_nc_u64 s[16:17], s[12:13], s[16:17]
	s_cbranch_vccnz .LBB632_10
; %bb.7:                                ;   in Loop: Header=BB632_5 Depth=1
	s_mov_b32 s7, 0
	s_mov_b32 s44, 0
                                        ; implicit-def: $vgpr11
	s_and_saveexec_b32 s34, s41
	s_cbranch_execz .LBB632_11
; %bb.8:                                ;   in Loop: Header=BB632_5 Depth=1
	s_and_not1_b32 vcc_lo, exec_lo, s39
	s_wait_alu 0xfffe
	s_cbranch_vccnz .LBB632_13
; %bb.9:                                ;   in Loop: Header=BB632_5 Depth=1
	v_add_co_u32 v9, vcc_lo, s16, v7
	s_wait_alu 0xfffd
	v_add_co_ci_u32_e64 v10, null, s17, v8, vcc_lo
	global_load_b32 v9, v[9:10], off
	s_wait_loadcnt 0x0
	v_mul_f32_e32 v11, s26, v9
	s_branch .LBB632_14
.LBB632_10:                             ;   in Loop: Header=BB632_5 Depth=1
	s_mov_b32 s44, 0
                                        ; implicit-def: $vgpr11
	s_cbranch_execz .LBB632_12
	s_branch .LBB632_15
.LBB632_11:                             ;   in Loop: Header=BB632_5 Depth=1
	s_wait_alu 0xfffe
	s_or_b32 exec_lo, exec_lo, s34
	s_delay_alu instid0(SALU_CYCLE_1)
	s_and_b32 vcc_lo, exec_lo, s7
	s_wait_alu 0xfffe
	s_cbranch_vccnz .LBB632_15
.LBB632_12:                             ;   in Loop: Header=BB632_5 Depth=1
	v_dual_mov_b32 v10, v1 :: v_dual_mov_b32 v9, v0
	s_and_saveexec_b32 s7, s44
	s_cbranch_execz .LBB632_3
	s_branch .LBB632_52
.LBB632_13:                             ;   in Loop: Header=BB632_5 Depth=1
	v_mov_b32_e32 v11, 0
.LBB632_14:                             ;   in Loop: Header=BB632_5 Depth=1
	s_mov_b32 s44, exec_lo
	s_wait_alu 0xfffe
	s_or_b32 exec_lo, exec_lo, s34
	s_delay_alu instid0(SALU_CYCLE_1)
	s_and_b32 vcc_lo, exec_lo, s7
	s_wait_alu 0xfffe
	s_cbranch_vccz .LBB632_12
.LBB632_15:                             ;   in Loop: Header=BB632_5 Depth=1
	s_mul_u64 s[34:35], s[8:9], s[28:29]
	s_mul_u64 s[36:37], s[24:25], s[28:29]
	v_dual_mov_b32 v26, 0 :: v_dual_mov_b32 v27, 0
	v_dual_mov_b32 v30, v17 :: v_dual_mov_b32 v29, 0
	v_mov_b32_e32 v28, 0
	s_wait_alu 0xfffe
	s_lshl_b64 s[34:35], s[34:35], 1
	s_lshl_b64 s[36:37], s[36:37], 1
	s_wait_alu 0xfffe
	s_add_nc_u64 s[34:35], s[14:15], s[34:35]
	s_add_nc_u64 s[36:37], s[10:11], s[36:37]
	s_and_saveexec_b32 s7, s4
	s_cbranch_execz .LBB632_27
; %bb.16:                               ;   in Loop: Header=BB632_5 Depth=1
	v_dual_mov_b32 v26, 0 :: v_dual_mov_b32 v31, v22
	v_dual_mov_b32 v32, v5 :: v_dual_mov_b32 v33, v4
	;; [unrolled: 1-line block ×4, first 2 shown]
	v_mov_b32_e32 v28, 0
	s_mov_b32 s45, 0
	s_mov_b32 s46, 0
	s_branch .LBB632_21
.LBB632_17:                             ;   in Loop: Header=BB632_21 Depth=2
	s_or_b32 exec_lo, exec_lo, s50
	s_wait_loadcnt 0x3
	v_lshlrev_b32_e32 v9, 16, v50
	s_wait_loadcnt 0x2
	v_lshlrev_b32_e32 v10, 16, v49
	s_wait_loadcnt 0x1
	s_delay_alu instid0(VALU_DEP_2) | instskip(NEXT) | instid1(VALU_DEP_1)
	v_dual_fmac_f32 v28, v42, v9 :: v_dual_lshlrev_b32 v9, 16, v48
	v_fmac_f32_e32 v28, v38, v10
	s_wait_loadcnt 0x0
	s_delay_alu instid0(VALU_DEP_1) | instskip(NEXT) | instid1(VALU_DEP_1)
	v_dual_fmac_f32 v28, v40, v9 :: v_dual_lshlrev_b32 v9, 16, v47
	v_fmac_f32_e32 v28, v36, v9
.LBB632_18:                             ;   in Loop: Header=BB632_21 Depth=2
	s_or_b32 exec_lo, exec_lo, s49
	s_wait_loadcnt 0x3
	v_lshlrev_b32_e32 v9, 16, v46
	s_wait_loadcnt 0x2
	v_lshlrev_b32_e32 v10, 16, v45
	s_delay_alu instid0(VALU_DEP_2) | instskip(SKIP_2) | instid1(VALU_DEP_2)
	v_fmac_f32_e32 v27, v42, v9
	s_wait_loadcnt 0x1
	v_lshlrev_b32_e32 v9, 16, v44
	v_fmac_f32_e32 v27, v38, v10
	s_delay_alu instid0(VALU_DEP_1) | instskip(SKIP_2) | instid1(VALU_DEP_1)
	v_fmac_f32_e32 v27, v40, v9
	s_wait_loadcnt 0x0
	v_lshlrev_b32_e32 v9, 16, v43
	v_fmac_f32_e32 v27, v36, v9
.LBB632_19:                             ;   in Loop: Header=BB632_21 Depth=2
	s_or_b32 exec_lo, exec_lo, s48
	s_wait_loadcnt 0x2
	v_lshlrev_b32_e32 v10, 16, v39
	v_lshlrev_b32_e32 v9, 16, v41
	s_delay_alu instid0(VALU_DEP_1) | instskip(SKIP_1) | instid1(VALU_DEP_1)
	v_fmac_f32_e32 v26, v42, v9
	s_wait_loadcnt 0x1
	v_dual_fmac_f32 v26, v38, v10 :: v_dual_lshlrev_b32 v9, 16, v37
	s_wait_loadcnt 0x0
	s_delay_alu instid0(VALU_DEP_1) | instskip(NEXT) | instid1(VALU_DEP_1)
	v_dual_fmac_f32 v26, v40, v9 :: v_dual_lshlrev_b32 v9, 16, v35
	v_fmac_f32_e32 v26, v36, v9
.LBB632_20:                             ;   in Loop: Header=BB632_21 Depth=2
	s_wait_alu 0xfffe
	s_or_b32 exec_lo, exec_lo, s47
	v_add_nc_u32_e32 v30, 16, v30
	v_add_nc_u32_e32 v34, s42, v34
	;; [unrolled: 1-line block ×5, first 2 shown]
	v_cmp_le_i32_e32 vcc_lo, s40, v30
	s_add_co_i32 s46, s46, s43
	s_or_b32 s45, vcc_lo, s45
	s_delay_alu instid0(SALU_CYCLE_1)
	s_and_not1_b32 exec_lo, exec_lo, s45
	s_cbranch_execz .LBB632_26
.LBB632_21:                             ;   Parent Loop BB632_5 Depth=1
                                        ; =>  This Inner Loop Header: Depth=2
	s_and_saveexec_b32 s47, s0
	s_cbranch_execz .LBB632_20
; %bb.22:                               ;   in Loop: Header=BB632_21 Depth=2
	s_wait_alu 0xfffe
	v_add_nc_u32_e32 v9, s46, v25
	v_add_nc_u32_e32 v11, s46, v6
	;; [unrolled: 1-line block ×5, first 2 shown]
	v_ashrrev_i32_e32 v10, 31, v9
	v_ashrrev_i32_e32 v12, 31, v11
	;; [unrolled: 1-line block ×5, first 2 shown]
	v_lshlrev_b64_e32 v[9:10], 1, v[9:10]
	v_lshlrev_b64_e32 v[11:12], 1, v[11:12]
	v_lshlrev_b64_e32 v[13:14], 1, v[13:14]
	v_lshlrev_b64_e32 v[15:16], 1, v[15:16]
	v_add_nc_u32_e32 v37, s33, v34
	v_add_nc_u32_e32 v39, s33, v33
	v_add_co_u32 v9, vcc_lo, s36, v9
	s_wait_alu 0xfffd
	v_add_co_ci_u32_e64 v10, null, s37, v10, vcc_lo
	v_add_co_u32 v11, vcc_lo, s36, v11
	s_wait_alu 0xfffd
	v_add_co_ci_u32_e64 v12, null, s37, v12, vcc_lo
	;; [unrolled: 3-line block ×4, first 2 shown]
	v_lshlrev_b64_e32 v[35:36], 1, v[35:36]
	s_clause 0x3
	global_load_u16 v42, v[9:10], off
	global_load_u16 v43, v[11:12], off
	global_load_u16 v44, v[13:14], off
	global_load_u16 v45, v[15:16], off
	v_add_nc_u32_e32 v13, s33, v32
	v_ashrrev_i32_e32 v38, 31, v37
	v_ashrrev_i32_e32 v40, 31, v39
	v_add_co_u32 v9, vcc_lo, s34, v35
	s_delay_alu instid0(VALU_DEP_4) | instskip(NEXT) | instid1(VALU_DEP_4)
	v_ashrrev_i32_e32 v14, 31, v13
	v_lshlrev_b64_e32 v[11:12], 1, v[37:38]
	s_wait_alu 0xfffd
	v_add_co_ci_u32_e64 v10, null, s35, v36, vcc_lo
	v_lshlrev_b64_e32 v[35:36], 1, v[39:40]
	v_lshlrev_b64_e32 v[13:14], 1, v[13:14]
	s_delay_alu instid0(VALU_DEP_4) | instskip(SKIP_2) | instid1(VALU_DEP_4)
	v_add_co_u32 v15, vcc_lo, s34, v11
	s_wait_alu 0xfffd
	v_add_co_ci_u32_e64 v16, null, s35, v12, vcc_lo
	v_add_co_u32 v11, vcc_lo, s34, v35
	s_wait_alu 0xfffd
	v_add_co_ci_u32_e64 v12, null, s35, v36, vcc_lo
	v_add_co_u32 v13, vcc_lo, s34, v13
	s_wait_alu 0xfffd
	v_add_co_ci_u32_e64 v14, null, s35, v14, vcc_lo
	s_clause 0x3
	global_load_u16 v41, v[9:10], off
	global_load_u16 v39, v[15:16], off
	;; [unrolled: 1-line block ×4, first 2 shown]
	s_wait_loadcnt 0x7
	v_lshlrev_b32_e32 v42, 16, v42
	s_wait_loadcnt 0x6
	v_lshlrev_b32_e32 v38, 16, v43
	;; [unrolled: 2-line block ×4, first 2 shown]
	s_and_saveexec_b32 s48, s1
	s_cbranch_execz .LBB632_19
; %bb.23:                               ;   in Loop: Header=BB632_21 Depth=2
	s_clause 0x3
	global_load_u16 v46, v[9:10], off offset:128
	global_load_u16 v45, v[15:16], off offset:128
	global_load_u16 v44, v[11:12], off offset:128
	global_load_u16 v43, v[13:14], off offset:128
	s_and_saveexec_b32 s49, s2
	s_cbranch_execz .LBB632_18
; %bb.24:                               ;   in Loop: Header=BB632_21 Depth=2
	s_clause 0x3
	global_load_u16 v50, v[9:10], off offset:256
	global_load_u16 v49, v[15:16], off offset:256
	global_load_u16 v48, v[11:12], off offset:256
	global_load_u16 v47, v[13:14], off offset:256
	;; [unrolled: 8-line block ×3, first 2 shown]
	s_wait_loadcnt 0x3
	v_lshlrev_b32_e32 v9, 16, v9
	s_wait_loadcnt 0x2
	s_delay_alu instid0(VALU_DEP_1) | instskip(SKIP_3) | instid1(VALU_DEP_2)
	v_dual_fmac_f32 v29, v42, v9 :: v_dual_lshlrev_b32 v10, 16, v10
	s_wait_loadcnt 0x1
	v_lshlrev_b32_e32 v9, 16, v11
	s_wait_loadcnt 0x0
	v_dual_fmac_f32 v29, v38, v10 :: v_dual_lshlrev_b32 v10, 16, v12
	s_delay_alu instid0(VALU_DEP_1) | instskip(NEXT) | instid1(VALU_DEP_1)
	v_fmac_f32_e32 v29, v40, v9
	v_fmac_f32_e32 v29, v36, v10
	s_branch .LBB632_17
.LBB632_26:                             ;   in Loop: Header=BB632_5 Depth=1
	s_or_b32 exec_lo, exec_lo, s45
.LBB632_27:                             ;   in Loop: Header=BB632_5 Depth=1
	s_wait_alu 0xfffe
	s_or_b32 exec_lo, exec_lo, s7
	s_delay_alu instid0(SALU_CYCLE_1)
	s_and_not1_b32 vcc_lo, exec_lo, s20
	s_wait_alu 0xfffe
	s_cbranch_vccnz .LBB632_45
; %bb.28:                               ;   in Loop: Header=BB632_5 Depth=1
	v_cmp_gt_i32_e32 vcc_lo, s21, v30
	v_dual_mov_b32 v32, 0 :: v_dual_mov_b32 v31, 0
	v_or_b32_e32 v9, 1, v30
	v_dual_mov_b32 v34, 0 :: v_dual_mov_b32 v33, 0
	s_and_saveexec_b32 s45, vcc_lo
	s_cbranch_execz .LBB632_36
; %bb.29:                               ;   in Loop: Header=BB632_5 Depth=1
	v_mul_lo_u32 v10, v30, s18
	v_dual_mov_b32 v33, 0 :: v_dual_mov_b32 v32, 0
	v_mov_b32_e32 v31, 0
	s_mov_b32 s46, exec_lo
	s_delay_alu instid0(VALU_DEP_3) | instskip(NEXT) | instid1(VALU_DEP_1)
	v_ashrrev_i32_e32 v11, 31, v10
	v_lshlrev_b64_e32 v[10:11], 1, v[10:11]
	s_delay_alu instid0(VALU_DEP_1) | instskip(SKIP_1) | instid1(VALU_DEP_2)
	v_add_co_u32 v10, s7, s36, v10
	s_wait_alu 0xf1ff
	v_add_co_ci_u32_e64 v11, null, s37, v11, s7
	global_load_u16 v10, v[10:11], off
	v_cmpx_gt_i32_e64 s21, v9
	s_cbranch_execz .LBB632_35
; %bb.30:                               ;   in Loop: Header=BB632_5 Depth=1
	v_mul_lo_u32 v11, v9, s18
	v_dual_mov_b32 v31, 0 :: v_dual_mov_b32 v32, 0
	s_mov_b32 s47, exec_lo
	s_delay_alu instid0(VALU_DEP_2) | instskip(NEXT) | instid1(VALU_DEP_1)
	v_ashrrev_i32_e32 v12, 31, v11
	v_lshlrev_b64_e32 v[11:12], 1, v[11:12]
	s_delay_alu instid0(VALU_DEP_1) | instskip(SKIP_1) | instid1(VALU_DEP_2)
	v_add_co_u32 v11, s7, s36, v11
	s_wait_alu 0xf1ff
	v_add_co_ci_u32_e64 v12, null, s37, v12, s7
	global_load_u16 v11, v[11:12], off
	v_or_b32_e32 v12, 2, v30
	s_delay_alu instid0(VALU_DEP_1)
	v_cmpx_gt_i32_e64 s21, v12
	s_cbranch_execz .LBB632_34
; %bb.31:                               ;   in Loop: Header=BB632_5 Depth=1
	v_mul_lo_u32 v12, v12, s18
	v_mov_b32_e32 v31, 0
	s_mov_b32 s48, exec_lo
	s_delay_alu instid0(VALU_DEP_2) | instskip(NEXT) | instid1(VALU_DEP_1)
	v_ashrrev_i32_e32 v13, 31, v12
	v_lshlrev_b64_e32 v[12:13], 1, v[12:13]
	s_delay_alu instid0(VALU_DEP_1) | instskip(SKIP_1) | instid1(VALU_DEP_2)
	v_add_co_u32 v12, s7, s36, v12
	s_wait_alu 0xf1ff
	v_add_co_ci_u32_e64 v13, null, s37, v13, s7
	global_load_u16 v12, v[12:13], off
	v_or_b32_e32 v13, 3, v30
	s_delay_alu instid0(VALU_DEP_1)
	v_cmpx_gt_i32_e64 s21, v13
	s_cbranch_execz .LBB632_33
; %bb.32:                               ;   in Loop: Header=BB632_5 Depth=1
	v_mul_lo_u32 v13, v13, s18
	s_delay_alu instid0(VALU_DEP_1) | instskip(NEXT) | instid1(VALU_DEP_1)
	v_ashrrev_i32_e32 v14, 31, v13
	v_lshlrev_b64_e32 v[13:14], 1, v[13:14]
	s_delay_alu instid0(VALU_DEP_1) | instskip(SKIP_1) | instid1(VALU_DEP_2)
	v_add_co_u32 v13, s7, s36, v13
	s_wait_alu 0xf1ff
	v_add_co_ci_u32_e64 v14, null, s37, v14, s7
	global_load_u16 v13, v[13:14], off
	s_wait_loadcnt 0x0
	v_lshlrev_b32_e32 v31, 16, v13
.LBB632_33:                             ;   in Loop: Header=BB632_5 Depth=1
	s_or_b32 exec_lo, exec_lo, s48
	s_wait_loadcnt 0x0
	v_lshlrev_b32_e32 v32, 16, v12
.LBB632_34:                             ;   in Loop: Header=BB632_5 Depth=1
	s_wait_alu 0xfffe
	s_or_b32 exec_lo, exec_lo, s47
	s_wait_loadcnt 0x0
	v_lshlrev_b32_e32 v33, 16, v11
.LBB632_35:                             ;   in Loop: Header=BB632_5 Depth=1
	s_wait_alu 0xfffe
	s_or_b32 exec_lo, exec_lo, s46
	s_wait_loadcnt 0x0
	v_lshlrev_b32_e32 v34, 16, v10
.LBB632_36:                             ;   in Loop: Header=BB632_5 Depth=1
	s_or_b32 exec_lo, exec_lo, s45
	s_and_saveexec_b32 s7, s0
	s_cbranch_execz .LBB632_44
; %bb.37:                               ;   in Loop: Header=BB632_5 Depth=1
	v_mul_lo_u32 v11, v30, s23
	v_or_b32_e32 v10, 2, v30
	v_mul_lo_u32 v13, v9, s23
	v_or_b32_e32 v12, 3, v30
	s_delay_alu instid0(VALU_DEP_3) | instskip(NEXT) | instid1(VALU_DEP_2)
	v_mul_lo_u32 v14, v10, s23
	v_mul_lo_u32 v15, v12, s23
	v_cndmask_b32_e32 v11, 0, v11, vcc_lo
	v_cmp_gt_i32_e32 vcc_lo, s21, v9
	s_wait_alu 0xfffd
	v_cndmask_b32_e32 v13, 0, v13, vcc_lo
	v_cmp_gt_i32_e32 vcc_lo, s21, v10
	s_wait_alu 0xfffd
	v_cndmask_b32_e32 v10, 0, v14, vcc_lo
	v_cmp_gt_i32_e32 vcc_lo, s21, v12
	v_add_nc_u32_e32 v9, v11, v19
	s_wait_alu 0xfffd
	v_cndmask_b32_e32 v12, 0, v15, vcc_lo
	v_add_nc_u32_e32 v11, v13, v19
	v_add_nc_u32_e32 v13, v10, v19
	v_ashrrev_i32_e32 v10, 31, v9
	s_delay_alu instid0(VALU_DEP_4) | instskip(NEXT) | instid1(VALU_DEP_4)
	v_add_nc_u32_e32 v15, v12, v19
	v_ashrrev_i32_e32 v12, 31, v11
	s_delay_alu instid0(VALU_DEP_4) | instskip(NEXT) | instid1(VALU_DEP_4)
	v_ashrrev_i32_e32 v14, 31, v13
	v_lshlrev_b64_e32 v[9:10], 1, v[9:10]
	s_delay_alu instid0(VALU_DEP_4) | instskip(NEXT) | instid1(VALU_DEP_4)
	v_ashrrev_i32_e32 v16, 31, v15
	v_lshlrev_b64_e32 v[11:12], 1, v[11:12]
	s_delay_alu instid0(VALU_DEP_4) | instskip(NEXT) | instid1(VALU_DEP_4)
	v_lshlrev_b64_e32 v[35:36], 1, v[13:14]
	v_add_co_u32 v13, vcc_lo, s34, v9
	s_delay_alu instid0(VALU_DEP_4)
	v_lshlrev_b64_e32 v[37:38], 1, v[15:16]
	s_wait_alu 0xfffd
	v_add_co_ci_u32_e64 v14, null, s35, v10, vcc_lo
	v_add_co_u32 v15, vcc_lo, s34, v11
	s_wait_alu 0xfffd
	v_add_co_ci_u32_e64 v16, null, s35, v12, vcc_lo
	v_add_co_u32 v9, vcc_lo, s34, v35
	;; [unrolled: 3-line block ×3, first 2 shown]
	s_wait_alu 0xfffd
	v_add_co_ci_u32_e64 v12, null, s35, v38, vcc_lo
	s_clause 0x3
	global_load_u16 v37, v[13:14], off
	global_load_u16 v36, v[15:16], off
	;; [unrolled: 1-line block ×4, first 2 shown]
	s_and_saveexec_b32 s34, s1
	s_cbranch_execz .LBB632_43
; %bb.38:                               ;   in Loop: Header=BB632_5 Depth=1
	s_clause 0x3
	global_load_u16 v41, v[13:14], off offset:128
	global_load_u16 v40, v[15:16], off offset:128
	global_load_u16 v39, v[9:10], off offset:128
	global_load_u16 v38, v[11:12], off offset:128
	s_and_saveexec_b32 s35, s2
	s_cbranch_execz .LBB632_42
; %bb.39:                               ;   in Loop: Header=BB632_5 Depth=1
	s_clause 0x3
	global_load_u16 v45, v[13:14], off offset:256
	global_load_u16 v44, v[15:16], off offset:256
	global_load_u16 v43, v[9:10], off offset:256
	global_load_u16 v42, v[11:12], off offset:256
	;; [unrolled: 8-line block ×3, first 2 shown]
	s_wait_loadcnt 0x3
	v_lshlrev_b32_e32 v11, 16, v13
	s_wait_loadcnt 0x2
	v_lshlrev_b32_e32 v12, 16, v14
	;; [unrolled: 2-line block ×3, first 2 shown]
	s_wait_loadcnt 0x0
	v_dual_fmac_f32 v29, v34, v11 :: v_dual_lshlrev_b32 v10, 16, v10
	s_delay_alu instid0(VALU_DEP_1) | instskip(NEXT) | instid1(VALU_DEP_1)
	v_fmac_f32_e32 v29, v33, v12
	v_fmac_f32_e32 v29, v32, v9
	s_delay_alu instid0(VALU_DEP_1)
	v_fmac_f32_e32 v29, v31, v10
.LBB632_41:                             ;   in Loop: Header=BB632_5 Depth=1
	s_wait_alu 0xfffe
	s_or_b32 exec_lo, exec_lo, s36
	s_wait_loadcnt 0x2
	v_lshlrev_b32_e32 v10, 16, v44
	v_lshlrev_b32_e32 v9, 16, v45
	s_wait_loadcnt 0x1
	s_delay_alu instid0(VALU_DEP_1) | instskip(NEXT) | instid1(VALU_DEP_1)
	v_dual_fmac_f32 v28, v34, v9 :: v_dual_lshlrev_b32 v9, 16, v43
	v_fmac_f32_e32 v28, v33, v10
	s_wait_loadcnt 0x0
	s_delay_alu instid0(VALU_DEP_1) | instskip(NEXT) | instid1(VALU_DEP_1)
	v_dual_fmac_f32 v28, v32, v9 :: v_dual_lshlrev_b32 v9, 16, v42
	v_fmac_f32_e32 v28, v31, v9
.LBB632_42:                             ;   in Loop: Header=BB632_5 Depth=1
	s_wait_alu 0xfffe
	s_or_b32 exec_lo, exec_lo, s35
	s_wait_loadcnt 0x3
	v_lshlrev_b32_e32 v9, 16, v41
	s_wait_loadcnt 0x2
	s_delay_alu instid0(VALU_DEP_1) | instskip(SKIP_2) | instid1(VALU_DEP_2)
	v_dual_fmac_f32 v27, v34, v9 :: v_dual_lshlrev_b32 v10, 16, v40
	s_wait_loadcnt 0x1
	v_lshlrev_b32_e32 v9, 16, v39
	v_fmac_f32_e32 v27, v33, v10
	s_delay_alu instid0(VALU_DEP_1) | instskip(SKIP_2) | instid1(VALU_DEP_1)
	v_fmac_f32_e32 v27, v32, v9
	s_wait_loadcnt 0x0
	v_lshlrev_b32_e32 v9, 16, v38
	v_fmac_f32_e32 v27, v31, v9
.LBB632_43:                             ;   in Loop: Header=BB632_5 Depth=1
	s_wait_alu 0xfffe
	s_or_b32 exec_lo, exec_lo, s34
	s_wait_loadcnt 0x2
	v_lshlrev_b32_e32 v10, 16, v36
	v_lshlrev_b32_e32 v9, 16, v37
	s_wait_loadcnt 0x1
	s_delay_alu instid0(VALU_DEP_1) | instskip(NEXT) | instid1(VALU_DEP_1)
	v_dual_fmac_f32 v26, v34, v9 :: v_dual_lshlrev_b32 v9, 16, v35
	v_fmac_f32_e32 v26, v33, v10
	s_wait_loadcnt 0x0
	s_delay_alu instid0(VALU_DEP_1) | instskip(NEXT) | instid1(VALU_DEP_1)
	v_dual_fmac_f32 v26, v32, v9 :: v_dual_lshlrev_b32 v9, 16, v30
	v_fmac_f32_e32 v26, v31, v9
.LBB632_44:                             ;   in Loop: Header=BB632_5 Depth=1
	s_wait_alu 0xfffe
	s_or_b32 exec_lo, exec_lo, s7
.LBB632_45:                             ;   in Loop: Header=BB632_5 Depth=1
	ds_store_2addr_stride64_b32 v18, v26, v27 offset1:1
	ds_store_2addr_stride64_b32 v18, v28, v29 offset0:2 offset1:3
	s_wait_dscnt 0x0
	s_barrier_signal -1
	s_barrier_wait -1
	global_inv scope:SCOPE_SE
                                        ; implicit-def: $vgpr11
	s_and_saveexec_b32 s7, s5
	s_cbranch_execz .LBB632_51
; %bb.46:                               ;   in Loop: Header=BB632_5 Depth=1
	ds_load_2addr_stride64_b32 v[9:10], v20 offset1:4
	ds_load_2addr_stride64_b32 v[11:12], v20 offset0:8 offset1:12
	s_mov_b32 s35, s44
	s_wait_dscnt 0x1
	v_add_f32_e32 v9, v9, v10
	s_wait_dscnt 0x0
	s_delay_alu instid0(VALU_DEP_1) | instskip(NEXT) | instid1(VALU_DEP_1)
	v_add_f32_e32 v9, v11, v9
                                        ; implicit-def: $vgpr11
	v_add_f32_e32 v9, v12, v9
	ds_store_b32 v20, v9
	s_and_saveexec_b32 s34, s6
	s_cbranch_execz .LBB632_50
; %bb.47:                               ;   in Loop: Header=BB632_5 Depth=1
	v_mul_f32_e32 v11, s22, v9
	s_and_not1_b32 vcc_lo, exec_lo, s39
	s_wait_alu 0xfffe
	s_cbranch_vccnz .LBB632_49
; %bb.48:                               ;   in Loop: Header=BB632_5 Depth=1
	v_lshlrev_b64_e32 v[9:10], 2, v[2:3]
	s_delay_alu instid0(VALU_DEP_1) | instskip(SKIP_1) | instid1(VALU_DEP_2)
	v_add_co_u32 v9, vcc_lo, s16, v9
	s_wait_alu 0xfffd
	v_add_co_ci_u32_e64 v10, null, s17, v10, vcc_lo
	global_load_b32 v9, v[9:10], off
	s_wait_loadcnt 0x0
	v_fmac_f32_e32 v11, s26, v9
.LBB632_49:                             ;   in Loop: Header=BB632_5 Depth=1
	s_or_b32 s35, s44, exec_lo
.LBB632_50:                             ;   in Loop: Header=BB632_5 Depth=1
	s_wait_alu 0xfffe
	s_or_b32 exec_lo, exec_lo, s34
	s_delay_alu instid0(SALU_CYCLE_1)
	s_and_not1_b32 s34, s44, exec_lo
	s_and_b32 s35, s35, exec_lo
	s_wait_alu 0xfffe
	s_or_b32 s44, s34, s35
.LBB632_51:                             ;   in Loop: Header=BB632_5 Depth=1
	s_wait_alu 0xfffe
	s_or_b32 exec_lo, exec_lo, s7
	v_dual_mov_b32 v10, v3 :: v_dual_mov_b32 v9, v2
	s_and_saveexec_b32 s7, s44
	s_cbranch_execz .LBB632_3
.LBB632_52:                             ;   in Loop: Header=BB632_5 Depth=1
	s_delay_alu instid0(VALU_DEP_1) | instskip(SKIP_1) | instid1(VALU_DEP_1)
	v_lshlrev_b64_e32 v[9:10], 2, v[9:10]
	s_wait_alu 0xfffe
	v_add_co_u32 v9, vcc_lo, s16, v9
	s_wait_alu 0xfffd
	s_delay_alu instid0(VALU_DEP_2)
	v_add_co_ci_u32_e64 v10, null, s17, v10, vcc_lo
	global_store_b32 v[9:10], v11, off
	s_branch .LBB632_3
.LBB632_53:
	s_endpgm
	.section	.rodata,"a",@progbits
	.p2align	6, 0x0
	.amdhsa_kernel _ZL20rocblas_gemvn_kernelILi64ELi4Ei16rocblas_bfloat16ffEviiT3_lPKT2_lT1_lS4_lS5_lS1_lPT4_lS5_li
		.amdhsa_group_segment_fixed_size 4096
		.amdhsa_private_segment_fixed_size 0
		.amdhsa_kernarg_size 400
		.amdhsa_user_sgpr_count 2
		.amdhsa_user_sgpr_dispatch_ptr 0
		.amdhsa_user_sgpr_queue_ptr 0
		.amdhsa_user_sgpr_kernarg_segment_ptr 1
		.amdhsa_user_sgpr_dispatch_id 0
		.amdhsa_user_sgpr_private_segment_size 0
		.amdhsa_wavefront_size32 1
		.amdhsa_uses_dynamic_stack 0
		.amdhsa_enable_private_segment 0
		.amdhsa_system_sgpr_workgroup_id_x 1
		.amdhsa_system_sgpr_workgroup_id_y 0
		.amdhsa_system_sgpr_workgroup_id_z 1
		.amdhsa_system_sgpr_workgroup_info 0
		.amdhsa_system_vgpr_workitem_id 1
		.amdhsa_next_free_vgpr 51
		.amdhsa_next_free_sgpr 51
		.amdhsa_reserve_vcc 1
		.amdhsa_float_round_mode_32 0
		.amdhsa_float_round_mode_16_64 0
		.amdhsa_float_denorm_mode_32 3
		.amdhsa_float_denorm_mode_16_64 3
		.amdhsa_fp16_overflow 0
		.amdhsa_workgroup_processor_mode 1
		.amdhsa_memory_ordered 1
		.amdhsa_forward_progress 1
		.amdhsa_inst_pref_size 26
		.amdhsa_round_robin_scheduling 0
		.amdhsa_exception_fp_ieee_invalid_op 0
		.amdhsa_exception_fp_denorm_src 0
		.amdhsa_exception_fp_ieee_div_zero 0
		.amdhsa_exception_fp_ieee_overflow 0
		.amdhsa_exception_fp_ieee_underflow 0
		.amdhsa_exception_fp_ieee_inexact 0
		.amdhsa_exception_int_div_zero 0
	.end_amdhsa_kernel
	.section	.text._ZL20rocblas_gemvn_kernelILi64ELi4Ei16rocblas_bfloat16ffEviiT3_lPKT2_lT1_lS4_lS5_lS1_lPT4_lS5_li,"axG",@progbits,_ZL20rocblas_gemvn_kernelILi64ELi4Ei16rocblas_bfloat16ffEviiT3_lPKT2_lT1_lS4_lS5_lS1_lPT4_lS5_li,comdat
.Lfunc_end632:
	.size	_ZL20rocblas_gemvn_kernelILi64ELi4Ei16rocblas_bfloat16ffEviiT3_lPKT2_lT1_lS4_lS5_lS1_lPT4_lS5_li, .Lfunc_end632-_ZL20rocblas_gemvn_kernelILi64ELi4Ei16rocblas_bfloat16ffEviiT3_lPKT2_lT1_lS4_lS5_lS1_lPT4_lS5_li
                                        ; -- End function
	.set _ZL20rocblas_gemvn_kernelILi64ELi4Ei16rocblas_bfloat16ffEviiT3_lPKT2_lT1_lS4_lS5_lS1_lPT4_lS5_li.num_vgpr, 51
	.set _ZL20rocblas_gemvn_kernelILi64ELi4Ei16rocblas_bfloat16ffEviiT3_lPKT2_lT1_lS4_lS5_lS1_lPT4_lS5_li.num_agpr, 0
	.set _ZL20rocblas_gemvn_kernelILi64ELi4Ei16rocblas_bfloat16ffEviiT3_lPKT2_lT1_lS4_lS5_lS1_lPT4_lS5_li.numbered_sgpr, 51
	.set _ZL20rocblas_gemvn_kernelILi64ELi4Ei16rocblas_bfloat16ffEviiT3_lPKT2_lT1_lS4_lS5_lS1_lPT4_lS5_li.num_named_barrier, 0
	.set _ZL20rocblas_gemvn_kernelILi64ELi4Ei16rocblas_bfloat16ffEviiT3_lPKT2_lT1_lS4_lS5_lS1_lPT4_lS5_li.private_seg_size, 0
	.set _ZL20rocblas_gemvn_kernelILi64ELi4Ei16rocblas_bfloat16ffEviiT3_lPKT2_lT1_lS4_lS5_lS1_lPT4_lS5_li.uses_vcc, 1
	.set _ZL20rocblas_gemvn_kernelILi64ELi4Ei16rocblas_bfloat16ffEviiT3_lPKT2_lT1_lS4_lS5_lS1_lPT4_lS5_li.uses_flat_scratch, 0
	.set _ZL20rocblas_gemvn_kernelILi64ELi4Ei16rocblas_bfloat16ffEviiT3_lPKT2_lT1_lS4_lS5_lS1_lPT4_lS5_li.has_dyn_sized_stack, 0
	.set _ZL20rocblas_gemvn_kernelILi64ELi4Ei16rocblas_bfloat16ffEviiT3_lPKT2_lT1_lS4_lS5_lS1_lPT4_lS5_li.has_recursion, 0
	.set _ZL20rocblas_gemvn_kernelILi64ELi4Ei16rocblas_bfloat16ffEviiT3_lPKT2_lT1_lS4_lS5_lS1_lPT4_lS5_li.has_indirect_call, 0
	.section	.AMDGPU.csdata,"",@progbits
; Kernel info:
; codeLenInByte = 3228
; TotalNumSgprs: 53
; NumVgprs: 51
; ScratchSize: 0
; MemoryBound: 0
; FloatMode: 240
; IeeeMode: 1
; LDSByteSize: 4096 bytes/workgroup (compile time only)
; SGPRBlocks: 0
; VGPRBlocks: 6
; NumSGPRsForWavesPerEU: 53
; NumVGPRsForWavesPerEU: 51
; Occupancy: 16
; WaveLimiterHint : 1
; COMPUTE_PGM_RSRC2:SCRATCH_EN: 0
; COMPUTE_PGM_RSRC2:USER_SGPR: 2
; COMPUTE_PGM_RSRC2:TRAP_HANDLER: 0
; COMPUTE_PGM_RSRC2:TGID_X_EN: 1
; COMPUTE_PGM_RSRC2:TGID_Y_EN: 0
; COMPUTE_PGM_RSRC2:TGID_Z_EN: 1
; COMPUTE_PGM_RSRC2:TIDIG_COMP_CNT: 1
	.section	.text._ZL20rocblas_gemvn_kernelILi64ELi4El16rocblas_bfloat16ffEviiT3_lPKT2_lT1_lS4_lS5_lS1_lPT4_lS5_li,"axG",@progbits,_ZL20rocblas_gemvn_kernelILi64ELi4El16rocblas_bfloat16ffEviiT3_lPKT2_lT1_lS4_lS5_lS1_lPT4_lS5_li,comdat
	.globl	_ZL20rocblas_gemvn_kernelILi64ELi4El16rocblas_bfloat16ffEviiT3_lPKT2_lT1_lS4_lS5_lS1_lPT4_lS5_li ; -- Begin function _ZL20rocblas_gemvn_kernelILi64ELi4El16rocblas_bfloat16ffEviiT3_lPKT2_lT1_lS4_lS5_lS1_lPT4_lS5_li
	.p2align	8
	.type	_ZL20rocblas_gemvn_kernelILi64ELi4El16rocblas_bfloat16ffEviiT3_lPKT2_lT1_lS4_lS5_lS1_lPT4_lS5_li,@function
_ZL20rocblas_gemvn_kernelILi64ELi4El16rocblas_bfloat16ffEviiT3_lPKT2_lT1_lS4_lS5_lS1_lPT4_lS5_li: ; @_ZL20rocblas_gemvn_kernelILi64ELi4El16rocblas_bfloat16ffEviiT3_lPKT2_lT1_lS4_lS5_lS1_lPT4_lS5_li
; %bb.0:
	s_load_b64 s[2:3], s[0:1], 0x9c
	s_wait_kmcnt 0x0
	s_lshr_b32 s4, s2, 16
	s_and_b32 s2, s2, 0xffff
	s_and_b32 s3, s3, 0xffff
	s_mul_i32 s2, s4, s2
	s_delay_alu instid0(SALU_CYCLE_1) | instskip(NEXT) | instid1(SALU_CYCLE_1)
	s_mul_i32 s2, s2, s3
	s_cmp_lg_u32 s2, 0x100
	s_cbranch_scc1 .LBB633_53
; %bb.1:
	s_load_b32 s33, s[0:1], 0x88
	s_lshr_b32 s34, ttmp7, 16
	s_wait_kmcnt 0x0
	s_cmp_ge_u32 s34, s33
	s_cbranch_scc1 .LBB633_53
; %bb.2:
	s_clause 0x3
	s_load_b512 s[8:23], s[0:1], 0x18
	s_load_b256 s[24:31], s[0:1], 0x68
	s_load_b96 s[36:38], s[0:1], 0x0
	s_load_b32 s39, s[0:1], 0x58
	v_bfe_u32 v15, v0, 10, 10
	v_and_b32_e32 v1, 0x3ff, v0
	s_mov_b32 s35, 0
	s_delay_alu instid0(VALU_DEP_2) | instskip(NEXT) | instid1(VALU_DEP_2)
	v_dual_mov_b32 v3, 0 :: v_dual_lshlrev_b32 v16, 2, v15
	v_lshlrev_b32_e32 v10, 2, v1
	s_delay_alu instid0(VALU_DEP_2) | instskip(NEXT) | instid1(VALU_DEP_2)
	v_or_b32_e32 v19, 3, v16
	v_lshl_add_u32 v17, v15, 10, v10
	v_lshl_add_u32 v18, v15, 8, v10
	s_wait_kmcnt 0x0
	s_lshl_b64 s[2:3], s[10:11], 1
	s_lshl_b64 s[10:11], s[18:19], 1
	;; [unrolled: 1-line block ×3, first 2 shown]
	s_cmp_eq_f32 s38, 0
	s_add_nc_u64 s[18:19], s[8:9], s[2:3]
	v_mad_co_u64_u32 v[4:5], null, s20, v15, 0
	s_cselect_b32 s46, -1, 0
	s_cmp_neq_f32 s38, 0
	v_mad_co_u64_u32 v[6:7], null, s12, v19, 0
	s_add_nc_u64 s[24:25], s[24:25], s[4:5]
	s_cselect_b32 s1, -1, 0
	s_cmp_neq_f32 s39, 1.0
	s_mov_b32 s6, s36
	s_add_nc_u64 s[26:27], s[16:17], s[10:11]
	s_cselect_b32 s2, -1, 0
	s_lshl_b32 s8, ttmp9, 8
	s_ashr_i32 s7, s36, 31
	s_or_b32 s47, s1, s2
	v_or_b32_e32 v8, s8, v1
	s_cmp_neq_f32 s39, 0
	s_cselect_b32 s48, -1, 0
	s_ashr_i32 s2, s37, 31
	s_delay_alu instid0(VALU_DEP_1)
	v_add_nc_u32_e32 v11, 0x80, v8
	s_lshr_b32 s2, s2, 28
	v_ashrrev_i32_e32 v9, 31, v8
	s_add_co_i32 s3, s37, s2
	v_cmp_gt_i32_e64 s1, s36, v8
	s_and_b32 s49, s3, -16
	v_cmp_gt_i32_e64 s3, s36, v11
	v_mad_co_u64_u32 v[10:11], null, s21, v15, v[5:6]
	v_dual_mov_b32 v5, v7 :: v_dual_add_nc_u32 v12, 0xc0, v8
	s_sub_co_i32 s5, s37, s49
	v_or_b32_e32 v23, 2, v16
	s_cmp_gt_i32 s5, 0
	v_mad_co_u64_u32 v[29:30], null, s20, v16, s[20:21]
	v_mad_co_u64_u32 v[13:14], null, s13, v19, v[5:6]
	v_mov_b32_e32 v5, v10
	v_cmp_gt_i32_e64 s4, s36, v12
	v_mad_co_u64_u32 v[11:12], null, s20, v19, 0
	s_cselect_b32 s50, -1, 0
	v_lshlrev_b64_e32 v[4:5], 3, v[4:5]
	v_mov_b32_e32 v7, v13
	v_mad_co_u64_u32 v[27:28], null, s20, v23, 0
	v_mad_co_u64_u32 v[31:32], null, s12, v16, s[12:13]
	v_mov_b32_e32 v10, v12
	v_lshl_add_u32 v0, v15, 6, v1
	v_lshlrev_b64_e32 v[6:7], 1, v[6:7]
	v_cmp_gt_i32_e64 s5, s49, v16
	s_lshl_b64 s[40:41], s[14:15], 1
	v_mad_co_u64_u32 v[12:13], null, s21, v19, v[10:11]
	v_add_nc_u32_e32 v2, s8, v0
	v_cmp_gt_u32_e64 s0, 0x100, v0
	v_or_b32_e32 v20, s8, v0
	v_mad_co_u64_u32 v[13:14], null, s12, v15, 0
	s_delay_alu instid0(VALU_DEP_4)
	v_mad_co_u64_u32 v[0:1], null, s28, v2, 0
	v_cmp_gt_i64_e32 vcc_lo, s[6:7], v[2:3]
	v_add_nc_u32_e32 v3, 64, v8
	s_ashr_i32 s6, s8, 31
	v_mul_lo_u32 v21, s29, v20
	s_wait_alu 0xfffe
	s_mul_i32 s7, s28, s6
	v_cmp_gt_i32_e64 s6, s36, v20
	v_mad_co_u64_u32 v[1:2], null, s29, v2, v[1:2]
	v_cmp_gt_i32_e64 s2, s36, v3
	v_mad_co_u64_u32 v[2:3], null, s28, v20, 0
	s_and_b32 s36, s0, vcc_lo
	v_add_co_u32 v19, vcc_lo, s16, v4
	s_delay_alu instid0(VALU_DEP_1)
	v_add_co_ci_u32_e64 v20, null, s17, v5, vcc_lo
	v_lshlrev_b64_e32 v[4:5], 1, v[8:9]
	v_mad_co_u64_u32 v[9:10], null, s12, v23, 0
	v_mov_b32_e32 v8, v14
	s_wait_alu 0xfffe
	v_add3_u32 v3, v3, s7, v21
	v_add_co_u32 v21, vcc_lo, s18, v6
	s_wait_alu 0xfffd
	v_add_co_ci_u32_e64 v22, null, s19, v7, vcc_lo
	v_mad_co_u64_u32 v[14:15], null, s13, v15, v[8:9]
	v_lshlrev_b64_e32 v[7:8], 1, v[11:12]
	v_mov_b32_e32 v6, v10
	v_mov_b32_e32 v10, v28
	s_lshl_b64 s[28:29], s[22:23], 1
	s_lshl_b64 s[42:43], s[12:13], 5
	s_delay_alu instid0(VALU_DEP_2) | instskip(SKIP_1) | instid1(VALU_DEP_2)
	v_mad_co_u64_u32 v[11:12], null, s13, v23, v[6:7]
	v_mov_b32_e32 v6, v30
	v_mad_co_u64_u32 v[25:26], null, s21, v23, v[10:11]
	v_add_co_u32 v23, vcc_lo, s16, v7
	s_wait_alu 0xfffd
	v_add_co_ci_u32_e64 v24, null, s17, v8, vcc_lo
	v_lshlrev_b64_e32 v[7:8], 3, v[13:14]
	v_mov_b32_e32 v10, v11
	v_mov_b32_e32 v28, v25
	s_delay_alu instid0(VALU_DEP_3)
	v_add_co_u32 v25, vcc_lo, s18, v7
	v_mad_co_u64_u32 v[11:12], null, s21, v16, v[6:7]
	s_wait_alu 0xfffd
	v_add_co_ci_u32_e64 v26, null, s19, v8, vcc_lo
	v_lshlrev_b64_e32 v[7:8], 1, v[9:10]
	v_mov_b32_e32 v6, v32
	v_lshlrev_b64_e32 v[12:13], 1, v[27:28]
	v_mov_b32_e32 v30, v11
	s_delay_alu instid0(VALU_DEP_3) | instskip(SKIP_1) | instid1(VALU_DEP_3)
	v_mad_co_u64_u32 v[9:10], null, s13, v16, v[6:7]
	v_add_co_u32 v27, vcc_lo, s18, v7
	v_lshlrev_b64_e32 v[6:7], 1, v[29:30]
	s_wait_alu 0xfffd
	v_add_co_ci_u32_e64 v28, null, s19, v8, vcc_lo
	v_add_co_u32 v29, vcc_lo, s16, v12
	v_mov_b32_e32 v32, v9
	s_wait_alu 0xfffd
	v_add_co_ci_u32_e64 v30, null, s17, v13, vcc_lo
	s_delay_alu instid0(VALU_DEP_2) | instskip(SKIP_4) | instid1(VALU_DEP_4)
	v_lshlrev_b64_e32 v[8:9], 1, v[31:32]
	v_add_co_u32 v31, vcc_lo, s16, v6
	s_wait_alu 0xfffd
	v_add_co_ci_u32_e64 v32, null, s17, v7, vcc_lo
	v_lshlrev_b64_e32 v[6:7], 2, v[0:1]
	v_add_co_u32 v33, vcc_lo, s18, v8
	s_wait_alu 0xfffd
	v_add_co_ci_u32_e64 v34, null, s19, v9, vcc_lo
	s_lshl_b64 s[16:17], s[20:21], 5
	s_branch .LBB633_5
.LBB633_3:                              ;   in Loop: Header=BB633_5 Depth=1
	s_wait_alu 0xfffe
	s_or_b32 exec_lo, exec_lo, s7
.LBB633_4:                              ;   in Loop: Header=BB633_5 Depth=1
	s_add_co_i32 s34, s34, 0x10000
	s_delay_alu instid0(SALU_CYCLE_1)
	s_cmp_lt_u32 s34, s33
	s_cbranch_scc0 .LBB633_53
.LBB633_5:                              ; =>This Loop Header: Depth=1
                                        ;     Child Loop BB633_21 Depth 2
	s_and_not1_b32 vcc_lo, exec_lo, s47
	s_wait_alu 0xfffe
	s_cbranch_vccnz .LBB633_4
; %bb.6:                                ;   in Loop: Header=BB633_5 Depth=1
	s_mul_u64 s[8:9], s[30:31], s[34:35]
	s_and_not1_b32 vcc_lo, exec_lo, s46
	s_wait_alu 0xfffe
	s_lshl_b64 s[8:9], s[8:9], 2
	s_wait_alu 0xfffe
	s_add_nc_u64 s[44:45], s[24:25], s[8:9]
	s_cbranch_vccnz .LBB633_10
; %bb.7:                                ;   in Loop: Header=BB633_5 Depth=1
	s_mov_b32 s7, 0
	s_mov_b32 s51, 0
                                        ; implicit-def: $vgpr10
	s_and_saveexec_b32 s8, s36
	s_cbranch_execz .LBB633_11
; %bb.8:                                ;   in Loop: Header=BB633_5 Depth=1
	s_and_not1_b32 vcc_lo, exec_lo, s48
	s_wait_alu 0xfffe
	s_cbranch_vccnz .LBB633_13
; %bb.9:                                ;   in Loop: Header=BB633_5 Depth=1
	v_add_co_u32 v8, vcc_lo, s44, v6
	s_wait_alu 0xfffd
	v_add_co_ci_u32_e64 v9, null, s45, v7, vcc_lo
	global_load_b32 v8, v[8:9], off
	s_wait_loadcnt 0x0
	v_mul_f32_e32 v10, s39, v8
	s_branch .LBB633_14
.LBB633_10:                             ;   in Loop: Header=BB633_5 Depth=1
	s_mov_b32 s51, 0
                                        ; implicit-def: $vgpr10
	s_cbranch_execz .LBB633_12
	s_branch .LBB633_15
.LBB633_11:                             ;   in Loop: Header=BB633_5 Depth=1
	s_wait_alu 0xfffe
	s_or_b32 exec_lo, exec_lo, s8
	s_delay_alu instid0(SALU_CYCLE_1)
	s_and_b32 vcc_lo, exec_lo, s7
	s_wait_alu 0xfffe
	s_cbranch_vccnz .LBB633_15
.LBB633_12:                             ;   in Loop: Header=BB633_5 Depth=1
	v_dual_mov_b32 v9, v1 :: v_dual_mov_b32 v8, v0
	s_and_saveexec_b32 s7, s51
	s_cbranch_execz .LBB633_3
	s_branch .LBB633_52
.LBB633_13:                             ;   in Loop: Header=BB633_5 Depth=1
	v_mov_b32_e32 v10, 0
.LBB633_14:                             ;   in Loop: Header=BB633_5 Depth=1
	s_mov_b32 s51, exec_lo
	s_or_b32 exec_lo, exec_lo, s8
	s_delay_alu instid0(SALU_CYCLE_1)
	s_and_b32 vcc_lo, exec_lo, s7
	s_wait_alu 0xfffe
	s_cbranch_vccz .LBB633_12
.LBB633_15:                             ;   in Loop: Header=BB633_5 Depth=1
	v_dual_mov_b32 v35, 0 :: v_dual_mov_b32 v36, 0
	v_dual_mov_b32 v39, v16 :: v_dual_mov_b32 v38, 0
	v_mov_b32_e32 v37, 0
	s_and_saveexec_b32 s8, s5
	s_cbranch_execz .LBB633_27
; %bb.16:                               ;   in Loop: Header=BB633_5 Depth=1
	s_mul_u64 s[52:53], s[28:29], s[34:35]
	s_mul_u64 s[54:55], s[40:41], s[34:35]
	s_wait_alu 0xfffe
	v_add_co_u32 v40, vcc_lo, v19, s52
	s_wait_alu 0xfffd
	v_add_co_ci_u32_e64 v41, null, s53, v20, vcc_lo
	v_add_co_u32 v42, vcc_lo, v21, s54
	s_wait_alu 0xfffd
	v_add_co_ci_u32_e64 v43, null, s55, v22, vcc_lo
	;; [unrolled: 3-line block ×8, first 2 shown]
	v_dual_mov_b32 v35, 0 :: v_dual_mov_b32 v36, 0
	v_dual_mov_b32 v39, v16 :: v_dual_mov_b32 v38, 0
	v_mov_b32_e32 v37, 0
	s_mov_b32 s9, 0
	s_branch .LBB633_21
.LBB633_17:                             ;   in Loop: Header=BB633_21 Depth=2
	s_wait_alu 0xfffe
	s_or_b32 exec_lo, exec_lo, s54
	s_wait_loadcnt 0x2
	v_lshlrev_b32_e32 v9, 16, v70
	v_lshlrev_b32_e32 v8, 16, v71
	s_wait_loadcnt 0x1
	s_delay_alu instid0(VALU_DEP_1) | instskip(NEXT) | instid1(VALU_DEP_1)
	v_dual_fmac_f32 v37, v63, v8 :: v_dual_lshlrev_b32 v8, 16, v69
	v_fmac_f32_e32 v37, v59, v9
	s_delay_alu instid0(VALU_DEP_1) | instskip(SKIP_2) | instid1(VALU_DEP_1)
	v_fmac_f32_e32 v37, v61, v8
	s_wait_loadcnt 0x0
	v_lshlrev_b32_e32 v8, 16, v68
	v_fmac_f32_e32 v37, v57, v8
.LBB633_18:                             ;   in Loop: Header=BB633_21 Depth=2
	s_wait_alu 0xfffe
	s_or_b32 exec_lo, exec_lo, s53
	s_wait_loadcnt 0x3
	v_lshlrev_b32_e32 v8, 16, v67
	s_wait_loadcnt 0x2
	s_delay_alu instid0(VALU_DEP_1) | instskip(SKIP_2) | instid1(VALU_DEP_2)
	v_dual_fmac_f32 v36, v63, v8 :: v_dual_lshlrev_b32 v9, 16, v66
	s_wait_loadcnt 0x1
	v_lshlrev_b32_e32 v8, 16, v65
	v_fmac_f32_e32 v36, v59, v9
	s_delay_alu instid0(VALU_DEP_1) | instskip(SKIP_2) | instid1(VALU_DEP_1)
	v_fmac_f32_e32 v36, v61, v8
	s_wait_loadcnt 0x0
	v_lshlrev_b32_e32 v8, 16, v64
	v_fmac_f32_e32 v36, v57, v8
.LBB633_19:                             ;   in Loop: Header=BB633_21 Depth=2
	s_wait_alu 0xfffe
	s_or_b32 exec_lo, exec_lo, s52
	s_wait_loadcnt 0x2
	v_lshlrev_b32_e32 v9, 16, v60
	v_lshlrev_b32_e32 v8, 16, v62
	s_wait_loadcnt 0x1
	s_delay_alu instid0(VALU_DEP_1) | instskip(NEXT) | instid1(VALU_DEP_1)
	v_dual_fmac_f32 v35, v63, v8 :: v_dual_lshlrev_b32 v8, 16, v58
	v_fmac_f32_e32 v35, v59, v9
	s_delay_alu instid0(VALU_DEP_1) | instskip(SKIP_2) | instid1(VALU_DEP_1)
	v_fmac_f32_e32 v35, v61, v8
	s_wait_loadcnt 0x0
	v_lshlrev_b32_e32 v8, 16, v56
	v_fmac_f32_e32 v35, v57, v8
.LBB633_20:                             ;   in Loop: Header=BB633_21 Depth=2
	s_wait_alu 0xfffe
	s_or_b32 exec_lo, exec_lo, s7
	v_add_co_u32 v40, vcc_lo, v40, s16
	s_wait_alu 0xfffd
	v_add_co_ci_u32_e64 v41, null, s17, v41, vcc_lo
	v_add_co_u32 v42, vcc_lo, v42, s42
	s_wait_alu 0xfffd
	v_add_co_ci_u32_e64 v43, null, s43, v43, vcc_lo
	;; [unrolled: 3-line block ×4, first 2 shown]
	v_add_co_u32 v48, vcc_lo, v48, s42
	v_add_nc_u32_e32 v39, 16, v39
	s_wait_alu 0xfffd
	v_add_co_ci_u32_e64 v49, null, s43, v49, vcc_lo
	v_add_co_u32 v50, vcc_lo, v50, s16
	s_wait_alu 0xfffd
	v_add_co_ci_u32_e64 v51, null, s17, v51, vcc_lo
	v_add_co_u32 v52, vcc_lo, v52, s16
	s_wait_alu 0xfffd
	v_add_co_ci_u32_e64 v53, null, s17, v53, vcc_lo
	v_cmp_le_i32_e32 vcc_lo, s49, v39
	v_add_co_u32 v54, s7, v54, s42
	s_wait_alu 0xf1ff
	v_add_co_ci_u32_e64 v55, null, s43, v55, s7
	s_or_b32 s9, vcc_lo, s9
	s_wait_alu 0xfffe
	s_and_not1_b32 exec_lo, exec_lo, s9
	s_cbranch_execz .LBB633_26
.LBB633_21:                             ;   Parent Loop BB633_5 Depth=1
                                        ; =>  This Inner Loop Header: Depth=2
	s_and_saveexec_b32 s7, s1
	s_cbranch_execz .LBB633_20
; %bb.22:                               ;   in Loop: Header=BB633_21 Depth=2
	v_add_co_u32 v8, vcc_lo, v40, s10
	s_wait_alu 0xfffd
	v_add_co_ci_u32_e64 v9, null, s11, v41, vcc_lo
	v_add_co_u32 v10, vcc_lo, v52, s10
	s_wait_alu 0xfffd
	v_add_co_ci_u32_e64 v11, null, s11, v53, vcc_lo
	;; [unrolled: 3-line block ×4, first 2 shown]
	global_load_u16 v57, v[8:9], off
	global_load_u16 v59, v[10:11], off
	global_load_u16 v61, v[12:13], off
	global_load_u16 v64, v[14:15], off
	v_add_co_u32 v8, vcc_lo, v46, v4
	s_wait_alu 0xfffd
	v_add_co_ci_u32_e64 v9, null, v47, v5, vcc_lo
	v_add_co_u32 v12, vcc_lo, v54, v4
	s_wait_alu 0xfffd
	v_add_co_ci_u32_e64 v13, null, v55, v5, vcc_lo
	;; [unrolled: 3-line block ×4, first 2 shown]
	global_load_u16 v62, v[8:9], off
	global_load_u16 v60, v[12:13], off
	;; [unrolled: 1-line block ×4, first 2 shown]
	s_wait_loadcnt 0x7
	v_lshlrev_b32_e32 v63, 16, v57
	s_wait_loadcnt 0x6
	v_lshlrev_b32_e32 v59, 16, v59
	;; [unrolled: 2-line block ×4, first 2 shown]
	s_and_saveexec_b32 s52, s2
	s_cbranch_execz .LBB633_19
; %bb.23:                               ;   in Loop: Header=BB633_21 Depth=2
	global_load_u16 v67, v[8:9], off offset:128
	global_load_u16 v66, v[12:13], off offset:128
	global_load_u16 v65, v[10:11], off offset:128
	global_load_u16 v64, v[14:15], off offset:128
	s_and_saveexec_b32 s53, s3
	s_cbranch_execz .LBB633_18
; %bb.24:                               ;   in Loop: Header=BB633_21 Depth=2
	global_load_u16 v71, v[8:9], off offset:256
	global_load_u16 v70, v[12:13], off offset:256
	global_load_u16 v69, v[10:11], off offset:256
	global_load_u16 v68, v[14:15], off offset:256
	;; [unrolled: 7-line block ×3, first 2 shown]
	s_wait_loadcnt 0x3
	v_lshlrev_b32_e32 v8, 16, v8
	s_wait_loadcnt 0x2
	s_delay_alu instid0(VALU_DEP_1) | instskip(SKIP_3) | instid1(VALU_DEP_2)
	v_dual_fmac_f32 v38, v63, v8 :: v_dual_lshlrev_b32 v9, 16, v9
	s_wait_loadcnt 0x1
	v_lshlrev_b32_e32 v8, 16, v10
	s_wait_loadcnt 0x0
	v_dual_fmac_f32 v38, v59, v9 :: v_dual_lshlrev_b32 v9, 16, v11
	s_delay_alu instid0(VALU_DEP_1) | instskip(NEXT) | instid1(VALU_DEP_1)
	v_fmac_f32_e32 v38, v61, v8
	v_fmac_f32_e32 v38, v57, v9
	s_branch .LBB633_17
.LBB633_26:                             ;   in Loop: Header=BB633_5 Depth=1
	s_or_b32 exec_lo, exec_lo, s9
.LBB633_27:                             ;   in Loop: Header=BB633_5 Depth=1
	s_wait_alu 0xfffe
	s_or_b32 exec_lo, exec_lo, s8
	s_delay_alu instid0(SALU_CYCLE_1)
	s_and_not1_b32 vcc_lo, exec_lo, s50
	s_wait_alu 0xfffe
	s_cbranch_vccnz .LBB633_45
; %bb.28:                               ;   in Loop: Header=BB633_5 Depth=1
	v_cmp_gt_i32_e32 vcc_lo, s37, v39
	v_dual_mov_b32 v41, 0 :: v_dual_mov_b32 v40, 0
	v_or_b32_e32 v8, 1, v39
	v_dual_mov_b32 v43, 0 :: v_dual_mov_b32 v42, 0
	s_and_saveexec_b32 s52, vcc_lo
	s_cbranch_execz .LBB633_36
; %bb.29:                               ;   in Loop: Header=BB633_5 Depth=1
	v_mad_co_u64_u32 v[9:10], null, s20, v39, 0
	s_mul_u64 s[8:9], s[22:23], s[34:35]
	v_dual_mov_b32 v42, 0 :: v_dual_mov_b32 v41, 0
	s_wait_alu 0xfffe
	s_lshl_b64 s[8:9], s[8:9], 1
	v_mov_b32_e32 v40, 0
	s_wait_alu 0xfffe
	s_add_nc_u64 s[8:9], s[26:27], s[8:9]
	v_mad_co_u64_u32 v[10:11], null, s21, v39, v[10:11]
	s_mov_b32 s53, exec_lo
	v_lshlrev_b64_e32 v[9:10], 1, v[9:10]
	s_wait_alu 0xfffe
	s_delay_alu instid0(VALU_DEP_1) | instskip(SKIP_1) | instid1(VALU_DEP_2)
	v_add_co_u32 v9, s7, s8, v9
	s_wait_alu 0xf1ff
	v_add_co_ci_u32_e64 v10, null, s9, v10, s7
	global_load_u16 v9, v[9:10], off
	v_cmpx_gt_i32_e64 s37, v8
	s_cbranch_execz .LBB633_35
; %bb.30:                               ;   in Loop: Header=BB633_5 Depth=1
	v_mad_co_u64_u32 v[10:11], null, s20, v8, 0
	v_dual_mov_b32 v40, 0 :: v_dual_mov_b32 v41, 0
	s_mov_b32 s54, exec_lo
	s_delay_alu instid0(VALU_DEP_2) | instskip(NEXT) | instid1(VALU_DEP_1)
	v_mad_co_u64_u32 v[11:12], null, s21, v8, v[11:12]
	v_lshlrev_b64_e32 v[10:11], 1, v[10:11]
	s_delay_alu instid0(VALU_DEP_1) | instskip(SKIP_1) | instid1(VALU_DEP_2)
	v_add_co_u32 v10, s7, s8, v10
	s_wait_alu 0xf1ff
	v_add_co_ci_u32_e64 v11, null, s9, v11, s7
	global_load_u16 v10, v[10:11], off
	v_or_b32_e32 v11, 2, v39
	s_delay_alu instid0(VALU_DEP_1)
	v_cmpx_gt_i32_e64 s37, v11
	s_cbranch_execz .LBB633_34
; %bb.31:                               ;   in Loop: Header=BB633_5 Depth=1
	v_mad_co_u64_u32 v[12:13], null, s20, v11, 0
	v_mov_b32_e32 v40, 0
	s_mov_b32 s55, exec_lo
	s_delay_alu instid0(VALU_DEP_2) | instskip(NEXT) | instid1(VALU_DEP_1)
	v_mad_co_u64_u32 v[13:14], null, s21, v11, v[13:14]
	v_lshlrev_b64_e32 v[11:12], 1, v[12:13]
	s_delay_alu instid0(VALU_DEP_1) | instskip(SKIP_1) | instid1(VALU_DEP_2)
	v_add_co_u32 v11, s7, s8, v11
	s_wait_alu 0xf1ff
	v_add_co_ci_u32_e64 v12, null, s9, v12, s7
	global_load_u16 v11, v[11:12], off
	v_or_b32_e32 v12, 3, v39
	s_delay_alu instid0(VALU_DEP_1)
	v_cmpx_gt_i32_e64 s37, v12
	s_cbranch_execz .LBB633_33
; %bb.32:                               ;   in Loop: Header=BB633_5 Depth=1
	v_mad_co_u64_u32 v[13:14], null, s20, v12, 0
	s_delay_alu instid0(VALU_DEP_1) | instskip(NEXT) | instid1(VALU_DEP_1)
	v_mad_co_u64_u32 v[14:15], null, s21, v12, v[14:15]
	v_lshlrev_b64_e32 v[12:13], 1, v[13:14]
	s_delay_alu instid0(VALU_DEP_1) | instskip(SKIP_1) | instid1(VALU_DEP_2)
	v_add_co_u32 v12, s7, s8, v12
	s_wait_alu 0xf1ff
	v_add_co_ci_u32_e64 v13, null, s9, v13, s7
	global_load_u16 v12, v[12:13], off
	s_wait_loadcnt 0x0
	v_lshlrev_b32_e32 v40, 16, v12
.LBB633_33:                             ;   in Loop: Header=BB633_5 Depth=1
	s_wait_alu 0xfffe
	s_or_b32 exec_lo, exec_lo, s55
	s_wait_loadcnt 0x0
	v_lshlrev_b32_e32 v41, 16, v11
.LBB633_34:                             ;   in Loop: Header=BB633_5 Depth=1
	s_wait_alu 0xfffe
	s_or_b32 exec_lo, exec_lo, s54
	s_wait_loadcnt 0x0
	v_lshlrev_b32_e32 v42, 16, v10
.LBB633_35:                             ;   in Loop: Header=BB633_5 Depth=1
	s_or_b32 exec_lo, exec_lo, s53
	s_wait_loadcnt 0x0
	v_lshlrev_b32_e32 v43, 16, v9
.LBB633_36:                             ;   in Loop: Header=BB633_5 Depth=1
	s_wait_alu 0xfffe
	s_or_b32 exec_lo, exec_lo, s52
	s_and_saveexec_b32 s9, s1
	s_cbranch_execz .LBB633_44
; %bb.37:                               ;   in Loop: Header=BB633_5 Depth=1
	v_mad_co_u64_u32 v[9:10], null, s12, v39, 0
	v_mad_co_u64_u32 v[11:12], null, s12, v8, 0
	v_or_b32_e32 v48, 2, v39
	v_or_b32_e32 v49, 3, v39
	s_mul_u64 s[52:53], s[14:15], s[34:35]
	s_wait_alu 0xfffe
	s_lshl_b64 s[52:53], s[52:53], 1
	v_cmp_gt_i32_e64 s7, s37, v48
	s_delay_alu instid0(VALU_DEP_4) | instskip(SKIP_4) | instid1(VALU_DEP_2)
	v_mad_co_u64_u32 v[13:14], null, s13, v39, v[10:11]
	v_mad_co_u64_u32 v[14:15], null, s12, v48, 0
	;; [unrolled: 1-line block ×3, first 2 shown]
	s_wait_alu 0xfffe
	s_add_nc_u64 s[52:53], s[18:19], s[52:53]
	v_dual_cndmask_b32 v10, 0, v13 :: v_dual_mov_b32 v13, v15
	s_delay_alu instid0(VALU_DEP_2) | instskip(NEXT) | instid1(VALU_DEP_2)
	v_mov_b32_e32 v15, v45
	v_mad_co_u64_u32 v[46:47], null, s13, v8, v[12:13]
	v_cndmask_b32_e32 v9, 0, v9, vcc_lo
	v_cmp_gt_i32_e32 vcc_lo, s37, v8
	s_wait_alu 0xfffd
	s_delay_alu instid0(VALU_DEP_3) | instskip(NEXT) | instid1(VALU_DEP_3)
	v_dual_cndmask_b32 v11, 0, v11 :: v_dual_cndmask_b32 v12, 0, v46
	v_lshlrev_b64_e32 v[9:10], 1, v[9:10]
	s_wait_alu 0xfffe
	s_delay_alu instid0(VALU_DEP_1) | instskip(SKIP_1) | instid1(VALU_DEP_2)
	v_add_co_u32 v8, s8, s52, v9
	s_wait_alu 0xf1ff
	v_add_co_ci_u32_e64 v9, null, s53, v10, s8
	v_lshlrev_b64_e32 v[10:11], 1, v[11:12]
	s_delay_alu instid0(VALU_DEP_3) | instskip(SKIP_1) | instid1(VALU_DEP_3)
	v_add_co_u32 v8, vcc_lo, v8, v4
	s_wait_alu 0xfffd
	v_add_co_ci_u32_e64 v9, null, v9, v5, vcc_lo
	v_cmp_gt_i32_e32 vcc_lo, s37, v49
	v_cndmask_b32_e64 v12, 0, v14, s7
	s_wait_alu 0xfffd
	v_cndmask_b32_e32 v44, 0, v44, vcc_lo
	v_mad_co_u64_u32 v[47:48], null, s13, v48, v[13:14]
	v_mad_co_u64_u32 v[14:15], null, s13, v49, v[15:16]
	s_delay_alu instid0(VALU_DEP_2) | instskip(SKIP_1) | instid1(VALU_DEP_3)
	v_cndmask_b32_e64 v13, 0, v47, s7
	v_add_co_u32 v10, s7, s52, v10
	v_cndmask_b32_e32 v45, 0, v14, vcc_lo
	s_wait_alu 0xf1ff
	v_add_co_ci_u32_e64 v11, null, s53, v11, s7
	v_lshlrev_b64_e32 v[12:13], 1, v[12:13]
	v_add_co_u32 v10, vcc_lo, v10, v4
	v_lshlrev_b64_e32 v[14:15], 1, v[44:45]
	s_wait_alu 0xfffd
	v_add_co_ci_u32_e64 v11, null, v11, v5, vcc_lo
	s_delay_alu instid0(VALU_DEP_4)
	v_add_co_u32 v12, vcc_lo, s52, v12
	s_wait_alu 0xfffd
	v_add_co_ci_u32_e64 v13, null, s53, v13, vcc_lo
	v_add_co_u32 v14, vcc_lo, s52, v14
	s_wait_alu 0xfffd
	v_add_co_ci_u32_e64 v15, null, s53, v15, vcc_lo
	v_add_co_u32 v12, vcc_lo, v12, v4
	s_wait_alu 0xfffd
	v_add_co_ci_u32_e64 v13, null, v13, v5, vcc_lo
	v_add_co_u32 v14, vcc_lo, v14, v4
	s_wait_alu 0xfffd
	v_add_co_ci_u32_e64 v15, null, v15, v5, vcc_lo
	s_clause 0x3
	global_load_u16 v46, v[8:9], off
	global_load_u16 v45, v[10:11], off
	;; [unrolled: 1-line block ×4, first 2 shown]
	s_and_saveexec_b32 s7, s2
	s_cbranch_execz .LBB633_43
; %bb.38:                               ;   in Loop: Header=BB633_5 Depth=1
	s_clause 0x3
	global_load_u16 v50, v[8:9], off offset:128
	global_load_u16 v49, v[10:11], off offset:128
	global_load_u16 v48, v[12:13], off offset:128
	global_load_u16 v47, v[14:15], off offset:128
	s_and_saveexec_b32 s8, s3
	s_cbranch_execz .LBB633_42
; %bb.39:                               ;   in Loop: Header=BB633_5 Depth=1
	s_clause 0x3
	global_load_u16 v54, v[8:9], off offset:256
	global_load_u16 v53, v[10:11], off offset:256
	global_load_u16 v52, v[12:13], off offset:256
	global_load_u16 v51, v[14:15], off offset:256
	;; [unrolled: 8-line block ×3, first 2 shown]
	s_wait_loadcnt 0x3
	v_lshlrev_b32_e32 v8, 16, v8
	s_wait_loadcnt 0x2
	s_delay_alu instid0(VALU_DEP_1) | instskip(SKIP_3) | instid1(VALU_DEP_2)
	v_dual_fmac_f32 v38, v43, v8 :: v_dual_lshlrev_b32 v9, 16, v9
	s_wait_loadcnt 0x1
	v_lshlrev_b32_e32 v8, 16, v10
	s_wait_loadcnt 0x0
	v_dual_fmac_f32 v38, v42, v9 :: v_dual_lshlrev_b32 v9, 16, v11
	s_delay_alu instid0(VALU_DEP_1) | instskip(NEXT) | instid1(VALU_DEP_1)
	v_fmac_f32_e32 v38, v41, v8
	v_fmac_f32_e32 v38, v40, v9
.LBB633_41:                             ;   in Loop: Header=BB633_5 Depth=1
	s_wait_alu 0xfffe
	s_or_b32 exec_lo, exec_lo, s52
	s_wait_loadcnt 0x2
	v_lshlrev_b32_e32 v9, 16, v53
	v_lshlrev_b32_e32 v8, 16, v54
	s_delay_alu instid0(VALU_DEP_1) | instskip(SKIP_1) | instid1(VALU_DEP_1)
	v_fmac_f32_e32 v37, v43, v8
	s_wait_loadcnt 0x1
	v_dual_fmac_f32 v37, v42, v9 :: v_dual_lshlrev_b32 v8, 16, v52
	s_wait_loadcnt 0x0
	s_delay_alu instid0(VALU_DEP_1) | instskip(NEXT) | instid1(VALU_DEP_1)
	v_dual_fmac_f32 v37, v41, v8 :: v_dual_lshlrev_b32 v8, 16, v51
	v_fmac_f32_e32 v37, v40, v8
.LBB633_42:                             ;   in Loop: Header=BB633_5 Depth=1
	s_wait_alu 0xfffe
	s_or_b32 exec_lo, exec_lo, s8
	s_wait_loadcnt 0x3
	v_lshlrev_b32_e32 v8, 16, v50
	s_wait_loadcnt 0x2
	s_delay_alu instid0(VALU_DEP_1) | instskip(SKIP_2) | instid1(VALU_DEP_2)
	v_dual_fmac_f32 v36, v43, v8 :: v_dual_lshlrev_b32 v9, 16, v49
	s_wait_loadcnt 0x1
	v_lshlrev_b32_e32 v8, 16, v48
	v_fmac_f32_e32 v36, v42, v9
	s_delay_alu instid0(VALU_DEP_1) | instskip(SKIP_2) | instid1(VALU_DEP_1)
	v_fmac_f32_e32 v36, v41, v8
	s_wait_loadcnt 0x0
	v_lshlrev_b32_e32 v8, 16, v47
	v_fmac_f32_e32 v36, v40, v8
.LBB633_43:                             ;   in Loop: Header=BB633_5 Depth=1
	s_wait_alu 0xfffe
	s_or_b32 exec_lo, exec_lo, s7
	s_wait_loadcnt 0x2
	v_lshlrev_b32_e32 v9, 16, v45
	v_lshlrev_b32_e32 v8, 16, v46
	s_delay_alu instid0(VALU_DEP_1) | instskip(SKIP_1) | instid1(VALU_DEP_1)
	v_fmac_f32_e32 v35, v43, v8
	s_wait_loadcnt 0x1
	v_dual_fmac_f32 v35, v42, v9 :: v_dual_lshlrev_b32 v8, 16, v44
	s_wait_loadcnt 0x0
	s_delay_alu instid0(VALU_DEP_1) | instskip(NEXT) | instid1(VALU_DEP_1)
	v_dual_fmac_f32 v35, v41, v8 :: v_dual_lshlrev_b32 v8, 16, v39
	v_fmac_f32_e32 v35, v40, v8
.LBB633_44:                             ;   in Loop: Header=BB633_5 Depth=1
	s_wait_alu 0xfffe
	s_or_b32 exec_lo, exec_lo, s9
.LBB633_45:                             ;   in Loop: Header=BB633_5 Depth=1
	ds_store_2addr_stride64_b32 v17, v35, v36 offset1:1
	ds_store_2addr_stride64_b32 v17, v37, v38 offset0:2 offset1:3
	s_wait_dscnt 0x0
	s_barrier_signal -1
	s_barrier_wait -1
	global_inv scope:SCOPE_SE
                                        ; implicit-def: $vgpr10
	s_and_saveexec_b32 s7, s0
	s_cbranch_execz .LBB633_51
; %bb.46:                               ;   in Loop: Header=BB633_5 Depth=1
	ds_load_2addr_stride64_b32 v[8:9], v18 offset1:4
	ds_load_2addr_stride64_b32 v[10:11], v18 offset0:8 offset1:12
	s_mov_b32 s9, s51
	s_wait_dscnt 0x1
	v_add_f32_e32 v8, v8, v9
	s_wait_dscnt 0x0
	s_delay_alu instid0(VALU_DEP_1) | instskip(NEXT) | instid1(VALU_DEP_1)
	v_add_f32_e32 v8, v10, v8
                                        ; implicit-def: $vgpr10
	v_add_f32_e32 v8, v11, v8
	ds_store_b32 v18, v8
	s_and_saveexec_b32 s8, s6
	s_cbranch_execz .LBB633_50
; %bb.47:                               ;   in Loop: Header=BB633_5 Depth=1
	v_mul_f32_e32 v10, s38, v8
	s_and_not1_b32 vcc_lo, exec_lo, s48
	s_wait_alu 0xfffe
	s_cbranch_vccnz .LBB633_49
; %bb.48:                               ;   in Loop: Header=BB633_5 Depth=1
	v_lshlrev_b64_e32 v[8:9], 2, v[2:3]
	s_delay_alu instid0(VALU_DEP_1) | instskip(SKIP_1) | instid1(VALU_DEP_2)
	v_add_co_u32 v8, vcc_lo, s44, v8
	s_wait_alu 0xfffd
	v_add_co_ci_u32_e64 v9, null, s45, v9, vcc_lo
	global_load_b32 v8, v[8:9], off
	s_wait_loadcnt 0x0
	v_fmac_f32_e32 v10, s39, v8
.LBB633_49:                             ;   in Loop: Header=BB633_5 Depth=1
	s_or_b32 s9, s51, exec_lo
.LBB633_50:                             ;   in Loop: Header=BB633_5 Depth=1
	s_wait_alu 0xfffe
	s_or_b32 exec_lo, exec_lo, s8
	s_delay_alu instid0(SALU_CYCLE_1)
	s_and_not1_b32 s8, s51, exec_lo
	s_and_b32 s9, s9, exec_lo
	s_wait_alu 0xfffe
	s_or_b32 s51, s8, s9
.LBB633_51:                             ;   in Loop: Header=BB633_5 Depth=1
	s_wait_alu 0xfffe
	s_or_b32 exec_lo, exec_lo, s7
	v_dual_mov_b32 v9, v3 :: v_dual_mov_b32 v8, v2
	s_and_saveexec_b32 s7, s51
	s_cbranch_execz .LBB633_3
.LBB633_52:                             ;   in Loop: Header=BB633_5 Depth=1
	s_delay_alu instid0(VALU_DEP_1) | instskip(SKIP_1) | instid1(VALU_DEP_1)
	v_lshlrev_b64_e32 v[8:9], 2, v[8:9]
	s_wait_alu 0xfffe
	v_add_co_u32 v8, vcc_lo, s44, v8
	s_wait_alu 0xfffd
	s_delay_alu instid0(VALU_DEP_2)
	v_add_co_ci_u32_e64 v9, null, s45, v9, vcc_lo
	global_store_b32 v[8:9], v10, off
	s_branch .LBB633_3
.LBB633_53:
	s_endpgm
	.section	.rodata,"a",@progbits
	.p2align	6, 0x0
	.amdhsa_kernel _ZL20rocblas_gemvn_kernelILi64ELi4El16rocblas_bfloat16ffEviiT3_lPKT2_lT1_lS4_lS5_lS1_lPT4_lS5_li
		.amdhsa_group_segment_fixed_size 4096
		.amdhsa_private_segment_fixed_size 0
		.amdhsa_kernarg_size 400
		.amdhsa_user_sgpr_count 2
		.amdhsa_user_sgpr_dispatch_ptr 0
		.amdhsa_user_sgpr_queue_ptr 0
		.amdhsa_user_sgpr_kernarg_segment_ptr 1
		.amdhsa_user_sgpr_dispatch_id 0
		.amdhsa_user_sgpr_private_segment_size 0
		.amdhsa_wavefront_size32 1
		.amdhsa_uses_dynamic_stack 0
		.amdhsa_enable_private_segment 0
		.amdhsa_system_sgpr_workgroup_id_x 1
		.amdhsa_system_sgpr_workgroup_id_y 0
		.amdhsa_system_sgpr_workgroup_id_z 1
		.amdhsa_system_sgpr_workgroup_info 0
		.amdhsa_system_vgpr_workitem_id 1
		.amdhsa_next_free_vgpr 72
		.amdhsa_next_free_sgpr 56
		.amdhsa_reserve_vcc 1
		.amdhsa_float_round_mode_32 0
		.amdhsa_float_round_mode_16_64 0
		.amdhsa_float_denorm_mode_32 3
		.amdhsa_float_denorm_mode_16_64 3
		.amdhsa_fp16_overflow 0
		.amdhsa_workgroup_processor_mode 1
		.amdhsa_memory_ordered 1
		.amdhsa_forward_progress 1
		.amdhsa_inst_pref_size 30
		.amdhsa_round_robin_scheduling 0
		.amdhsa_exception_fp_ieee_invalid_op 0
		.amdhsa_exception_fp_denorm_src 0
		.amdhsa_exception_fp_ieee_div_zero 0
		.amdhsa_exception_fp_ieee_overflow 0
		.amdhsa_exception_fp_ieee_underflow 0
		.amdhsa_exception_fp_ieee_inexact 0
		.amdhsa_exception_int_div_zero 0
	.end_amdhsa_kernel
	.section	.text._ZL20rocblas_gemvn_kernelILi64ELi4El16rocblas_bfloat16ffEviiT3_lPKT2_lT1_lS4_lS5_lS1_lPT4_lS5_li,"axG",@progbits,_ZL20rocblas_gemvn_kernelILi64ELi4El16rocblas_bfloat16ffEviiT3_lPKT2_lT1_lS4_lS5_lS1_lPT4_lS5_li,comdat
.Lfunc_end633:
	.size	_ZL20rocblas_gemvn_kernelILi64ELi4El16rocblas_bfloat16ffEviiT3_lPKT2_lT1_lS4_lS5_lS1_lPT4_lS5_li, .Lfunc_end633-_ZL20rocblas_gemvn_kernelILi64ELi4El16rocblas_bfloat16ffEviiT3_lPKT2_lT1_lS4_lS5_lS1_lPT4_lS5_li
                                        ; -- End function
	.set _ZL20rocblas_gemvn_kernelILi64ELi4El16rocblas_bfloat16ffEviiT3_lPKT2_lT1_lS4_lS5_lS1_lPT4_lS5_li.num_vgpr, 72
	.set _ZL20rocblas_gemvn_kernelILi64ELi4El16rocblas_bfloat16ffEviiT3_lPKT2_lT1_lS4_lS5_lS1_lPT4_lS5_li.num_agpr, 0
	.set _ZL20rocblas_gemvn_kernelILi64ELi4El16rocblas_bfloat16ffEviiT3_lPKT2_lT1_lS4_lS5_lS1_lPT4_lS5_li.numbered_sgpr, 56
	.set _ZL20rocblas_gemvn_kernelILi64ELi4El16rocblas_bfloat16ffEviiT3_lPKT2_lT1_lS4_lS5_lS1_lPT4_lS5_li.num_named_barrier, 0
	.set _ZL20rocblas_gemvn_kernelILi64ELi4El16rocblas_bfloat16ffEviiT3_lPKT2_lT1_lS4_lS5_lS1_lPT4_lS5_li.private_seg_size, 0
	.set _ZL20rocblas_gemvn_kernelILi64ELi4El16rocblas_bfloat16ffEviiT3_lPKT2_lT1_lS4_lS5_lS1_lPT4_lS5_li.uses_vcc, 1
	.set _ZL20rocblas_gemvn_kernelILi64ELi4El16rocblas_bfloat16ffEviiT3_lPKT2_lT1_lS4_lS5_lS1_lPT4_lS5_li.uses_flat_scratch, 0
	.set _ZL20rocblas_gemvn_kernelILi64ELi4El16rocblas_bfloat16ffEviiT3_lPKT2_lT1_lS4_lS5_lS1_lPT4_lS5_li.has_dyn_sized_stack, 0
	.set _ZL20rocblas_gemvn_kernelILi64ELi4El16rocblas_bfloat16ffEviiT3_lPKT2_lT1_lS4_lS5_lS1_lPT4_lS5_li.has_recursion, 0
	.set _ZL20rocblas_gemvn_kernelILi64ELi4El16rocblas_bfloat16ffEviiT3_lPKT2_lT1_lS4_lS5_lS1_lPT4_lS5_li.has_indirect_call, 0
	.section	.AMDGPU.csdata,"",@progbits
; Kernel info:
; codeLenInByte = 3840
; TotalNumSgprs: 58
; NumVgprs: 72
; ScratchSize: 0
; MemoryBound: 0
; FloatMode: 240
; IeeeMode: 1
; LDSByteSize: 4096 bytes/workgroup (compile time only)
; SGPRBlocks: 0
; VGPRBlocks: 8
; NumSGPRsForWavesPerEU: 58
; NumVGPRsForWavesPerEU: 72
; Occupancy: 16
; WaveLimiterHint : 1
; COMPUTE_PGM_RSRC2:SCRATCH_EN: 0
; COMPUTE_PGM_RSRC2:USER_SGPR: 2
; COMPUTE_PGM_RSRC2:TRAP_HANDLER: 0
; COMPUTE_PGM_RSRC2:TGID_X_EN: 1
; COMPUTE_PGM_RSRC2:TGID_Y_EN: 0
; COMPUTE_PGM_RSRC2:TGID_Z_EN: 1
; COMPUTE_PGM_RSRC2:TIDIG_COMP_CNT: 1
	.section	.text._ZL20rocblas_gemvn_kernelILi32ELi16Ei16rocblas_bfloat16PKffEviiT3_lPKT2_lT1_lS6_lS7_lS3_lPT4_lS7_li,"axG",@progbits,_ZL20rocblas_gemvn_kernelILi32ELi16Ei16rocblas_bfloat16PKffEviiT3_lPKT2_lT1_lS6_lS7_lS3_lPT4_lS7_li,comdat
	.globl	_ZL20rocblas_gemvn_kernelILi32ELi16Ei16rocblas_bfloat16PKffEviiT3_lPKT2_lT1_lS6_lS7_lS3_lPT4_lS7_li ; -- Begin function _ZL20rocblas_gemvn_kernelILi32ELi16Ei16rocblas_bfloat16PKffEviiT3_lPKT2_lT1_lS6_lS7_lS3_lPT4_lS7_li
	.p2align	8
	.type	_ZL20rocblas_gemvn_kernelILi32ELi16Ei16rocblas_bfloat16PKffEviiT3_lPKT2_lT1_lS6_lS7_lS3_lPT4_lS7_li,@function
_ZL20rocblas_gemvn_kernelILi32ELi16Ei16rocblas_bfloat16PKffEviiT3_lPKT2_lT1_lS6_lS7_lS3_lPT4_lS7_li: ; @_ZL20rocblas_gemvn_kernelILi32ELi16Ei16rocblas_bfloat16PKffEviiT3_lPKT2_lT1_lS6_lS7_lS3_lPT4_lS7_li
; %bb.0:
	s_load_b64 s[2:3], s[0:1], 0x9c
	s_wait_kmcnt 0x0
	s_lshr_b32 s4, s2, 16
	s_and_b32 s2, s2, 0xffff
	s_and_b32 s3, s3, 0xffff
	s_mul_i32 s2, s4, s2
	s_delay_alu instid0(SALU_CYCLE_1) | instskip(NEXT) | instid1(SALU_CYCLE_1)
	s_mul_i32 s2, s2, s3
	s_cmp_lg_u32 s2, 0x200
	s_cbranch_scc1 .LBB634_53
; %bb.1:
	s_load_b32 s31, s[0:1], 0x88
	s_lshr_b32 s34, ttmp7, 16
	s_wait_kmcnt 0x0
	s_cmp_ge_u32 s34, s31
	s_cbranch_scc1 .LBB634_53
; %bb.2:
	s_clause 0x3
	s_load_b96 s[4:6], s[0:1], 0x70
	s_load_b256 s[8:15], s[0:1], 0x8
	s_load_b96 s[28:30], s[0:1], 0x40
	s_load_b64 s[36:37], s[0:1], 0x0
	v_and_b32_e32 v9, 0x3ff, v0
	v_bfe_u32 v8, v0, 10, 10
	s_clause 0x2
	s_load_b32 s33, s[0:1], 0x28
	s_load_b128 s[24:27], s[0:1], 0x30
	s_load_b256 s[16:23], s[0:1], 0x50
	s_lshl_b32 s42, ttmp9, 7
	v_mov_b32_e32 v1, 0
	v_add_nc_u32_e32 v21, s42, v9
	v_lshl_add_u32 v5, v8, 5, v9
	v_lshlrev_b32_e32 v22, 2, v8
	s_load_b64 s[38:39], s[0:1], 0x80
	s_mov_b32 s35, 0
	v_add_nc_u32_e32 v7, 64, v21
	v_add_nc_u32_e32 v0, s42, v5
	v_or_b32_e32 v11, s42, v5
	v_add_nc_u32_e32 v6, 32, v21
	v_add_nc_u32_e32 v10, 0x60, v21
	v_or_b32_e32 v12, 3, v22
	s_wait_kmcnt 0x0
	v_mad_co_u64_u32 v[2:3], null, s6, v0, 0
	s_ashr_i32 s1, s6, 31
	s_lshl_b64 s[2:3], s[14:15], 1
	s_ashr_i32 s7, s37, 31
	s_add_nc_u64 s[12:13], s[12:13], s[2:3]
	s_wait_alu 0xfffe
	s_lshr_b32 s2, s7, 26
	v_cmp_gt_i32_e64 s3, s36, v7
	v_mad_co_u64_u32 v[3:4], null, s1, v0, v[3:4]
	v_mul_lo_u32 v4, s6, v11
	v_mul_lo_u32 v7, s33, v22
	s_lshl_b64 s[4:5], s[4:5], 2
	s_add_co_i32 s43, s37, s2
	v_cmp_gt_i32_e64 s6, s36, v11
	v_mul_lo_u32 v11, v8, s33
	s_add_nc_u64 s[22:23], s[22:23], s[4:5]
	s_wait_alu 0xfffe
	s_and_not1_b32 s43, s43, 63
	v_cmp_gt_i32_e64 s2, s36, v6
	v_cmp_gt_i32_e64 s4, s36, v10
	v_lshlrev_b32_e32 v6, 2, v9
	v_or_b32_e32 v10, 2, v22
	s_wait_alu 0xfffe
	s_sub_co_i32 s5, s37, s43
	v_mul_lo_u32 v13, v8, s30
	s_lshl_b64 s[14:15], s[28:29], 1
	s_ashr_i32 s29, s36, 31
	s_mov_b32 s28, s36
	s_cmp_gt_i32 s5, 0
	v_cmp_gt_u32_e64 s5, 0x80, v5
	v_ashrrev_i32_e32 v5, 31, v4
	s_add_nc_u64 s[14:15], s[26:27], s[14:15]
	v_cmp_gt_i64_e32 vcc_lo, s[28:29], v[0:1]
	v_lshl_add_u32 v0, v8, 9, v6
	v_lshl_add_u32 v23, v8, 7, v6
	v_add3_u32 v24, v7, s33, v9
	v_mad_co_u64_u32 v[6:7], null, s33, v10, v[9:10]
	s_mov_b32 s26, s30
	v_mad_co_u64_u32 v[7:8], null, s33, v12, v[9:10]
	v_lshl_add_u32 v25, v11, 2, v9
	v_mad_co_u64_u32 v[8:9], null, s30, v22, s[26:27]
	v_mul_lo_u32 v26, s30, v10
	v_mul_lo_u32 v27, s30, v12
	v_lshlrev_b64_e32 v[9:10], 2, v[2:3]
	v_lshlrev_b64_e32 v[11:12], 2, v[4:5]
	v_cmp_gt_i32_e64 s0, s36, v21
	v_cmp_gt_i32_e64 s1, s43, v22
	v_lshlrev_b32_e32 v28, 2, v13
	s_cselect_b32 s36, -1, 0
	s_and_b32 s44, s5, vcc_lo
	s_lshl_b32 s45, s33, 6
	s_lshl_b32 s46, s30, 6
	s_branch .LBB634_5
.LBB634_3:                              ;   in Loop: Header=BB634_5 Depth=1
	s_wait_alu 0xfffe
	s_or_b32 exec_lo, exec_lo, s7
.LBB634_4:                              ;   in Loop: Header=BB634_5 Depth=1
	s_add_co_i32 s34, s34, 0x10000
	s_delay_alu instid0(SALU_CYCLE_1)
	s_cmp_lt_u32 s34, s31
	s_cbranch_scc0 .LBB634_53
.LBB634_5:                              ; =>This Loop Header: Depth=1
                                        ;     Child Loop BB634_21 Depth 2
	s_mul_u64 s[26:27], s[10:11], s[34:35]
	s_mul_u64 s[28:29], s[20:21], s[34:35]
	s_wait_alu 0xfffe
	s_lshl_b64 s[26:27], s[26:27], 2
	s_lshl_b64 s[28:29], s[28:29], 2
	s_wait_alu 0xfffe
	s_add_nc_u64 s[26:27], s[8:9], s[26:27]
	s_add_nc_u64 s[28:29], s[18:19], s[28:29]
	s_clause 0x1
	global_load_b32 v29, v1, s[26:27]
	global_load_b32 v13, v1, s[28:29]
	s_wait_loadcnt 0x1
	v_cmp_eq_f32_e32 vcc_lo, 0, v29
	s_wait_loadcnt 0x0
	v_cmp_eq_f32_e64 s7, 1.0, v13
	v_readfirstlane_b32 s47, v13
	s_and_b32 s7, vcc_lo, s7
	s_wait_alu 0xfffe
	s_and_b32 vcc_lo, exec_lo, s7
	s_wait_alu 0xfffe
	s_cbranch_vccnz .LBB634_4
; %bb.6:                                ;   in Loop: Header=BB634_5 Depth=1
	v_cmp_neq_f32_e32 vcc_lo, 0, v29
	s_mul_u64 s[26:27], s[38:39], s[34:35]
	s_wait_alu 0xfffe
	s_lshl_b64 s[26:27], s[26:27], 2
	s_wait_alu 0xfffe
	s_add_nc_u64 s[26:27], s[22:23], s[26:27]
	s_cbranch_vccnz .LBB634_10
; %bb.7:                                ;   in Loop: Header=BB634_5 Depth=1
	s_mov_b32 s7, 0
	s_mov_b32 s48, 0
                                        ; implicit-def: $vgpr15
	s_and_saveexec_b32 s28, s44
	s_cbranch_execz .LBB634_11
; %bb.8:                                ;   in Loop: Header=BB634_5 Depth=1
	s_cmp_eq_f32 s47, 0
	s_cbranch_scc1 .LBB634_13
; %bb.9:                                ;   in Loop: Header=BB634_5 Depth=1
	s_wait_alu 0xfffe
	v_add_co_u32 v13, vcc_lo, s26, v9
	s_wait_alu 0xfffd
	v_add_co_ci_u32_e64 v14, null, s27, v10, vcc_lo
	global_load_b32 v13, v[13:14], off
	s_wait_loadcnt 0x0
	v_mul_f32_e32 v15, s47, v13
	s_branch .LBB634_14
.LBB634_10:                             ;   in Loop: Header=BB634_5 Depth=1
	s_mov_b32 s48, 0
                                        ; implicit-def: $vgpr15
	s_cbranch_execz .LBB634_12
	s_branch .LBB634_15
.LBB634_11:                             ;   in Loop: Header=BB634_5 Depth=1
	s_wait_alu 0xfffe
	s_or_b32 exec_lo, exec_lo, s28
	s_delay_alu instid0(SALU_CYCLE_1)
	s_and_b32 vcc_lo, exec_lo, s7
	s_wait_alu 0xfffe
	s_cbranch_vccnz .LBB634_15
.LBB634_12:                             ;   in Loop: Header=BB634_5 Depth=1
	v_dual_mov_b32 v14, v3 :: v_dual_mov_b32 v13, v2
	s_and_saveexec_b32 s7, s48
	s_cbranch_execz .LBB634_3
	s_branch .LBB634_52
.LBB634_13:                             ;   in Loop: Header=BB634_5 Depth=1
	v_mov_b32_e32 v15, 0
.LBB634_14:                             ;   in Loop: Header=BB634_5 Depth=1
	s_mov_b32 s48, exec_lo
	s_wait_alu 0xfffe
	s_or_b32 exec_lo, exec_lo, s28
	s_delay_alu instid0(SALU_CYCLE_1)
	s_and_b32 vcc_lo, exec_lo, s7
	s_wait_alu 0xfffe
	s_cbranch_vccz .LBB634_12
.LBB634_15:                             ;   in Loop: Header=BB634_5 Depth=1
	s_mul_u64 s[28:29], s[24:25], s[34:35]
	s_mul_u64 s[40:41], s[16:17], s[34:35]
	v_dual_mov_b32 v30, 0 :: v_dual_mov_b32 v31, 0
	v_dual_mov_b32 v34, v22 :: v_dual_mov_b32 v33, 0
	v_mov_b32_e32 v32, 0
	s_wait_alu 0xfffe
	s_lshl_b64 s[28:29], s[28:29], 1
	s_lshl_b64 s[40:41], s[40:41], 1
	s_wait_alu 0xfffe
	s_add_nc_u64 s[28:29], s[12:13], s[28:29]
	s_add_nc_u64 s[40:41], s[14:15], s[40:41]
	s_and_saveexec_b32 s7, s1
	s_cbranch_execz .LBB634_27
; %bb.16:                               ;   in Loop: Header=BB634_5 Depth=1
	v_dual_mov_b32 v30, 0 :: v_dual_mov_b32 v35, v25
	v_dual_mov_b32 v36, v7 :: v_dual_mov_b32 v37, v6
	;; [unrolled: 1-line block ×4, first 2 shown]
	v_mov_b32_e32 v32, 0
	s_mov_b32 s49, 0
	s_mov_b32 s50, 0
	s_branch .LBB634_21
.LBB634_17:                             ;   in Loop: Header=BB634_21 Depth=2
	s_or_b32 exec_lo, exec_lo, s54
	s_wait_loadcnt 0x3
	v_lshlrev_b32_e32 v13, 16, v54
	s_wait_loadcnt 0x2
	v_lshlrev_b32_e32 v14, 16, v53
	s_wait_loadcnt 0x1
	s_delay_alu instid0(VALU_DEP_2) | instskip(NEXT) | instid1(VALU_DEP_1)
	v_dual_fmac_f32 v32, v46, v13 :: v_dual_lshlrev_b32 v13, 16, v52
	v_fmac_f32_e32 v32, v42, v14
	s_wait_loadcnt 0x0
	s_delay_alu instid0(VALU_DEP_1) | instskip(NEXT) | instid1(VALU_DEP_1)
	v_dual_fmac_f32 v32, v44, v13 :: v_dual_lshlrev_b32 v13, 16, v51
	v_fmac_f32_e32 v32, v40, v13
.LBB634_18:                             ;   in Loop: Header=BB634_21 Depth=2
	s_or_b32 exec_lo, exec_lo, s53
	s_wait_loadcnt 0x3
	v_lshlrev_b32_e32 v13, 16, v50
	s_wait_loadcnt 0x2
	v_lshlrev_b32_e32 v14, 16, v49
	s_delay_alu instid0(VALU_DEP_2) | instskip(SKIP_2) | instid1(VALU_DEP_2)
	v_fmac_f32_e32 v31, v46, v13
	s_wait_loadcnt 0x1
	v_lshlrev_b32_e32 v13, 16, v48
	v_fmac_f32_e32 v31, v42, v14
	s_delay_alu instid0(VALU_DEP_1) | instskip(SKIP_2) | instid1(VALU_DEP_1)
	v_fmac_f32_e32 v31, v44, v13
	s_wait_loadcnt 0x0
	v_lshlrev_b32_e32 v13, 16, v47
	v_fmac_f32_e32 v31, v40, v13
.LBB634_19:                             ;   in Loop: Header=BB634_21 Depth=2
	s_or_b32 exec_lo, exec_lo, s52
	s_wait_loadcnt 0x2
	v_lshlrev_b32_e32 v14, 16, v43
	v_lshlrev_b32_e32 v13, 16, v45
	s_delay_alu instid0(VALU_DEP_1) | instskip(SKIP_1) | instid1(VALU_DEP_1)
	v_fmac_f32_e32 v30, v46, v13
	s_wait_loadcnt 0x1
	v_dual_fmac_f32 v30, v42, v14 :: v_dual_lshlrev_b32 v13, 16, v41
	s_wait_loadcnt 0x0
	s_delay_alu instid0(VALU_DEP_1) | instskip(NEXT) | instid1(VALU_DEP_1)
	v_dual_fmac_f32 v30, v44, v13 :: v_dual_lshlrev_b32 v13, 16, v39
	v_fmac_f32_e32 v30, v40, v13
.LBB634_20:                             ;   in Loop: Header=BB634_21 Depth=2
	s_wait_alu 0xfffe
	s_or_b32 exec_lo, exec_lo, s51
	v_add_nc_u32_e32 v34, 64, v34
	v_add_nc_u32_e32 v38, s45, v38
	;; [unrolled: 1-line block ×5, first 2 shown]
	v_cmp_le_i32_e32 vcc_lo, s43, v34
	s_add_co_i32 s50, s50, s46
	s_or_b32 s49, vcc_lo, s49
	s_delay_alu instid0(SALU_CYCLE_1)
	s_and_not1_b32 exec_lo, exec_lo, s49
	s_cbranch_execz .LBB634_26
.LBB634_21:                             ;   Parent Loop BB634_5 Depth=1
                                        ; =>  This Inner Loop Header: Depth=2
	s_and_saveexec_b32 s51, s0
	s_cbranch_execz .LBB634_20
; %bb.22:                               ;   in Loop: Header=BB634_21 Depth=2
	s_wait_alu 0xfffe
	v_add_nc_u32_e32 v13, s50, v28
	v_add_nc_u32_e32 v15, s50, v8
	;; [unrolled: 1-line block ×5, first 2 shown]
	v_ashrrev_i32_e32 v14, 31, v13
	v_ashrrev_i32_e32 v16, 31, v15
	;; [unrolled: 1-line block ×5, first 2 shown]
	v_lshlrev_b64_e32 v[13:14], 1, v[13:14]
	v_lshlrev_b64_e32 v[15:16], 1, v[15:16]
	;; [unrolled: 1-line block ×4, first 2 shown]
	v_add_nc_u32_e32 v41, s42, v38
	v_add_nc_u32_e32 v43, s42, v37
	v_add_co_u32 v13, vcc_lo, s40, v13
	s_wait_alu 0xfffd
	v_add_co_ci_u32_e64 v14, null, s41, v14, vcc_lo
	v_add_co_u32 v15, vcc_lo, s40, v15
	s_wait_alu 0xfffd
	v_add_co_ci_u32_e64 v16, null, s41, v16, vcc_lo
	;; [unrolled: 3-line block ×4, first 2 shown]
	v_lshlrev_b64_e32 v[39:40], 1, v[39:40]
	s_clause 0x3
	global_load_u16 v46, v[13:14], off
	global_load_u16 v47, v[15:16], off
	;; [unrolled: 1-line block ×4, first 2 shown]
	v_add_nc_u32_e32 v17, s42, v36
	v_ashrrev_i32_e32 v42, 31, v41
	v_ashrrev_i32_e32 v44, 31, v43
	v_add_co_u32 v13, vcc_lo, s28, v39
	s_delay_alu instid0(VALU_DEP_4) | instskip(NEXT) | instid1(VALU_DEP_4)
	v_ashrrev_i32_e32 v18, 31, v17
	v_lshlrev_b64_e32 v[15:16], 1, v[41:42]
	s_wait_alu 0xfffd
	v_add_co_ci_u32_e64 v14, null, s29, v40, vcc_lo
	v_lshlrev_b64_e32 v[39:40], 1, v[43:44]
	v_lshlrev_b64_e32 v[17:18], 1, v[17:18]
	s_delay_alu instid0(VALU_DEP_4) | instskip(SKIP_2) | instid1(VALU_DEP_4)
	v_add_co_u32 v19, vcc_lo, s28, v15
	s_wait_alu 0xfffd
	v_add_co_ci_u32_e64 v20, null, s29, v16, vcc_lo
	v_add_co_u32 v15, vcc_lo, s28, v39
	s_wait_alu 0xfffd
	v_add_co_ci_u32_e64 v16, null, s29, v40, vcc_lo
	;; [unrolled: 3-line block ×3, first 2 shown]
	s_clause 0x3
	global_load_u16 v45, v[13:14], off
	global_load_u16 v43, v[19:20], off
	global_load_u16 v41, v[15:16], off
	global_load_u16 v39, v[17:18], off
	s_wait_loadcnt 0x7
	v_lshlrev_b32_e32 v46, 16, v46
	s_wait_loadcnt 0x6
	v_lshlrev_b32_e32 v42, 16, v47
	;; [unrolled: 2-line block ×4, first 2 shown]
	s_and_saveexec_b32 s52, s2
	s_cbranch_execz .LBB634_19
; %bb.23:                               ;   in Loop: Header=BB634_21 Depth=2
	s_clause 0x3
	global_load_u16 v50, v[13:14], off offset:64
	global_load_u16 v49, v[19:20], off offset:64
	global_load_u16 v48, v[15:16], off offset:64
	global_load_u16 v47, v[17:18], off offset:64
	s_and_saveexec_b32 s53, s3
	s_cbranch_execz .LBB634_18
; %bb.24:                               ;   in Loop: Header=BB634_21 Depth=2
	s_clause 0x3
	global_load_u16 v54, v[13:14], off offset:128
	global_load_u16 v53, v[19:20], off offset:128
	global_load_u16 v52, v[15:16], off offset:128
	global_load_u16 v51, v[17:18], off offset:128
	;; [unrolled: 8-line block ×3, first 2 shown]
	s_wait_loadcnt 0x3
	v_lshlrev_b32_e32 v13, 16, v13
	s_wait_loadcnt 0x2
	s_delay_alu instid0(VALU_DEP_1) | instskip(SKIP_3) | instid1(VALU_DEP_2)
	v_dual_fmac_f32 v33, v46, v13 :: v_dual_lshlrev_b32 v14, 16, v14
	s_wait_loadcnt 0x1
	v_lshlrev_b32_e32 v13, 16, v15
	s_wait_loadcnt 0x0
	v_dual_fmac_f32 v33, v42, v14 :: v_dual_lshlrev_b32 v14, 16, v16
	s_delay_alu instid0(VALU_DEP_1) | instskip(NEXT) | instid1(VALU_DEP_1)
	v_fmac_f32_e32 v33, v44, v13
	v_fmac_f32_e32 v33, v40, v14
	s_branch .LBB634_17
.LBB634_26:                             ;   in Loop: Header=BB634_5 Depth=1
	s_or_b32 exec_lo, exec_lo, s49
.LBB634_27:                             ;   in Loop: Header=BB634_5 Depth=1
	s_wait_alu 0xfffe
	s_or_b32 exec_lo, exec_lo, s7
	s_delay_alu instid0(SALU_CYCLE_1)
	s_and_not1_b32 vcc_lo, exec_lo, s36
	s_wait_alu 0xfffe
	s_cbranch_vccnz .LBB634_45
; %bb.28:                               ;   in Loop: Header=BB634_5 Depth=1
	v_cmp_gt_i32_e32 vcc_lo, s37, v34
	v_dual_mov_b32 v36, 0 :: v_dual_mov_b32 v35, 0
	v_or_b32_e32 v13, 1, v34
	v_dual_mov_b32 v38, 0 :: v_dual_mov_b32 v37, 0
	s_and_saveexec_b32 s49, vcc_lo
	s_cbranch_execz .LBB634_36
; %bb.29:                               ;   in Loop: Header=BB634_5 Depth=1
	v_mul_lo_u32 v14, v34, s30
	v_dual_mov_b32 v37, 0 :: v_dual_mov_b32 v36, 0
	v_mov_b32_e32 v35, 0
	s_mov_b32 s50, exec_lo
	s_delay_alu instid0(VALU_DEP_3) | instskip(NEXT) | instid1(VALU_DEP_1)
	v_ashrrev_i32_e32 v15, 31, v14
	v_lshlrev_b64_e32 v[14:15], 1, v[14:15]
	s_delay_alu instid0(VALU_DEP_1) | instskip(SKIP_1) | instid1(VALU_DEP_2)
	v_add_co_u32 v14, s7, s40, v14
	s_wait_alu 0xf1ff
	v_add_co_ci_u32_e64 v15, null, s41, v15, s7
	global_load_u16 v14, v[14:15], off
	v_cmpx_gt_i32_e64 s37, v13
	s_cbranch_execz .LBB634_35
; %bb.30:                               ;   in Loop: Header=BB634_5 Depth=1
	v_mul_lo_u32 v15, v13, s30
	v_dual_mov_b32 v35, 0 :: v_dual_mov_b32 v36, 0
	s_mov_b32 s51, exec_lo
	s_delay_alu instid0(VALU_DEP_2) | instskip(NEXT) | instid1(VALU_DEP_1)
	v_ashrrev_i32_e32 v16, 31, v15
	v_lshlrev_b64_e32 v[15:16], 1, v[15:16]
	s_delay_alu instid0(VALU_DEP_1) | instskip(SKIP_1) | instid1(VALU_DEP_2)
	v_add_co_u32 v15, s7, s40, v15
	s_wait_alu 0xf1ff
	v_add_co_ci_u32_e64 v16, null, s41, v16, s7
	global_load_u16 v15, v[15:16], off
	v_or_b32_e32 v16, 2, v34
	s_delay_alu instid0(VALU_DEP_1)
	v_cmpx_gt_i32_e64 s37, v16
	s_cbranch_execz .LBB634_34
; %bb.31:                               ;   in Loop: Header=BB634_5 Depth=1
	v_mul_lo_u32 v16, v16, s30
	v_mov_b32_e32 v35, 0
	s_mov_b32 s52, exec_lo
	s_delay_alu instid0(VALU_DEP_2) | instskip(NEXT) | instid1(VALU_DEP_1)
	v_ashrrev_i32_e32 v17, 31, v16
	v_lshlrev_b64_e32 v[16:17], 1, v[16:17]
	s_delay_alu instid0(VALU_DEP_1) | instskip(SKIP_1) | instid1(VALU_DEP_2)
	v_add_co_u32 v16, s7, s40, v16
	s_wait_alu 0xf1ff
	v_add_co_ci_u32_e64 v17, null, s41, v17, s7
	global_load_u16 v16, v[16:17], off
	v_or_b32_e32 v17, 3, v34
	s_delay_alu instid0(VALU_DEP_1)
	v_cmpx_gt_i32_e64 s37, v17
	s_cbranch_execz .LBB634_33
; %bb.32:                               ;   in Loop: Header=BB634_5 Depth=1
	v_mul_lo_u32 v17, v17, s30
	s_delay_alu instid0(VALU_DEP_1) | instskip(NEXT) | instid1(VALU_DEP_1)
	v_ashrrev_i32_e32 v18, 31, v17
	v_lshlrev_b64_e32 v[17:18], 1, v[17:18]
	s_delay_alu instid0(VALU_DEP_1) | instskip(SKIP_1) | instid1(VALU_DEP_2)
	v_add_co_u32 v17, s7, s40, v17
	s_wait_alu 0xf1ff
	v_add_co_ci_u32_e64 v18, null, s41, v18, s7
	global_load_u16 v17, v[17:18], off
	s_wait_loadcnt 0x0
	v_lshlrev_b32_e32 v35, 16, v17
.LBB634_33:                             ;   in Loop: Header=BB634_5 Depth=1
	s_or_b32 exec_lo, exec_lo, s52
	s_wait_loadcnt 0x0
	v_lshlrev_b32_e32 v36, 16, v16
.LBB634_34:                             ;   in Loop: Header=BB634_5 Depth=1
	s_wait_alu 0xfffe
	s_or_b32 exec_lo, exec_lo, s51
	s_wait_loadcnt 0x0
	v_lshlrev_b32_e32 v37, 16, v15
.LBB634_35:                             ;   in Loop: Header=BB634_5 Depth=1
	s_wait_alu 0xfffe
	s_or_b32 exec_lo, exec_lo, s50
	s_wait_loadcnt 0x0
	v_lshlrev_b32_e32 v38, 16, v14
.LBB634_36:                             ;   in Loop: Header=BB634_5 Depth=1
	s_or_b32 exec_lo, exec_lo, s49
	s_and_saveexec_b32 s7, s0
	s_cbranch_execz .LBB634_44
; %bb.37:                               ;   in Loop: Header=BB634_5 Depth=1
	v_mul_lo_u32 v15, v34, s33
	v_or_b32_e32 v14, 2, v34
	v_mul_lo_u32 v17, v13, s33
	v_or_b32_e32 v16, 3, v34
	s_delay_alu instid0(VALU_DEP_3) | instskip(NEXT) | instid1(VALU_DEP_2)
	v_mul_lo_u32 v18, v14, s33
	v_mul_lo_u32 v19, v16, s33
	v_cndmask_b32_e32 v15, 0, v15, vcc_lo
	v_cmp_gt_i32_e32 vcc_lo, s37, v13
	s_wait_alu 0xfffd
	v_cndmask_b32_e32 v17, 0, v17, vcc_lo
	v_cmp_gt_i32_e32 vcc_lo, s37, v14
	s_wait_alu 0xfffd
	;; [unrolled: 3-line block ×3, first 2 shown]
	v_dual_cndmask_b32 v16, 0, v19 :: v_dual_add_nc_u32 v13, v15, v21
	v_add_nc_u32_e32 v15, v17, v21
	v_add_nc_u32_e32 v17, v14, v21
	s_delay_alu instid0(VALU_DEP_3) | instskip(NEXT) | instid1(VALU_DEP_4)
	v_ashrrev_i32_e32 v14, 31, v13
	v_add_nc_u32_e32 v19, v16, v21
	s_delay_alu instid0(VALU_DEP_4) | instskip(NEXT) | instid1(VALU_DEP_4)
	v_ashrrev_i32_e32 v16, 31, v15
	v_ashrrev_i32_e32 v18, 31, v17
	s_delay_alu instid0(VALU_DEP_4) | instskip(NEXT) | instid1(VALU_DEP_4)
	v_lshlrev_b64_e32 v[13:14], 1, v[13:14]
	v_ashrrev_i32_e32 v20, 31, v19
	s_delay_alu instid0(VALU_DEP_4) | instskip(NEXT) | instid1(VALU_DEP_4)
	v_lshlrev_b64_e32 v[15:16], 1, v[15:16]
	v_lshlrev_b64_e32 v[39:40], 1, v[17:18]
	s_delay_alu instid0(VALU_DEP_4) | instskip(NEXT) | instid1(VALU_DEP_4)
	v_add_co_u32 v17, vcc_lo, s28, v13
	v_lshlrev_b64_e32 v[41:42], 1, v[19:20]
	s_wait_alu 0xfffd
	v_add_co_ci_u32_e64 v18, null, s29, v14, vcc_lo
	v_add_co_u32 v19, vcc_lo, s28, v15
	s_wait_alu 0xfffd
	v_add_co_ci_u32_e64 v20, null, s29, v16, vcc_lo
	v_add_co_u32 v13, vcc_lo, s28, v39
	;; [unrolled: 3-line block ×3, first 2 shown]
	s_wait_alu 0xfffd
	v_add_co_ci_u32_e64 v16, null, s29, v42, vcc_lo
	s_clause 0x3
	global_load_u16 v41, v[17:18], off
	global_load_u16 v40, v[19:20], off
	;; [unrolled: 1-line block ×4, first 2 shown]
	s_and_saveexec_b32 s28, s2
	s_cbranch_execz .LBB634_43
; %bb.38:                               ;   in Loop: Header=BB634_5 Depth=1
	s_clause 0x3
	global_load_u16 v45, v[17:18], off offset:64
	global_load_u16 v44, v[19:20], off offset:64
	global_load_u16 v43, v[13:14], off offset:64
	global_load_u16 v42, v[15:16], off offset:64
	s_and_saveexec_b32 s29, s3
	s_cbranch_execz .LBB634_42
; %bb.39:                               ;   in Loop: Header=BB634_5 Depth=1
	s_clause 0x3
	global_load_u16 v49, v[17:18], off offset:128
	global_load_u16 v48, v[19:20], off offset:128
	global_load_u16 v47, v[13:14], off offset:128
	global_load_u16 v46, v[15:16], off offset:128
	;; [unrolled: 8-line block ×3, first 2 shown]
	s_wait_loadcnt 0x3
	v_lshlrev_b32_e32 v15, 16, v17
	s_wait_loadcnt 0x2
	v_lshlrev_b32_e32 v16, 16, v18
	;; [unrolled: 2-line block ×3, first 2 shown]
	s_wait_loadcnt 0x0
	v_dual_fmac_f32 v33, v38, v15 :: v_dual_lshlrev_b32 v14, 16, v14
	s_delay_alu instid0(VALU_DEP_1) | instskip(NEXT) | instid1(VALU_DEP_1)
	v_fmac_f32_e32 v33, v37, v16
	v_fmac_f32_e32 v33, v36, v13
	s_delay_alu instid0(VALU_DEP_1)
	v_fmac_f32_e32 v33, v35, v14
.LBB634_41:                             ;   in Loop: Header=BB634_5 Depth=1
	s_wait_alu 0xfffe
	s_or_b32 exec_lo, exec_lo, s40
	s_wait_loadcnt 0x2
	v_lshlrev_b32_e32 v14, 16, v48
	v_lshlrev_b32_e32 v13, 16, v49
	s_wait_loadcnt 0x1
	s_delay_alu instid0(VALU_DEP_1) | instskip(NEXT) | instid1(VALU_DEP_1)
	v_dual_fmac_f32 v32, v38, v13 :: v_dual_lshlrev_b32 v13, 16, v47
	v_fmac_f32_e32 v32, v37, v14
	s_wait_loadcnt 0x0
	s_delay_alu instid0(VALU_DEP_1) | instskip(NEXT) | instid1(VALU_DEP_1)
	v_dual_fmac_f32 v32, v36, v13 :: v_dual_lshlrev_b32 v13, 16, v46
	v_fmac_f32_e32 v32, v35, v13
.LBB634_42:                             ;   in Loop: Header=BB634_5 Depth=1
	s_wait_alu 0xfffe
	s_or_b32 exec_lo, exec_lo, s29
	s_wait_loadcnt 0x3
	v_lshlrev_b32_e32 v13, 16, v45
	s_wait_loadcnt 0x2
	s_delay_alu instid0(VALU_DEP_1) | instskip(SKIP_2) | instid1(VALU_DEP_2)
	v_dual_fmac_f32 v31, v38, v13 :: v_dual_lshlrev_b32 v14, 16, v44
	s_wait_loadcnt 0x1
	v_lshlrev_b32_e32 v13, 16, v43
	v_fmac_f32_e32 v31, v37, v14
	s_delay_alu instid0(VALU_DEP_1) | instskip(SKIP_2) | instid1(VALU_DEP_1)
	v_fmac_f32_e32 v31, v36, v13
	s_wait_loadcnt 0x0
	v_lshlrev_b32_e32 v13, 16, v42
	v_fmac_f32_e32 v31, v35, v13
.LBB634_43:                             ;   in Loop: Header=BB634_5 Depth=1
	s_wait_alu 0xfffe
	s_or_b32 exec_lo, exec_lo, s28
	s_wait_loadcnt 0x2
	v_lshlrev_b32_e32 v14, 16, v40
	v_lshlrev_b32_e32 v13, 16, v41
	s_wait_loadcnt 0x1
	s_delay_alu instid0(VALU_DEP_1) | instskip(NEXT) | instid1(VALU_DEP_1)
	v_dual_fmac_f32 v30, v38, v13 :: v_dual_lshlrev_b32 v13, 16, v39
	v_fmac_f32_e32 v30, v37, v14
	s_wait_loadcnt 0x0
	s_delay_alu instid0(VALU_DEP_1) | instskip(NEXT) | instid1(VALU_DEP_1)
	v_dual_fmac_f32 v30, v36, v13 :: v_dual_lshlrev_b32 v13, 16, v34
	v_fmac_f32_e32 v30, v35, v13
.LBB634_44:                             ;   in Loop: Header=BB634_5 Depth=1
	s_wait_alu 0xfffe
	s_or_b32 exec_lo, exec_lo, s7
.LBB634_45:                             ;   in Loop: Header=BB634_5 Depth=1
	ds_store_2addr_b32 v0, v30, v31 offset1:32
	ds_store_2addr_b32 v0, v32, v33 offset0:64 offset1:96
	s_wait_dscnt 0x0
	s_barrier_signal -1
	s_barrier_wait -1
	global_inv scope:SCOPE_SE
                                        ; implicit-def: $vgpr15
	s_and_saveexec_b32 s7, s5
	s_cbranch_execz .LBB634_51
; %bb.46:                               ;   in Loop: Header=BB634_5 Depth=1
	ds_load_2addr_stride64_b32 v[13:14], v23 offset1:2
	ds_load_2addr_stride64_b32 v[15:16], v23 offset0:4 offset1:6
	ds_load_2addr_stride64_b32 v[17:18], v23 offset0:8 offset1:10
	s_mov_b32 s29, s48
	s_wait_dscnt 0x2
	v_add_f32_e32 v19, v13, v14
	ds_load_2addr_stride64_b32 v[13:14], v23 offset0:12 offset1:14
	s_wait_dscnt 0x2
	v_add_f32_e32 v15, v15, v19
	s_delay_alu instid0(VALU_DEP_1) | instskip(SKIP_3) | instid1(VALU_DEP_1)
	v_add_f32_e32 v19, v16, v15
	ds_load_2addr_stride64_b32 v[15:16], v23 offset0:16 offset1:18
	s_wait_dscnt 0x2
	v_add_f32_e32 v17, v17, v19
	v_add_f32_e32 v19, v18, v17
	ds_load_2addr_stride64_b32 v[17:18], v23 offset0:20 offset1:22
	s_wait_dscnt 0x2
	v_add_f32_e32 v13, v13, v19
	s_delay_alu instid0(VALU_DEP_1) | instskip(SKIP_1) | instid1(VALU_DEP_1)
	v_add_f32_e32 v13, v14, v13
	s_wait_dscnt 0x1
	v_add_f32_e32 v15, v15, v13
	ds_load_2addr_stride64_b32 v[13:14], v23 offset0:24 offset1:26
	v_add_f32_e32 v15, v16, v15
	s_wait_dscnt 0x1
	s_delay_alu instid0(VALU_DEP_1) | instskip(SKIP_3) | instid1(VALU_DEP_1)
	v_add_f32_e32 v17, v17, v15
	ds_load_2addr_stride64_b32 v[15:16], v23 offset0:28 offset1:30
	v_add_f32_e32 v17, v18, v17
	s_wait_dscnt 0x1
	v_add_f32_e32 v13, v13, v17
	s_delay_alu instid0(VALU_DEP_1) | instskip(SKIP_1) | instid1(VALU_DEP_1)
	v_add_f32_e32 v13, v14, v13
	s_wait_dscnt 0x0
	v_add_f32_e32 v13, v15, v13
                                        ; implicit-def: $vgpr15
	s_delay_alu instid0(VALU_DEP_1)
	v_add_f32_e32 v13, v16, v13
	ds_store_b32 v23, v13
	s_and_saveexec_b32 s28, s6
	s_cbranch_execz .LBB634_50
; %bb.47:                               ;   in Loop: Header=BB634_5 Depth=1
	v_mul_f32_e32 v15, v29, v13
	s_cmp_eq_f32 s47, 0
	s_cbranch_scc1 .LBB634_49
; %bb.48:                               ;   in Loop: Header=BB634_5 Depth=1
	v_add_co_u32 v13, vcc_lo, s26, v11
	s_wait_alu 0xfffd
	v_add_co_ci_u32_e64 v14, null, s27, v12, vcc_lo
	global_load_b32 v13, v[13:14], off
	s_wait_loadcnt 0x0
	v_fmac_f32_e32 v15, s47, v13
.LBB634_49:                             ;   in Loop: Header=BB634_5 Depth=1
	s_or_b32 s29, s48, exec_lo
.LBB634_50:                             ;   in Loop: Header=BB634_5 Depth=1
	s_wait_alu 0xfffe
	s_or_b32 exec_lo, exec_lo, s28
	s_delay_alu instid0(SALU_CYCLE_1)
	s_and_not1_b32 s28, s48, exec_lo
	s_and_b32 s29, s29, exec_lo
	s_wait_alu 0xfffe
	s_or_b32 s48, s28, s29
.LBB634_51:                             ;   in Loop: Header=BB634_5 Depth=1
	s_wait_alu 0xfffe
	s_or_b32 exec_lo, exec_lo, s7
	v_dual_mov_b32 v14, v5 :: v_dual_mov_b32 v13, v4
	s_and_saveexec_b32 s7, s48
	s_cbranch_execz .LBB634_3
.LBB634_52:                             ;   in Loop: Header=BB634_5 Depth=1
	s_delay_alu instid0(VALU_DEP_1) | instskip(SKIP_1) | instid1(VALU_DEP_1)
	v_lshlrev_b64_e32 v[13:14], 2, v[13:14]
	s_wait_alu 0xfffe
	v_add_co_u32 v13, vcc_lo, s26, v13
	s_wait_alu 0xfffd
	s_delay_alu instid0(VALU_DEP_2)
	v_add_co_ci_u32_e64 v14, null, s27, v14, vcc_lo
	global_store_b32 v[13:14], v15, off
	s_branch .LBB634_3
.LBB634_53:
	s_endpgm
	.section	.rodata,"a",@progbits
	.p2align	6, 0x0
	.amdhsa_kernel _ZL20rocblas_gemvn_kernelILi32ELi16Ei16rocblas_bfloat16PKffEviiT3_lPKT2_lT1_lS6_lS7_lS3_lPT4_lS7_li
		.amdhsa_group_segment_fixed_size 8192
		.amdhsa_private_segment_fixed_size 0
		.amdhsa_kernarg_size 400
		.amdhsa_user_sgpr_count 2
		.amdhsa_user_sgpr_dispatch_ptr 0
		.amdhsa_user_sgpr_queue_ptr 0
		.amdhsa_user_sgpr_kernarg_segment_ptr 1
		.amdhsa_user_sgpr_dispatch_id 0
		.amdhsa_user_sgpr_private_segment_size 0
		.amdhsa_wavefront_size32 1
		.amdhsa_uses_dynamic_stack 0
		.amdhsa_enable_private_segment 0
		.amdhsa_system_sgpr_workgroup_id_x 1
		.amdhsa_system_sgpr_workgroup_id_y 0
		.amdhsa_system_sgpr_workgroup_id_z 1
		.amdhsa_system_sgpr_workgroup_info 0
		.amdhsa_system_vgpr_workitem_id 1
		.amdhsa_next_free_vgpr 55
		.amdhsa_next_free_sgpr 55
		.amdhsa_reserve_vcc 1
		.amdhsa_float_round_mode_32 0
		.amdhsa_float_round_mode_16_64 0
		.amdhsa_float_denorm_mode_32 3
		.amdhsa_float_denorm_mode_16_64 3
		.amdhsa_fp16_overflow 0
		.amdhsa_workgroup_processor_mode 1
		.amdhsa_memory_ordered 1
		.amdhsa_forward_progress 1
		.amdhsa_inst_pref_size 27
		.amdhsa_round_robin_scheduling 0
		.amdhsa_exception_fp_ieee_invalid_op 0
		.amdhsa_exception_fp_denorm_src 0
		.amdhsa_exception_fp_ieee_div_zero 0
		.amdhsa_exception_fp_ieee_overflow 0
		.amdhsa_exception_fp_ieee_underflow 0
		.amdhsa_exception_fp_ieee_inexact 0
		.amdhsa_exception_int_div_zero 0
	.end_amdhsa_kernel
	.section	.text._ZL20rocblas_gemvn_kernelILi32ELi16Ei16rocblas_bfloat16PKffEviiT3_lPKT2_lT1_lS6_lS7_lS3_lPT4_lS7_li,"axG",@progbits,_ZL20rocblas_gemvn_kernelILi32ELi16Ei16rocblas_bfloat16PKffEviiT3_lPKT2_lT1_lS6_lS7_lS3_lPT4_lS7_li,comdat
.Lfunc_end634:
	.size	_ZL20rocblas_gemvn_kernelILi32ELi16Ei16rocblas_bfloat16PKffEviiT3_lPKT2_lT1_lS6_lS7_lS3_lPT4_lS7_li, .Lfunc_end634-_ZL20rocblas_gemvn_kernelILi32ELi16Ei16rocblas_bfloat16PKffEviiT3_lPKT2_lT1_lS6_lS7_lS3_lPT4_lS7_li
                                        ; -- End function
	.set _ZL20rocblas_gemvn_kernelILi32ELi16Ei16rocblas_bfloat16PKffEviiT3_lPKT2_lT1_lS6_lS7_lS3_lPT4_lS7_li.num_vgpr, 55
	.set _ZL20rocblas_gemvn_kernelILi32ELi16Ei16rocblas_bfloat16PKffEviiT3_lPKT2_lT1_lS6_lS7_lS3_lPT4_lS7_li.num_agpr, 0
	.set _ZL20rocblas_gemvn_kernelILi32ELi16Ei16rocblas_bfloat16PKffEviiT3_lPKT2_lT1_lS6_lS7_lS3_lPT4_lS7_li.numbered_sgpr, 55
	.set _ZL20rocblas_gemvn_kernelILi32ELi16Ei16rocblas_bfloat16PKffEviiT3_lPKT2_lT1_lS6_lS7_lS3_lPT4_lS7_li.num_named_barrier, 0
	.set _ZL20rocblas_gemvn_kernelILi32ELi16Ei16rocblas_bfloat16PKffEviiT3_lPKT2_lT1_lS6_lS7_lS3_lPT4_lS7_li.private_seg_size, 0
	.set _ZL20rocblas_gemvn_kernelILi32ELi16Ei16rocblas_bfloat16PKffEviiT3_lPKT2_lT1_lS6_lS7_lS3_lPT4_lS7_li.uses_vcc, 1
	.set _ZL20rocblas_gemvn_kernelILi32ELi16Ei16rocblas_bfloat16PKffEviiT3_lPKT2_lT1_lS6_lS7_lS3_lPT4_lS7_li.uses_flat_scratch, 0
	.set _ZL20rocblas_gemvn_kernelILi32ELi16Ei16rocblas_bfloat16PKffEviiT3_lPKT2_lT1_lS6_lS7_lS3_lPT4_lS7_li.has_dyn_sized_stack, 0
	.set _ZL20rocblas_gemvn_kernelILi32ELi16Ei16rocblas_bfloat16PKffEviiT3_lPKT2_lT1_lS6_lS7_lS3_lPT4_lS7_li.has_recursion, 0
	.set _ZL20rocblas_gemvn_kernelILi32ELi16Ei16rocblas_bfloat16PKffEviiT3_lPKT2_lT1_lS6_lS7_lS3_lPT4_lS7_li.has_indirect_call, 0
	.section	.AMDGPU.csdata,"",@progbits
; Kernel info:
; codeLenInByte = 3396
; TotalNumSgprs: 57
; NumVgprs: 55
; ScratchSize: 0
; MemoryBound: 0
; FloatMode: 240
; IeeeMode: 1
; LDSByteSize: 8192 bytes/workgroup (compile time only)
; SGPRBlocks: 0
; VGPRBlocks: 6
; NumSGPRsForWavesPerEU: 57
; NumVGPRsForWavesPerEU: 55
; Occupancy: 16
; WaveLimiterHint : 1
; COMPUTE_PGM_RSRC2:SCRATCH_EN: 0
; COMPUTE_PGM_RSRC2:USER_SGPR: 2
; COMPUTE_PGM_RSRC2:TRAP_HANDLER: 0
; COMPUTE_PGM_RSRC2:TGID_X_EN: 1
; COMPUTE_PGM_RSRC2:TGID_Y_EN: 0
; COMPUTE_PGM_RSRC2:TGID_Z_EN: 1
; COMPUTE_PGM_RSRC2:TIDIG_COMP_CNT: 1
	.section	.text._ZL20rocblas_gemvn_kernelILi32ELi16El16rocblas_bfloat16PKffEviiT3_lPKT2_lT1_lS6_lS7_lS3_lPT4_lS7_li,"axG",@progbits,_ZL20rocblas_gemvn_kernelILi32ELi16El16rocblas_bfloat16PKffEviiT3_lPKT2_lT1_lS6_lS7_lS3_lPT4_lS7_li,comdat
	.globl	_ZL20rocblas_gemvn_kernelILi32ELi16El16rocblas_bfloat16PKffEviiT3_lPKT2_lT1_lS6_lS7_lS3_lPT4_lS7_li ; -- Begin function _ZL20rocblas_gemvn_kernelILi32ELi16El16rocblas_bfloat16PKffEviiT3_lPKT2_lT1_lS6_lS7_lS3_lPT4_lS7_li
	.p2align	8
	.type	_ZL20rocblas_gemvn_kernelILi32ELi16El16rocblas_bfloat16PKffEviiT3_lPKT2_lT1_lS6_lS7_lS3_lPT4_lS7_li,@function
_ZL20rocblas_gemvn_kernelILi32ELi16El16rocblas_bfloat16PKffEviiT3_lPKT2_lT1_lS6_lS7_lS3_lPT4_lS7_li: ; @_ZL20rocblas_gemvn_kernelILi32ELi16El16rocblas_bfloat16PKffEviiT3_lPKT2_lT1_lS6_lS7_lS3_lPT4_lS7_li
; %bb.0:
	s_load_b64 s[2:3], s[0:1], 0x9c
	s_wait_kmcnt 0x0
	s_lshr_b32 s4, s2, 16
	s_and_b32 s2, s2, 0xffff
	s_and_b32 s3, s3, 0xffff
	s_mul_i32 s2, s4, s2
	s_delay_alu instid0(SALU_CYCLE_1) | instskip(NEXT) | instid1(SALU_CYCLE_1)
	s_mul_i32 s2, s2, s3
	s_cmp_lg_u32 s2, 0x200
	s_cbranch_scc1 .LBB635_53
; %bb.1:
	s_load_b32 s33, s[0:1], 0x88
	s_lshr_b32 s10, ttmp7, 16
	s_wait_kmcnt 0x0
	s_cmp_ge_u32 s10, s33
	s_cbranch_scc1 .LBB635_53
; %bb.2:
	s_clause 0x2
	s_load_b512 s[12:27], s[0:1], 0x8
	s_load_b512 s[36:51], s[0:1], 0x48
	s_load_b64 s[8:9], s[0:1], 0x0
	v_and_b32_e32 v5, 0x3ff, v0
	v_bfe_u32 v17, v0, 10, 10
	s_lshl_b32 s34, ttmp9, 7
	s_mov_b32 s11, 0
	s_delay_alu instid0(VALU_DEP_2) | instskip(NEXT) | instid1(VALU_DEP_2)
	v_dual_mov_b32 v1, 0 :: v_dual_add_nc_u32 v6, s34, v5
	v_lshlrev_b32_e32 v18, 2, v17
	v_lshl_add_u32 v10, v17, 5, v5
	s_delay_alu instid0(VALU_DEP_3) | instskip(SKIP_1) | instid1(VALU_DEP_4)
	v_add_nc_u32_e32 v8, 64, v6
	v_add_nc_u32_e32 v9, 0x60, v6
	v_or_b32_e32 v20, 3, v18
	s_delay_alu instid0(VALU_DEP_4)
	v_add_nc_u32_e32 v0, s34, v10
	v_or_b32_e32 v21, s34, v10
	v_ashrrev_i32_e32 v7, 31, v6
	s_wait_kmcnt 0x0
	s_lshl_b64 s[4:5], s[18:19], 1
	s_lshl_b64 s[18:19], s[26:27], 1
	s_ashr_i32 s28, s9, 31
	s_add_nc_u64 s[16:17], s[16:17], s[4:5]
	s_lshr_b32 s4, s28, 26
	s_lshl_b64 s[6:7], s[46:47], 2
	s_add_co_i32 s52, s9, s4
	s_ashr_i32 s31, s8, 31
	s_and_not1_b32 s52, s52, 63
	v_cmp_gt_i32_e64 s2, s8, v8
	s_sub_co_i32 s5, s9, s52
	v_cmp_gt_i32_e64 s3, s8, v9
	s_cmp_gt_i32 s5, 0
	v_mad_co_u64_u32 v[8:9], null, s36, v17, 0
	v_cmp_gt_u32_e64 s5, 0x80, v10
	v_mad_co_u64_u32 v[10:11], null, s20, v20, 0
	s_mov_b32 s30, s8
	s_add_nc_u64 s[28:29], s[44:45], s[6:7]
	s_cselect_b32 s53, -1, 0
	v_mul_lo_u32 v22, s49, v21
	s_ashr_i32 s6, s34, 31
	v_cmp_gt_i32_e64 s0, s8, v6
	v_mad_co_u64_u32 v[12:13], null, s37, v17, v[9:10]
	v_mov_b32_e32 v9, v11
	v_mad_co_u64_u32 v[13:14], null, s36, v20, 0
	v_or_b32_e32 v24, 2, v18
	s_mul_i32 s7, s48, s6
	s_delay_alu instid0(VALU_DEP_3)
	v_mad_co_u64_u32 v[15:16], null, s21, v20, v[9:10]
	v_mov_b32_e32 v9, v12
	v_mad_co_u64_u32 v[2:3], null, s48, v0, 0
	v_add_nc_u32_e32 v4, 32, v6
	v_mov_b32_e32 v12, v14
	v_cmp_gt_i64_e32 vcc_lo, s[30:31], v[0:1]
	v_lshlrev_b64_e32 v[8:9], 3, v[8:9]
	v_mov_b32_e32 v11, v15
	v_cmp_gt_i32_e64 s1, s8, v4
	v_mad_co_u64_u32 v[3:4], null, s49, v0, v[3:4]
	v_lshlrev_b32_e32 v4, 2, v5
	v_mad_co_u64_u32 v[14:15], null, s37, v20, v[12:13]
	v_mad_co_u64_u32 v[15:16], null, s20, v17, 0
	s_delay_alu instid0(VALU_DEP_3)
	v_lshl_add_u32 v0, v17, 9, v4
	v_lshl_add_u32 v19, v17, 7, v4
	v_mad_co_u64_u32 v[4:5], null, s48, v21, 0
	s_and_b32 s54, s5, vcc_lo
	v_add_co_u32 v20, vcc_lo, s24, v8
	v_cmp_gt_i32_e64 s6, s8, v21
	v_add_co_ci_u32_e64 v21, null, s25, v9, vcc_lo
	v_lshlrev_b64_e32 v[8:9], 1, v[10:11]
	v_mad_co_u64_u32 v[11:12], null, s20, v24, 0
	v_mov_b32_e32 v10, v16
	v_add3_u32 v5, v5, s7, v22
	v_mad_co_u64_u32 v[28:29], null, s36, v24, 0
	v_add_co_u32 v22, vcc_lo, s16, v8
	s_delay_alu instid0(VALU_DEP_4)
	v_mad_co_u64_u32 v[16:17], null, s21, v17, v[10:11]
	s_wait_alu 0xfffd
	v_add_co_ci_u32_e64 v23, null, s17, v9, vcc_lo
	v_lshlrev_b64_e32 v[9:10], 1, v[13:14]
	v_mov_b32_e32 v8, v12
	v_mov_b32_e32 v12, v29
	v_mad_co_u64_u32 v[30:31], null, s36, v18, s[36:37]
	v_mad_co_u64_u32 v[32:33], null, s20, v18, s[20:21]
	s_delay_alu instid0(VALU_DEP_4)
	v_mad_co_u64_u32 v[13:14], null, s21, v24, v[8:9]
	v_lshlrev_b64_e32 v[6:7], 1, v[6:7]
	v_cmp_gt_i32_e64 s4, s52, v18
	v_mov_b32_e32 v8, v31
	s_add_nc_u64 s[26:27], s[24:25], s[18:19]
	s_lshl_b64 s[30:31], s[38:39], 1
	s_lshl_b64 s[34:35], s[22:23], 1
	v_mad_co_u64_u32 v[26:27], null, s37, v24, v[12:13]
	v_add_co_u32 v24, vcc_lo, s24, v9
	s_wait_alu 0xfffd
	v_add_co_ci_u32_e64 v25, null, s25, v10, vcc_lo
	v_lshlrev_b64_e32 v[9:10], 3, v[15:16]
	s_delay_alu instid0(VALU_DEP_4) | instskip(SKIP_1) | instid1(VALU_DEP_2)
	v_dual_mov_b32 v12, v13 :: v_dual_mov_b32 v29, v26
	s_lshl_b64 s[44:45], s[20:21], 7
	v_add_co_u32 v26, vcc_lo, s16, v9
	v_mad_co_u64_u32 v[13:14], null, s37, v18, v[8:9]
	s_wait_alu 0xfffd
	v_add_co_ci_u32_e64 v27, null, s17, v10, vcc_lo
	v_lshlrev_b64_e32 v[9:10], 1, v[11:12]
	v_mov_b32_e32 v8, v33
	v_lshlrev_b64_e32 v[14:15], 1, v[28:29]
	v_mov_b32_e32 v31, v13
	s_delay_alu instid0(VALU_DEP_3) | instskip(SKIP_1) | instid1(VALU_DEP_3)
	v_mad_co_u64_u32 v[11:12], null, s21, v18, v[8:9]
	v_add_co_u32 v28, vcc_lo, s16, v9
	v_lshlrev_b64_e32 v[8:9], 1, v[30:31]
	s_wait_alu 0xfffd
	v_add_co_ci_u32_e64 v29, null, s17, v10, vcc_lo
	v_add_co_u32 v30, vcc_lo, s24, v14
	v_mov_b32_e32 v33, v11
	s_wait_alu 0xfffd
	v_add_co_ci_u32_e64 v31, null, s25, v15, vcc_lo
	s_delay_alu instid0(VALU_DEP_2) | instskip(SKIP_4) | instid1(VALU_DEP_4)
	v_lshlrev_b64_e32 v[10:11], 1, v[32:33]
	v_add_co_u32 v32, vcc_lo, s24, v8
	s_wait_alu 0xfffd
	v_add_co_ci_u32_e64 v33, null, s25, v9, vcc_lo
	v_lshlrev_b64_e32 v[8:9], 2, v[2:3]
	v_add_co_u32 v34, vcc_lo, s16, v10
	s_wait_alu 0xfffd
	v_add_co_ci_u32_e64 v35, null, s17, v11, vcc_lo
	s_lshl_b64 s[24:25], s[36:37], 7
	s_branch .LBB635_5
.LBB635_3:                              ;   in Loop: Header=BB635_5 Depth=1
	s_wait_alu 0xfffe
	s_or_b32 exec_lo, exec_lo, s7
.LBB635_4:                              ;   in Loop: Header=BB635_5 Depth=1
	s_add_co_i32 s10, s10, 0x10000
	s_delay_alu instid0(SALU_CYCLE_1)
	s_cmp_lt_u32 s10, s33
	s_cbranch_scc0 .LBB635_53
.LBB635_5:                              ; =>This Loop Header: Depth=1
                                        ;     Child Loop BB635_21 Depth 2
	s_mul_u64 s[46:47], s[14:15], s[10:11]
	s_mul_u64 s[48:49], s[42:43], s[10:11]
	s_wait_alu 0xfffe
	s_lshl_b64 s[46:47], s[46:47], 2
	s_lshl_b64 s[48:49], s[48:49], 2
	s_wait_alu 0xfffe
	s_add_nc_u64 s[46:47], s[12:13], s[46:47]
	s_add_nc_u64 s[48:49], s[40:41], s[48:49]
	s_clause 0x1
	global_load_b32 v36, v1, s[46:47]
	global_load_b32 v10, v1, s[48:49]
	s_wait_loadcnt 0x1
	v_cmp_eq_f32_e32 vcc_lo, 0, v36
	s_wait_loadcnt 0x0
	v_cmp_eq_f32_e64 s7, 1.0, v10
	v_readfirstlane_b32 s55, v10
	s_and_b32 s7, vcc_lo, s7
	s_wait_alu 0xfffe
	s_and_b32 vcc_lo, exec_lo, s7
	s_wait_alu 0xfffe
	s_cbranch_vccnz .LBB635_4
; %bb.6:                                ;   in Loop: Header=BB635_5 Depth=1
	v_cmp_neq_f32_e32 vcc_lo, 0, v36
	s_mul_u64 s[46:47], s[50:51], s[10:11]
	s_wait_alu 0xfffe
	s_lshl_b64 s[46:47], s[46:47], 2
	s_wait_alu 0xfffe
	s_add_nc_u64 s[46:47], s[28:29], s[46:47]
	s_cbranch_vccnz .LBB635_10
; %bb.7:                                ;   in Loop: Header=BB635_5 Depth=1
	s_mov_b32 s7, 0
	s_mov_b32 s56, 0
                                        ; implicit-def: $vgpr12
	s_and_saveexec_b32 s8, s54
	s_cbranch_execz .LBB635_11
; %bb.8:                                ;   in Loop: Header=BB635_5 Depth=1
	s_cmp_eq_f32 s55, 0
	s_cbranch_scc1 .LBB635_13
; %bb.9:                                ;   in Loop: Header=BB635_5 Depth=1
	s_wait_alu 0xfffe
	v_add_co_u32 v10, vcc_lo, s46, v8
	s_wait_alu 0xfffd
	v_add_co_ci_u32_e64 v11, null, s47, v9, vcc_lo
	global_load_b32 v10, v[10:11], off
	s_wait_loadcnt 0x0
	v_mul_f32_e32 v12, s55, v10
	s_branch .LBB635_14
.LBB635_10:                             ;   in Loop: Header=BB635_5 Depth=1
	s_mov_b32 s56, 0
                                        ; implicit-def: $vgpr12
	s_cbranch_execz .LBB635_12
	s_branch .LBB635_15
.LBB635_11:                             ;   in Loop: Header=BB635_5 Depth=1
	s_wait_alu 0xfffe
	s_or_b32 exec_lo, exec_lo, s8
	s_delay_alu instid0(SALU_CYCLE_1)
	s_and_b32 vcc_lo, exec_lo, s7
	s_wait_alu 0xfffe
	s_cbranch_vccnz .LBB635_15
.LBB635_12:                             ;   in Loop: Header=BB635_5 Depth=1
	v_dual_mov_b32 v11, v3 :: v_dual_mov_b32 v10, v2
	s_and_saveexec_b32 s7, s56
	s_cbranch_execz .LBB635_3
	s_branch .LBB635_52
.LBB635_13:                             ;   in Loop: Header=BB635_5 Depth=1
	v_mov_b32_e32 v12, 0
.LBB635_14:                             ;   in Loop: Header=BB635_5 Depth=1
	s_mov_b32 s56, exec_lo
	s_wait_alu 0xfffe
	s_or_b32 exec_lo, exec_lo, s8
	s_delay_alu instid0(SALU_CYCLE_1)
	s_and_b32 vcc_lo, exec_lo, s7
	s_wait_alu 0xfffe
	s_cbranch_vccz .LBB635_12
.LBB635_15:                             ;   in Loop: Header=BB635_5 Depth=1
	v_dual_mov_b32 v37, 0 :: v_dual_mov_b32 v38, 0
	v_dual_mov_b32 v41, v18 :: v_dual_mov_b32 v40, 0
	v_mov_b32_e32 v39, 0
	s_and_saveexec_b32 s8, s4
	s_cbranch_execz .LBB635_27
; %bb.16:                               ;   in Loop: Header=BB635_5 Depth=1
	s_mul_u64 s[48:49], s[30:31], s[10:11]
	s_mul_u64 s[58:59], s[34:35], s[10:11]
	s_wait_alu 0xfffe
	v_add_co_u32 v42, vcc_lo, v20, s48
	s_wait_alu 0xfffd
	v_add_co_ci_u32_e64 v43, null, s49, v21, vcc_lo
	v_add_co_u32 v44, vcc_lo, v22, s58
	s_wait_alu 0xfffd
	v_add_co_ci_u32_e64 v45, null, s59, v23, vcc_lo
	;; [unrolled: 3-line block ×8, first 2 shown]
	v_dual_mov_b32 v37, 0 :: v_dual_mov_b32 v38, 0
	v_dual_mov_b32 v41, v18 :: v_dual_mov_b32 v40, 0
	v_mov_b32_e32 v39, 0
	s_mov_b32 s48, 0
	s_branch .LBB635_21
.LBB635_17:                             ;   in Loop: Header=BB635_21 Depth=2
	s_wait_alu 0xfffe
	s_or_b32 exec_lo, exec_lo, s58
	s_wait_loadcnt 0x2
	v_lshlrev_b32_e32 v11, 16, v72
	v_lshlrev_b32_e32 v10, 16, v73
	s_wait_loadcnt 0x1
	s_delay_alu instid0(VALU_DEP_1) | instskip(NEXT) | instid1(VALU_DEP_1)
	v_dual_fmac_f32 v39, v65, v10 :: v_dual_lshlrev_b32 v10, 16, v71
	v_fmac_f32_e32 v39, v61, v11
	s_delay_alu instid0(VALU_DEP_1) | instskip(SKIP_2) | instid1(VALU_DEP_1)
	v_fmac_f32_e32 v39, v63, v10
	s_wait_loadcnt 0x0
	v_lshlrev_b32_e32 v10, 16, v70
	v_fmac_f32_e32 v39, v59, v10
.LBB635_18:                             ;   in Loop: Header=BB635_21 Depth=2
	s_or_b32 exec_lo, exec_lo, s57
	s_wait_loadcnt 0x3
	v_lshlrev_b32_e32 v10, 16, v69
	s_wait_loadcnt 0x2
	s_delay_alu instid0(VALU_DEP_1) | instskip(SKIP_2) | instid1(VALU_DEP_2)
	v_dual_fmac_f32 v38, v65, v10 :: v_dual_lshlrev_b32 v11, 16, v68
	s_wait_loadcnt 0x1
	v_lshlrev_b32_e32 v10, 16, v67
	v_fmac_f32_e32 v38, v61, v11
	s_delay_alu instid0(VALU_DEP_1) | instskip(SKIP_2) | instid1(VALU_DEP_1)
	v_fmac_f32_e32 v38, v63, v10
	s_wait_loadcnt 0x0
	v_lshlrev_b32_e32 v10, 16, v66
	v_fmac_f32_e32 v38, v59, v10
.LBB635_19:                             ;   in Loop: Header=BB635_21 Depth=2
	s_wait_alu 0xfffe
	s_or_b32 exec_lo, exec_lo, s49
	s_wait_loadcnt 0x2
	v_lshlrev_b32_e32 v11, 16, v62
	v_lshlrev_b32_e32 v10, 16, v64
	s_wait_loadcnt 0x1
	s_delay_alu instid0(VALU_DEP_1) | instskip(NEXT) | instid1(VALU_DEP_1)
	v_dual_fmac_f32 v37, v65, v10 :: v_dual_lshlrev_b32 v10, 16, v60
	v_fmac_f32_e32 v37, v61, v11
	s_delay_alu instid0(VALU_DEP_1) | instskip(SKIP_2) | instid1(VALU_DEP_1)
	v_fmac_f32_e32 v37, v63, v10
	s_wait_loadcnt 0x0
	v_lshlrev_b32_e32 v10, 16, v58
	v_fmac_f32_e32 v37, v59, v10
.LBB635_20:                             ;   in Loop: Header=BB635_21 Depth=2
	s_wait_alu 0xfffe
	s_or_b32 exec_lo, exec_lo, s7
	v_add_co_u32 v42, vcc_lo, v42, s24
	s_wait_alu 0xfffd
	v_add_co_ci_u32_e64 v43, null, s25, v43, vcc_lo
	v_add_co_u32 v44, vcc_lo, v44, s44
	s_wait_alu 0xfffd
	v_add_co_ci_u32_e64 v45, null, s45, v45, vcc_lo
	;; [unrolled: 3-line block ×4, first 2 shown]
	v_add_co_u32 v50, vcc_lo, v50, s44
	v_add_nc_u32_e32 v41, 64, v41
	s_wait_alu 0xfffd
	v_add_co_ci_u32_e64 v51, null, s45, v51, vcc_lo
	v_add_co_u32 v52, vcc_lo, v52, s24
	s_wait_alu 0xfffd
	v_add_co_ci_u32_e64 v53, null, s25, v53, vcc_lo
	v_add_co_u32 v54, vcc_lo, v54, s24
	s_wait_alu 0xfffd
	v_add_co_ci_u32_e64 v55, null, s25, v55, vcc_lo
	v_cmp_le_i32_e32 vcc_lo, s52, v41
	v_add_co_u32 v56, s7, v56, s44
	s_wait_alu 0xf1ff
	v_add_co_ci_u32_e64 v57, null, s45, v57, s7
	s_or_b32 s48, vcc_lo, s48
	s_wait_alu 0xfffe
	s_and_not1_b32 exec_lo, exec_lo, s48
	s_cbranch_execz .LBB635_26
.LBB635_21:                             ;   Parent Loop BB635_5 Depth=1
                                        ; =>  This Inner Loop Header: Depth=2
	s_and_saveexec_b32 s7, s0
	s_cbranch_execz .LBB635_20
; %bb.22:                               ;   in Loop: Header=BB635_21 Depth=2
	v_add_co_u32 v10, vcc_lo, v42, s18
	s_wait_alu 0xfffd
	v_add_co_ci_u32_e64 v11, null, s19, v43, vcc_lo
	v_add_co_u32 v12, vcc_lo, v54, s18
	s_wait_alu 0xfffd
	v_add_co_ci_u32_e64 v13, null, s19, v55, vcc_lo
	;; [unrolled: 3-line block ×4, first 2 shown]
	global_load_u16 v59, v[10:11], off
	global_load_u16 v61, v[12:13], off
	;; [unrolled: 1-line block ×4, first 2 shown]
	v_add_co_u32 v10, vcc_lo, v48, v6
	s_wait_alu 0xfffd
	v_add_co_ci_u32_e64 v11, null, v49, v7, vcc_lo
	v_add_co_u32 v14, vcc_lo, v56, v6
	s_wait_alu 0xfffd
	v_add_co_ci_u32_e64 v15, null, v57, v7, vcc_lo
	v_add_co_u32 v12, vcc_lo, v50, v6
	s_wait_alu 0xfffd
	v_add_co_ci_u32_e64 v13, null, v51, v7, vcc_lo
	v_add_co_u32 v16, vcc_lo, v44, v6
	s_wait_alu 0xfffd
	v_add_co_ci_u32_e64 v17, null, v45, v7, vcc_lo
	global_load_u16 v64, v[10:11], off
	global_load_u16 v62, v[14:15], off
	;; [unrolled: 1-line block ×4, first 2 shown]
	s_wait_loadcnt 0x7
	v_lshlrev_b32_e32 v65, 16, v59
	s_wait_loadcnt 0x6
	v_lshlrev_b32_e32 v61, 16, v61
	;; [unrolled: 2-line block ×4, first 2 shown]
	s_and_saveexec_b32 s49, s1
	s_cbranch_execz .LBB635_19
; %bb.23:                               ;   in Loop: Header=BB635_21 Depth=2
	global_load_u16 v69, v[10:11], off offset:64
	global_load_u16 v68, v[14:15], off offset:64
	global_load_u16 v67, v[12:13], off offset:64
	global_load_u16 v66, v[16:17], off offset:64
	s_and_saveexec_b32 s57, s2
	s_cbranch_execz .LBB635_18
; %bb.24:                               ;   in Loop: Header=BB635_21 Depth=2
	global_load_u16 v73, v[10:11], off offset:128
	global_load_u16 v72, v[14:15], off offset:128
	global_load_u16 v71, v[12:13], off offset:128
	global_load_u16 v70, v[16:17], off offset:128
	;; [unrolled: 7-line block ×3, first 2 shown]
	s_wait_loadcnt 0x3
	v_lshlrev_b32_e32 v10, 16, v10
	s_wait_loadcnt 0x2
	s_delay_alu instid0(VALU_DEP_1) | instskip(SKIP_3) | instid1(VALU_DEP_2)
	v_dual_fmac_f32 v40, v65, v10 :: v_dual_lshlrev_b32 v11, 16, v11
	s_wait_loadcnt 0x1
	v_lshlrev_b32_e32 v10, 16, v12
	s_wait_loadcnt 0x0
	v_dual_fmac_f32 v40, v61, v11 :: v_dual_lshlrev_b32 v11, 16, v13
	s_delay_alu instid0(VALU_DEP_1) | instskip(NEXT) | instid1(VALU_DEP_1)
	v_fmac_f32_e32 v40, v63, v10
	v_fmac_f32_e32 v40, v59, v11
	s_branch .LBB635_17
.LBB635_26:                             ;   in Loop: Header=BB635_5 Depth=1
	s_or_b32 exec_lo, exec_lo, s48
.LBB635_27:                             ;   in Loop: Header=BB635_5 Depth=1
	s_wait_alu 0xfffe
	s_or_b32 exec_lo, exec_lo, s8
	s_delay_alu instid0(SALU_CYCLE_1)
	s_and_not1_b32 vcc_lo, exec_lo, s53
	s_wait_alu 0xfffe
	s_cbranch_vccnz .LBB635_45
; %bb.28:                               ;   in Loop: Header=BB635_5 Depth=1
	v_cmp_gt_i32_e32 vcc_lo, s9, v41
	v_dual_mov_b32 v43, 0 :: v_dual_mov_b32 v42, 0
	v_or_b32_e32 v10, 1, v41
	v_dual_mov_b32 v45, 0 :: v_dual_mov_b32 v44, 0
	s_and_saveexec_b32 s8, vcc_lo
	s_cbranch_execz .LBB635_36
; %bb.29:                               ;   in Loop: Header=BB635_5 Depth=1
	v_mad_co_u64_u32 v[11:12], null, s36, v41, 0
	s_mul_u64 s[48:49], s[38:39], s[10:11]
	v_dual_mov_b32 v44, 0 :: v_dual_mov_b32 v43, 0
	s_wait_alu 0xfffe
	s_lshl_b64 s[48:49], s[48:49], 1
	v_mov_b32_e32 v42, 0
	s_wait_alu 0xfffe
	s_add_nc_u64 s[48:49], s[26:27], s[48:49]
	v_mad_co_u64_u32 v[12:13], null, s37, v41, v[12:13]
	s_mov_b32 s57, exec_lo
	v_lshlrev_b64_e32 v[11:12], 1, v[11:12]
	s_wait_alu 0xfffe
	s_delay_alu instid0(VALU_DEP_1) | instskip(SKIP_1) | instid1(VALU_DEP_2)
	v_add_co_u32 v11, s7, s48, v11
	s_wait_alu 0xf1ff
	v_add_co_ci_u32_e64 v12, null, s49, v12, s7
	global_load_u16 v11, v[11:12], off
	v_cmpx_gt_i32_e64 s9, v10
	s_cbranch_execz .LBB635_35
; %bb.30:                               ;   in Loop: Header=BB635_5 Depth=1
	v_mad_co_u64_u32 v[12:13], null, s36, v10, 0
	v_dual_mov_b32 v42, 0 :: v_dual_mov_b32 v43, 0
	s_mov_b32 s58, exec_lo
	s_delay_alu instid0(VALU_DEP_2) | instskip(NEXT) | instid1(VALU_DEP_1)
	v_mad_co_u64_u32 v[13:14], null, s37, v10, v[13:14]
	v_lshlrev_b64_e32 v[12:13], 1, v[12:13]
	s_delay_alu instid0(VALU_DEP_1) | instskip(SKIP_1) | instid1(VALU_DEP_2)
	v_add_co_u32 v12, s7, s48, v12
	s_wait_alu 0xf1ff
	v_add_co_ci_u32_e64 v13, null, s49, v13, s7
	global_load_u16 v12, v[12:13], off
	v_or_b32_e32 v13, 2, v41
	s_delay_alu instid0(VALU_DEP_1)
	v_cmpx_gt_i32_e64 s9, v13
	s_cbranch_execz .LBB635_34
; %bb.31:                               ;   in Loop: Header=BB635_5 Depth=1
	v_mad_co_u64_u32 v[14:15], null, s36, v13, 0
	v_mov_b32_e32 v42, 0
	s_mov_b32 s59, exec_lo
	s_delay_alu instid0(VALU_DEP_2) | instskip(NEXT) | instid1(VALU_DEP_1)
	v_mad_co_u64_u32 v[15:16], null, s37, v13, v[15:16]
	v_lshlrev_b64_e32 v[13:14], 1, v[14:15]
	s_delay_alu instid0(VALU_DEP_1) | instskip(SKIP_1) | instid1(VALU_DEP_2)
	v_add_co_u32 v13, s7, s48, v13
	s_wait_alu 0xf1ff
	v_add_co_ci_u32_e64 v14, null, s49, v14, s7
	global_load_u16 v13, v[13:14], off
	v_or_b32_e32 v14, 3, v41
	s_delay_alu instid0(VALU_DEP_1)
	v_cmpx_gt_i32_e64 s9, v14
	s_cbranch_execz .LBB635_33
; %bb.32:                               ;   in Loop: Header=BB635_5 Depth=1
	v_mad_co_u64_u32 v[15:16], null, s36, v14, 0
	s_delay_alu instid0(VALU_DEP_1) | instskip(NEXT) | instid1(VALU_DEP_1)
	v_mad_co_u64_u32 v[16:17], null, s37, v14, v[16:17]
	v_lshlrev_b64_e32 v[14:15], 1, v[15:16]
	s_delay_alu instid0(VALU_DEP_1) | instskip(SKIP_1) | instid1(VALU_DEP_2)
	v_add_co_u32 v14, s7, s48, v14
	s_wait_alu 0xf1ff
	v_add_co_ci_u32_e64 v15, null, s49, v15, s7
	global_load_u16 v14, v[14:15], off
	s_wait_loadcnt 0x0
	v_lshlrev_b32_e32 v42, 16, v14
.LBB635_33:                             ;   in Loop: Header=BB635_5 Depth=1
	s_wait_alu 0xfffe
	s_or_b32 exec_lo, exec_lo, s59
	s_wait_loadcnt 0x0
	v_lshlrev_b32_e32 v43, 16, v13
.LBB635_34:                             ;   in Loop: Header=BB635_5 Depth=1
	s_wait_alu 0xfffe
	s_or_b32 exec_lo, exec_lo, s58
	s_wait_loadcnt 0x0
	v_lshlrev_b32_e32 v44, 16, v12
.LBB635_35:                             ;   in Loop: Header=BB635_5 Depth=1
	s_or_b32 exec_lo, exec_lo, s57
	s_wait_loadcnt 0x0
	v_lshlrev_b32_e32 v45, 16, v11
.LBB635_36:                             ;   in Loop: Header=BB635_5 Depth=1
	s_wait_alu 0xfffe
	s_or_b32 exec_lo, exec_lo, s8
	s_and_saveexec_b32 s48, s0
	s_cbranch_execz .LBB635_44
; %bb.37:                               ;   in Loop: Header=BB635_5 Depth=1
	v_mad_co_u64_u32 v[11:12], null, s20, v41, 0
	v_mad_co_u64_u32 v[13:14], null, s20, v10, 0
	v_or_b32_e32 v50, 2, v41
	v_or_b32_e32 v51, 3, v41
	s_mul_u64 s[58:59], s[22:23], s[10:11]
	s_wait_alu 0xfffe
	s_lshl_b64 s[58:59], s[58:59], 1
	v_cmp_gt_i32_e64 s7, s9, v50
	s_delay_alu instid0(VALU_DEP_4) | instskip(SKIP_4) | instid1(VALU_DEP_2)
	v_mad_co_u64_u32 v[15:16], null, s21, v41, v[12:13]
	v_mad_co_u64_u32 v[16:17], null, s20, v50, 0
	;; [unrolled: 1-line block ×3, first 2 shown]
	s_wait_alu 0xfffe
	s_add_nc_u64 s[58:59], s[16:17], s[58:59]
	v_dual_cndmask_b32 v12, 0, v15 :: v_dual_mov_b32 v15, v17
	s_delay_alu instid0(VALU_DEP_2) | instskip(NEXT) | instid1(VALU_DEP_2)
	v_mov_b32_e32 v17, v47
	v_mad_co_u64_u32 v[48:49], null, s21, v10, v[14:15]
	v_cndmask_b32_e32 v11, 0, v11, vcc_lo
	v_cmp_gt_i32_e32 vcc_lo, s9, v10
	s_wait_alu 0xfffd
	s_delay_alu instid0(VALU_DEP_3) | instskip(NEXT) | instid1(VALU_DEP_3)
	v_dual_cndmask_b32 v13, 0, v13 :: v_dual_cndmask_b32 v14, 0, v48
	v_lshlrev_b64_e32 v[11:12], 1, v[11:12]
	s_wait_alu 0xfffe
	s_delay_alu instid0(VALU_DEP_1) | instskip(SKIP_1) | instid1(VALU_DEP_2)
	v_add_co_u32 v10, s8, s58, v11
	s_wait_alu 0xf1ff
	v_add_co_ci_u32_e64 v11, null, s59, v12, s8
	v_lshlrev_b64_e32 v[12:13], 1, v[13:14]
	s_delay_alu instid0(VALU_DEP_3) | instskip(SKIP_1) | instid1(VALU_DEP_3)
	v_add_co_u32 v10, vcc_lo, v10, v6
	s_wait_alu 0xfffd
	v_add_co_ci_u32_e64 v11, null, v11, v7, vcc_lo
	v_cmp_gt_i32_e32 vcc_lo, s9, v51
	v_cndmask_b32_e64 v14, 0, v16, s7
	s_wait_alu 0xfffd
	v_cndmask_b32_e32 v46, 0, v46, vcc_lo
	v_mad_co_u64_u32 v[49:50], null, s21, v50, v[15:16]
	v_mad_co_u64_u32 v[16:17], null, s21, v51, v[17:18]
	s_delay_alu instid0(VALU_DEP_2) | instskip(SKIP_1) | instid1(VALU_DEP_3)
	v_cndmask_b32_e64 v15, 0, v49, s7
	v_add_co_u32 v12, s7, s58, v12
	v_cndmask_b32_e32 v47, 0, v16, vcc_lo
	s_wait_alu 0xf1ff
	v_add_co_ci_u32_e64 v13, null, s59, v13, s7
	v_lshlrev_b64_e32 v[14:15], 1, v[14:15]
	v_add_co_u32 v12, vcc_lo, v12, v6
	v_lshlrev_b64_e32 v[16:17], 1, v[46:47]
	s_wait_alu 0xfffd
	v_add_co_ci_u32_e64 v13, null, v13, v7, vcc_lo
	s_delay_alu instid0(VALU_DEP_4)
	v_add_co_u32 v14, vcc_lo, s58, v14
	s_wait_alu 0xfffd
	v_add_co_ci_u32_e64 v15, null, s59, v15, vcc_lo
	v_add_co_u32 v16, vcc_lo, s58, v16
	s_wait_alu 0xfffd
	v_add_co_ci_u32_e64 v17, null, s59, v17, vcc_lo
	;; [unrolled: 3-line block ×4, first 2 shown]
	s_clause 0x3
	global_load_u16 v48, v[10:11], off
	global_load_u16 v47, v[12:13], off
	;; [unrolled: 1-line block ×4, first 2 shown]
	s_and_saveexec_b32 s7, s1
	s_cbranch_execz .LBB635_43
; %bb.38:                               ;   in Loop: Header=BB635_5 Depth=1
	s_clause 0x3
	global_load_u16 v52, v[10:11], off offset:64
	global_load_u16 v51, v[12:13], off offset:64
	global_load_u16 v50, v[14:15], off offset:64
	global_load_u16 v49, v[16:17], off offset:64
	s_and_saveexec_b32 s8, s2
	s_cbranch_execz .LBB635_42
; %bb.39:                               ;   in Loop: Header=BB635_5 Depth=1
	s_clause 0x3
	global_load_u16 v56, v[10:11], off offset:128
	global_load_u16 v55, v[12:13], off offset:128
	global_load_u16 v54, v[14:15], off offset:128
	global_load_u16 v53, v[16:17], off offset:128
	;; [unrolled: 8-line block ×3, first 2 shown]
	s_wait_loadcnt 0x3
	v_lshlrev_b32_e32 v10, 16, v10
	s_wait_loadcnt 0x2
	s_delay_alu instid0(VALU_DEP_1) | instskip(SKIP_3) | instid1(VALU_DEP_2)
	v_dual_fmac_f32 v40, v45, v10 :: v_dual_lshlrev_b32 v11, 16, v11
	s_wait_loadcnt 0x1
	v_lshlrev_b32_e32 v10, 16, v12
	s_wait_loadcnt 0x0
	v_dual_fmac_f32 v40, v44, v11 :: v_dual_lshlrev_b32 v11, 16, v13
	s_delay_alu instid0(VALU_DEP_1) | instskip(NEXT) | instid1(VALU_DEP_1)
	v_fmac_f32_e32 v40, v43, v10
	v_fmac_f32_e32 v40, v42, v11
.LBB635_41:                             ;   in Loop: Header=BB635_5 Depth=1
	s_wait_alu 0xfffe
	s_or_b32 exec_lo, exec_lo, s49
	s_wait_loadcnt 0x2
	v_lshlrev_b32_e32 v11, 16, v55
	v_lshlrev_b32_e32 v10, 16, v56
	s_delay_alu instid0(VALU_DEP_1) | instskip(SKIP_1) | instid1(VALU_DEP_1)
	v_fmac_f32_e32 v39, v45, v10
	s_wait_loadcnt 0x1
	v_dual_fmac_f32 v39, v44, v11 :: v_dual_lshlrev_b32 v10, 16, v54
	s_wait_loadcnt 0x0
	s_delay_alu instid0(VALU_DEP_1) | instskip(NEXT) | instid1(VALU_DEP_1)
	v_dual_fmac_f32 v39, v43, v10 :: v_dual_lshlrev_b32 v10, 16, v53
	v_fmac_f32_e32 v39, v42, v10
.LBB635_42:                             ;   in Loop: Header=BB635_5 Depth=1
	s_wait_alu 0xfffe
	s_or_b32 exec_lo, exec_lo, s8
	s_wait_loadcnt 0x3
	v_lshlrev_b32_e32 v10, 16, v52
	s_wait_loadcnt 0x2
	s_delay_alu instid0(VALU_DEP_1) | instskip(SKIP_2) | instid1(VALU_DEP_2)
	v_dual_fmac_f32 v38, v45, v10 :: v_dual_lshlrev_b32 v11, 16, v51
	s_wait_loadcnt 0x1
	v_lshlrev_b32_e32 v10, 16, v50
	v_fmac_f32_e32 v38, v44, v11
	s_delay_alu instid0(VALU_DEP_1) | instskip(SKIP_2) | instid1(VALU_DEP_1)
	v_fmac_f32_e32 v38, v43, v10
	s_wait_loadcnt 0x0
	v_lshlrev_b32_e32 v10, 16, v49
	v_fmac_f32_e32 v38, v42, v10
.LBB635_43:                             ;   in Loop: Header=BB635_5 Depth=1
	s_wait_alu 0xfffe
	s_or_b32 exec_lo, exec_lo, s7
	s_wait_loadcnt 0x2
	v_lshlrev_b32_e32 v11, 16, v47
	v_lshlrev_b32_e32 v10, 16, v48
	s_delay_alu instid0(VALU_DEP_1) | instskip(SKIP_1) | instid1(VALU_DEP_1)
	v_fmac_f32_e32 v37, v45, v10
	s_wait_loadcnt 0x1
	v_dual_fmac_f32 v37, v44, v11 :: v_dual_lshlrev_b32 v10, 16, v46
	s_wait_loadcnt 0x0
	s_delay_alu instid0(VALU_DEP_1) | instskip(NEXT) | instid1(VALU_DEP_1)
	v_dual_fmac_f32 v37, v43, v10 :: v_dual_lshlrev_b32 v10, 16, v41
	v_fmac_f32_e32 v37, v42, v10
.LBB635_44:                             ;   in Loop: Header=BB635_5 Depth=1
	s_wait_alu 0xfffe
	s_or_b32 exec_lo, exec_lo, s48
.LBB635_45:                             ;   in Loop: Header=BB635_5 Depth=1
	ds_store_2addr_b32 v0, v37, v38 offset1:32
	ds_store_2addr_b32 v0, v39, v40 offset0:64 offset1:96
	s_wait_dscnt 0x0
	s_barrier_signal -1
	s_barrier_wait -1
	global_inv scope:SCOPE_SE
                                        ; implicit-def: $vgpr12
	s_and_saveexec_b32 s7, s5
	s_cbranch_execz .LBB635_51
; %bb.46:                               ;   in Loop: Header=BB635_5 Depth=1
	ds_load_2addr_stride64_b32 v[10:11], v19 offset1:2
	ds_load_2addr_stride64_b32 v[12:13], v19 offset0:4 offset1:6
	ds_load_2addr_stride64_b32 v[14:15], v19 offset0:8 offset1:10
	s_mov_b32 s48, s56
	s_wait_dscnt 0x2
	v_add_f32_e32 v16, v10, v11
	ds_load_2addr_stride64_b32 v[10:11], v19 offset0:12 offset1:14
	s_wait_dscnt 0x2
	v_add_f32_e32 v12, v12, v16
	s_delay_alu instid0(VALU_DEP_1) | instskip(SKIP_3) | instid1(VALU_DEP_1)
	v_add_f32_e32 v16, v13, v12
	ds_load_2addr_stride64_b32 v[12:13], v19 offset0:16 offset1:18
	s_wait_dscnt 0x2
	v_add_f32_e32 v14, v14, v16
	v_add_f32_e32 v16, v15, v14
	ds_load_2addr_stride64_b32 v[14:15], v19 offset0:20 offset1:22
	s_wait_dscnt 0x2
	v_add_f32_e32 v10, v10, v16
	s_delay_alu instid0(VALU_DEP_1) | instskip(SKIP_1) | instid1(VALU_DEP_1)
	v_add_f32_e32 v10, v11, v10
	s_wait_dscnt 0x1
	v_add_f32_e32 v12, v12, v10
	ds_load_2addr_stride64_b32 v[10:11], v19 offset0:24 offset1:26
	v_add_f32_e32 v12, v13, v12
	s_wait_dscnt 0x1
	s_delay_alu instid0(VALU_DEP_1) | instskip(SKIP_3) | instid1(VALU_DEP_1)
	v_add_f32_e32 v14, v14, v12
	ds_load_2addr_stride64_b32 v[12:13], v19 offset0:28 offset1:30
	v_add_f32_e32 v14, v15, v14
	s_wait_dscnt 0x1
	v_add_f32_e32 v10, v10, v14
	s_delay_alu instid0(VALU_DEP_1) | instskip(SKIP_1) | instid1(VALU_DEP_1)
	v_add_f32_e32 v10, v11, v10
	s_wait_dscnt 0x0
	v_add_f32_e32 v10, v12, v10
                                        ; implicit-def: $vgpr12
	s_delay_alu instid0(VALU_DEP_1)
	v_add_f32_e32 v10, v13, v10
	ds_store_b32 v19, v10
	s_and_saveexec_b32 s8, s6
	s_cbranch_execz .LBB635_50
; %bb.47:                               ;   in Loop: Header=BB635_5 Depth=1
	v_mul_f32_e32 v12, v36, v10
	s_cmp_eq_f32 s55, 0
	s_cbranch_scc1 .LBB635_49
; %bb.48:                               ;   in Loop: Header=BB635_5 Depth=1
	v_lshlrev_b64_e32 v[10:11], 2, v[4:5]
	s_delay_alu instid0(VALU_DEP_1) | instskip(SKIP_1) | instid1(VALU_DEP_2)
	v_add_co_u32 v10, vcc_lo, s46, v10
	s_wait_alu 0xfffd
	v_add_co_ci_u32_e64 v11, null, s47, v11, vcc_lo
	global_load_b32 v10, v[10:11], off
	s_wait_loadcnt 0x0
	v_fmac_f32_e32 v12, s55, v10
.LBB635_49:                             ;   in Loop: Header=BB635_5 Depth=1
	s_or_b32 s48, s56, exec_lo
.LBB635_50:                             ;   in Loop: Header=BB635_5 Depth=1
	s_wait_alu 0xfffe
	s_or_b32 exec_lo, exec_lo, s8
	s_delay_alu instid0(SALU_CYCLE_1)
	s_and_not1_b32 s8, s56, exec_lo
	s_and_b32 s48, s48, exec_lo
	s_wait_alu 0xfffe
	s_or_b32 s56, s8, s48
.LBB635_51:                             ;   in Loop: Header=BB635_5 Depth=1
	s_wait_alu 0xfffe
	s_or_b32 exec_lo, exec_lo, s7
	v_dual_mov_b32 v11, v5 :: v_dual_mov_b32 v10, v4
	s_and_saveexec_b32 s7, s56
	s_cbranch_execz .LBB635_3
.LBB635_52:                             ;   in Loop: Header=BB635_5 Depth=1
	s_delay_alu instid0(VALU_DEP_1) | instskip(SKIP_1) | instid1(VALU_DEP_1)
	v_lshlrev_b64_e32 v[10:11], 2, v[10:11]
	s_wait_alu 0xfffe
	v_add_co_u32 v10, vcc_lo, s46, v10
	s_wait_alu 0xfffd
	s_delay_alu instid0(VALU_DEP_2)
	v_add_co_ci_u32_e64 v11, null, s47, v11, vcc_lo
	global_store_b32 v[10:11], v12, off
	s_branch .LBB635_3
.LBB635_53:
	s_endpgm
	.section	.rodata,"a",@progbits
	.p2align	6, 0x0
	.amdhsa_kernel _ZL20rocblas_gemvn_kernelILi32ELi16El16rocblas_bfloat16PKffEviiT3_lPKT2_lT1_lS6_lS7_lS3_lPT4_lS7_li
		.amdhsa_group_segment_fixed_size 8192
		.amdhsa_private_segment_fixed_size 0
		.amdhsa_kernarg_size 400
		.amdhsa_user_sgpr_count 2
		.amdhsa_user_sgpr_dispatch_ptr 0
		.amdhsa_user_sgpr_queue_ptr 0
		.amdhsa_user_sgpr_kernarg_segment_ptr 1
		.amdhsa_user_sgpr_dispatch_id 0
		.amdhsa_user_sgpr_private_segment_size 0
		.amdhsa_wavefront_size32 1
		.amdhsa_uses_dynamic_stack 0
		.amdhsa_enable_private_segment 0
		.amdhsa_system_sgpr_workgroup_id_x 1
		.amdhsa_system_sgpr_workgroup_id_y 0
		.amdhsa_system_sgpr_workgroup_id_z 1
		.amdhsa_system_sgpr_workgroup_info 0
		.amdhsa_system_vgpr_workitem_id 1
		.amdhsa_next_free_vgpr 74
		.amdhsa_next_free_sgpr 60
		.amdhsa_reserve_vcc 1
		.amdhsa_float_round_mode_32 0
		.amdhsa_float_round_mode_16_64 0
		.amdhsa_float_denorm_mode_32 3
		.amdhsa_float_denorm_mode_16_64 3
		.amdhsa_fp16_overflow 0
		.amdhsa_workgroup_processor_mode 1
		.amdhsa_memory_ordered 1
		.amdhsa_forward_progress 1
		.amdhsa_inst_pref_size 32
		.amdhsa_round_robin_scheduling 0
		.amdhsa_exception_fp_ieee_invalid_op 0
		.amdhsa_exception_fp_denorm_src 0
		.amdhsa_exception_fp_ieee_div_zero 0
		.amdhsa_exception_fp_ieee_overflow 0
		.amdhsa_exception_fp_ieee_underflow 0
		.amdhsa_exception_fp_ieee_inexact 0
		.amdhsa_exception_int_div_zero 0
	.end_amdhsa_kernel
	.section	.text._ZL20rocblas_gemvn_kernelILi32ELi16El16rocblas_bfloat16PKffEviiT3_lPKT2_lT1_lS6_lS7_lS3_lPT4_lS7_li,"axG",@progbits,_ZL20rocblas_gemvn_kernelILi32ELi16El16rocblas_bfloat16PKffEviiT3_lPKT2_lT1_lS6_lS7_lS3_lPT4_lS7_li,comdat
.Lfunc_end635:
	.size	_ZL20rocblas_gemvn_kernelILi32ELi16El16rocblas_bfloat16PKffEviiT3_lPKT2_lT1_lS6_lS7_lS3_lPT4_lS7_li, .Lfunc_end635-_ZL20rocblas_gemvn_kernelILi32ELi16El16rocblas_bfloat16PKffEviiT3_lPKT2_lT1_lS6_lS7_lS3_lPT4_lS7_li
                                        ; -- End function
	.set _ZL20rocblas_gemvn_kernelILi32ELi16El16rocblas_bfloat16PKffEviiT3_lPKT2_lT1_lS6_lS7_lS3_lPT4_lS7_li.num_vgpr, 74
	.set _ZL20rocblas_gemvn_kernelILi32ELi16El16rocblas_bfloat16PKffEviiT3_lPKT2_lT1_lS6_lS7_lS3_lPT4_lS7_li.num_agpr, 0
	.set _ZL20rocblas_gemvn_kernelILi32ELi16El16rocblas_bfloat16PKffEviiT3_lPKT2_lT1_lS6_lS7_lS3_lPT4_lS7_li.numbered_sgpr, 60
	.set _ZL20rocblas_gemvn_kernelILi32ELi16El16rocblas_bfloat16PKffEviiT3_lPKT2_lT1_lS6_lS7_lS3_lPT4_lS7_li.num_named_barrier, 0
	.set _ZL20rocblas_gemvn_kernelILi32ELi16El16rocblas_bfloat16PKffEviiT3_lPKT2_lT1_lS6_lS7_lS3_lPT4_lS7_li.private_seg_size, 0
	.set _ZL20rocblas_gemvn_kernelILi32ELi16El16rocblas_bfloat16PKffEviiT3_lPKT2_lT1_lS6_lS7_lS3_lPT4_lS7_li.uses_vcc, 1
	.set _ZL20rocblas_gemvn_kernelILi32ELi16El16rocblas_bfloat16PKffEviiT3_lPKT2_lT1_lS6_lS7_lS3_lPT4_lS7_li.uses_flat_scratch, 0
	.set _ZL20rocblas_gemvn_kernelILi32ELi16El16rocblas_bfloat16PKffEviiT3_lPKT2_lT1_lS6_lS7_lS3_lPT4_lS7_li.has_dyn_sized_stack, 0
	.set _ZL20rocblas_gemvn_kernelILi32ELi16El16rocblas_bfloat16PKffEviiT3_lPKT2_lT1_lS6_lS7_lS3_lPT4_lS7_li.has_recursion, 0
	.set _ZL20rocblas_gemvn_kernelILi32ELi16El16rocblas_bfloat16PKffEviiT3_lPKT2_lT1_lS6_lS7_lS3_lPT4_lS7_li.has_indirect_call, 0
	.section	.AMDGPU.csdata,"",@progbits
; Kernel info:
; codeLenInByte = 4012
; TotalNumSgprs: 62
; NumVgprs: 74
; ScratchSize: 0
; MemoryBound: 0
; FloatMode: 240
; IeeeMode: 1
; LDSByteSize: 8192 bytes/workgroup (compile time only)
; SGPRBlocks: 0
; VGPRBlocks: 9
; NumSGPRsForWavesPerEU: 62
; NumVGPRsForWavesPerEU: 74
; Occupancy: 16
; WaveLimiterHint : 1
; COMPUTE_PGM_RSRC2:SCRATCH_EN: 0
; COMPUTE_PGM_RSRC2:USER_SGPR: 2
; COMPUTE_PGM_RSRC2:TRAP_HANDLER: 0
; COMPUTE_PGM_RSRC2:TGID_X_EN: 1
; COMPUTE_PGM_RSRC2:TGID_Y_EN: 0
; COMPUTE_PGM_RSRC2:TGID_Z_EN: 1
; COMPUTE_PGM_RSRC2:TIDIG_COMP_CNT: 1
	.section	.text._ZL20rocblas_gemvn_kernelILi32ELi16Ei16rocblas_bfloat16ffEviiT3_lPKT2_lT1_lS4_lS5_lS1_lPT4_lS5_li,"axG",@progbits,_ZL20rocblas_gemvn_kernelILi32ELi16Ei16rocblas_bfloat16ffEviiT3_lPKT2_lT1_lS4_lS5_lS1_lPT4_lS5_li,comdat
	.globl	_ZL20rocblas_gemvn_kernelILi32ELi16Ei16rocblas_bfloat16ffEviiT3_lPKT2_lT1_lS4_lS5_lS1_lPT4_lS5_li ; -- Begin function _ZL20rocblas_gemvn_kernelILi32ELi16Ei16rocblas_bfloat16ffEviiT3_lPKT2_lT1_lS4_lS5_lS1_lPT4_lS5_li
	.p2align	8
	.type	_ZL20rocblas_gemvn_kernelILi32ELi16Ei16rocblas_bfloat16ffEviiT3_lPKT2_lT1_lS4_lS5_lS1_lPT4_lS5_li,@function
_ZL20rocblas_gemvn_kernelILi32ELi16Ei16rocblas_bfloat16ffEviiT3_lPKT2_lT1_lS4_lS5_lS1_lPT4_lS5_li: ; @_ZL20rocblas_gemvn_kernelILi32ELi16Ei16rocblas_bfloat16ffEviiT3_lPKT2_lT1_lS4_lS5_lS1_lPT4_lS5_li
; %bb.0:
	s_load_b64 s[2:3], s[0:1], 0x9c
	s_wait_kmcnt 0x0
	s_lshr_b32 s4, s2, 16
	s_and_b32 s2, s2, 0xffff
	s_and_b32 s3, s3, 0xffff
	s_mul_i32 s2, s4, s2
	s_delay_alu instid0(SALU_CYCLE_1) | instskip(NEXT) | instid1(SALU_CYCLE_1)
	s_mul_i32 s2, s2, s3
	s_cmp_lg_u32 s2, 0x200
	s_cbranch_scc1 .LBB636_53
; %bb.1:
	s_load_b32 s19, s[0:1], 0x88
	s_lshr_b32 s28, ttmp7, 16
	s_wait_kmcnt 0x0
	s_cmp_ge_u32 s28, s19
	s_cbranch_scc1 .LBB636_53
; %bb.2:
	s_clause 0x8
	s_load_b128 s[4:7], s[0:1], 0x18
	s_load_b96 s[16:18], s[0:1], 0x40
	s_load_b128 s[12:15], s[0:1], 0x68
	s_load_b32 s34, s[0:1], 0x78
	s_load_b96 s[20:22], s[0:1], 0x0
	s_load_b32 s23, s[0:1], 0x28
	s_load_b128 s[8:11], s[0:1], 0x30
	s_load_b96 s[24:26], s[0:1], 0x50
	s_load_b64 s[30:31], s[0:1], 0x80
	v_dual_mov_b32 v4, 0 :: v_dual_and_b32 v7, 0x3ff, v0
	v_bfe_u32 v6, v0, 10, 10
	s_mov_b32 s29, 0
	s_delay_alu instid0(VALU_DEP_2) | instskip(NEXT) | instid1(VALU_DEP_2)
	v_lshlrev_b32_e32 v5, 2, v7
	v_lshl_add_u32 v8, v6, 5, v7
	v_lshlrev_b32_e32 v19, 2, v6
	s_delay_alu instid0(VALU_DEP_3)
	v_lshl_add_u32 v20, v6, 9, v5
	s_wait_kmcnt 0x0
	s_lshl_b64 s[0:1], s[6:7], 1
	s_lshl_b64 s[2:3], s[16:17], 1
	;; [unrolled: 1-line block ×3, first 2 shown]
	s_ashr_i32 s35, s34, 31
	s_cmp_eq_f32 s22, 0
	s_add_nc_u64 s[14:15], s[4:5], s[0:1]
	v_mul_lo_u32 v9, s23, v19
	s_mov_b32 s16, s20
	s_cselect_b32 s27, -1, 0
	s_cmp_neq_f32 s22, 0
	s_add_nc_u64 s[12:13], s[12:13], s[6:7]
	v_lshl_add_u32 v22, v6, 7, v5
	s_add_nc_u64 s[10:11], s[10:11], s[2:3]
	s_cselect_b32 s36, -1, 0
	s_cmp_neq_f32 s26, 1.0
	v_add3_u32 v23, v9, s23, v7
	v_or_b32_e32 v9, 3, v19
	s_cselect_b32 s0, -1, 0
	s_lshl_b32 s33, ttmp9, 7
	s_ashr_i32 s17, s20, 31
	v_add_nc_u32_e32 v3, s33, v8
	v_or_b32_e32 v10, s33, v8
	s_or_b32 s38, s36, s0
	s_cmp_neq_f32 s26, 0
	v_add_nc_u32_e32 v21, s33, v7
	v_mad_co_u64_u32 v[0:1], null, s34, v3, 0
	v_mul_lo_u32 v2, s34, v10
	s_cselect_b32 s39, -1, 0
	s_ashr_i32 s1, s21, 31
	v_cmp_gt_i64_e32 vcc_lo, s[16:17], v[3:4]
	s_lshr_b32 s1, s1, 26
	v_add_nc_u32_e32 v11, 32, v21
	s_add_co_i32 s40, s21, s1
	v_cmp_gt_i32_e64 s6, s20, v10
	v_mad_co_u64_u32 v[3:4], null, s35, v3, v[1:2]
	s_and_not1_b32 s40, s40, 63
	v_mul_lo_u32 v10, v6, s23
	s_sub_co_i32 s5, s21, s40
	v_cmp_gt_i32_e64 s1, s20, v11
	s_cmp_gt_i32 s5, 0
	v_cmp_gt_u32_e64 s5, 0x80, v8
	v_or_b32_e32 v8, 2, v19
	v_mul_lo_u32 v11, v6, s18
	v_dual_mov_b32 v1, v3 :: v_dual_add_nc_u32 v12, 64, v21
	v_ashrrev_i32_e32 v3, 31, v2
	v_add_nc_u32_e32 v13, 0x60, v21
	v_mad_co_u64_u32 v[4:5], null, s23, v8, v[7:8]
	s_mov_b32 s16, s18
	v_mad_co_u64_u32 v[5:6], null, s23, v9, v[7:8]
	v_lshl_add_u32 v24, v10, 2, v7
	s_wait_alu 0xfffe
	v_mad_co_u64_u32 v[6:7], null, s18, v19, s[16:17]
	v_mul_lo_u32 v25, s18, v8
	v_mul_lo_u32 v26, s18, v9
	v_lshlrev_b64_e32 v[7:8], 2, v[0:1]
	v_lshlrev_b64_e32 v[9:10], 2, v[2:3]
	v_cmp_gt_i32_e64 s0, s20, v21
	v_cmp_gt_i32_e64 s2, s20, v12
	;; [unrolled: 1-line block ×4, first 2 shown]
	v_lshlrev_b32_e32 v27, 2, v11
	s_cselect_b32 s20, -1, 0
	s_and_b32 s41, s5, vcc_lo
	s_lshl_b32 s42, s23, 6
	s_lshl_b32 s43, s18, 6
	s_branch .LBB636_5
.LBB636_3:                              ;   in Loop: Header=BB636_5 Depth=1
	s_wait_alu 0xfffe
	s_or_b32 exec_lo, exec_lo, s7
.LBB636_4:                              ;   in Loop: Header=BB636_5 Depth=1
	s_add_co_i32 s28, s28, 0x10000
	s_delay_alu instid0(SALU_CYCLE_1)
	s_cmp_lt_u32 s28, s19
	s_cbranch_scc0 .LBB636_53
.LBB636_5:                              ; =>This Loop Header: Depth=1
                                        ;     Child Loop BB636_21 Depth 2
	s_and_not1_b32 vcc_lo, exec_lo, s38
	s_wait_alu 0xfffe
	s_cbranch_vccnz .LBB636_4
; %bb.6:                                ;   in Loop: Header=BB636_5 Depth=1
	s_mul_u64 s[16:17], s[30:31], s[28:29]
	s_and_not1_b32 vcc_lo, exec_lo, s27
	s_wait_alu 0xfffe
	s_lshl_b64 s[16:17], s[16:17], 2
	s_wait_alu 0xfffe
	s_add_nc_u64 s[16:17], s[12:13], s[16:17]
	s_cbranch_vccnz .LBB636_10
; %bb.7:                                ;   in Loop: Header=BB636_5 Depth=1
	s_mov_b32 s7, 0
	s_mov_b32 s44, 0
                                        ; implicit-def: $vgpr13
	s_and_saveexec_b32 s34, s41
	s_cbranch_execz .LBB636_11
; %bb.8:                                ;   in Loop: Header=BB636_5 Depth=1
	s_and_not1_b32 vcc_lo, exec_lo, s39
	s_wait_alu 0xfffe
	s_cbranch_vccnz .LBB636_13
; %bb.9:                                ;   in Loop: Header=BB636_5 Depth=1
	v_add_co_u32 v11, vcc_lo, s16, v7
	s_wait_alu 0xfffd
	v_add_co_ci_u32_e64 v12, null, s17, v8, vcc_lo
	global_load_b32 v11, v[11:12], off
	s_wait_loadcnt 0x0
	v_mul_f32_e32 v13, s26, v11
	s_branch .LBB636_14
.LBB636_10:                             ;   in Loop: Header=BB636_5 Depth=1
	s_mov_b32 s44, 0
                                        ; implicit-def: $vgpr13
	s_cbranch_execz .LBB636_12
	s_branch .LBB636_15
.LBB636_11:                             ;   in Loop: Header=BB636_5 Depth=1
	s_wait_alu 0xfffe
	s_or_b32 exec_lo, exec_lo, s34
	s_delay_alu instid0(SALU_CYCLE_1)
	s_and_b32 vcc_lo, exec_lo, s7
	s_wait_alu 0xfffe
	s_cbranch_vccnz .LBB636_15
.LBB636_12:                             ;   in Loop: Header=BB636_5 Depth=1
	v_dual_mov_b32 v12, v1 :: v_dual_mov_b32 v11, v0
	s_and_saveexec_b32 s7, s44
	s_cbranch_execz .LBB636_3
	s_branch .LBB636_52
.LBB636_13:                             ;   in Loop: Header=BB636_5 Depth=1
	v_mov_b32_e32 v13, 0
.LBB636_14:                             ;   in Loop: Header=BB636_5 Depth=1
	s_mov_b32 s44, exec_lo
	s_wait_alu 0xfffe
	s_or_b32 exec_lo, exec_lo, s34
	s_delay_alu instid0(SALU_CYCLE_1)
	s_and_b32 vcc_lo, exec_lo, s7
	s_wait_alu 0xfffe
	s_cbranch_vccz .LBB636_12
.LBB636_15:                             ;   in Loop: Header=BB636_5 Depth=1
	s_mul_u64 s[34:35], s[8:9], s[28:29]
	s_mul_u64 s[36:37], s[24:25], s[28:29]
	v_dual_mov_b32 v28, 0 :: v_dual_mov_b32 v29, 0
	v_dual_mov_b32 v32, v19 :: v_dual_mov_b32 v31, 0
	v_mov_b32_e32 v30, 0
	s_wait_alu 0xfffe
	s_lshl_b64 s[34:35], s[34:35], 1
	s_lshl_b64 s[36:37], s[36:37], 1
	s_wait_alu 0xfffe
	s_add_nc_u64 s[34:35], s[14:15], s[34:35]
	s_add_nc_u64 s[36:37], s[10:11], s[36:37]
	s_and_saveexec_b32 s7, s4
	s_cbranch_execz .LBB636_27
; %bb.16:                               ;   in Loop: Header=BB636_5 Depth=1
	v_dual_mov_b32 v28, 0 :: v_dual_mov_b32 v33, v24
	v_dual_mov_b32 v34, v5 :: v_dual_mov_b32 v35, v4
	;; [unrolled: 1-line block ×4, first 2 shown]
	v_mov_b32_e32 v30, 0
	s_mov_b32 s45, 0
	s_mov_b32 s46, 0
	s_branch .LBB636_21
.LBB636_17:                             ;   in Loop: Header=BB636_21 Depth=2
	s_or_b32 exec_lo, exec_lo, s50
	s_wait_loadcnt 0x3
	v_lshlrev_b32_e32 v11, 16, v52
	s_wait_loadcnt 0x2
	v_lshlrev_b32_e32 v12, 16, v51
	s_wait_loadcnt 0x1
	s_delay_alu instid0(VALU_DEP_2) | instskip(NEXT) | instid1(VALU_DEP_1)
	v_dual_fmac_f32 v30, v44, v11 :: v_dual_lshlrev_b32 v11, 16, v50
	v_fmac_f32_e32 v30, v40, v12
	s_wait_loadcnt 0x0
	s_delay_alu instid0(VALU_DEP_1) | instskip(NEXT) | instid1(VALU_DEP_1)
	v_dual_fmac_f32 v30, v42, v11 :: v_dual_lshlrev_b32 v11, 16, v49
	v_fmac_f32_e32 v30, v38, v11
.LBB636_18:                             ;   in Loop: Header=BB636_21 Depth=2
	s_or_b32 exec_lo, exec_lo, s49
	s_wait_loadcnt 0x3
	v_lshlrev_b32_e32 v11, 16, v48
	s_wait_loadcnt 0x2
	v_lshlrev_b32_e32 v12, 16, v47
	s_delay_alu instid0(VALU_DEP_2) | instskip(SKIP_2) | instid1(VALU_DEP_2)
	v_fmac_f32_e32 v29, v44, v11
	s_wait_loadcnt 0x1
	v_lshlrev_b32_e32 v11, 16, v46
	v_fmac_f32_e32 v29, v40, v12
	s_delay_alu instid0(VALU_DEP_1) | instskip(SKIP_2) | instid1(VALU_DEP_1)
	v_fmac_f32_e32 v29, v42, v11
	s_wait_loadcnt 0x0
	v_lshlrev_b32_e32 v11, 16, v45
	v_fmac_f32_e32 v29, v38, v11
.LBB636_19:                             ;   in Loop: Header=BB636_21 Depth=2
	s_or_b32 exec_lo, exec_lo, s48
	s_wait_loadcnt 0x2
	v_lshlrev_b32_e32 v12, 16, v41
	v_lshlrev_b32_e32 v11, 16, v43
	s_delay_alu instid0(VALU_DEP_1) | instskip(SKIP_1) | instid1(VALU_DEP_1)
	v_fmac_f32_e32 v28, v44, v11
	s_wait_loadcnt 0x1
	v_dual_fmac_f32 v28, v40, v12 :: v_dual_lshlrev_b32 v11, 16, v39
	s_wait_loadcnt 0x0
	s_delay_alu instid0(VALU_DEP_1) | instskip(NEXT) | instid1(VALU_DEP_1)
	v_dual_fmac_f32 v28, v42, v11 :: v_dual_lshlrev_b32 v11, 16, v37
	v_fmac_f32_e32 v28, v38, v11
.LBB636_20:                             ;   in Loop: Header=BB636_21 Depth=2
	s_wait_alu 0xfffe
	s_or_b32 exec_lo, exec_lo, s47
	v_add_nc_u32_e32 v32, 64, v32
	v_add_nc_u32_e32 v36, s42, v36
	;; [unrolled: 1-line block ×5, first 2 shown]
	v_cmp_le_i32_e32 vcc_lo, s40, v32
	s_add_co_i32 s46, s46, s43
	s_or_b32 s45, vcc_lo, s45
	s_delay_alu instid0(SALU_CYCLE_1)
	s_and_not1_b32 exec_lo, exec_lo, s45
	s_cbranch_execz .LBB636_26
.LBB636_21:                             ;   Parent Loop BB636_5 Depth=1
                                        ; =>  This Inner Loop Header: Depth=2
	s_and_saveexec_b32 s47, s0
	s_cbranch_execz .LBB636_20
; %bb.22:                               ;   in Loop: Header=BB636_21 Depth=2
	s_wait_alu 0xfffe
	v_add_nc_u32_e32 v11, s46, v27
	v_add_nc_u32_e32 v13, s46, v6
	;; [unrolled: 1-line block ×5, first 2 shown]
	v_ashrrev_i32_e32 v12, 31, v11
	v_ashrrev_i32_e32 v14, 31, v13
	;; [unrolled: 1-line block ×5, first 2 shown]
	v_lshlrev_b64_e32 v[11:12], 1, v[11:12]
	v_lshlrev_b64_e32 v[13:14], 1, v[13:14]
	;; [unrolled: 1-line block ×4, first 2 shown]
	v_add_nc_u32_e32 v39, s33, v36
	v_add_nc_u32_e32 v41, s33, v35
	v_add_co_u32 v11, vcc_lo, s36, v11
	s_wait_alu 0xfffd
	v_add_co_ci_u32_e64 v12, null, s37, v12, vcc_lo
	v_add_co_u32 v13, vcc_lo, s36, v13
	s_wait_alu 0xfffd
	v_add_co_ci_u32_e64 v14, null, s37, v14, vcc_lo
	;; [unrolled: 3-line block ×4, first 2 shown]
	v_lshlrev_b64_e32 v[37:38], 1, v[37:38]
	s_clause 0x3
	global_load_u16 v44, v[11:12], off
	global_load_u16 v45, v[13:14], off
	;; [unrolled: 1-line block ×4, first 2 shown]
	v_add_nc_u32_e32 v15, s33, v34
	v_ashrrev_i32_e32 v40, 31, v39
	v_ashrrev_i32_e32 v42, 31, v41
	v_add_co_u32 v11, vcc_lo, s34, v37
	s_delay_alu instid0(VALU_DEP_4) | instskip(NEXT) | instid1(VALU_DEP_4)
	v_ashrrev_i32_e32 v16, 31, v15
	v_lshlrev_b64_e32 v[13:14], 1, v[39:40]
	s_wait_alu 0xfffd
	v_add_co_ci_u32_e64 v12, null, s35, v38, vcc_lo
	v_lshlrev_b64_e32 v[37:38], 1, v[41:42]
	v_lshlrev_b64_e32 v[15:16], 1, v[15:16]
	s_delay_alu instid0(VALU_DEP_4) | instskip(SKIP_2) | instid1(VALU_DEP_4)
	v_add_co_u32 v17, vcc_lo, s34, v13
	s_wait_alu 0xfffd
	v_add_co_ci_u32_e64 v18, null, s35, v14, vcc_lo
	v_add_co_u32 v13, vcc_lo, s34, v37
	s_wait_alu 0xfffd
	v_add_co_ci_u32_e64 v14, null, s35, v38, vcc_lo
	;; [unrolled: 3-line block ×3, first 2 shown]
	s_clause 0x3
	global_load_u16 v43, v[11:12], off
	global_load_u16 v41, v[17:18], off
	global_load_u16 v39, v[13:14], off
	global_load_u16 v37, v[15:16], off
	s_wait_loadcnt 0x7
	v_lshlrev_b32_e32 v44, 16, v44
	s_wait_loadcnt 0x6
	v_lshlrev_b32_e32 v40, 16, v45
	;; [unrolled: 2-line block ×4, first 2 shown]
	s_and_saveexec_b32 s48, s1
	s_cbranch_execz .LBB636_19
; %bb.23:                               ;   in Loop: Header=BB636_21 Depth=2
	s_clause 0x3
	global_load_u16 v48, v[11:12], off offset:64
	global_load_u16 v47, v[17:18], off offset:64
	global_load_u16 v46, v[13:14], off offset:64
	global_load_u16 v45, v[15:16], off offset:64
	s_and_saveexec_b32 s49, s2
	s_cbranch_execz .LBB636_18
; %bb.24:                               ;   in Loop: Header=BB636_21 Depth=2
	s_clause 0x3
	global_load_u16 v52, v[11:12], off offset:128
	global_load_u16 v51, v[17:18], off offset:128
	global_load_u16 v50, v[13:14], off offset:128
	global_load_u16 v49, v[15:16], off offset:128
	;; [unrolled: 8-line block ×3, first 2 shown]
	s_wait_loadcnt 0x3
	v_lshlrev_b32_e32 v11, 16, v11
	s_wait_loadcnt 0x2
	s_delay_alu instid0(VALU_DEP_1) | instskip(SKIP_3) | instid1(VALU_DEP_2)
	v_dual_fmac_f32 v31, v44, v11 :: v_dual_lshlrev_b32 v12, 16, v12
	s_wait_loadcnt 0x1
	v_lshlrev_b32_e32 v11, 16, v13
	s_wait_loadcnt 0x0
	v_dual_fmac_f32 v31, v40, v12 :: v_dual_lshlrev_b32 v12, 16, v14
	s_delay_alu instid0(VALU_DEP_1) | instskip(NEXT) | instid1(VALU_DEP_1)
	v_fmac_f32_e32 v31, v42, v11
	v_fmac_f32_e32 v31, v38, v12
	s_branch .LBB636_17
.LBB636_26:                             ;   in Loop: Header=BB636_5 Depth=1
	s_or_b32 exec_lo, exec_lo, s45
.LBB636_27:                             ;   in Loop: Header=BB636_5 Depth=1
	s_wait_alu 0xfffe
	s_or_b32 exec_lo, exec_lo, s7
	s_delay_alu instid0(SALU_CYCLE_1)
	s_and_not1_b32 vcc_lo, exec_lo, s20
	s_wait_alu 0xfffe
	s_cbranch_vccnz .LBB636_45
; %bb.28:                               ;   in Loop: Header=BB636_5 Depth=1
	v_cmp_gt_i32_e32 vcc_lo, s21, v32
	v_dual_mov_b32 v34, 0 :: v_dual_mov_b32 v33, 0
	v_or_b32_e32 v11, 1, v32
	v_dual_mov_b32 v36, 0 :: v_dual_mov_b32 v35, 0
	s_and_saveexec_b32 s45, vcc_lo
	s_cbranch_execz .LBB636_36
; %bb.29:                               ;   in Loop: Header=BB636_5 Depth=1
	v_mul_lo_u32 v12, v32, s18
	v_dual_mov_b32 v35, 0 :: v_dual_mov_b32 v34, 0
	v_mov_b32_e32 v33, 0
	s_mov_b32 s46, exec_lo
	s_delay_alu instid0(VALU_DEP_3) | instskip(NEXT) | instid1(VALU_DEP_1)
	v_ashrrev_i32_e32 v13, 31, v12
	v_lshlrev_b64_e32 v[12:13], 1, v[12:13]
	s_delay_alu instid0(VALU_DEP_1) | instskip(SKIP_1) | instid1(VALU_DEP_2)
	v_add_co_u32 v12, s7, s36, v12
	s_wait_alu 0xf1ff
	v_add_co_ci_u32_e64 v13, null, s37, v13, s7
	global_load_u16 v12, v[12:13], off
	v_cmpx_gt_i32_e64 s21, v11
	s_cbranch_execz .LBB636_35
; %bb.30:                               ;   in Loop: Header=BB636_5 Depth=1
	v_mul_lo_u32 v13, v11, s18
	v_dual_mov_b32 v33, 0 :: v_dual_mov_b32 v34, 0
	s_mov_b32 s47, exec_lo
	s_delay_alu instid0(VALU_DEP_2) | instskip(NEXT) | instid1(VALU_DEP_1)
	v_ashrrev_i32_e32 v14, 31, v13
	v_lshlrev_b64_e32 v[13:14], 1, v[13:14]
	s_delay_alu instid0(VALU_DEP_1) | instskip(SKIP_1) | instid1(VALU_DEP_2)
	v_add_co_u32 v13, s7, s36, v13
	s_wait_alu 0xf1ff
	v_add_co_ci_u32_e64 v14, null, s37, v14, s7
	global_load_u16 v13, v[13:14], off
	v_or_b32_e32 v14, 2, v32
	s_delay_alu instid0(VALU_DEP_1)
	v_cmpx_gt_i32_e64 s21, v14
	s_cbranch_execz .LBB636_34
; %bb.31:                               ;   in Loop: Header=BB636_5 Depth=1
	v_mul_lo_u32 v14, v14, s18
	v_mov_b32_e32 v33, 0
	s_mov_b32 s48, exec_lo
	s_delay_alu instid0(VALU_DEP_2) | instskip(NEXT) | instid1(VALU_DEP_1)
	v_ashrrev_i32_e32 v15, 31, v14
	v_lshlrev_b64_e32 v[14:15], 1, v[14:15]
	s_delay_alu instid0(VALU_DEP_1) | instskip(SKIP_1) | instid1(VALU_DEP_2)
	v_add_co_u32 v14, s7, s36, v14
	s_wait_alu 0xf1ff
	v_add_co_ci_u32_e64 v15, null, s37, v15, s7
	global_load_u16 v14, v[14:15], off
	v_or_b32_e32 v15, 3, v32
	s_delay_alu instid0(VALU_DEP_1)
	v_cmpx_gt_i32_e64 s21, v15
	s_cbranch_execz .LBB636_33
; %bb.32:                               ;   in Loop: Header=BB636_5 Depth=1
	v_mul_lo_u32 v15, v15, s18
	s_delay_alu instid0(VALU_DEP_1) | instskip(NEXT) | instid1(VALU_DEP_1)
	v_ashrrev_i32_e32 v16, 31, v15
	v_lshlrev_b64_e32 v[15:16], 1, v[15:16]
	s_delay_alu instid0(VALU_DEP_1) | instskip(SKIP_1) | instid1(VALU_DEP_2)
	v_add_co_u32 v15, s7, s36, v15
	s_wait_alu 0xf1ff
	v_add_co_ci_u32_e64 v16, null, s37, v16, s7
	global_load_u16 v15, v[15:16], off
	s_wait_loadcnt 0x0
	v_lshlrev_b32_e32 v33, 16, v15
.LBB636_33:                             ;   in Loop: Header=BB636_5 Depth=1
	s_or_b32 exec_lo, exec_lo, s48
	s_wait_loadcnt 0x0
	v_lshlrev_b32_e32 v34, 16, v14
.LBB636_34:                             ;   in Loop: Header=BB636_5 Depth=1
	s_wait_alu 0xfffe
	s_or_b32 exec_lo, exec_lo, s47
	s_wait_loadcnt 0x0
	v_lshlrev_b32_e32 v35, 16, v13
.LBB636_35:                             ;   in Loop: Header=BB636_5 Depth=1
	s_wait_alu 0xfffe
	s_or_b32 exec_lo, exec_lo, s46
	s_wait_loadcnt 0x0
	v_lshlrev_b32_e32 v36, 16, v12
.LBB636_36:                             ;   in Loop: Header=BB636_5 Depth=1
	s_or_b32 exec_lo, exec_lo, s45
	s_and_saveexec_b32 s7, s0
	s_cbranch_execz .LBB636_44
; %bb.37:                               ;   in Loop: Header=BB636_5 Depth=1
	v_mul_lo_u32 v13, v32, s23
	v_or_b32_e32 v12, 2, v32
	v_mul_lo_u32 v15, v11, s23
	v_or_b32_e32 v14, 3, v32
	s_delay_alu instid0(VALU_DEP_3) | instskip(NEXT) | instid1(VALU_DEP_2)
	v_mul_lo_u32 v16, v12, s23
	v_mul_lo_u32 v17, v14, s23
	v_cndmask_b32_e32 v13, 0, v13, vcc_lo
	v_cmp_gt_i32_e32 vcc_lo, s21, v11
	s_wait_alu 0xfffd
	v_cndmask_b32_e32 v15, 0, v15, vcc_lo
	v_cmp_gt_i32_e32 vcc_lo, s21, v12
	s_wait_alu 0xfffd
	v_cndmask_b32_e32 v12, 0, v16, vcc_lo
	v_cmp_gt_i32_e32 vcc_lo, s21, v14
	v_add_nc_u32_e32 v11, v13, v21
	s_wait_alu 0xfffd
	v_cndmask_b32_e32 v14, 0, v17, vcc_lo
	v_add_nc_u32_e32 v13, v15, v21
	v_add_nc_u32_e32 v15, v12, v21
	v_ashrrev_i32_e32 v12, 31, v11
	s_delay_alu instid0(VALU_DEP_4) | instskip(NEXT) | instid1(VALU_DEP_4)
	v_add_nc_u32_e32 v17, v14, v21
	v_ashrrev_i32_e32 v14, 31, v13
	s_delay_alu instid0(VALU_DEP_4) | instskip(NEXT) | instid1(VALU_DEP_4)
	v_ashrrev_i32_e32 v16, 31, v15
	v_lshlrev_b64_e32 v[11:12], 1, v[11:12]
	s_delay_alu instid0(VALU_DEP_4) | instskip(NEXT) | instid1(VALU_DEP_4)
	v_ashrrev_i32_e32 v18, 31, v17
	v_lshlrev_b64_e32 v[13:14], 1, v[13:14]
	s_delay_alu instid0(VALU_DEP_4) | instskip(NEXT) | instid1(VALU_DEP_4)
	v_lshlrev_b64_e32 v[37:38], 1, v[15:16]
	v_add_co_u32 v15, vcc_lo, s34, v11
	s_delay_alu instid0(VALU_DEP_4)
	v_lshlrev_b64_e32 v[39:40], 1, v[17:18]
	s_wait_alu 0xfffd
	v_add_co_ci_u32_e64 v16, null, s35, v12, vcc_lo
	v_add_co_u32 v17, vcc_lo, s34, v13
	s_wait_alu 0xfffd
	v_add_co_ci_u32_e64 v18, null, s35, v14, vcc_lo
	v_add_co_u32 v11, vcc_lo, s34, v37
	;; [unrolled: 3-line block ×3, first 2 shown]
	s_wait_alu 0xfffd
	v_add_co_ci_u32_e64 v14, null, s35, v40, vcc_lo
	s_clause 0x3
	global_load_u16 v39, v[15:16], off
	global_load_u16 v38, v[17:18], off
	;; [unrolled: 1-line block ×4, first 2 shown]
	s_and_saveexec_b32 s34, s1
	s_cbranch_execz .LBB636_43
; %bb.38:                               ;   in Loop: Header=BB636_5 Depth=1
	s_clause 0x3
	global_load_u16 v43, v[15:16], off offset:64
	global_load_u16 v42, v[17:18], off offset:64
	global_load_u16 v41, v[11:12], off offset:64
	global_load_u16 v40, v[13:14], off offset:64
	s_and_saveexec_b32 s35, s2
	s_cbranch_execz .LBB636_42
; %bb.39:                               ;   in Loop: Header=BB636_5 Depth=1
	s_clause 0x3
	global_load_u16 v47, v[15:16], off offset:128
	global_load_u16 v46, v[17:18], off offset:128
	global_load_u16 v45, v[11:12], off offset:128
	global_load_u16 v44, v[13:14], off offset:128
	;; [unrolled: 8-line block ×3, first 2 shown]
	s_wait_loadcnt 0x3
	v_lshlrev_b32_e32 v13, 16, v15
	s_wait_loadcnt 0x2
	v_lshlrev_b32_e32 v14, 16, v16
	;; [unrolled: 2-line block ×3, first 2 shown]
	s_wait_loadcnt 0x0
	v_dual_fmac_f32 v31, v36, v13 :: v_dual_lshlrev_b32 v12, 16, v12
	s_delay_alu instid0(VALU_DEP_1) | instskip(NEXT) | instid1(VALU_DEP_1)
	v_fmac_f32_e32 v31, v35, v14
	v_fmac_f32_e32 v31, v34, v11
	s_delay_alu instid0(VALU_DEP_1)
	v_fmac_f32_e32 v31, v33, v12
.LBB636_41:                             ;   in Loop: Header=BB636_5 Depth=1
	s_wait_alu 0xfffe
	s_or_b32 exec_lo, exec_lo, s36
	s_wait_loadcnt 0x2
	v_lshlrev_b32_e32 v12, 16, v46
	v_lshlrev_b32_e32 v11, 16, v47
	s_wait_loadcnt 0x1
	s_delay_alu instid0(VALU_DEP_1) | instskip(NEXT) | instid1(VALU_DEP_1)
	v_dual_fmac_f32 v30, v36, v11 :: v_dual_lshlrev_b32 v11, 16, v45
	v_fmac_f32_e32 v30, v35, v12
	s_wait_loadcnt 0x0
	s_delay_alu instid0(VALU_DEP_1) | instskip(NEXT) | instid1(VALU_DEP_1)
	v_dual_fmac_f32 v30, v34, v11 :: v_dual_lshlrev_b32 v11, 16, v44
	v_fmac_f32_e32 v30, v33, v11
.LBB636_42:                             ;   in Loop: Header=BB636_5 Depth=1
	s_wait_alu 0xfffe
	s_or_b32 exec_lo, exec_lo, s35
	s_wait_loadcnt 0x3
	v_lshlrev_b32_e32 v11, 16, v43
	s_wait_loadcnt 0x2
	s_delay_alu instid0(VALU_DEP_1) | instskip(SKIP_2) | instid1(VALU_DEP_2)
	v_dual_fmac_f32 v29, v36, v11 :: v_dual_lshlrev_b32 v12, 16, v42
	s_wait_loadcnt 0x1
	v_lshlrev_b32_e32 v11, 16, v41
	v_fmac_f32_e32 v29, v35, v12
	s_delay_alu instid0(VALU_DEP_1) | instskip(SKIP_2) | instid1(VALU_DEP_1)
	v_fmac_f32_e32 v29, v34, v11
	s_wait_loadcnt 0x0
	v_lshlrev_b32_e32 v11, 16, v40
	v_fmac_f32_e32 v29, v33, v11
.LBB636_43:                             ;   in Loop: Header=BB636_5 Depth=1
	s_wait_alu 0xfffe
	s_or_b32 exec_lo, exec_lo, s34
	s_wait_loadcnt 0x2
	v_lshlrev_b32_e32 v12, 16, v38
	v_lshlrev_b32_e32 v11, 16, v39
	s_wait_loadcnt 0x1
	s_delay_alu instid0(VALU_DEP_1) | instskip(NEXT) | instid1(VALU_DEP_1)
	v_dual_fmac_f32 v28, v36, v11 :: v_dual_lshlrev_b32 v11, 16, v37
	v_fmac_f32_e32 v28, v35, v12
	s_wait_loadcnt 0x0
	s_delay_alu instid0(VALU_DEP_1) | instskip(NEXT) | instid1(VALU_DEP_1)
	v_dual_fmac_f32 v28, v34, v11 :: v_dual_lshlrev_b32 v11, 16, v32
	v_fmac_f32_e32 v28, v33, v11
.LBB636_44:                             ;   in Loop: Header=BB636_5 Depth=1
	s_wait_alu 0xfffe
	s_or_b32 exec_lo, exec_lo, s7
.LBB636_45:                             ;   in Loop: Header=BB636_5 Depth=1
	ds_store_2addr_b32 v20, v28, v29 offset1:32
	ds_store_2addr_b32 v20, v30, v31 offset0:64 offset1:96
	s_wait_dscnt 0x0
	s_barrier_signal -1
	s_barrier_wait -1
	global_inv scope:SCOPE_SE
                                        ; implicit-def: $vgpr13
	s_and_saveexec_b32 s7, s5
	s_cbranch_execz .LBB636_51
; %bb.46:                               ;   in Loop: Header=BB636_5 Depth=1
	ds_load_2addr_stride64_b32 v[11:12], v22 offset1:2
	ds_load_2addr_stride64_b32 v[13:14], v22 offset0:4 offset1:6
	ds_load_2addr_stride64_b32 v[15:16], v22 offset0:8 offset1:10
	s_mov_b32 s35, s44
	s_wait_dscnt 0x2
	v_add_f32_e32 v17, v11, v12
	ds_load_2addr_stride64_b32 v[11:12], v22 offset0:12 offset1:14
	s_wait_dscnt 0x2
	v_add_f32_e32 v13, v13, v17
	s_delay_alu instid0(VALU_DEP_1) | instskip(SKIP_3) | instid1(VALU_DEP_1)
	v_add_f32_e32 v17, v14, v13
	ds_load_2addr_stride64_b32 v[13:14], v22 offset0:16 offset1:18
	s_wait_dscnt 0x2
	v_add_f32_e32 v15, v15, v17
	v_add_f32_e32 v17, v16, v15
	ds_load_2addr_stride64_b32 v[15:16], v22 offset0:20 offset1:22
	s_wait_dscnt 0x2
	v_add_f32_e32 v11, v11, v17
	s_delay_alu instid0(VALU_DEP_1) | instskip(SKIP_1) | instid1(VALU_DEP_1)
	v_add_f32_e32 v11, v12, v11
	s_wait_dscnt 0x1
	v_add_f32_e32 v13, v13, v11
	ds_load_2addr_stride64_b32 v[11:12], v22 offset0:24 offset1:26
	v_add_f32_e32 v13, v14, v13
	s_wait_dscnt 0x1
	s_delay_alu instid0(VALU_DEP_1) | instskip(SKIP_3) | instid1(VALU_DEP_1)
	v_add_f32_e32 v15, v15, v13
	ds_load_2addr_stride64_b32 v[13:14], v22 offset0:28 offset1:30
	v_add_f32_e32 v15, v16, v15
	s_wait_dscnt 0x1
	v_add_f32_e32 v11, v11, v15
	s_delay_alu instid0(VALU_DEP_1) | instskip(SKIP_1) | instid1(VALU_DEP_1)
	v_add_f32_e32 v11, v12, v11
	s_wait_dscnt 0x0
	v_add_f32_e32 v11, v13, v11
                                        ; implicit-def: $vgpr13
	s_delay_alu instid0(VALU_DEP_1)
	v_add_f32_e32 v11, v14, v11
	ds_store_b32 v22, v11
	s_and_saveexec_b32 s34, s6
	s_cbranch_execz .LBB636_50
; %bb.47:                               ;   in Loop: Header=BB636_5 Depth=1
	v_mul_f32_e32 v13, s22, v11
	s_and_not1_b32 vcc_lo, exec_lo, s39
	s_wait_alu 0xfffe
	s_cbranch_vccnz .LBB636_49
; %bb.48:                               ;   in Loop: Header=BB636_5 Depth=1
	v_add_co_u32 v11, vcc_lo, s16, v9
	s_wait_alu 0xfffd
	v_add_co_ci_u32_e64 v12, null, s17, v10, vcc_lo
	global_load_b32 v11, v[11:12], off
	s_wait_loadcnt 0x0
	v_fmac_f32_e32 v13, s26, v11
.LBB636_49:                             ;   in Loop: Header=BB636_5 Depth=1
	s_or_b32 s35, s44, exec_lo
.LBB636_50:                             ;   in Loop: Header=BB636_5 Depth=1
	s_wait_alu 0xfffe
	s_or_b32 exec_lo, exec_lo, s34
	s_delay_alu instid0(SALU_CYCLE_1)
	s_and_not1_b32 s34, s44, exec_lo
	s_and_b32 s35, s35, exec_lo
	s_wait_alu 0xfffe
	s_or_b32 s44, s34, s35
.LBB636_51:                             ;   in Loop: Header=BB636_5 Depth=1
	s_wait_alu 0xfffe
	s_or_b32 exec_lo, exec_lo, s7
	v_dual_mov_b32 v12, v3 :: v_dual_mov_b32 v11, v2
	s_and_saveexec_b32 s7, s44
	s_cbranch_execz .LBB636_3
.LBB636_52:                             ;   in Loop: Header=BB636_5 Depth=1
	s_delay_alu instid0(VALU_DEP_1) | instskip(SKIP_1) | instid1(VALU_DEP_1)
	v_lshlrev_b64_e32 v[11:12], 2, v[11:12]
	s_wait_alu 0xfffe
	v_add_co_u32 v11, vcc_lo, s16, v11
	s_wait_alu 0xfffd
	s_delay_alu instid0(VALU_DEP_2)
	v_add_co_ci_u32_e64 v12, null, s17, v12, vcc_lo
	global_store_b32 v[11:12], v13, off
	s_branch .LBB636_3
.LBB636_53:
	s_endpgm
	.section	.rodata,"a",@progbits
	.p2align	6, 0x0
	.amdhsa_kernel _ZL20rocblas_gemvn_kernelILi32ELi16Ei16rocblas_bfloat16ffEviiT3_lPKT2_lT1_lS4_lS5_lS1_lPT4_lS5_li
		.amdhsa_group_segment_fixed_size 8192
		.amdhsa_private_segment_fixed_size 0
		.amdhsa_kernarg_size 400
		.amdhsa_user_sgpr_count 2
		.amdhsa_user_sgpr_dispatch_ptr 0
		.amdhsa_user_sgpr_queue_ptr 0
		.amdhsa_user_sgpr_kernarg_segment_ptr 1
		.amdhsa_user_sgpr_dispatch_id 0
		.amdhsa_user_sgpr_private_segment_size 0
		.amdhsa_wavefront_size32 1
		.amdhsa_uses_dynamic_stack 0
		.amdhsa_enable_private_segment 0
		.amdhsa_system_sgpr_workgroup_id_x 1
		.amdhsa_system_sgpr_workgroup_id_y 0
		.amdhsa_system_sgpr_workgroup_id_z 1
		.amdhsa_system_sgpr_workgroup_info 0
		.amdhsa_system_vgpr_workitem_id 1
		.amdhsa_next_free_vgpr 53
		.amdhsa_next_free_sgpr 51
		.amdhsa_reserve_vcc 1
		.amdhsa_float_round_mode_32 0
		.amdhsa_float_round_mode_16_64 0
		.amdhsa_float_denorm_mode_32 3
		.amdhsa_float_denorm_mode_16_64 3
		.amdhsa_fp16_overflow 0
		.amdhsa_workgroup_processor_mode 1
		.amdhsa_memory_ordered 1
		.amdhsa_forward_progress 1
		.amdhsa_inst_pref_size 27
		.amdhsa_round_robin_scheduling 0
		.amdhsa_exception_fp_ieee_invalid_op 0
		.amdhsa_exception_fp_denorm_src 0
		.amdhsa_exception_fp_ieee_div_zero 0
		.amdhsa_exception_fp_ieee_overflow 0
		.amdhsa_exception_fp_ieee_underflow 0
		.amdhsa_exception_fp_ieee_inexact 0
		.amdhsa_exception_int_div_zero 0
	.end_amdhsa_kernel
	.section	.text._ZL20rocblas_gemvn_kernelILi32ELi16Ei16rocblas_bfloat16ffEviiT3_lPKT2_lT1_lS4_lS5_lS1_lPT4_lS5_li,"axG",@progbits,_ZL20rocblas_gemvn_kernelILi32ELi16Ei16rocblas_bfloat16ffEviiT3_lPKT2_lT1_lS4_lS5_lS1_lPT4_lS5_li,comdat
.Lfunc_end636:
	.size	_ZL20rocblas_gemvn_kernelILi32ELi16Ei16rocblas_bfloat16ffEviiT3_lPKT2_lT1_lS4_lS5_lS1_lPT4_lS5_li, .Lfunc_end636-_ZL20rocblas_gemvn_kernelILi32ELi16Ei16rocblas_bfloat16ffEviiT3_lPKT2_lT1_lS4_lS5_lS1_lPT4_lS5_li
                                        ; -- End function
	.set _ZL20rocblas_gemvn_kernelILi32ELi16Ei16rocblas_bfloat16ffEviiT3_lPKT2_lT1_lS4_lS5_lS1_lPT4_lS5_li.num_vgpr, 53
	.set _ZL20rocblas_gemvn_kernelILi32ELi16Ei16rocblas_bfloat16ffEviiT3_lPKT2_lT1_lS4_lS5_lS1_lPT4_lS5_li.num_agpr, 0
	.set _ZL20rocblas_gemvn_kernelILi32ELi16Ei16rocblas_bfloat16ffEviiT3_lPKT2_lT1_lS4_lS5_lS1_lPT4_lS5_li.numbered_sgpr, 51
	.set _ZL20rocblas_gemvn_kernelILi32ELi16Ei16rocblas_bfloat16ffEviiT3_lPKT2_lT1_lS4_lS5_lS1_lPT4_lS5_li.num_named_barrier, 0
	.set _ZL20rocblas_gemvn_kernelILi32ELi16Ei16rocblas_bfloat16ffEviiT3_lPKT2_lT1_lS4_lS5_lS1_lPT4_lS5_li.private_seg_size, 0
	.set _ZL20rocblas_gemvn_kernelILi32ELi16Ei16rocblas_bfloat16ffEviiT3_lPKT2_lT1_lS4_lS5_lS1_lPT4_lS5_li.uses_vcc, 1
	.set _ZL20rocblas_gemvn_kernelILi32ELi16Ei16rocblas_bfloat16ffEviiT3_lPKT2_lT1_lS4_lS5_lS1_lPT4_lS5_li.uses_flat_scratch, 0
	.set _ZL20rocblas_gemvn_kernelILi32ELi16Ei16rocblas_bfloat16ffEviiT3_lPKT2_lT1_lS4_lS5_lS1_lPT4_lS5_li.has_dyn_sized_stack, 0
	.set _ZL20rocblas_gemvn_kernelILi32ELi16Ei16rocblas_bfloat16ffEviiT3_lPKT2_lT1_lS4_lS5_lS1_lPT4_lS5_li.has_recursion, 0
	.set _ZL20rocblas_gemvn_kernelILi32ELi16Ei16rocblas_bfloat16ffEviiT3_lPKT2_lT1_lS4_lS5_lS1_lPT4_lS5_li.has_indirect_call, 0
	.section	.AMDGPU.csdata,"",@progbits
; Kernel info:
; codeLenInByte = 3352
; TotalNumSgprs: 53
; NumVgprs: 53
; ScratchSize: 0
; MemoryBound: 0
; FloatMode: 240
; IeeeMode: 1
; LDSByteSize: 8192 bytes/workgroup (compile time only)
; SGPRBlocks: 0
; VGPRBlocks: 6
; NumSGPRsForWavesPerEU: 53
; NumVGPRsForWavesPerEU: 53
; Occupancy: 16
; WaveLimiterHint : 1
; COMPUTE_PGM_RSRC2:SCRATCH_EN: 0
; COMPUTE_PGM_RSRC2:USER_SGPR: 2
; COMPUTE_PGM_RSRC2:TRAP_HANDLER: 0
; COMPUTE_PGM_RSRC2:TGID_X_EN: 1
; COMPUTE_PGM_RSRC2:TGID_Y_EN: 0
; COMPUTE_PGM_RSRC2:TGID_Z_EN: 1
; COMPUTE_PGM_RSRC2:TIDIG_COMP_CNT: 1
	.section	.text._ZL20rocblas_gemvn_kernelILi32ELi16El16rocblas_bfloat16ffEviiT3_lPKT2_lT1_lS4_lS5_lS1_lPT4_lS5_li,"axG",@progbits,_ZL20rocblas_gemvn_kernelILi32ELi16El16rocblas_bfloat16ffEviiT3_lPKT2_lT1_lS4_lS5_lS1_lPT4_lS5_li,comdat
	.globl	_ZL20rocblas_gemvn_kernelILi32ELi16El16rocblas_bfloat16ffEviiT3_lPKT2_lT1_lS4_lS5_lS1_lPT4_lS5_li ; -- Begin function _ZL20rocblas_gemvn_kernelILi32ELi16El16rocblas_bfloat16ffEviiT3_lPKT2_lT1_lS4_lS5_lS1_lPT4_lS5_li
	.p2align	8
	.type	_ZL20rocblas_gemvn_kernelILi32ELi16El16rocblas_bfloat16ffEviiT3_lPKT2_lT1_lS4_lS5_lS1_lPT4_lS5_li,@function
_ZL20rocblas_gemvn_kernelILi32ELi16El16rocblas_bfloat16ffEviiT3_lPKT2_lT1_lS4_lS5_lS1_lPT4_lS5_li: ; @_ZL20rocblas_gemvn_kernelILi32ELi16El16rocblas_bfloat16ffEviiT3_lPKT2_lT1_lS4_lS5_lS1_lPT4_lS5_li
; %bb.0:
	s_load_b64 s[2:3], s[0:1], 0x9c
	s_wait_kmcnt 0x0
	s_lshr_b32 s4, s2, 16
	s_and_b32 s2, s2, 0xffff
	s_and_b32 s3, s3, 0xffff
	s_mul_i32 s2, s4, s2
	s_delay_alu instid0(SALU_CYCLE_1) | instskip(NEXT) | instid1(SALU_CYCLE_1)
	s_mul_i32 s2, s2, s3
	s_cmp_lg_u32 s2, 0x200
	s_cbranch_scc1 .LBB637_53
; %bb.1:
	s_load_b32 s33, s[0:1], 0x88
	s_lshr_b32 s34, ttmp7, 16
	s_wait_kmcnt 0x0
	s_cmp_ge_u32 s34, s33
	s_cbranch_scc1 .LBB637_53
; %bb.2:
	s_clause 0x3
	s_load_b512 s[8:23], s[0:1], 0x18
	s_load_b256 s[24:31], s[0:1], 0x68
	s_load_b96 s[36:38], s[0:1], 0x0
	s_load_b32 s39, s[0:1], 0x58
	v_bfe_u32 v15, v0, 10, 10
	v_and_b32_e32 v1, 0x3ff, v0
	s_mov_b32 s35, 0
	s_delay_alu instid0(VALU_DEP_2) | instskip(NEXT) | instid1(VALU_DEP_2)
	v_dual_mov_b32 v3, 0 :: v_dual_lshlrev_b32 v16, 2, v15
	v_lshlrev_b32_e32 v10, 2, v1
	s_delay_alu instid0(VALU_DEP_2) | instskip(NEXT) | instid1(VALU_DEP_2)
	v_or_b32_e32 v19, 3, v16
	v_lshl_add_u32 v17, v15, 9, v10
	v_lshl_add_u32 v18, v15, 7, v10
	s_wait_kmcnt 0x0
	s_lshl_b64 s[2:3], s[10:11], 1
	s_lshl_b64 s[10:11], s[18:19], 1
	;; [unrolled: 1-line block ×3, first 2 shown]
	s_cmp_eq_f32 s38, 0
	s_add_nc_u64 s[18:19], s[8:9], s[2:3]
	v_mad_co_u64_u32 v[4:5], null, s20, v15, 0
	s_cselect_b32 s46, -1, 0
	s_cmp_neq_f32 s38, 0
	v_mad_co_u64_u32 v[6:7], null, s12, v19, 0
	s_add_nc_u64 s[24:25], s[24:25], s[4:5]
	s_cselect_b32 s1, -1, 0
	s_cmp_neq_f32 s39, 1.0
	s_mov_b32 s6, s36
	s_add_nc_u64 s[26:27], s[16:17], s[10:11]
	s_cselect_b32 s2, -1, 0
	s_lshl_b32 s8, ttmp9, 7
	s_ashr_i32 s7, s36, 31
	v_add_nc_u32_e32 v8, s8, v1
	s_or_b32 s47, s1, s2
	s_cmp_neq_f32 s39, 0
	s_delay_alu instid0(VALU_DEP_1) | instskip(SKIP_2) | instid1(SALU_CYCLE_1)
	v_add_nc_u32_e32 v11, 64, v8
	s_cselect_b32 s48, -1, 0
	s_ashr_i32 s2, s37, 31
	s_lshr_b32 s2, s2, 26
	s_delay_alu instid0(VALU_DEP_1)
	v_cmp_gt_i32_e64 s3, s36, v11
	v_mad_co_u64_u32 v[10:11], null, s21, v15, v[5:6]
	v_mov_b32_e32 v5, v7
	s_add_co_i32 s49, s37, s2
	v_or_b32_e32 v23, 2, v16
	s_and_not1_b32 s49, s49, 63
	v_mad_co_u64_u32 v[29:30], null, s20, v16, s[20:21]
	v_mad_co_u64_u32 v[13:14], null, s13, v19, v[5:6]
	v_dual_mov_b32 v5, v10 :: v_dual_add_nc_u32 v12, 0x60, v8
	s_sub_co_i32 s5, s37, s49
	v_ashrrev_i32_e32 v9, 31, v8
	s_cmp_gt_i32 s5, 0
	s_delay_alu instid0(VALU_DEP_2)
	v_lshlrev_b64_e32 v[4:5], 3, v[4:5]
	v_cmp_gt_i32_e64 s4, s36, v12
	v_mad_co_u64_u32 v[11:12], null, s20, v19, 0
	s_cselect_b32 s50, -1, 0
	v_cmp_gt_i32_e64 s1, s36, v8
	v_mov_b32_e32 v7, v13
	v_mad_co_u64_u32 v[27:28], null, s20, v23, 0
	v_mad_co_u64_u32 v[31:32], null, s12, v16, s[12:13]
	v_mov_b32_e32 v10, v12
	v_lshl_add_u32 v0, v15, 5, v1
	v_lshlrev_b64_e32 v[6:7], 1, v[6:7]
	v_cmp_gt_i32_e64 s5, s49, v16
	s_lshl_b64 s[40:41], s[14:15], 1
	v_mad_co_u64_u32 v[12:13], null, s21, v19, v[10:11]
	v_add_nc_u32_e32 v2, s8, v0
	v_cmp_gt_u32_e64 s0, 0x80, v0
	v_or_b32_e32 v20, s8, v0
	v_mad_co_u64_u32 v[13:14], null, s12, v15, 0
	s_delay_alu instid0(VALU_DEP_4)
	v_mad_co_u64_u32 v[0:1], null, s28, v2, 0
	v_cmp_gt_i64_e32 vcc_lo, s[6:7], v[2:3]
	v_add_nc_u32_e32 v3, 32, v8
	s_ashr_i32 s6, s8, 31
	v_mul_lo_u32 v21, s29, v20
	s_wait_alu 0xfffe
	s_mul_i32 s7, s28, s6
	v_cmp_gt_i32_e64 s6, s36, v20
	v_mad_co_u64_u32 v[1:2], null, s29, v2, v[1:2]
	v_cmp_gt_i32_e64 s2, s36, v3
	v_mad_co_u64_u32 v[2:3], null, s28, v20, 0
	s_and_b32 s36, s0, vcc_lo
	v_add_co_u32 v19, vcc_lo, s16, v4
	s_delay_alu instid0(VALU_DEP_1)
	v_add_co_ci_u32_e64 v20, null, s17, v5, vcc_lo
	v_lshlrev_b64_e32 v[4:5], 1, v[8:9]
	v_mad_co_u64_u32 v[9:10], null, s12, v23, 0
	v_mov_b32_e32 v8, v14
	s_wait_alu 0xfffe
	v_add3_u32 v3, v3, s7, v21
	v_add_co_u32 v21, vcc_lo, s18, v6
	s_wait_alu 0xfffd
	v_add_co_ci_u32_e64 v22, null, s19, v7, vcc_lo
	v_mad_co_u64_u32 v[14:15], null, s13, v15, v[8:9]
	v_lshlrev_b64_e32 v[7:8], 1, v[11:12]
	v_mov_b32_e32 v6, v10
	v_mov_b32_e32 v10, v28
	s_lshl_b64 s[28:29], s[22:23], 1
	s_lshl_b64 s[42:43], s[12:13], 7
	s_delay_alu instid0(VALU_DEP_2) | instskip(SKIP_1) | instid1(VALU_DEP_2)
	v_mad_co_u64_u32 v[11:12], null, s13, v23, v[6:7]
	v_mov_b32_e32 v6, v30
	v_mad_co_u64_u32 v[25:26], null, s21, v23, v[10:11]
	v_add_co_u32 v23, vcc_lo, s16, v7
	s_wait_alu 0xfffd
	v_add_co_ci_u32_e64 v24, null, s17, v8, vcc_lo
	v_lshlrev_b64_e32 v[7:8], 3, v[13:14]
	v_mov_b32_e32 v10, v11
	v_mov_b32_e32 v28, v25
	s_delay_alu instid0(VALU_DEP_3)
	v_add_co_u32 v25, vcc_lo, s18, v7
	v_mad_co_u64_u32 v[11:12], null, s21, v16, v[6:7]
	s_wait_alu 0xfffd
	v_add_co_ci_u32_e64 v26, null, s19, v8, vcc_lo
	v_lshlrev_b64_e32 v[7:8], 1, v[9:10]
	v_mov_b32_e32 v6, v32
	v_lshlrev_b64_e32 v[12:13], 1, v[27:28]
	v_mov_b32_e32 v30, v11
	s_delay_alu instid0(VALU_DEP_3) | instskip(SKIP_1) | instid1(VALU_DEP_3)
	v_mad_co_u64_u32 v[9:10], null, s13, v16, v[6:7]
	v_add_co_u32 v27, vcc_lo, s18, v7
	v_lshlrev_b64_e32 v[6:7], 1, v[29:30]
	s_wait_alu 0xfffd
	v_add_co_ci_u32_e64 v28, null, s19, v8, vcc_lo
	v_add_co_u32 v29, vcc_lo, s16, v12
	v_mov_b32_e32 v32, v9
	s_wait_alu 0xfffd
	v_add_co_ci_u32_e64 v30, null, s17, v13, vcc_lo
	s_delay_alu instid0(VALU_DEP_2) | instskip(SKIP_4) | instid1(VALU_DEP_4)
	v_lshlrev_b64_e32 v[8:9], 1, v[31:32]
	v_add_co_u32 v31, vcc_lo, s16, v6
	s_wait_alu 0xfffd
	v_add_co_ci_u32_e64 v32, null, s17, v7, vcc_lo
	v_lshlrev_b64_e32 v[6:7], 2, v[0:1]
	v_add_co_u32 v33, vcc_lo, s18, v8
	s_wait_alu 0xfffd
	v_add_co_ci_u32_e64 v34, null, s19, v9, vcc_lo
	s_lshl_b64 s[16:17], s[20:21], 7
	s_branch .LBB637_5
.LBB637_3:                              ;   in Loop: Header=BB637_5 Depth=1
	s_wait_alu 0xfffe
	s_or_b32 exec_lo, exec_lo, s7
.LBB637_4:                              ;   in Loop: Header=BB637_5 Depth=1
	s_add_co_i32 s34, s34, 0x10000
	s_delay_alu instid0(SALU_CYCLE_1)
	s_cmp_lt_u32 s34, s33
	s_cbranch_scc0 .LBB637_53
.LBB637_5:                              ; =>This Loop Header: Depth=1
                                        ;     Child Loop BB637_21 Depth 2
	s_and_not1_b32 vcc_lo, exec_lo, s47
	s_wait_alu 0xfffe
	s_cbranch_vccnz .LBB637_4
; %bb.6:                                ;   in Loop: Header=BB637_5 Depth=1
	s_mul_u64 s[8:9], s[30:31], s[34:35]
	s_and_not1_b32 vcc_lo, exec_lo, s46
	s_wait_alu 0xfffe
	s_lshl_b64 s[8:9], s[8:9], 2
	s_wait_alu 0xfffe
	s_add_nc_u64 s[44:45], s[24:25], s[8:9]
	s_cbranch_vccnz .LBB637_10
; %bb.7:                                ;   in Loop: Header=BB637_5 Depth=1
	s_mov_b32 s7, 0
	s_mov_b32 s51, 0
                                        ; implicit-def: $vgpr10
	s_and_saveexec_b32 s8, s36
	s_cbranch_execz .LBB637_11
; %bb.8:                                ;   in Loop: Header=BB637_5 Depth=1
	s_and_not1_b32 vcc_lo, exec_lo, s48
	s_wait_alu 0xfffe
	s_cbranch_vccnz .LBB637_13
; %bb.9:                                ;   in Loop: Header=BB637_5 Depth=1
	v_add_co_u32 v8, vcc_lo, s44, v6
	s_wait_alu 0xfffd
	v_add_co_ci_u32_e64 v9, null, s45, v7, vcc_lo
	global_load_b32 v8, v[8:9], off
	s_wait_loadcnt 0x0
	v_mul_f32_e32 v10, s39, v8
	s_branch .LBB637_14
.LBB637_10:                             ;   in Loop: Header=BB637_5 Depth=1
	s_mov_b32 s51, 0
                                        ; implicit-def: $vgpr10
	s_cbranch_execz .LBB637_12
	s_branch .LBB637_15
.LBB637_11:                             ;   in Loop: Header=BB637_5 Depth=1
	s_wait_alu 0xfffe
	s_or_b32 exec_lo, exec_lo, s8
	s_delay_alu instid0(SALU_CYCLE_1)
	s_and_b32 vcc_lo, exec_lo, s7
	s_wait_alu 0xfffe
	s_cbranch_vccnz .LBB637_15
.LBB637_12:                             ;   in Loop: Header=BB637_5 Depth=1
	v_dual_mov_b32 v9, v1 :: v_dual_mov_b32 v8, v0
	s_and_saveexec_b32 s7, s51
	s_cbranch_execz .LBB637_3
	s_branch .LBB637_52
.LBB637_13:                             ;   in Loop: Header=BB637_5 Depth=1
	v_mov_b32_e32 v10, 0
.LBB637_14:                             ;   in Loop: Header=BB637_5 Depth=1
	s_mov_b32 s51, exec_lo
	s_or_b32 exec_lo, exec_lo, s8
	s_delay_alu instid0(SALU_CYCLE_1)
	s_and_b32 vcc_lo, exec_lo, s7
	s_wait_alu 0xfffe
	s_cbranch_vccz .LBB637_12
.LBB637_15:                             ;   in Loop: Header=BB637_5 Depth=1
	v_dual_mov_b32 v35, 0 :: v_dual_mov_b32 v36, 0
	v_dual_mov_b32 v39, v16 :: v_dual_mov_b32 v38, 0
	v_mov_b32_e32 v37, 0
	s_and_saveexec_b32 s8, s5
	s_cbranch_execz .LBB637_27
; %bb.16:                               ;   in Loop: Header=BB637_5 Depth=1
	s_mul_u64 s[52:53], s[28:29], s[34:35]
	s_mul_u64 s[54:55], s[40:41], s[34:35]
	s_wait_alu 0xfffe
	v_add_co_u32 v40, vcc_lo, v19, s52
	s_wait_alu 0xfffd
	v_add_co_ci_u32_e64 v41, null, s53, v20, vcc_lo
	v_add_co_u32 v42, vcc_lo, v21, s54
	s_wait_alu 0xfffd
	v_add_co_ci_u32_e64 v43, null, s55, v22, vcc_lo
	;; [unrolled: 3-line block ×8, first 2 shown]
	v_dual_mov_b32 v35, 0 :: v_dual_mov_b32 v36, 0
	v_dual_mov_b32 v39, v16 :: v_dual_mov_b32 v38, 0
	v_mov_b32_e32 v37, 0
	s_mov_b32 s9, 0
	s_branch .LBB637_21
.LBB637_17:                             ;   in Loop: Header=BB637_21 Depth=2
	s_wait_alu 0xfffe
	s_or_b32 exec_lo, exec_lo, s54
	s_wait_loadcnt 0x2
	v_lshlrev_b32_e32 v9, 16, v70
	v_lshlrev_b32_e32 v8, 16, v71
	s_wait_loadcnt 0x1
	s_delay_alu instid0(VALU_DEP_1) | instskip(NEXT) | instid1(VALU_DEP_1)
	v_dual_fmac_f32 v37, v63, v8 :: v_dual_lshlrev_b32 v8, 16, v69
	v_fmac_f32_e32 v37, v59, v9
	s_delay_alu instid0(VALU_DEP_1) | instskip(SKIP_2) | instid1(VALU_DEP_1)
	v_fmac_f32_e32 v37, v61, v8
	s_wait_loadcnt 0x0
	v_lshlrev_b32_e32 v8, 16, v68
	v_fmac_f32_e32 v37, v57, v8
.LBB637_18:                             ;   in Loop: Header=BB637_21 Depth=2
	s_wait_alu 0xfffe
	s_or_b32 exec_lo, exec_lo, s53
	s_wait_loadcnt 0x3
	v_lshlrev_b32_e32 v8, 16, v67
	s_wait_loadcnt 0x2
	s_delay_alu instid0(VALU_DEP_1) | instskip(SKIP_2) | instid1(VALU_DEP_2)
	v_dual_fmac_f32 v36, v63, v8 :: v_dual_lshlrev_b32 v9, 16, v66
	s_wait_loadcnt 0x1
	v_lshlrev_b32_e32 v8, 16, v65
	v_fmac_f32_e32 v36, v59, v9
	s_delay_alu instid0(VALU_DEP_1) | instskip(SKIP_2) | instid1(VALU_DEP_1)
	v_fmac_f32_e32 v36, v61, v8
	s_wait_loadcnt 0x0
	v_lshlrev_b32_e32 v8, 16, v64
	v_fmac_f32_e32 v36, v57, v8
.LBB637_19:                             ;   in Loop: Header=BB637_21 Depth=2
	s_wait_alu 0xfffe
	s_or_b32 exec_lo, exec_lo, s52
	s_wait_loadcnt 0x2
	v_lshlrev_b32_e32 v9, 16, v60
	v_lshlrev_b32_e32 v8, 16, v62
	s_wait_loadcnt 0x1
	s_delay_alu instid0(VALU_DEP_1) | instskip(NEXT) | instid1(VALU_DEP_1)
	v_dual_fmac_f32 v35, v63, v8 :: v_dual_lshlrev_b32 v8, 16, v58
	v_fmac_f32_e32 v35, v59, v9
	s_delay_alu instid0(VALU_DEP_1) | instskip(SKIP_2) | instid1(VALU_DEP_1)
	v_fmac_f32_e32 v35, v61, v8
	s_wait_loadcnt 0x0
	v_lshlrev_b32_e32 v8, 16, v56
	v_fmac_f32_e32 v35, v57, v8
.LBB637_20:                             ;   in Loop: Header=BB637_21 Depth=2
	s_wait_alu 0xfffe
	s_or_b32 exec_lo, exec_lo, s7
	v_add_co_u32 v40, vcc_lo, v40, s16
	s_wait_alu 0xfffd
	v_add_co_ci_u32_e64 v41, null, s17, v41, vcc_lo
	v_add_co_u32 v42, vcc_lo, v42, s42
	s_wait_alu 0xfffd
	v_add_co_ci_u32_e64 v43, null, s43, v43, vcc_lo
	v_add_co_u32 v44, vcc_lo, v44, s16
	s_wait_alu 0xfffd
	v_add_co_ci_u32_e64 v45, null, s17, v45, vcc_lo
	v_add_co_u32 v46, vcc_lo, v46, s42
	s_wait_alu 0xfffd
	v_add_co_ci_u32_e64 v47, null, s43, v47, vcc_lo
	v_add_co_u32 v48, vcc_lo, v48, s42
	v_add_nc_u32_e32 v39, 64, v39
	s_wait_alu 0xfffd
	v_add_co_ci_u32_e64 v49, null, s43, v49, vcc_lo
	v_add_co_u32 v50, vcc_lo, v50, s16
	s_wait_alu 0xfffd
	v_add_co_ci_u32_e64 v51, null, s17, v51, vcc_lo
	v_add_co_u32 v52, vcc_lo, v52, s16
	s_wait_alu 0xfffd
	v_add_co_ci_u32_e64 v53, null, s17, v53, vcc_lo
	v_cmp_le_i32_e32 vcc_lo, s49, v39
	v_add_co_u32 v54, s7, v54, s42
	s_wait_alu 0xf1ff
	v_add_co_ci_u32_e64 v55, null, s43, v55, s7
	s_or_b32 s9, vcc_lo, s9
	s_wait_alu 0xfffe
	s_and_not1_b32 exec_lo, exec_lo, s9
	s_cbranch_execz .LBB637_26
.LBB637_21:                             ;   Parent Loop BB637_5 Depth=1
                                        ; =>  This Inner Loop Header: Depth=2
	s_and_saveexec_b32 s7, s1
	s_cbranch_execz .LBB637_20
; %bb.22:                               ;   in Loop: Header=BB637_21 Depth=2
	v_add_co_u32 v8, vcc_lo, v40, s10
	s_wait_alu 0xfffd
	v_add_co_ci_u32_e64 v9, null, s11, v41, vcc_lo
	v_add_co_u32 v10, vcc_lo, v52, s10
	s_wait_alu 0xfffd
	v_add_co_ci_u32_e64 v11, null, s11, v53, vcc_lo
	;; [unrolled: 3-line block ×4, first 2 shown]
	global_load_u16 v57, v[8:9], off
	global_load_u16 v59, v[10:11], off
	;; [unrolled: 1-line block ×4, first 2 shown]
	v_add_co_u32 v8, vcc_lo, v46, v4
	s_wait_alu 0xfffd
	v_add_co_ci_u32_e64 v9, null, v47, v5, vcc_lo
	v_add_co_u32 v12, vcc_lo, v54, v4
	s_wait_alu 0xfffd
	v_add_co_ci_u32_e64 v13, null, v55, v5, vcc_lo
	;; [unrolled: 3-line block ×4, first 2 shown]
	global_load_u16 v62, v[8:9], off
	global_load_u16 v60, v[12:13], off
	;; [unrolled: 1-line block ×4, first 2 shown]
	s_wait_loadcnt 0x7
	v_lshlrev_b32_e32 v63, 16, v57
	s_wait_loadcnt 0x6
	v_lshlrev_b32_e32 v59, 16, v59
	;; [unrolled: 2-line block ×4, first 2 shown]
	s_and_saveexec_b32 s52, s2
	s_cbranch_execz .LBB637_19
; %bb.23:                               ;   in Loop: Header=BB637_21 Depth=2
	global_load_u16 v67, v[8:9], off offset:64
	global_load_u16 v66, v[12:13], off offset:64
	global_load_u16 v65, v[10:11], off offset:64
	global_load_u16 v64, v[14:15], off offset:64
	s_and_saveexec_b32 s53, s3
	s_cbranch_execz .LBB637_18
; %bb.24:                               ;   in Loop: Header=BB637_21 Depth=2
	global_load_u16 v71, v[8:9], off offset:128
	global_load_u16 v70, v[12:13], off offset:128
	global_load_u16 v69, v[10:11], off offset:128
	global_load_u16 v68, v[14:15], off offset:128
	s_and_saveexec_b32 s54, s4
	s_cbranch_execz .LBB637_17
; %bb.25:                               ;   in Loop: Header=BB637_21 Depth=2
	global_load_u16 v8, v[8:9], off offset:192
	global_load_u16 v9, v[12:13], off offset:192
	global_load_u16 v10, v[10:11], off offset:192
	global_load_u16 v11, v[14:15], off offset:192
	s_wait_loadcnt 0x3
	v_lshlrev_b32_e32 v8, 16, v8
	s_wait_loadcnt 0x2
	s_delay_alu instid0(VALU_DEP_1) | instskip(SKIP_3) | instid1(VALU_DEP_2)
	v_dual_fmac_f32 v38, v63, v8 :: v_dual_lshlrev_b32 v9, 16, v9
	s_wait_loadcnt 0x1
	v_lshlrev_b32_e32 v8, 16, v10
	s_wait_loadcnt 0x0
	v_dual_fmac_f32 v38, v59, v9 :: v_dual_lshlrev_b32 v9, 16, v11
	s_delay_alu instid0(VALU_DEP_1) | instskip(NEXT) | instid1(VALU_DEP_1)
	v_fmac_f32_e32 v38, v61, v8
	v_fmac_f32_e32 v38, v57, v9
	s_branch .LBB637_17
.LBB637_26:                             ;   in Loop: Header=BB637_5 Depth=1
	s_or_b32 exec_lo, exec_lo, s9
.LBB637_27:                             ;   in Loop: Header=BB637_5 Depth=1
	s_wait_alu 0xfffe
	s_or_b32 exec_lo, exec_lo, s8
	s_delay_alu instid0(SALU_CYCLE_1)
	s_and_not1_b32 vcc_lo, exec_lo, s50
	s_wait_alu 0xfffe
	s_cbranch_vccnz .LBB637_45
; %bb.28:                               ;   in Loop: Header=BB637_5 Depth=1
	v_cmp_gt_i32_e32 vcc_lo, s37, v39
	v_dual_mov_b32 v41, 0 :: v_dual_mov_b32 v40, 0
	v_or_b32_e32 v8, 1, v39
	v_dual_mov_b32 v43, 0 :: v_dual_mov_b32 v42, 0
	s_and_saveexec_b32 s52, vcc_lo
	s_cbranch_execz .LBB637_36
; %bb.29:                               ;   in Loop: Header=BB637_5 Depth=1
	v_mad_co_u64_u32 v[9:10], null, s20, v39, 0
	s_mul_u64 s[8:9], s[22:23], s[34:35]
	v_dual_mov_b32 v42, 0 :: v_dual_mov_b32 v41, 0
	s_wait_alu 0xfffe
	s_lshl_b64 s[8:9], s[8:9], 1
	v_mov_b32_e32 v40, 0
	s_wait_alu 0xfffe
	s_add_nc_u64 s[8:9], s[26:27], s[8:9]
	v_mad_co_u64_u32 v[10:11], null, s21, v39, v[10:11]
	s_mov_b32 s53, exec_lo
	v_lshlrev_b64_e32 v[9:10], 1, v[9:10]
	s_wait_alu 0xfffe
	s_delay_alu instid0(VALU_DEP_1) | instskip(SKIP_1) | instid1(VALU_DEP_2)
	v_add_co_u32 v9, s7, s8, v9
	s_wait_alu 0xf1ff
	v_add_co_ci_u32_e64 v10, null, s9, v10, s7
	global_load_u16 v9, v[9:10], off
	v_cmpx_gt_i32_e64 s37, v8
	s_cbranch_execz .LBB637_35
; %bb.30:                               ;   in Loop: Header=BB637_5 Depth=1
	v_mad_co_u64_u32 v[10:11], null, s20, v8, 0
	v_dual_mov_b32 v40, 0 :: v_dual_mov_b32 v41, 0
	s_mov_b32 s54, exec_lo
	s_delay_alu instid0(VALU_DEP_2) | instskip(NEXT) | instid1(VALU_DEP_1)
	v_mad_co_u64_u32 v[11:12], null, s21, v8, v[11:12]
	v_lshlrev_b64_e32 v[10:11], 1, v[10:11]
	s_delay_alu instid0(VALU_DEP_1) | instskip(SKIP_1) | instid1(VALU_DEP_2)
	v_add_co_u32 v10, s7, s8, v10
	s_wait_alu 0xf1ff
	v_add_co_ci_u32_e64 v11, null, s9, v11, s7
	global_load_u16 v10, v[10:11], off
	v_or_b32_e32 v11, 2, v39
	s_delay_alu instid0(VALU_DEP_1)
	v_cmpx_gt_i32_e64 s37, v11
	s_cbranch_execz .LBB637_34
; %bb.31:                               ;   in Loop: Header=BB637_5 Depth=1
	v_mad_co_u64_u32 v[12:13], null, s20, v11, 0
	v_mov_b32_e32 v40, 0
	s_mov_b32 s55, exec_lo
	s_delay_alu instid0(VALU_DEP_2) | instskip(NEXT) | instid1(VALU_DEP_1)
	v_mad_co_u64_u32 v[13:14], null, s21, v11, v[13:14]
	v_lshlrev_b64_e32 v[11:12], 1, v[12:13]
	s_delay_alu instid0(VALU_DEP_1) | instskip(SKIP_1) | instid1(VALU_DEP_2)
	v_add_co_u32 v11, s7, s8, v11
	s_wait_alu 0xf1ff
	v_add_co_ci_u32_e64 v12, null, s9, v12, s7
	global_load_u16 v11, v[11:12], off
	v_or_b32_e32 v12, 3, v39
	s_delay_alu instid0(VALU_DEP_1)
	v_cmpx_gt_i32_e64 s37, v12
	s_cbranch_execz .LBB637_33
; %bb.32:                               ;   in Loop: Header=BB637_5 Depth=1
	v_mad_co_u64_u32 v[13:14], null, s20, v12, 0
	s_delay_alu instid0(VALU_DEP_1) | instskip(NEXT) | instid1(VALU_DEP_1)
	v_mad_co_u64_u32 v[14:15], null, s21, v12, v[14:15]
	v_lshlrev_b64_e32 v[12:13], 1, v[13:14]
	s_delay_alu instid0(VALU_DEP_1) | instskip(SKIP_1) | instid1(VALU_DEP_2)
	v_add_co_u32 v12, s7, s8, v12
	s_wait_alu 0xf1ff
	v_add_co_ci_u32_e64 v13, null, s9, v13, s7
	global_load_u16 v12, v[12:13], off
	s_wait_loadcnt 0x0
	v_lshlrev_b32_e32 v40, 16, v12
.LBB637_33:                             ;   in Loop: Header=BB637_5 Depth=1
	s_wait_alu 0xfffe
	s_or_b32 exec_lo, exec_lo, s55
	s_wait_loadcnt 0x0
	v_lshlrev_b32_e32 v41, 16, v11
.LBB637_34:                             ;   in Loop: Header=BB637_5 Depth=1
	s_wait_alu 0xfffe
	s_or_b32 exec_lo, exec_lo, s54
	s_wait_loadcnt 0x0
	v_lshlrev_b32_e32 v42, 16, v10
.LBB637_35:                             ;   in Loop: Header=BB637_5 Depth=1
	s_or_b32 exec_lo, exec_lo, s53
	s_wait_loadcnt 0x0
	v_lshlrev_b32_e32 v43, 16, v9
.LBB637_36:                             ;   in Loop: Header=BB637_5 Depth=1
	s_wait_alu 0xfffe
	s_or_b32 exec_lo, exec_lo, s52
	s_and_saveexec_b32 s9, s1
	s_cbranch_execz .LBB637_44
; %bb.37:                               ;   in Loop: Header=BB637_5 Depth=1
	v_mad_co_u64_u32 v[9:10], null, s12, v39, 0
	v_mad_co_u64_u32 v[11:12], null, s12, v8, 0
	v_or_b32_e32 v48, 2, v39
	v_or_b32_e32 v49, 3, v39
	s_mul_u64 s[52:53], s[14:15], s[34:35]
	s_wait_alu 0xfffe
	s_lshl_b64 s[52:53], s[52:53], 1
	v_cmp_gt_i32_e64 s7, s37, v48
	s_delay_alu instid0(VALU_DEP_4) | instskip(SKIP_4) | instid1(VALU_DEP_2)
	v_mad_co_u64_u32 v[13:14], null, s13, v39, v[10:11]
	v_mad_co_u64_u32 v[14:15], null, s12, v48, 0
	;; [unrolled: 1-line block ×3, first 2 shown]
	s_wait_alu 0xfffe
	s_add_nc_u64 s[52:53], s[18:19], s[52:53]
	v_dual_cndmask_b32 v10, 0, v13 :: v_dual_mov_b32 v13, v15
	s_delay_alu instid0(VALU_DEP_2) | instskip(NEXT) | instid1(VALU_DEP_2)
	v_mov_b32_e32 v15, v45
	v_mad_co_u64_u32 v[46:47], null, s13, v8, v[12:13]
	v_cndmask_b32_e32 v9, 0, v9, vcc_lo
	v_cmp_gt_i32_e32 vcc_lo, s37, v8
	s_wait_alu 0xfffd
	s_delay_alu instid0(VALU_DEP_3) | instskip(NEXT) | instid1(VALU_DEP_3)
	v_dual_cndmask_b32 v11, 0, v11 :: v_dual_cndmask_b32 v12, 0, v46
	v_lshlrev_b64_e32 v[9:10], 1, v[9:10]
	s_wait_alu 0xfffe
	s_delay_alu instid0(VALU_DEP_1) | instskip(SKIP_1) | instid1(VALU_DEP_2)
	v_add_co_u32 v8, s8, s52, v9
	s_wait_alu 0xf1ff
	v_add_co_ci_u32_e64 v9, null, s53, v10, s8
	v_lshlrev_b64_e32 v[10:11], 1, v[11:12]
	s_delay_alu instid0(VALU_DEP_3) | instskip(SKIP_1) | instid1(VALU_DEP_3)
	v_add_co_u32 v8, vcc_lo, v8, v4
	s_wait_alu 0xfffd
	v_add_co_ci_u32_e64 v9, null, v9, v5, vcc_lo
	v_cmp_gt_i32_e32 vcc_lo, s37, v49
	v_cndmask_b32_e64 v12, 0, v14, s7
	s_wait_alu 0xfffd
	v_cndmask_b32_e32 v44, 0, v44, vcc_lo
	v_mad_co_u64_u32 v[47:48], null, s13, v48, v[13:14]
	v_mad_co_u64_u32 v[14:15], null, s13, v49, v[15:16]
	s_delay_alu instid0(VALU_DEP_2) | instskip(SKIP_1) | instid1(VALU_DEP_3)
	v_cndmask_b32_e64 v13, 0, v47, s7
	v_add_co_u32 v10, s7, s52, v10
	v_cndmask_b32_e32 v45, 0, v14, vcc_lo
	s_wait_alu 0xf1ff
	v_add_co_ci_u32_e64 v11, null, s53, v11, s7
	v_lshlrev_b64_e32 v[12:13], 1, v[12:13]
	v_add_co_u32 v10, vcc_lo, v10, v4
	v_lshlrev_b64_e32 v[14:15], 1, v[44:45]
	s_wait_alu 0xfffd
	v_add_co_ci_u32_e64 v11, null, v11, v5, vcc_lo
	s_delay_alu instid0(VALU_DEP_4)
	v_add_co_u32 v12, vcc_lo, s52, v12
	s_wait_alu 0xfffd
	v_add_co_ci_u32_e64 v13, null, s53, v13, vcc_lo
	v_add_co_u32 v14, vcc_lo, s52, v14
	s_wait_alu 0xfffd
	v_add_co_ci_u32_e64 v15, null, s53, v15, vcc_lo
	;; [unrolled: 3-line block ×4, first 2 shown]
	s_clause 0x3
	global_load_u16 v46, v[8:9], off
	global_load_u16 v45, v[10:11], off
	;; [unrolled: 1-line block ×4, first 2 shown]
	s_and_saveexec_b32 s7, s2
	s_cbranch_execz .LBB637_43
; %bb.38:                               ;   in Loop: Header=BB637_5 Depth=1
	s_clause 0x3
	global_load_u16 v50, v[8:9], off offset:64
	global_load_u16 v49, v[10:11], off offset:64
	global_load_u16 v48, v[12:13], off offset:64
	global_load_u16 v47, v[14:15], off offset:64
	s_and_saveexec_b32 s8, s3
	s_cbranch_execz .LBB637_42
; %bb.39:                               ;   in Loop: Header=BB637_5 Depth=1
	s_clause 0x3
	global_load_u16 v54, v[8:9], off offset:128
	global_load_u16 v53, v[10:11], off offset:128
	global_load_u16 v52, v[12:13], off offset:128
	global_load_u16 v51, v[14:15], off offset:128
	;; [unrolled: 8-line block ×3, first 2 shown]
	s_wait_loadcnt 0x3
	v_lshlrev_b32_e32 v8, 16, v8
	s_wait_loadcnt 0x2
	s_delay_alu instid0(VALU_DEP_1) | instskip(SKIP_3) | instid1(VALU_DEP_2)
	v_dual_fmac_f32 v38, v43, v8 :: v_dual_lshlrev_b32 v9, 16, v9
	s_wait_loadcnt 0x1
	v_lshlrev_b32_e32 v8, 16, v10
	s_wait_loadcnt 0x0
	v_dual_fmac_f32 v38, v42, v9 :: v_dual_lshlrev_b32 v9, 16, v11
	s_delay_alu instid0(VALU_DEP_1) | instskip(NEXT) | instid1(VALU_DEP_1)
	v_fmac_f32_e32 v38, v41, v8
	v_fmac_f32_e32 v38, v40, v9
.LBB637_41:                             ;   in Loop: Header=BB637_5 Depth=1
	s_wait_alu 0xfffe
	s_or_b32 exec_lo, exec_lo, s52
	s_wait_loadcnt 0x2
	v_lshlrev_b32_e32 v9, 16, v53
	v_lshlrev_b32_e32 v8, 16, v54
	s_delay_alu instid0(VALU_DEP_1) | instskip(SKIP_1) | instid1(VALU_DEP_1)
	v_fmac_f32_e32 v37, v43, v8
	s_wait_loadcnt 0x1
	v_dual_fmac_f32 v37, v42, v9 :: v_dual_lshlrev_b32 v8, 16, v52
	s_wait_loadcnt 0x0
	s_delay_alu instid0(VALU_DEP_1) | instskip(NEXT) | instid1(VALU_DEP_1)
	v_dual_fmac_f32 v37, v41, v8 :: v_dual_lshlrev_b32 v8, 16, v51
	v_fmac_f32_e32 v37, v40, v8
.LBB637_42:                             ;   in Loop: Header=BB637_5 Depth=1
	s_wait_alu 0xfffe
	s_or_b32 exec_lo, exec_lo, s8
	s_wait_loadcnt 0x3
	v_lshlrev_b32_e32 v8, 16, v50
	s_wait_loadcnt 0x2
	s_delay_alu instid0(VALU_DEP_1) | instskip(SKIP_2) | instid1(VALU_DEP_2)
	v_dual_fmac_f32 v36, v43, v8 :: v_dual_lshlrev_b32 v9, 16, v49
	s_wait_loadcnt 0x1
	v_lshlrev_b32_e32 v8, 16, v48
	v_fmac_f32_e32 v36, v42, v9
	s_delay_alu instid0(VALU_DEP_1) | instskip(SKIP_2) | instid1(VALU_DEP_1)
	v_fmac_f32_e32 v36, v41, v8
	s_wait_loadcnt 0x0
	v_lshlrev_b32_e32 v8, 16, v47
	v_fmac_f32_e32 v36, v40, v8
.LBB637_43:                             ;   in Loop: Header=BB637_5 Depth=1
	s_wait_alu 0xfffe
	s_or_b32 exec_lo, exec_lo, s7
	s_wait_loadcnt 0x2
	v_lshlrev_b32_e32 v9, 16, v45
	v_lshlrev_b32_e32 v8, 16, v46
	s_delay_alu instid0(VALU_DEP_1) | instskip(SKIP_1) | instid1(VALU_DEP_1)
	v_fmac_f32_e32 v35, v43, v8
	s_wait_loadcnt 0x1
	v_dual_fmac_f32 v35, v42, v9 :: v_dual_lshlrev_b32 v8, 16, v44
	s_wait_loadcnt 0x0
	s_delay_alu instid0(VALU_DEP_1) | instskip(NEXT) | instid1(VALU_DEP_1)
	v_dual_fmac_f32 v35, v41, v8 :: v_dual_lshlrev_b32 v8, 16, v39
	v_fmac_f32_e32 v35, v40, v8
.LBB637_44:                             ;   in Loop: Header=BB637_5 Depth=1
	s_wait_alu 0xfffe
	s_or_b32 exec_lo, exec_lo, s9
.LBB637_45:                             ;   in Loop: Header=BB637_5 Depth=1
	ds_store_2addr_b32 v17, v35, v36 offset1:32
	ds_store_2addr_b32 v17, v37, v38 offset0:64 offset1:96
	s_wait_dscnt 0x0
	s_barrier_signal -1
	s_barrier_wait -1
	global_inv scope:SCOPE_SE
                                        ; implicit-def: $vgpr10
	s_and_saveexec_b32 s7, s0
	s_cbranch_execz .LBB637_51
; %bb.46:                               ;   in Loop: Header=BB637_5 Depth=1
	ds_load_2addr_stride64_b32 v[8:9], v18 offset1:2
	ds_load_2addr_stride64_b32 v[10:11], v18 offset0:4 offset1:6
	ds_load_2addr_stride64_b32 v[12:13], v18 offset0:8 offset1:10
	s_mov_b32 s9, s51
	s_wait_dscnt 0x2
	v_add_f32_e32 v14, v8, v9
	ds_load_2addr_stride64_b32 v[8:9], v18 offset0:12 offset1:14
	s_wait_dscnt 0x2
	v_add_f32_e32 v10, v10, v14
	s_delay_alu instid0(VALU_DEP_1) | instskip(SKIP_3) | instid1(VALU_DEP_1)
	v_add_f32_e32 v14, v11, v10
	ds_load_2addr_stride64_b32 v[10:11], v18 offset0:16 offset1:18
	s_wait_dscnt 0x2
	v_add_f32_e32 v12, v12, v14
	v_add_f32_e32 v14, v13, v12
	ds_load_2addr_stride64_b32 v[12:13], v18 offset0:20 offset1:22
	s_wait_dscnt 0x2
	v_add_f32_e32 v8, v8, v14
	s_delay_alu instid0(VALU_DEP_1) | instskip(SKIP_1) | instid1(VALU_DEP_1)
	v_add_f32_e32 v8, v9, v8
	s_wait_dscnt 0x1
	v_add_f32_e32 v10, v10, v8
	ds_load_2addr_stride64_b32 v[8:9], v18 offset0:24 offset1:26
	v_add_f32_e32 v10, v11, v10
	s_wait_dscnt 0x1
	s_delay_alu instid0(VALU_DEP_1) | instskip(SKIP_3) | instid1(VALU_DEP_1)
	v_add_f32_e32 v12, v12, v10
	ds_load_2addr_stride64_b32 v[10:11], v18 offset0:28 offset1:30
	v_add_f32_e32 v12, v13, v12
	s_wait_dscnt 0x1
	v_add_f32_e32 v8, v8, v12
	s_delay_alu instid0(VALU_DEP_1) | instskip(SKIP_1) | instid1(VALU_DEP_1)
	v_add_f32_e32 v8, v9, v8
	s_wait_dscnt 0x0
	v_add_f32_e32 v8, v10, v8
                                        ; implicit-def: $vgpr10
	s_delay_alu instid0(VALU_DEP_1)
	v_add_f32_e32 v8, v11, v8
	ds_store_b32 v18, v8
	s_and_saveexec_b32 s8, s6
	s_cbranch_execz .LBB637_50
; %bb.47:                               ;   in Loop: Header=BB637_5 Depth=1
	v_mul_f32_e32 v10, s38, v8
	s_and_not1_b32 vcc_lo, exec_lo, s48
	s_wait_alu 0xfffe
	s_cbranch_vccnz .LBB637_49
; %bb.48:                               ;   in Loop: Header=BB637_5 Depth=1
	v_lshlrev_b64_e32 v[8:9], 2, v[2:3]
	s_delay_alu instid0(VALU_DEP_1) | instskip(SKIP_1) | instid1(VALU_DEP_2)
	v_add_co_u32 v8, vcc_lo, s44, v8
	s_wait_alu 0xfffd
	v_add_co_ci_u32_e64 v9, null, s45, v9, vcc_lo
	global_load_b32 v8, v[8:9], off
	s_wait_loadcnt 0x0
	v_fmac_f32_e32 v10, s39, v8
.LBB637_49:                             ;   in Loop: Header=BB637_5 Depth=1
	s_or_b32 s9, s51, exec_lo
.LBB637_50:                             ;   in Loop: Header=BB637_5 Depth=1
	s_wait_alu 0xfffe
	s_or_b32 exec_lo, exec_lo, s8
	s_delay_alu instid0(SALU_CYCLE_1)
	s_and_not1_b32 s8, s51, exec_lo
	s_and_b32 s9, s9, exec_lo
	s_wait_alu 0xfffe
	s_or_b32 s51, s8, s9
.LBB637_51:                             ;   in Loop: Header=BB637_5 Depth=1
	s_wait_alu 0xfffe
	s_or_b32 exec_lo, exec_lo, s7
	v_dual_mov_b32 v9, v3 :: v_dual_mov_b32 v8, v2
	s_and_saveexec_b32 s7, s51
	s_cbranch_execz .LBB637_3
.LBB637_52:                             ;   in Loop: Header=BB637_5 Depth=1
	s_delay_alu instid0(VALU_DEP_1) | instskip(SKIP_1) | instid1(VALU_DEP_1)
	v_lshlrev_b64_e32 v[8:9], 2, v[8:9]
	s_wait_alu 0xfffe
	v_add_co_u32 v8, vcc_lo, s44, v8
	s_wait_alu 0xfffd
	s_delay_alu instid0(VALU_DEP_2)
	v_add_co_ci_u32_e64 v9, null, s45, v9, vcc_lo
	global_store_b32 v[8:9], v10, off
	s_branch .LBB637_3
.LBB637_53:
	s_endpgm
	.section	.rodata,"a",@progbits
	.p2align	6, 0x0
	.amdhsa_kernel _ZL20rocblas_gemvn_kernelILi32ELi16El16rocblas_bfloat16ffEviiT3_lPKT2_lT1_lS4_lS5_lS1_lPT4_lS5_li
		.amdhsa_group_segment_fixed_size 8192
		.amdhsa_private_segment_fixed_size 0
		.amdhsa_kernarg_size 400
		.amdhsa_user_sgpr_count 2
		.amdhsa_user_sgpr_dispatch_ptr 0
		.amdhsa_user_sgpr_queue_ptr 0
		.amdhsa_user_sgpr_kernarg_segment_ptr 1
		.amdhsa_user_sgpr_dispatch_id 0
		.amdhsa_user_sgpr_private_segment_size 0
		.amdhsa_wavefront_size32 1
		.amdhsa_uses_dynamic_stack 0
		.amdhsa_enable_private_segment 0
		.amdhsa_system_sgpr_workgroup_id_x 1
		.amdhsa_system_sgpr_workgroup_id_y 0
		.amdhsa_system_sgpr_workgroup_id_z 1
		.amdhsa_system_sgpr_workgroup_info 0
		.amdhsa_system_vgpr_workitem_id 1
		.amdhsa_next_free_vgpr 72
		.amdhsa_next_free_sgpr 56
		.amdhsa_reserve_vcc 1
		.amdhsa_float_round_mode_32 0
		.amdhsa_float_round_mode_16_64 0
		.amdhsa_float_denorm_mode_32 3
		.amdhsa_float_denorm_mode_16_64 3
		.amdhsa_fp16_overflow 0
		.amdhsa_workgroup_processor_mode 1
		.amdhsa_memory_ordered 1
		.amdhsa_forward_progress 1
		.amdhsa_inst_pref_size 32
		.amdhsa_round_robin_scheduling 0
		.amdhsa_exception_fp_ieee_invalid_op 0
		.amdhsa_exception_fp_denorm_src 0
		.amdhsa_exception_fp_ieee_div_zero 0
		.amdhsa_exception_fp_ieee_overflow 0
		.amdhsa_exception_fp_ieee_underflow 0
		.amdhsa_exception_fp_ieee_inexact 0
		.amdhsa_exception_int_div_zero 0
	.end_amdhsa_kernel
	.section	.text._ZL20rocblas_gemvn_kernelILi32ELi16El16rocblas_bfloat16ffEviiT3_lPKT2_lT1_lS4_lS5_lS1_lPT4_lS5_li,"axG",@progbits,_ZL20rocblas_gemvn_kernelILi32ELi16El16rocblas_bfloat16ffEviiT3_lPKT2_lT1_lS4_lS5_lS1_lPT4_lS5_li,comdat
.Lfunc_end637:
	.size	_ZL20rocblas_gemvn_kernelILi32ELi16El16rocblas_bfloat16ffEviiT3_lPKT2_lT1_lS4_lS5_lS1_lPT4_lS5_li, .Lfunc_end637-_ZL20rocblas_gemvn_kernelILi32ELi16El16rocblas_bfloat16ffEviiT3_lPKT2_lT1_lS4_lS5_lS1_lPT4_lS5_li
                                        ; -- End function
	.set _ZL20rocblas_gemvn_kernelILi32ELi16El16rocblas_bfloat16ffEviiT3_lPKT2_lT1_lS4_lS5_lS1_lPT4_lS5_li.num_vgpr, 72
	.set _ZL20rocblas_gemvn_kernelILi32ELi16El16rocblas_bfloat16ffEviiT3_lPKT2_lT1_lS4_lS5_lS1_lPT4_lS5_li.num_agpr, 0
	.set _ZL20rocblas_gemvn_kernelILi32ELi16El16rocblas_bfloat16ffEviiT3_lPKT2_lT1_lS4_lS5_lS1_lPT4_lS5_li.numbered_sgpr, 56
	.set _ZL20rocblas_gemvn_kernelILi32ELi16El16rocblas_bfloat16ffEviiT3_lPKT2_lT1_lS4_lS5_lS1_lPT4_lS5_li.num_named_barrier, 0
	.set _ZL20rocblas_gemvn_kernelILi32ELi16El16rocblas_bfloat16ffEviiT3_lPKT2_lT1_lS4_lS5_lS1_lPT4_lS5_li.private_seg_size, 0
	.set _ZL20rocblas_gemvn_kernelILi32ELi16El16rocblas_bfloat16ffEviiT3_lPKT2_lT1_lS4_lS5_lS1_lPT4_lS5_li.uses_vcc, 1
	.set _ZL20rocblas_gemvn_kernelILi32ELi16El16rocblas_bfloat16ffEviiT3_lPKT2_lT1_lS4_lS5_lS1_lPT4_lS5_li.uses_flat_scratch, 0
	.set _ZL20rocblas_gemvn_kernelILi32ELi16El16rocblas_bfloat16ffEviiT3_lPKT2_lT1_lS4_lS5_lS1_lPT4_lS5_li.has_dyn_sized_stack, 0
	.set _ZL20rocblas_gemvn_kernelILi32ELi16El16rocblas_bfloat16ffEviiT3_lPKT2_lT1_lS4_lS5_lS1_lPT4_lS5_li.has_recursion, 0
	.set _ZL20rocblas_gemvn_kernelILi32ELi16El16rocblas_bfloat16ffEviiT3_lPKT2_lT1_lS4_lS5_lS1_lPT4_lS5_li.has_indirect_call, 0
	.section	.AMDGPU.csdata,"",@progbits
; Kernel info:
; codeLenInByte = 3980
; TotalNumSgprs: 58
; NumVgprs: 72
; ScratchSize: 0
; MemoryBound: 0
; FloatMode: 240
; IeeeMode: 1
; LDSByteSize: 8192 bytes/workgroup (compile time only)
; SGPRBlocks: 0
; VGPRBlocks: 8
; NumSGPRsForWavesPerEU: 58
; NumVGPRsForWavesPerEU: 72
; Occupancy: 16
; WaveLimiterHint : 1
; COMPUTE_PGM_RSRC2:SCRATCH_EN: 0
; COMPUTE_PGM_RSRC2:USER_SGPR: 2
; COMPUTE_PGM_RSRC2:TRAP_HANDLER: 0
; COMPUTE_PGM_RSRC2:TGID_X_EN: 1
; COMPUTE_PGM_RSRC2:TGID_Y_EN: 0
; COMPUTE_PGM_RSRC2:TGID_Z_EN: 1
; COMPUTE_PGM_RSRC2:TIDIG_COMP_CNT: 1
	.section	.text._ZL20rocblas_gemvn_kernelILi64ELi16Ei16rocblas_bfloat16PKffEviiT3_lPKT2_lT1_lS6_lS7_lS3_lPT4_lS7_li,"axG",@progbits,_ZL20rocblas_gemvn_kernelILi64ELi16Ei16rocblas_bfloat16PKffEviiT3_lPKT2_lT1_lS6_lS7_lS3_lPT4_lS7_li,comdat
	.globl	_ZL20rocblas_gemvn_kernelILi64ELi16Ei16rocblas_bfloat16PKffEviiT3_lPKT2_lT1_lS6_lS7_lS3_lPT4_lS7_li ; -- Begin function _ZL20rocblas_gemvn_kernelILi64ELi16Ei16rocblas_bfloat16PKffEviiT3_lPKT2_lT1_lS6_lS7_lS3_lPT4_lS7_li
	.p2align	8
	.type	_ZL20rocblas_gemvn_kernelILi64ELi16Ei16rocblas_bfloat16PKffEviiT3_lPKT2_lT1_lS6_lS7_lS3_lPT4_lS7_li,@function
_ZL20rocblas_gemvn_kernelILi64ELi16Ei16rocblas_bfloat16PKffEviiT3_lPKT2_lT1_lS6_lS7_lS3_lPT4_lS7_li: ; @_ZL20rocblas_gemvn_kernelILi64ELi16Ei16rocblas_bfloat16PKffEviiT3_lPKT2_lT1_lS6_lS7_lS3_lPT4_lS7_li
; %bb.0:
	s_load_b64 s[2:3], s[0:1], 0x9c
	s_wait_kmcnt 0x0
	s_lshr_b32 s4, s2, 16
	s_and_b32 s2, s2, 0xffff
	s_and_b32 s3, s3, 0xffff
	s_mul_i32 s2, s4, s2
	s_delay_alu instid0(SALU_CYCLE_1) | instskip(NEXT) | instid1(SALU_CYCLE_1)
	s_mul_i32 s2, s2, s3
	s_cmp_lg_u32 s2, 0x400
	s_cbranch_scc1 .LBB638_53
; %bb.1:
	s_load_b32 s31, s[0:1], 0x88
	s_lshr_b32 s34, ttmp7, 16
	s_wait_kmcnt 0x0
	s_cmp_ge_u32 s34, s31
	s_cbranch_scc1 .LBB638_53
; %bb.2:
	s_clause 0x3
	s_load_b96 s[4:6], s[0:1], 0x70
	s_load_b256 s[8:15], s[0:1], 0x8
	s_load_b96 s[28:30], s[0:1], 0x40
	s_load_b64 s[36:37], s[0:1], 0x0
	v_and_b32_e32 v9, 0x3ff, v0
	v_bfe_u32 v8, v0, 10, 10
	s_clause 0x2
	s_load_b32 s33, s[0:1], 0x28
	s_load_b128 s[24:27], s[0:1], 0x30
	s_load_b256 s[16:23], s[0:1], 0x50
	s_lshl_b32 s42, ttmp9, 8
	v_mov_b32_e32 v1, 0
	v_add_nc_u32_e32 v19, s42, v9
	v_lshl_add_u32 v5, v8, 6, v9
	v_lshlrev_b32_e32 v20, 2, v8
	s_load_b64 s[38:39], s[0:1], 0x80
	s_mov_b32 s35, 0
	v_add_nc_u32_e32 v7, 0x80, v19
	v_add_nc_u32_e32 v0, s42, v5
	v_or_b32_e32 v11, s42, v5
	v_add_nc_u32_e32 v6, 64, v19
	v_add_nc_u32_e32 v10, 0xc0, v19
	v_or_b32_e32 v12, 3, v20
	s_wait_kmcnt 0x0
	v_mad_co_u64_u32 v[2:3], null, s6, v0, 0
	s_lshl_b64 s[2:3], s[14:15], 1
	s_ashr_i32 s1, s6, 31
	s_ashr_i32 s7, s37, 31
	s_add_nc_u64 s[12:13], s[12:13], s[2:3]
	v_cmp_gt_i32_e64 s3, s36, v7
	v_mul_lo_u32 v7, s33, v20
	s_lshl_b64 s[4:5], s[4:5], 2
	s_wait_alu 0xfffe
	s_lshr_b32 s2, s7, 26
	v_mad_co_u64_u32 v[3:4], null, s1, v0, v[3:4]
	v_mul_lo_u32 v4, s6, v11
	v_cmp_gt_i32_e64 s6, s36, v11
	v_mul_lo_u32 v11, v8, s33
	s_add_co_i32 s43, s37, s2
	s_add_nc_u64 s[22:23], s[22:23], s[4:5]
	v_cmp_gt_i32_e64 s2, s36, v6
	v_cmp_gt_i32_e64 s4, s36, v10
	v_lshlrev_b32_e32 v6, 2, v9
	v_or_b32_e32 v10, 2, v20
	v_mul_lo_u32 v13, v8, s30
	s_lshl_b64 s[14:15], s[28:29], 1
	s_ashr_i32 s29, s36, 31
	s_mov_b32 s28, s36
	s_wait_alu 0xfffe
	s_and_not1_b32 s43, s43, 63
	s_add_nc_u64 s[14:15], s[26:27], s[14:15]
	v_cmp_gt_i64_e32 vcc_lo, s[28:29], v[0:1]
	v_lshl_add_u32 v0, v8, 10, v6
	v_lshl_add_u32 v21, v8, 8, v6
	v_add3_u32 v22, v7, s33, v9
	v_mad_co_u64_u32 v[6:7], null, s33, v10, v[9:10]
	s_mov_b32 s26, s30
	s_wait_alu 0xfffe
	s_sub_co_i32 s5, s37, s43
	v_mad_co_u64_u32 v[7:8], null, s33, v12, v[9:10]
	v_lshl_add_u32 v23, v11, 2, v9
	v_mad_co_u64_u32 v[8:9], null, s30, v20, s[26:27]
	v_mul_lo_u32 v24, s30, v10
	v_mul_lo_u32 v25, s30, v12
	s_cmp_gt_i32 s5, 0
	v_cmp_gt_u32_e64 s5, 0x100, v5
	v_lshlrev_b64_e32 v[9:10], 2, v[2:3]
	v_cmp_gt_i32_e64 s0, s36, v19
	v_cmp_gt_i32_e64 s1, s43, v20
	v_ashrrev_i32_e32 v5, 31, v4
	v_lshlrev_b32_e32 v26, 2, v13
	s_cselect_b32 s36, -1, 0
	s_and_b32 s44, s5, vcc_lo
	s_lshl_b32 s45, s33, 6
	s_lshl_b32 s46, s30, 6
	s_branch .LBB638_5
.LBB638_3:                              ;   in Loop: Header=BB638_5 Depth=1
	s_wait_alu 0xfffe
	s_or_b32 exec_lo, exec_lo, s7
.LBB638_4:                              ;   in Loop: Header=BB638_5 Depth=1
	s_add_co_i32 s34, s34, 0x10000
	s_delay_alu instid0(SALU_CYCLE_1)
	s_cmp_lt_u32 s34, s31
	s_cbranch_scc0 .LBB638_53
.LBB638_5:                              ; =>This Loop Header: Depth=1
                                        ;     Child Loop BB638_21 Depth 2
	s_mul_u64 s[26:27], s[10:11], s[34:35]
	s_mul_u64 s[28:29], s[20:21], s[34:35]
	s_wait_alu 0xfffe
	s_lshl_b64 s[26:27], s[26:27], 2
	s_lshl_b64 s[28:29], s[28:29], 2
	s_wait_alu 0xfffe
	s_add_nc_u64 s[26:27], s[8:9], s[26:27]
	s_add_nc_u64 s[28:29], s[18:19], s[28:29]
	s_clause 0x1
	global_load_b32 v27, v1, s[26:27]
	global_load_b32 v11, v1, s[28:29]
	s_wait_loadcnt 0x1
	v_cmp_eq_f32_e32 vcc_lo, 0, v27
	s_wait_loadcnt 0x0
	v_cmp_eq_f32_e64 s7, 1.0, v11
	v_readfirstlane_b32 s47, v11
	s_and_b32 s7, vcc_lo, s7
	s_wait_alu 0xfffe
	s_and_b32 vcc_lo, exec_lo, s7
	s_wait_alu 0xfffe
	s_cbranch_vccnz .LBB638_4
; %bb.6:                                ;   in Loop: Header=BB638_5 Depth=1
	v_cmp_neq_f32_e32 vcc_lo, 0, v27
	s_mul_u64 s[26:27], s[38:39], s[34:35]
	s_wait_alu 0xfffe
	s_lshl_b64 s[26:27], s[26:27], 2
	s_wait_alu 0xfffe
	s_add_nc_u64 s[26:27], s[22:23], s[26:27]
	s_cbranch_vccnz .LBB638_10
; %bb.7:                                ;   in Loop: Header=BB638_5 Depth=1
	s_mov_b32 s7, 0
	s_mov_b32 s48, 0
                                        ; implicit-def: $vgpr13
	s_and_saveexec_b32 s28, s44
	s_cbranch_execz .LBB638_11
; %bb.8:                                ;   in Loop: Header=BB638_5 Depth=1
	s_cmp_eq_f32 s47, 0
	s_cbranch_scc1 .LBB638_13
; %bb.9:                                ;   in Loop: Header=BB638_5 Depth=1
	s_wait_alu 0xfffe
	v_add_co_u32 v11, vcc_lo, s26, v9
	s_wait_alu 0xfffd
	v_add_co_ci_u32_e64 v12, null, s27, v10, vcc_lo
	global_load_b32 v11, v[11:12], off
	s_wait_loadcnt 0x0
	v_mul_f32_e32 v13, s47, v11
	s_branch .LBB638_14
.LBB638_10:                             ;   in Loop: Header=BB638_5 Depth=1
	s_mov_b32 s48, 0
                                        ; implicit-def: $vgpr13
	s_cbranch_execz .LBB638_12
	s_branch .LBB638_15
.LBB638_11:                             ;   in Loop: Header=BB638_5 Depth=1
	s_wait_alu 0xfffe
	s_or_b32 exec_lo, exec_lo, s28
	s_delay_alu instid0(SALU_CYCLE_1)
	s_and_b32 vcc_lo, exec_lo, s7
	s_wait_alu 0xfffe
	s_cbranch_vccnz .LBB638_15
.LBB638_12:                             ;   in Loop: Header=BB638_5 Depth=1
	v_dual_mov_b32 v12, v3 :: v_dual_mov_b32 v11, v2
	s_and_saveexec_b32 s7, s48
	s_cbranch_execz .LBB638_3
	s_branch .LBB638_52
.LBB638_13:                             ;   in Loop: Header=BB638_5 Depth=1
	v_mov_b32_e32 v13, 0
.LBB638_14:                             ;   in Loop: Header=BB638_5 Depth=1
	s_mov_b32 s48, exec_lo
	s_wait_alu 0xfffe
	s_or_b32 exec_lo, exec_lo, s28
	s_delay_alu instid0(SALU_CYCLE_1)
	s_and_b32 vcc_lo, exec_lo, s7
	s_wait_alu 0xfffe
	s_cbranch_vccz .LBB638_12
.LBB638_15:                             ;   in Loop: Header=BB638_5 Depth=1
	s_mul_u64 s[28:29], s[24:25], s[34:35]
	s_mul_u64 s[40:41], s[16:17], s[34:35]
	v_dual_mov_b32 v28, 0 :: v_dual_mov_b32 v29, 0
	v_dual_mov_b32 v32, v20 :: v_dual_mov_b32 v31, 0
	v_mov_b32_e32 v30, 0
	s_wait_alu 0xfffe
	s_lshl_b64 s[28:29], s[28:29], 1
	s_lshl_b64 s[40:41], s[40:41], 1
	s_wait_alu 0xfffe
	s_add_nc_u64 s[28:29], s[12:13], s[28:29]
	s_add_nc_u64 s[40:41], s[14:15], s[40:41]
	s_and_saveexec_b32 s7, s1
	s_cbranch_execz .LBB638_27
; %bb.16:                               ;   in Loop: Header=BB638_5 Depth=1
	v_dual_mov_b32 v28, 0 :: v_dual_mov_b32 v33, v23
	v_dual_mov_b32 v34, v7 :: v_dual_mov_b32 v35, v6
	;; [unrolled: 1-line block ×4, first 2 shown]
	v_mov_b32_e32 v30, 0
	s_mov_b32 s49, 0
	s_mov_b32 s50, 0
	s_branch .LBB638_21
.LBB638_17:                             ;   in Loop: Header=BB638_21 Depth=2
	s_or_b32 exec_lo, exec_lo, s54
	s_wait_loadcnt 0x3
	v_lshlrev_b32_e32 v11, 16, v52
	s_wait_loadcnt 0x2
	v_lshlrev_b32_e32 v12, 16, v51
	s_wait_loadcnt 0x1
	s_delay_alu instid0(VALU_DEP_2) | instskip(NEXT) | instid1(VALU_DEP_1)
	v_dual_fmac_f32 v30, v44, v11 :: v_dual_lshlrev_b32 v11, 16, v50
	v_fmac_f32_e32 v30, v40, v12
	s_wait_loadcnt 0x0
	s_delay_alu instid0(VALU_DEP_1) | instskip(NEXT) | instid1(VALU_DEP_1)
	v_dual_fmac_f32 v30, v42, v11 :: v_dual_lshlrev_b32 v11, 16, v49
	v_fmac_f32_e32 v30, v38, v11
.LBB638_18:                             ;   in Loop: Header=BB638_21 Depth=2
	s_or_b32 exec_lo, exec_lo, s53
	s_wait_loadcnt 0x3
	v_lshlrev_b32_e32 v11, 16, v48
	s_wait_loadcnt 0x2
	v_lshlrev_b32_e32 v12, 16, v47
	s_delay_alu instid0(VALU_DEP_2) | instskip(SKIP_2) | instid1(VALU_DEP_2)
	v_fmac_f32_e32 v29, v44, v11
	s_wait_loadcnt 0x1
	v_lshlrev_b32_e32 v11, 16, v46
	v_fmac_f32_e32 v29, v40, v12
	s_delay_alu instid0(VALU_DEP_1) | instskip(SKIP_2) | instid1(VALU_DEP_1)
	v_fmac_f32_e32 v29, v42, v11
	s_wait_loadcnt 0x0
	v_lshlrev_b32_e32 v11, 16, v45
	v_fmac_f32_e32 v29, v38, v11
.LBB638_19:                             ;   in Loop: Header=BB638_21 Depth=2
	s_or_b32 exec_lo, exec_lo, s52
	s_wait_loadcnt 0x2
	v_lshlrev_b32_e32 v12, 16, v41
	v_lshlrev_b32_e32 v11, 16, v43
	s_delay_alu instid0(VALU_DEP_1) | instskip(SKIP_1) | instid1(VALU_DEP_1)
	v_fmac_f32_e32 v28, v44, v11
	s_wait_loadcnt 0x1
	v_dual_fmac_f32 v28, v40, v12 :: v_dual_lshlrev_b32 v11, 16, v39
	s_wait_loadcnt 0x0
	s_delay_alu instid0(VALU_DEP_1) | instskip(NEXT) | instid1(VALU_DEP_1)
	v_dual_fmac_f32 v28, v42, v11 :: v_dual_lshlrev_b32 v11, 16, v37
	v_fmac_f32_e32 v28, v38, v11
.LBB638_20:                             ;   in Loop: Header=BB638_21 Depth=2
	s_wait_alu 0xfffe
	s_or_b32 exec_lo, exec_lo, s51
	v_add_nc_u32_e32 v32, 64, v32
	v_add_nc_u32_e32 v36, s45, v36
	;; [unrolled: 1-line block ×5, first 2 shown]
	v_cmp_le_i32_e32 vcc_lo, s43, v32
	s_add_co_i32 s50, s50, s46
	s_or_b32 s49, vcc_lo, s49
	s_delay_alu instid0(SALU_CYCLE_1)
	s_and_not1_b32 exec_lo, exec_lo, s49
	s_cbranch_execz .LBB638_26
.LBB638_21:                             ;   Parent Loop BB638_5 Depth=1
                                        ; =>  This Inner Loop Header: Depth=2
	s_and_saveexec_b32 s51, s0
	s_cbranch_execz .LBB638_20
; %bb.22:                               ;   in Loop: Header=BB638_21 Depth=2
	s_wait_alu 0xfffe
	v_add_nc_u32_e32 v11, s50, v26
	v_add_nc_u32_e32 v13, s50, v8
	;; [unrolled: 1-line block ×5, first 2 shown]
	v_ashrrev_i32_e32 v12, 31, v11
	v_ashrrev_i32_e32 v14, 31, v13
	;; [unrolled: 1-line block ×5, first 2 shown]
	v_lshlrev_b64_e32 v[11:12], 1, v[11:12]
	v_lshlrev_b64_e32 v[13:14], 1, v[13:14]
	;; [unrolled: 1-line block ×4, first 2 shown]
	v_add_nc_u32_e32 v39, s42, v36
	v_add_nc_u32_e32 v41, s42, v35
	v_add_co_u32 v11, vcc_lo, s40, v11
	s_wait_alu 0xfffd
	v_add_co_ci_u32_e64 v12, null, s41, v12, vcc_lo
	v_add_co_u32 v13, vcc_lo, s40, v13
	s_wait_alu 0xfffd
	v_add_co_ci_u32_e64 v14, null, s41, v14, vcc_lo
	;; [unrolled: 3-line block ×4, first 2 shown]
	v_lshlrev_b64_e32 v[37:38], 1, v[37:38]
	s_clause 0x3
	global_load_u16 v44, v[11:12], off
	global_load_u16 v45, v[13:14], off
	;; [unrolled: 1-line block ×4, first 2 shown]
	v_add_nc_u32_e32 v15, s42, v34
	v_ashrrev_i32_e32 v40, 31, v39
	v_ashrrev_i32_e32 v42, 31, v41
	v_add_co_u32 v11, vcc_lo, s28, v37
	s_delay_alu instid0(VALU_DEP_4) | instskip(NEXT) | instid1(VALU_DEP_4)
	v_ashrrev_i32_e32 v16, 31, v15
	v_lshlrev_b64_e32 v[13:14], 1, v[39:40]
	s_wait_alu 0xfffd
	v_add_co_ci_u32_e64 v12, null, s29, v38, vcc_lo
	v_lshlrev_b64_e32 v[37:38], 1, v[41:42]
	v_lshlrev_b64_e32 v[15:16], 1, v[15:16]
	s_delay_alu instid0(VALU_DEP_4) | instskip(SKIP_2) | instid1(VALU_DEP_4)
	v_add_co_u32 v17, vcc_lo, s28, v13
	s_wait_alu 0xfffd
	v_add_co_ci_u32_e64 v18, null, s29, v14, vcc_lo
	v_add_co_u32 v13, vcc_lo, s28, v37
	s_wait_alu 0xfffd
	v_add_co_ci_u32_e64 v14, null, s29, v38, vcc_lo
	;; [unrolled: 3-line block ×3, first 2 shown]
	s_clause 0x3
	global_load_u16 v43, v[11:12], off
	global_load_u16 v41, v[17:18], off
	;; [unrolled: 1-line block ×4, first 2 shown]
	s_wait_loadcnt 0x7
	v_lshlrev_b32_e32 v44, 16, v44
	s_wait_loadcnt 0x6
	v_lshlrev_b32_e32 v40, 16, v45
	;; [unrolled: 2-line block ×4, first 2 shown]
	s_and_saveexec_b32 s52, s2
	s_cbranch_execz .LBB638_19
; %bb.23:                               ;   in Loop: Header=BB638_21 Depth=2
	s_clause 0x3
	global_load_u16 v48, v[11:12], off offset:128
	global_load_u16 v47, v[17:18], off offset:128
	global_load_u16 v46, v[13:14], off offset:128
	global_load_u16 v45, v[15:16], off offset:128
	s_and_saveexec_b32 s53, s3
	s_cbranch_execz .LBB638_18
; %bb.24:                               ;   in Loop: Header=BB638_21 Depth=2
	s_clause 0x3
	global_load_u16 v52, v[11:12], off offset:256
	global_load_u16 v51, v[17:18], off offset:256
	global_load_u16 v50, v[13:14], off offset:256
	global_load_u16 v49, v[15:16], off offset:256
	s_and_saveexec_b32 s54, s4
	s_cbranch_execz .LBB638_17
; %bb.25:                               ;   in Loop: Header=BB638_21 Depth=2
	s_clause 0x3
	global_load_u16 v11, v[11:12], off offset:384
	global_load_u16 v12, v[17:18], off offset:384
	global_load_u16 v13, v[13:14], off offset:384
	global_load_u16 v14, v[15:16], off offset:384
	s_wait_loadcnt 0x3
	v_lshlrev_b32_e32 v11, 16, v11
	s_wait_loadcnt 0x2
	s_delay_alu instid0(VALU_DEP_1) | instskip(SKIP_3) | instid1(VALU_DEP_2)
	v_dual_fmac_f32 v31, v44, v11 :: v_dual_lshlrev_b32 v12, 16, v12
	s_wait_loadcnt 0x1
	v_lshlrev_b32_e32 v11, 16, v13
	s_wait_loadcnt 0x0
	v_dual_fmac_f32 v31, v40, v12 :: v_dual_lshlrev_b32 v12, 16, v14
	s_delay_alu instid0(VALU_DEP_1) | instskip(NEXT) | instid1(VALU_DEP_1)
	v_fmac_f32_e32 v31, v42, v11
	v_fmac_f32_e32 v31, v38, v12
	s_branch .LBB638_17
.LBB638_26:                             ;   in Loop: Header=BB638_5 Depth=1
	s_or_b32 exec_lo, exec_lo, s49
.LBB638_27:                             ;   in Loop: Header=BB638_5 Depth=1
	s_wait_alu 0xfffe
	s_or_b32 exec_lo, exec_lo, s7
	s_delay_alu instid0(SALU_CYCLE_1)
	s_and_not1_b32 vcc_lo, exec_lo, s36
	s_wait_alu 0xfffe
	s_cbranch_vccnz .LBB638_45
; %bb.28:                               ;   in Loop: Header=BB638_5 Depth=1
	v_cmp_gt_i32_e32 vcc_lo, s37, v32
	v_dual_mov_b32 v34, 0 :: v_dual_mov_b32 v33, 0
	v_or_b32_e32 v11, 1, v32
	v_dual_mov_b32 v36, 0 :: v_dual_mov_b32 v35, 0
	s_and_saveexec_b32 s49, vcc_lo
	s_cbranch_execz .LBB638_36
; %bb.29:                               ;   in Loop: Header=BB638_5 Depth=1
	v_mul_lo_u32 v12, v32, s30
	v_dual_mov_b32 v35, 0 :: v_dual_mov_b32 v34, 0
	v_mov_b32_e32 v33, 0
	s_mov_b32 s50, exec_lo
	s_delay_alu instid0(VALU_DEP_3) | instskip(NEXT) | instid1(VALU_DEP_1)
	v_ashrrev_i32_e32 v13, 31, v12
	v_lshlrev_b64_e32 v[12:13], 1, v[12:13]
	s_delay_alu instid0(VALU_DEP_1) | instskip(SKIP_1) | instid1(VALU_DEP_2)
	v_add_co_u32 v12, s7, s40, v12
	s_wait_alu 0xf1ff
	v_add_co_ci_u32_e64 v13, null, s41, v13, s7
	global_load_u16 v12, v[12:13], off
	v_cmpx_gt_i32_e64 s37, v11
	s_cbranch_execz .LBB638_35
; %bb.30:                               ;   in Loop: Header=BB638_5 Depth=1
	v_mul_lo_u32 v13, v11, s30
	v_dual_mov_b32 v33, 0 :: v_dual_mov_b32 v34, 0
	s_mov_b32 s51, exec_lo
	s_delay_alu instid0(VALU_DEP_2) | instskip(NEXT) | instid1(VALU_DEP_1)
	v_ashrrev_i32_e32 v14, 31, v13
	v_lshlrev_b64_e32 v[13:14], 1, v[13:14]
	s_delay_alu instid0(VALU_DEP_1) | instskip(SKIP_1) | instid1(VALU_DEP_2)
	v_add_co_u32 v13, s7, s40, v13
	s_wait_alu 0xf1ff
	v_add_co_ci_u32_e64 v14, null, s41, v14, s7
	global_load_u16 v13, v[13:14], off
	v_or_b32_e32 v14, 2, v32
	s_delay_alu instid0(VALU_DEP_1)
	v_cmpx_gt_i32_e64 s37, v14
	s_cbranch_execz .LBB638_34
; %bb.31:                               ;   in Loop: Header=BB638_5 Depth=1
	v_mul_lo_u32 v14, v14, s30
	v_mov_b32_e32 v33, 0
	s_mov_b32 s52, exec_lo
	s_delay_alu instid0(VALU_DEP_2) | instskip(NEXT) | instid1(VALU_DEP_1)
	v_ashrrev_i32_e32 v15, 31, v14
	v_lshlrev_b64_e32 v[14:15], 1, v[14:15]
	s_delay_alu instid0(VALU_DEP_1) | instskip(SKIP_1) | instid1(VALU_DEP_2)
	v_add_co_u32 v14, s7, s40, v14
	s_wait_alu 0xf1ff
	v_add_co_ci_u32_e64 v15, null, s41, v15, s7
	global_load_u16 v14, v[14:15], off
	v_or_b32_e32 v15, 3, v32
	s_delay_alu instid0(VALU_DEP_1)
	v_cmpx_gt_i32_e64 s37, v15
	s_cbranch_execz .LBB638_33
; %bb.32:                               ;   in Loop: Header=BB638_5 Depth=1
	v_mul_lo_u32 v15, v15, s30
	s_delay_alu instid0(VALU_DEP_1) | instskip(NEXT) | instid1(VALU_DEP_1)
	v_ashrrev_i32_e32 v16, 31, v15
	v_lshlrev_b64_e32 v[15:16], 1, v[15:16]
	s_delay_alu instid0(VALU_DEP_1) | instskip(SKIP_1) | instid1(VALU_DEP_2)
	v_add_co_u32 v15, s7, s40, v15
	s_wait_alu 0xf1ff
	v_add_co_ci_u32_e64 v16, null, s41, v16, s7
	global_load_u16 v15, v[15:16], off
	s_wait_loadcnt 0x0
	v_lshlrev_b32_e32 v33, 16, v15
.LBB638_33:                             ;   in Loop: Header=BB638_5 Depth=1
	s_or_b32 exec_lo, exec_lo, s52
	s_wait_loadcnt 0x0
	v_lshlrev_b32_e32 v34, 16, v14
.LBB638_34:                             ;   in Loop: Header=BB638_5 Depth=1
	s_wait_alu 0xfffe
	s_or_b32 exec_lo, exec_lo, s51
	s_wait_loadcnt 0x0
	v_lshlrev_b32_e32 v35, 16, v13
.LBB638_35:                             ;   in Loop: Header=BB638_5 Depth=1
	s_wait_alu 0xfffe
	s_or_b32 exec_lo, exec_lo, s50
	s_wait_loadcnt 0x0
	v_lshlrev_b32_e32 v36, 16, v12
.LBB638_36:                             ;   in Loop: Header=BB638_5 Depth=1
	s_or_b32 exec_lo, exec_lo, s49
	s_and_saveexec_b32 s7, s0
	s_cbranch_execz .LBB638_44
; %bb.37:                               ;   in Loop: Header=BB638_5 Depth=1
	v_mul_lo_u32 v13, v32, s33
	v_or_b32_e32 v12, 2, v32
	v_mul_lo_u32 v15, v11, s33
	v_or_b32_e32 v14, 3, v32
	s_delay_alu instid0(VALU_DEP_3) | instskip(NEXT) | instid1(VALU_DEP_2)
	v_mul_lo_u32 v16, v12, s33
	v_mul_lo_u32 v17, v14, s33
	v_cndmask_b32_e32 v13, 0, v13, vcc_lo
	v_cmp_gt_i32_e32 vcc_lo, s37, v11
	s_wait_alu 0xfffd
	v_cndmask_b32_e32 v15, 0, v15, vcc_lo
	v_cmp_gt_i32_e32 vcc_lo, s37, v12
	s_wait_alu 0xfffd
	;; [unrolled: 3-line block ×3, first 2 shown]
	v_dual_cndmask_b32 v14, 0, v17 :: v_dual_add_nc_u32 v11, v13, v19
	v_add_nc_u32_e32 v13, v15, v19
	v_add_nc_u32_e32 v15, v12, v19
	s_delay_alu instid0(VALU_DEP_3) | instskip(NEXT) | instid1(VALU_DEP_4)
	v_ashrrev_i32_e32 v12, 31, v11
	v_add_nc_u32_e32 v17, v14, v19
	s_delay_alu instid0(VALU_DEP_4) | instskip(NEXT) | instid1(VALU_DEP_4)
	v_ashrrev_i32_e32 v14, 31, v13
	v_ashrrev_i32_e32 v16, 31, v15
	s_delay_alu instid0(VALU_DEP_4) | instskip(NEXT) | instid1(VALU_DEP_4)
	v_lshlrev_b64_e32 v[11:12], 1, v[11:12]
	v_ashrrev_i32_e32 v18, 31, v17
	s_delay_alu instid0(VALU_DEP_4) | instskip(NEXT) | instid1(VALU_DEP_4)
	v_lshlrev_b64_e32 v[13:14], 1, v[13:14]
	v_lshlrev_b64_e32 v[37:38], 1, v[15:16]
	s_delay_alu instid0(VALU_DEP_4) | instskip(NEXT) | instid1(VALU_DEP_4)
	v_add_co_u32 v15, vcc_lo, s28, v11
	v_lshlrev_b64_e32 v[39:40], 1, v[17:18]
	s_wait_alu 0xfffd
	v_add_co_ci_u32_e64 v16, null, s29, v12, vcc_lo
	v_add_co_u32 v17, vcc_lo, s28, v13
	s_wait_alu 0xfffd
	v_add_co_ci_u32_e64 v18, null, s29, v14, vcc_lo
	v_add_co_u32 v11, vcc_lo, s28, v37
	;; [unrolled: 3-line block ×3, first 2 shown]
	s_wait_alu 0xfffd
	v_add_co_ci_u32_e64 v14, null, s29, v40, vcc_lo
	s_clause 0x3
	global_load_u16 v39, v[15:16], off
	global_load_u16 v38, v[17:18], off
	;; [unrolled: 1-line block ×4, first 2 shown]
	s_and_saveexec_b32 s28, s2
	s_cbranch_execz .LBB638_43
; %bb.38:                               ;   in Loop: Header=BB638_5 Depth=1
	s_clause 0x3
	global_load_u16 v43, v[15:16], off offset:128
	global_load_u16 v42, v[17:18], off offset:128
	global_load_u16 v41, v[11:12], off offset:128
	global_load_u16 v40, v[13:14], off offset:128
	s_and_saveexec_b32 s29, s3
	s_cbranch_execz .LBB638_42
; %bb.39:                               ;   in Loop: Header=BB638_5 Depth=1
	s_clause 0x3
	global_load_u16 v47, v[15:16], off offset:256
	global_load_u16 v46, v[17:18], off offset:256
	global_load_u16 v45, v[11:12], off offset:256
	global_load_u16 v44, v[13:14], off offset:256
	;; [unrolled: 8-line block ×3, first 2 shown]
	s_wait_loadcnt 0x3
	v_lshlrev_b32_e32 v13, 16, v15
	s_wait_loadcnt 0x2
	v_lshlrev_b32_e32 v14, 16, v16
	;; [unrolled: 2-line block ×3, first 2 shown]
	s_wait_loadcnt 0x0
	v_dual_fmac_f32 v31, v36, v13 :: v_dual_lshlrev_b32 v12, 16, v12
	s_delay_alu instid0(VALU_DEP_1) | instskip(NEXT) | instid1(VALU_DEP_1)
	v_fmac_f32_e32 v31, v35, v14
	v_fmac_f32_e32 v31, v34, v11
	s_delay_alu instid0(VALU_DEP_1)
	v_fmac_f32_e32 v31, v33, v12
.LBB638_41:                             ;   in Loop: Header=BB638_5 Depth=1
	s_wait_alu 0xfffe
	s_or_b32 exec_lo, exec_lo, s40
	s_wait_loadcnt 0x2
	v_lshlrev_b32_e32 v12, 16, v46
	v_lshlrev_b32_e32 v11, 16, v47
	s_wait_loadcnt 0x1
	s_delay_alu instid0(VALU_DEP_1) | instskip(NEXT) | instid1(VALU_DEP_1)
	v_dual_fmac_f32 v30, v36, v11 :: v_dual_lshlrev_b32 v11, 16, v45
	v_fmac_f32_e32 v30, v35, v12
	s_wait_loadcnt 0x0
	s_delay_alu instid0(VALU_DEP_1) | instskip(NEXT) | instid1(VALU_DEP_1)
	v_dual_fmac_f32 v30, v34, v11 :: v_dual_lshlrev_b32 v11, 16, v44
	v_fmac_f32_e32 v30, v33, v11
.LBB638_42:                             ;   in Loop: Header=BB638_5 Depth=1
	s_wait_alu 0xfffe
	s_or_b32 exec_lo, exec_lo, s29
	s_wait_loadcnt 0x3
	v_lshlrev_b32_e32 v11, 16, v43
	s_wait_loadcnt 0x2
	s_delay_alu instid0(VALU_DEP_1) | instskip(SKIP_2) | instid1(VALU_DEP_2)
	v_dual_fmac_f32 v29, v36, v11 :: v_dual_lshlrev_b32 v12, 16, v42
	s_wait_loadcnt 0x1
	v_lshlrev_b32_e32 v11, 16, v41
	v_fmac_f32_e32 v29, v35, v12
	s_delay_alu instid0(VALU_DEP_1) | instskip(SKIP_2) | instid1(VALU_DEP_1)
	v_fmac_f32_e32 v29, v34, v11
	s_wait_loadcnt 0x0
	v_lshlrev_b32_e32 v11, 16, v40
	v_fmac_f32_e32 v29, v33, v11
.LBB638_43:                             ;   in Loop: Header=BB638_5 Depth=1
	s_wait_alu 0xfffe
	s_or_b32 exec_lo, exec_lo, s28
	s_wait_loadcnt 0x2
	v_lshlrev_b32_e32 v12, 16, v38
	v_lshlrev_b32_e32 v11, 16, v39
	s_wait_loadcnt 0x1
	s_delay_alu instid0(VALU_DEP_1) | instskip(NEXT) | instid1(VALU_DEP_1)
	v_dual_fmac_f32 v28, v36, v11 :: v_dual_lshlrev_b32 v11, 16, v37
	v_fmac_f32_e32 v28, v35, v12
	s_wait_loadcnt 0x0
	s_delay_alu instid0(VALU_DEP_1) | instskip(NEXT) | instid1(VALU_DEP_1)
	v_dual_fmac_f32 v28, v34, v11 :: v_dual_lshlrev_b32 v11, 16, v32
	v_fmac_f32_e32 v28, v33, v11
.LBB638_44:                             ;   in Loop: Header=BB638_5 Depth=1
	s_wait_alu 0xfffe
	s_or_b32 exec_lo, exec_lo, s7
.LBB638_45:                             ;   in Loop: Header=BB638_5 Depth=1
	ds_store_2addr_stride64_b32 v0, v28, v29 offset1:1
	ds_store_2addr_stride64_b32 v0, v30, v31 offset0:2 offset1:3
	s_wait_dscnt 0x0
	s_barrier_signal -1
	s_barrier_wait -1
	global_inv scope:SCOPE_SE
                                        ; implicit-def: $vgpr13
	s_and_saveexec_b32 s7, s5
	s_cbranch_execz .LBB638_51
; %bb.46:                               ;   in Loop: Header=BB638_5 Depth=1
	ds_load_2addr_stride64_b32 v[11:12], v21 offset1:4
	ds_load_2addr_stride64_b32 v[13:14], v21 offset0:8 offset1:12
	ds_load_2addr_stride64_b32 v[15:16], v21 offset0:16 offset1:20
	s_mov_b32 s29, s48
	s_wait_dscnt 0x2
	v_add_f32_e32 v17, v11, v12
	ds_load_2addr_stride64_b32 v[11:12], v21 offset0:24 offset1:28
	s_wait_dscnt 0x2
	v_add_f32_e32 v13, v13, v17
	s_delay_alu instid0(VALU_DEP_1) | instskip(SKIP_3) | instid1(VALU_DEP_1)
	v_add_f32_e32 v17, v14, v13
	ds_load_2addr_stride64_b32 v[13:14], v21 offset0:32 offset1:36
	s_wait_dscnt 0x2
	v_add_f32_e32 v15, v15, v17
	v_add_f32_e32 v17, v16, v15
	ds_load_2addr_stride64_b32 v[15:16], v21 offset0:40 offset1:44
	s_wait_dscnt 0x2
	v_add_f32_e32 v11, v11, v17
	s_delay_alu instid0(VALU_DEP_1) | instskip(SKIP_1) | instid1(VALU_DEP_1)
	v_add_f32_e32 v11, v12, v11
	s_wait_dscnt 0x1
	v_add_f32_e32 v13, v13, v11
	ds_load_2addr_stride64_b32 v[11:12], v21 offset0:48 offset1:52
	v_add_f32_e32 v13, v14, v13
	s_wait_dscnt 0x1
	s_delay_alu instid0(VALU_DEP_1) | instskip(SKIP_3) | instid1(VALU_DEP_1)
	v_add_f32_e32 v15, v15, v13
	ds_load_2addr_stride64_b32 v[13:14], v21 offset0:56 offset1:60
	v_add_f32_e32 v15, v16, v15
	s_wait_dscnt 0x1
	v_add_f32_e32 v11, v11, v15
	s_delay_alu instid0(VALU_DEP_1) | instskip(SKIP_1) | instid1(VALU_DEP_1)
	v_add_f32_e32 v11, v12, v11
	s_wait_dscnt 0x0
	v_add_f32_e32 v11, v13, v11
                                        ; implicit-def: $vgpr13
	s_delay_alu instid0(VALU_DEP_1)
	v_add_f32_e32 v11, v14, v11
	ds_store_b32 v21, v11
	s_and_saveexec_b32 s28, s6
	s_cbranch_execz .LBB638_50
; %bb.47:                               ;   in Loop: Header=BB638_5 Depth=1
	v_mul_f32_e32 v13, v27, v11
	s_cmp_eq_f32 s47, 0
	s_cbranch_scc1 .LBB638_49
; %bb.48:                               ;   in Loop: Header=BB638_5 Depth=1
	v_lshlrev_b64_e32 v[11:12], 2, v[4:5]
	s_delay_alu instid0(VALU_DEP_1) | instskip(SKIP_1) | instid1(VALU_DEP_2)
	v_add_co_u32 v11, vcc_lo, s26, v11
	s_wait_alu 0xfffd
	v_add_co_ci_u32_e64 v12, null, s27, v12, vcc_lo
	global_load_b32 v11, v[11:12], off
	s_wait_loadcnt 0x0
	v_fmac_f32_e32 v13, s47, v11
.LBB638_49:                             ;   in Loop: Header=BB638_5 Depth=1
	s_or_b32 s29, s48, exec_lo
.LBB638_50:                             ;   in Loop: Header=BB638_5 Depth=1
	s_wait_alu 0xfffe
	s_or_b32 exec_lo, exec_lo, s28
	s_delay_alu instid0(SALU_CYCLE_1)
	s_and_not1_b32 s28, s48, exec_lo
	s_and_b32 s29, s29, exec_lo
	s_wait_alu 0xfffe
	s_or_b32 s48, s28, s29
.LBB638_51:                             ;   in Loop: Header=BB638_5 Depth=1
	s_wait_alu 0xfffe
	s_or_b32 exec_lo, exec_lo, s7
	v_dual_mov_b32 v12, v5 :: v_dual_mov_b32 v11, v4
	s_and_saveexec_b32 s7, s48
	s_cbranch_execz .LBB638_3
.LBB638_52:                             ;   in Loop: Header=BB638_5 Depth=1
	s_delay_alu instid0(VALU_DEP_1) | instskip(SKIP_1) | instid1(VALU_DEP_1)
	v_lshlrev_b64_e32 v[11:12], 2, v[11:12]
	s_wait_alu 0xfffe
	v_add_co_u32 v11, vcc_lo, s26, v11
	s_wait_alu 0xfffd
	s_delay_alu instid0(VALU_DEP_2)
	v_add_co_ci_u32_e64 v12, null, s27, v12, vcc_lo
	global_store_b32 v[11:12], v13, off
	s_branch .LBB638_3
.LBB638_53:
	s_endpgm
	.section	.rodata,"a",@progbits
	.p2align	6, 0x0
	.amdhsa_kernel _ZL20rocblas_gemvn_kernelILi64ELi16Ei16rocblas_bfloat16PKffEviiT3_lPKT2_lT1_lS6_lS7_lS3_lPT4_lS7_li
		.amdhsa_group_segment_fixed_size 16384
		.amdhsa_private_segment_fixed_size 0
		.amdhsa_kernarg_size 400
		.amdhsa_user_sgpr_count 2
		.amdhsa_user_sgpr_dispatch_ptr 0
		.amdhsa_user_sgpr_queue_ptr 0
		.amdhsa_user_sgpr_kernarg_segment_ptr 1
		.amdhsa_user_sgpr_dispatch_id 0
		.amdhsa_user_sgpr_private_segment_size 0
		.amdhsa_wavefront_size32 1
		.amdhsa_uses_dynamic_stack 0
		.amdhsa_enable_private_segment 0
		.amdhsa_system_sgpr_workgroup_id_x 1
		.amdhsa_system_sgpr_workgroup_id_y 0
		.amdhsa_system_sgpr_workgroup_id_z 1
		.amdhsa_system_sgpr_workgroup_info 0
		.amdhsa_system_vgpr_workitem_id 1
		.amdhsa_next_free_vgpr 53
		.amdhsa_next_free_sgpr 55
		.amdhsa_reserve_vcc 1
		.amdhsa_float_round_mode_32 0
		.amdhsa_float_round_mode_16_64 0
		.amdhsa_float_denorm_mode_32 3
		.amdhsa_float_denorm_mode_16_64 3
		.amdhsa_fp16_overflow 0
		.amdhsa_workgroup_processor_mode 1
		.amdhsa_memory_ordered 1
		.amdhsa_forward_progress 1
		.amdhsa_inst_pref_size 27
		.amdhsa_round_robin_scheduling 0
		.amdhsa_exception_fp_ieee_invalid_op 0
		.amdhsa_exception_fp_denorm_src 0
		.amdhsa_exception_fp_ieee_div_zero 0
		.amdhsa_exception_fp_ieee_overflow 0
		.amdhsa_exception_fp_ieee_underflow 0
		.amdhsa_exception_fp_ieee_inexact 0
		.amdhsa_exception_int_div_zero 0
	.end_amdhsa_kernel
	.section	.text._ZL20rocblas_gemvn_kernelILi64ELi16Ei16rocblas_bfloat16PKffEviiT3_lPKT2_lT1_lS6_lS7_lS3_lPT4_lS7_li,"axG",@progbits,_ZL20rocblas_gemvn_kernelILi64ELi16Ei16rocblas_bfloat16PKffEviiT3_lPKT2_lT1_lS6_lS7_lS3_lPT4_lS7_li,comdat
.Lfunc_end638:
	.size	_ZL20rocblas_gemvn_kernelILi64ELi16Ei16rocblas_bfloat16PKffEviiT3_lPKT2_lT1_lS6_lS7_lS3_lPT4_lS7_li, .Lfunc_end638-_ZL20rocblas_gemvn_kernelILi64ELi16Ei16rocblas_bfloat16PKffEviiT3_lPKT2_lT1_lS6_lS7_lS3_lPT4_lS7_li
                                        ; -- End function
	.set _ZL20rocblas_gemvn_kernelILi64ELi16Ei16rocblas_bfloat16PKffEviiT3_lPKT2_lT1_lS6_lS7_lS3_lPT4_lS7_li.num_vgpr, 53
	.set _ZL20rocblas_gemvn_kernelILi64ELi16Ei16rocblas_bfloat16PKffEviiT3_lPKT2_lT1_lS6_lS7_lS3_lPT4_lS7_li.num_agpr, 0
	.set _ZL20rocblas_gemvn_kernelILi64ELi16Ei16rocblas_bfloat16PKffEviiT3_lPKT2_lT1_lS6_lS7_lS3_lPT4_lS7_li.numbered_sgpr, 55
	.set _ZL20rocblas_gemvn_kernelILi64ELi16Ei16rocblas_bfloat16PKffEviiT3_lPKT2_lT1_lS6_lS7_lS3_lPT4_lS7_li.num_named_barrier, 0
	.set _ZL20rocblas_gemvn_kernelILi64ELi16Ei16rocblas_bfloat16PKffEviiT3_lPKT2_lT1_lS6_lS7_lS3_lPT4_lS7_li.private_seg_size, 0
	.set _ZL20rocblas_gemvn_kernelILi64ELi16Ei16rocblas_bfloat16PKffEviiT3_lPKT2_lT1_lS6_lS7_lS3_lPT4_lS7_li.uses_vcc, 1
	.set _ZL20rocblas_gemvn_kernelILi64ELi16Ei16rocblas_bfloat16PKffEviiT3_lPKT2_lT1_lS6_lS7_lS3_lPT4_lS7_li.uses_flat_scratch, 0
	.set _ZL20rocblas_gemvn_kernelILi64ELi16Ei16rocblas_bfloat16PKffEviiT3_lPKT2_lT1_lS6_lS7_lS3_lPT4_lS7_li.has_dyn_sized_stack, 0
	.set _ZL20rocblas_gemvn_kernelILi64ELi16Ei16rocblas_bfloat16PKffEviiT3_lPKT2_lT1_lS6_lS7_lS3_lPT4_lS7_li.has_recursion, 0
	.set _ZL20rocblas_gemvn_kernelILi64ELi16Ei16rocblas_bfloat16PKffEviiT3_lPKT2_lT1_lS6_lS7_lS3_lPT4_lS7_li.has_indirect_call, 0
	.section	.AMDGPU.csdata,"",@progbits
; Kernel info:
; codeLenInByte = 3404
; TotalNumSgprs: 57
; NumVgprs: 53
; ScratchSize: 0
; MemoryBound: 0
; FloatMode: 240
; IeeeMode: 1
; LDSByteSize: 16384 bytes/workgroup (compile time only)
; SGPRBlocks: 0
; VGPRBlocks: 6
; NumSGPRsForWavesPerEU: 57
; NumVGPRsForWavesPerEU: 53
; Occupancy: 16
; WaveLimiterHint : 1
; COMPUTE_PGM_RSRC2:SCRATCH_EN: 0
; COMPUTE_PGM_RSRC2:USER_SGPR: 2
; COMPUTE_PGM_RSRC2:TRAP_HANDLER: 0
; COMPUTE_PGM_RSRC2:TGID_X_EN: 1
; COMPUTE_PGM_RSRC2:TGID_Y_EN: 0
; COMPUTE_PGM_RSRC2:TGID_Z_EN: 1
; COMPUTE_PGM_RSRC2:TIDIG_COMP_CNT: 1
	.section	.text._ZL20rocblas_gemvn_kernelILi64ELi16El16rocblas_bfloat16PKffEviiT3_lPKT2_lT1_lS6_lS7_lS3_lPT4_lS7_li,"axG",@progbits,_ZL20rocblas_gemvn_kernelILi64ELi16El16rocblas_bfloat16PKffEviiT3_lPKT2_lT1_lS6_lS7_lS3_lPT4_lS7_li,comdat
	.globl	_ZL20rocblas_gemvn_kernelILi64ELi16El16rocblas_bfloat16PKffEviiT3_lPKT2_lT1_lS6_lS7_lS3_lPT4_lS7_li ; -- Begin function _ZL20rocblas_gemvn_kernelILi64ELi16El16rocblas_bfloat16PKffEviiT3_lPKT2_lT1_lS6_lS7_lS3_lPT4_lS7_li
	.p2align	8
	.type	_ZL20rocblas_gemvn_kernelILi64ELi16El16rocblas_bfloat16PKffEviiT3_lPKT2_lT1_lS6_lS7_lS3_lPT4_lS7_li,@function
_ZL20rocblas_gemvn_kernelILi64ELi16El16rocblas_bfloat16PKffEviiT3_lPKT2_lT1_lS6_lS7_lS3_lPT4_lS7_li: ; @_ZL20rocblas_gemvn_kernelILi64ELi16El16rocblas_bfloat16PKffEviiT3_lPKT2_lT1_lS6_lS7_lS3_lPT4_lS7_li
; %bb.0:
	s_load_b64 s[2:3], s[0:1], 0x9c
	s_wait_kmcnt 0x0
	s_lshr_b32 s4, s2, 16
	s_and_b32 s2, s2, 0xffff
	s_and_b32 s3, s3, 0xffff
	s_mul_i32 s2, s4, s2
	s_delay_alu instid0(SALU_CYCLE_1) | instskip(NEXT) | instid1(SALU_CYCLE_1)
	s_mul_i32 s2, s2, s3
	s_cmp_lg_u32 s2, 0x400
	s_cbranch_scc1 .LBB639_53
; %bb.1:
	s_load_b32 s33, s[0:1], 0x88
	s_lshr_b32 s10, ttmp7, 16
	s_wait_kmcnt 0x0
	s_cmp_ge_u32 s10, s33
	s_cbranch_scc1 .LBB639_53
; %bb.2:
	s_clause 0x2
	s_load_b512 s[12:27], s[0:1], 0x8
	s_load_b512 s[36:51], s[0:1], 0x48
	s_load_b64 s[8:9], s[0:1], 0x0
	v_and_b32_e32 v5, 0x3ff, v0
	v_bfe_u32 v17, v0, 10, 10
	s_lshl_b32 s34, ttmp9, 8
	s_mov_b32 s11, 0
	s_delay_alu instid0(VALU_DEP_2) | instskip(NEXT) | instid1(VALU_DEP_2)
	v_dual_mov_b32 v1, 0 :: v_dual_add_nc_u32 v6, s34, v5
	v_lshlrev_b32_e32 v18, 2, v17
	v_lshl_add_u32 v10, v17, 6, v5
	s_delay_alu instid0(VALU_DEP_3) | instskip(SKIP_1) | instid1(VALU_DEP_4)
	v_add_nc_u32_e32 v8, 0x80, v6
	v_add_nc_u32_e32 v9, 0xc0, v6
	v_or_b32_e32 v20, 3, v18
	s_delay_alu instid0(VALU_DEP_4)
	v_add_nc_u32_e32 v0, s34, v10
	v_or_b32_e32 v21, s34, v10
	v_ashrrev_i32_e32 v7, 31, v6
	s_wait_kmcnt 0x0
	s_lshl_b64 s[4:5], s[18:19], 1
	s_lshl_b64 s[18:19], s[26:27], 1
	s_ashr_i32 s28, s9, 31
	s_add_nc_u64 s[16:17], s[16:17], s[4:5]
	s_lshr_b32 s4, s28, 26
	s_lshl_b64 s[6:7], s[46:47], 2
	s_add_co_i32 s52, s9, s4
	s_ashr_i32 s31, s8, 31
	s_and_not1_b32 s52, s52, 63
	v_cmp_gt_i32_e64 s2, s8, v8
	s_sub_co_i32 s5, s9, s52
	v_cmp_gt_i32_e64 s3, s8, v9
	s_cmp_gt_i32 s5, 0
	v_mad_co_u64_u32 v[8:9], null, s36, v17, 0
	v_cmp_gt_u32_e64 s5, 0x100, v10
	v_mad_co_u64_u32 v[10:11], null, s20, v20, 0
	s_mov_b32 s30, s8
	s_add_nc_u64 s[28:29], s[44:45], s[6:7]
	s_cselect_b32 s53, -1, 0
	v_mul_lo_u32 v22, s49, v21
	s_ashr_i32 s6, s34, 31
	v_cmp_gt_i32_e64 s0, s8, v6
	v_mad_co_u64_u32 v[12:13], null, s37, v17, v[9:10]
	v_mov_b32_e32 v9, v11
	v_mad_co_u64_u32 v[13:14], null, s36, v20, 0
	v_or_b32_e32 v24, 2, v18
	s_mul_i32 s7, s48, s6
	s_delay_alu instid0(VALU_DEP_3)
	v_mad_co_u64_u32 v[15:16], null, s21, v20, v[9:10]
	v_mov_b32_e32 v9, v12
	v_mad_co_u64_u32 v[2:3], null, s48, v0, 0
	v_add_nc_u32_e32 v4, 64, v6
	v_mov_b32_e32 v12, v14
	v_cmp_gt_i64_e32 vcc_lo, s[30:31], v[0:1]
	v_lshlrev_b64_e32 v[8:9], 3, v[8:9]
	v_mov_b32_e32 v11, v15
	v_cmp_gt_i32_e64 s1, s8, v4
	v_mad_co_u64_u32 v[3:4], null, s49, v0, v[3:4]
	v_lshlrev_b32_e32 v4, 2, v5
	v_mad_co_u64_u32 v[14:15], null, s37, v20, v[12:13]
	v_mad_co_u64_u32 v[15:16], null, s20, v17, 0
	s_delay_alu instid0(VALU_DEP_3)
	v_lshl_add_u32 v0, v17, 10, v4
	v_lshl_add_u32 v19, v17, 8, v4
	v_mad_co_u64_u32 v[4:5], null, s48, v21, 0
	s_and_b32 s54, s5, vcc_lo
	v_add_co_u32 v20, vcc_lo, s24, v8
	v_cmp_gt_i32_e64 s6, s8, v21
	v_add_co_ci_u32_e64 v21, null, s25, v9, vcc_lo
	v_lshlrev_b64_e32 v[8:9], 1, v[10:11]
	v_mad_co_u64_u32 v[11:12], null, s20, v24, 0
	v_mov_b32_e32 v10, v16
	v_add3_u32 v5, v5, s7, v22
	v_mad_co_u64_u32 v[28:29], null, s36, v24, 0
	v_add_co_u32 v22, vcc_lo, s16, v8
	s_delay_alu instid0(VALU_DEP_4)
	v_mad_co_u64_u32 v[16:17], null, s21, v17, v[10:11]
	s_wait_alu 0xfffd
	v_add_co_ci_u32_e64 v23, null, s17, v9, vcc_lo
	v_lshlrev_b64_e32 v[9:10], 1, v[13:14]
	v_mov_b32_e32 v8, v12
	v_mov_b32_e32 v12, v29
	v_mad_co_u64_u32 v[30:31], null, s36, v18, s[36:37]
	v_mad_co_u64_u32 v[32:33], null, s20, v18, s[20:21]
	s_delay_alu instid0(VALU_DEP_4)
	v_mad_co_u64_u32 v[13:14], null, s21, v24, v[8:9]
	v_lshlrev_b64_e32 v[6:7], 1, v[6:7]
	v_cmp_gt_i32_e64 s4, s52, v18
	v_mov_b32_e32 v8, v31
	s_add_nc_u64 s[26:27], s[24:25], s[18:19]
	s_lshl_b64 s[30:31], s[38:39], 1
	s_lshl_b64 s[34:35], s[22:23], 1
	v_mad_co_u64_u32 v[26:27], null, s37, v24, v[12:13]
	v_add_co_u32 v24, vcc_lo, s24, v9
	s_wait_alu 0xfffd
	v_add_co_ci_u32_e64 v25, null, s25, v10, vcc_lo
	v_lshlrev_b64_e32 v[9:10], 3, v[15:16]
	s_delay_alu instid0(VALU_DEP_4) | instskip(SKIP_1) | instid1(VALU_DEP_2)
	v_dual_mov_b32 v12, v13 :: v_dual_mov_b32 v29, v26
	s_lshl_b64 s[44:45], s[20:21], 7
	v_add_co_u32 v26, vcc_lo, s16, v9
	v_mad_co_u64_u32 v[13:14], null, s37, v18, v[8:9]
	s_wait_alu 0xfffd
	v_add_co_ci_u32_e64 v27, null, s17, v10, vcc_lo
	v_lshlrev_b64_e32 v[9:10], 1, v[11:12]
	v_mov_b32_e32 v8, v33
	v_lshlrev_b64_e32 v[14:15], 1, v[28:29]
	v_mov_b32_e32 v31, v13
	s_delay_alu instid0(VALU_DEP_3) | instskip(SKIP_1) | instid1(VALU_DEP_3)
	v_mad_co_u64_u32 v[11:12], null, s21, v18, v[8:9]
	v_add_co_u32 v28, vcc_lo, s16, v9
	v_lshlrev_b64_e32 v[8:9], 1, v[30:31]
	s_wait_alu 0xfffd
	v_add_co_ci_u32_e64 v29, null, s17, v10, vcc_lo
	v_add_co_u32 v30, vcc_lo, s24, v14
	v_mov_b32_e32 v33, v11
	s_wait_alu 0xfffd
	v_add_co_ci_u32_e64 v31, null, s25, v15, vcc_lo
	s_delay_alu instid0(VALU_DEP_2) | instskip(SKIP_4) | instid1(VALU_DEP_4)
	v_lshlrev_b64_e32 v[10:11], 1, v[32:33]
	v_add_co_u32 v32, vcc_lo, s24, v8
	s_wait_alu 0xfffd
	v_add_co_ci_u32_e64 v33, null, s25, v9, vcc_lo
	v_lshlrev_b64_e32 v[8:9], 2, v[2:3]
	v_add_co_u32 v34, vcc_lo, s16, v10
	s_wait_alu 0xfffd
	v_add_co_ci_u32_e64 v35, null, s17, v11, vcc_lo
	s_lshl_b64 s[24:25], s[36:37], 7
	s_branch .LBB639_5
.LBB639_3:                              ;   in Loop: Header=BB639_5 Depth=1
	s_wait_alu 0xfffe
	s_or_b32 exec_lo, exec_lo, s7
.LBB639_4:                              ;   in Loop: Header=BB639_5 Depth=1
	s_add_co_i32 s10, s10, 0x10000
	s_delay_alu instid0(SALU_CYCLE_1)
	s_cmp_lt_u32 s10, s33
	s_cbranch_scc0 .LBB639_53
.LBB639_5:                              ; =>This Loop Header: Depth=1
                                        ;     Child Loop BB639_21 Depth 2
	s_mul_u64 s[46:47], s[14:15], s[10:11]
	s_mul_u64 s[48:49], s[42:43], s[10:11]
	s_wait_alu 0xfffe
	s_lshl_b64 s[46:47], s[46:47], 2
	s_lshl_b64 s[48:49], s[48:49], 2
	s_wait_alu 0xfffe
	s_add_nc_u64 s[46:47], s[12:13], s[46:47]
	s_add_nc_u64 s[48:49], s[40:41], s[48:49]
	s_clause 0x1
	global_load_b32 v36, v1, s[46:47]
	global_load_b32 v10, v1, s[48:49]
	s_wait_loadcnt 0x1
	v_cmp_eq_f32_e32 vcc_lo, 0, v36
	s_wait_loadcnt 0x0
	v_cmp_eq_f32_e64 s7, 1.0, v10
	v_readfirstlane_b32 s55, v10
	s_and_b32 s7, vcc_lo, s7
	s_wait_alu 0xfffe
	s_and_b32 vcc_lo, exec_lo, s7
	s_wait_alu 0xfffe
	s_cbranch_vccnz .LBB639_4
; %bb.6:                                ;   in Loop: Header=BB639_5 Depth=1
	v_cmp_neq_f32_e32 vcc_lo, 0, v36
	s_mul_u64 s[46:47], s[50:51], s[10:11]
	s_wait_alu 0xfffe
	s_lshl_b64 s[46:47], s[46:47], 2
	s_wait_alu 0xfffe
	s_add_nc_u64 s[46:47], s[28:29], s[46:47]
	s_cbranch_vccnz .LBB639_10
; %bb.7:                                ;   in Loop: Header=BB639_5 Depth=1
	s_mov_b32 s7, 0
	s_mov_b32 s56, 0
                                        ; implicit-def: $vgpr12
	s_and_saveexec_b32 s8, s54
	s_cbranch_execz .LBB639_11
; %bb.8:                                ;   in Loop: Header=BB639_5 Depth=1
	s_cmp_eq_f32 s55, 0
	s_cbranch_scc1 .LBB639_13
; %bb.9:                                ;   in Loop: Header=BB639_5 Depth=1
	s_wait_alu 0xfffe
	v_add_co_u32 v10, vcc_lo, s46, v8
	s_wait_alu 0xfffd
	v_add_co_ci_u32_e64 v11, null, s47, v9, vcc_lo
	global_load_b32 v10, v[10:11], off
	s_wait_loadcnt 0x0
	v_mul_f32_e32 v12, s55, v10
	s_branch .LBB639_14
.LBB639_10:                             ;   in Loop: Header=BB639_5 Depth=1
	s_mov_b32 s56, 0
                                        ; implicit-def: $vgpr12
	s_cbranch_execz .LBB639_12
	s_branch .LBB639_15
.LBB639_11:                             ;   in Loop: Header=BB639_5 Depth=1
	s_wait_alu 0xfffe
	s_or_b32 exec_lo, exec_lo, s8
	s_delay_alu instid0(SALU_CYCLE_1)
	s_and_b32 vcc_lo, exec_lo, s7
	s_wait_alu 0xfffe
	s_cbranch_vccnz .LBB639_15
.LBB639_12:                             ;   in Loop: Header=BB639_5 Depth=1
	v_dual_mov_b32 v11, v3 :: v_dual_mov_b32 v10, v2
	s_and_saveexec_b32 s7, s56
	s_cbranch_execz .LBB639_3
	s_branch .LBB639_52
.LBB639_13:                             ;   in Loop: Header=BB639_5 Depth=1
	v_mov_b32_e32 v12, 0
.LBB639_14:                             ;   in Loop: Header=BB639_5 Depth=1
	s_mov_b32 s56, exec_lo
	s_wait_alu 0xfffe
	s_or_b32 exec_lo, exec_lo, s8
	s_delay_alu instid0(SALU_CYCLE_1)
	s_and_b32 vcc_lo, exec_lo, s7
	s_wait_alu 0xfffe
	s_cbranch_vccz .LBB639_12
.LBB639_15:                             ;   in Loop: Header=BB639_5 Depth=1
	v_dual_mov_b32 v37, 0 :: v_dual_mov_b32 v38, 0
	v_dual_mov_b32 v41, v18 :: v_dual_mov_b32 v40, 0
	v_mov_b32_e32 v39, 0
	s_and_saveexec_b32 s8, s4
	s_cbranch_execz .LBB639_27
; %bb.16:                               ;   in Loop: Header=BB639_5 Depth=1
	s_mul_u64 s[48:49], s[30:31], s[10:11]
	s_mul_u64 s[58:59], s[34:35], s[10:11]
	s_wait_alu 0xfffe
	v_add_co_u32 v42, vcc_lo, v20, s48
	s_wait_alu 0xfffd
	v_add_co_ci_u32_e64 v43, null, s49, v21, vcc_lo
	v_add_co_u32 v44, vcc_lo, v22, s58
	s_wait_alu 0xfffd
	v_add_co_ci_u32_e64 v45, null, s59, v23, vcc_lo
	;; [unrolled: 3-line block ×8, first 2 shown]
	v_dual_mov_b32 v37, 0 :: v_dual_mov_b32 v38, 0
	v_dual_mov_b32 v41, v18 :: v_dual_mov_b32 v40, 0
	v_mov_b32_e32 v39, 0
	s_mov_b32 s48, 0
	s_branch .LBB639_21
.LBB639_17:                             ;   in Loop: Header=BB639_21 Depth=2
	s_wait_alu 0xfffe
	s_or_b32 exec_lo, exec_lo, s58
	s_wait_loadcnt 0x2
	v_lshlrev_b32_e32 v11, 16, v72
	v_lshlrev_b32_e32 v10, 16, v73
	s_wait_loadcnt 0x1
	s_delay_alu instid0(VALU_DEP_1) | instskip(NEXT) | instid1(VALU_DEP_1)
	v_dual_fmac_f32 v39, v65, v10 :: v_dual_lshlrev_b32 v10, 16, v71
	v_fmac_f32_e32 v39, v61, v11
	s_delay_alu instid0(VALU_DEP_1) | instskip(SKIP_2) | instid1(VALU_DEP_1)
	v_fmac_f32_e32 v39, v63, v10
	s_wait_loadcnt 0x0
	v_lshlrev_b32_e32 v10, 16, v70
	v_fmac_f32_e32 v39, v59, v10
.LBB639_18:                             ;   in Loop: Header=BB639_21 Depth=2
	s_or_b32 exec_lo, exec_lo, s57
	s_wait_loadcnt 0x3
	v_lshlrev_b32_e32 v10, 16, v69
	s_wait_loadcnt 0x2
	s_delay_alu instid0(VALU_DEP_1) | instskip(SKIP_2) | instid1(VALU_DEP_2)
	v_dual_fmac_f32 v38, v65, v10 :: v_dual_lshlrev_b32 v11, 16, v68
	s_wait_loadcnt 0x1
	v_lshlrev_b32_e32 v10, 16, v67
	v_fmac_f32_e32 v38, v61, v11
	s_delay_alu instid0(VALU_DEP_1) | instskip(SKIP_2) | instid1(VALU_DEP_1)
	v_fmac_f32_e32 v38, v63, v10
	s_wait_loadcnt 0x0
	v_lshlrev_b32_e32 v10, 16, v66
	v_fmac_f32_e32 v38, v59, v10
.LBB639_19:                             ;   in Loop: Header=BB639_21 Depth=2
	s_wait_alu 0xfffe
	s_or_b32 exec_lo, exec_lo, s49
	s_wait_loadcnt 0x2
	v_lshlrev_b32_e32 v11, 16, v62
	v_lshlrev_b32_e32 v10, 16, v64
	s_wait_loadcnt 0x1
	s_delay_alu instid0(VALU_DEP_1) | instskip(NEXT) | instid1(VALU_DEP_1)
	v_dual_fmac_f32 v37, v65, v10 :: v_dual_lshlrev_b32 v10, 16, v60
	v_fmac_f32_e32 v37, v61, v11
	s_delay_alu instid0(VALU_DEP_1) | instskip(SKIP_2) | instid1(VALU_DEP_1)
	v_fmac_f32_e32 v37, v63, v10
	s_wait_loadcnt 0x0
	v_lshlrev_b32_e32 v10, 16, v58
	v_fmac_f32_e32 v37, v59, v10
.LBB639_20:                             ;   in Loop: Header=BB639_21 Depth=2
	s_wait_alu 0xfffe
	s_or_b32 exec_lo, exec_lo, s7
	v_add_co_u32 v42, vcc_lo, v42, s24
	s_wait_alu 0xfffd
	v_add_co_ci_u32_e64 v43, null, s25, v43, vcc_lo
	v_add_co_u32 v44, vcc_lo, v44, s44
	s_wait_alu 0xfffd
	v_add_co_ci_u32_e64 v45, null, s45, v45, vcc_lo
	;; [unrolled: 3-line block ×4, first 2 shown]
	v_add_co_u32 v50, vcc_lo, v50, s44
	v_add_nc_u32_e32 v41, 64, v41
	s_wait_alu 0xfffd
	v_add_co_ci_u32_e64 v51, null, s45, v51, vcc_lo
	v_add_co_u32 v52, vcc_lo, v52, s24
	s_wait_alu 0xfffd
	v_add_co_ci_u32_e64 v53, null, s25, v53, vcc_lo
	v_add_co_u32 v54, vcc_lo, v54, s24
	s_wait_alu 0xfffd
	v_add_co_ci_u32_e64 v55, null, s25, v55, vcc_lo
	v_cmp_le_i32_e32 vcc_lo, s52, v41
	v_add_co_u32 v56, s7, v56, s44
	s_wait_alu 0xf1ff
	v_add_co_ci_u32_e64 v57, null, s45, v57, s7
	s_or_b32 s48, vcc_lo, s48
	s_wait_alu 0xfffe
	s_and_not1_b32 exec_lo, exec_lo, s48
	s_cbranch_execz .LBB639_26
.LBB639_21:                             ;   Parent Loop BB639_5 Depth=1
                                        ; =>  This Inner Loop Header: Depth=2
	s_and_saveexec_b32 s7, s0
	s_cbranch_execz .LBB639_20
; %bb.22:                               ;   in Loop: Header=BB639_21 Depth=2
	v_add_co_u32 v10, vcc_lo, v42, s18
	s_wait_alu 0xfffd
	v_add_co_ci_u32_e64 v11, null, s19, v43, vcc_lo
	v_add_co_u32 v12, vcc_lo, v54, s18
	s_wait_alu 0xfffd
	v_add_co_ci_u32_e64 v13, null, s19, v55, vcc_lo
	;; [unrolled: 3-line block ×4, first 2 shown]
	global_load_u16 v59, v[10:11], off
	global_load_u16 v61, v[12:13], off
	;; [unrolled: 1-line block ×4, first 2 shown]
	v_add_co_u32 v10, vcc_lo, v48, v6
	s_wait_alu 0xfffd
	v_add_co_ci_u32_e64 v11, null, v49, v7, vcc_lo
	v_add_co_u32 v14, vcc_lo, v56, v6
	s_wait_alu 0xfffd
	v_add_co_ci_u32_e64 v15, null, v57, v7, vcc_lo
	;; [unrolled: 3-line block ×4, first 2 shown]
	global_load_u16 v64, v[10:11], off
	global_load_u16 v62, v[14:15], off
	global_load_u16 v60, v[12:13], off
	global_load_u16 v58, v[16:17], off
	s_wait_loadcnt 0x7
	v_lshlrev_b32_e32 v65, 16, v59
	s_wait_loadcnt 0x6
	v_lshlrev_b32_e32 v61, 16, v61
	s_wait_loadcnt 0x5
	v_lshlrev_b32_e32 v63, 16, v63
	s_wait_loadcnt 0x4
	v_lshlrev_b32_e32 v59, 16, v66
	s_and_saveexec_b32 s49, s1
	s_cbranch_execz .LBB639_19
; %bb.23:                               ;   in Loop: Header=BB639_21 Depth=2
	global_load_u16 v69, v[10:11], off offset:128
	global_load_u16 v68, v[14:15], off offset:128
	global_load_u16 v67, v[12:13], off offset:128
	global_load_u16 v66, v[16:17], off offset:128
	s_and_saveexec_b32 s57, s2
	s_cbranch_execz .LBB639_18
; %bb.24:                               ;   in Loop: Header=BB639_21 Depth=2
	global_load_u16 v73, v[10:11], off offset:256
	global_load_u16 v72, v[14:15], off offset:256
	global_load_u16 v71, v[12:13], off offset:256
	global_load_u16 v70, v[16:17], off offset:256
	;; [unrolled: 7-line block ×3, first 2 shown]
	s_wait_loadcnt 0x3
	v_lshlrev_b32_e32 v10, 16, v10
	s_wait_loadcnt 0x2
	s_delay_alu instid0(VALU_DEP_1) | instskip(SKIP_3) | instid1(VALU_DEP_2)
	v_dual_fmac_f32 v40, v65, v10 :: v_dual_lshlrev_b32 v11, 16, v11
	s_wait_loadcnt 0x1
	v_lshlrev_b32_e32 v10, 16, v12
	s_wait_loadcnt 0x0
	v_dual_fmac_f32 v40, v61, v11 :: v_dual_lshlrev_b32 v11, 16, v13
	s_delay_alu instid0(VALU_DEP_1) | instskip(NEXT) | instid1(VALU_DEP_1)
	v_fmac_f32_e32 v40, v63, v10
	v_fmac_f32_e32 v40, v59, v11
	s_branch .LBB639_17
.LBB639_26:                             ;   in Loop: Header=BB639_5 Depth=1
	s_or_b32 exec_lo, exec_lo, s48
.LBB639_27:                             ;   in Loop: Header=BB639_5 Depth=1
	s_wait_alu 0xfffe
	s_or_b32 exec_lo, exec_lo, s8
	s_delay_alu instid0(SALU_CYCLE_1)
	s_and_not1_b32 vcc_lo, exec_lo, s53
	s_wait_alu 0xfffe
	s_cbranch_vccnz .LBB639_45
; %bb.28:                               ;   in Loop: Header=BB639_5 Depth=1
	v_cmp_gt_i32_e32 vcc_lo, s9, v41
	v_dual_mov_b32 v43, 0 :: v_dual_mov_b32 v42, 0
	v_or_b32_e32 v10, 1, v41
	v_dual_mov_b32 v45, 0 :: v_dual_mov_b32 v44, 0
	s_and_saveexec_b32 s8, vcc_lo
	s_cbranch_execz .LBB639_36
; %bb.29:                               ;   in Loop: Header=BB639_5 Depth=1
	v_mad_co_u64_u32 v[11:12], null, s36, v41, 0
	s_mul_u64 s[48:49], s[38:39], s[10:11]
	v_dual_mov_b32 v44, 0 :: v_dual_mov_b32 v43, 0
	s_wait_alu 0xfffe
	s_lshl_b64 s[48:49], s[48:49], 1
	v_mov_b32_e32 v42, 0
	s_wait_alu 0xfffe
	s_add_nc_u64 s[48:49], s[26:27], s[48:49]
	v_mad_co_u64_u32 v[12:13], null, s37, v41, v[12:13]
	s_mov_b32 s57, exec_lo
	v_lshlrev_b64_e32 v[11:12], 1, v[11:12]
	s_wait_alu 0xfffe
	s_delay_alu instid0(VALU_DEP_1) | instskip(SKIP_1) | instid1(VALU_DEP_2)
	v_add_co_u32 v11, s7, s48, v11
	s_wait_alu 0xf1ff
	v_add_co_ci_u32_e64 v12, null, s49, v12, s7
	global_load_u16 v11, v[11:12], off
	v_cmpx_gt_i32_e64 s9, v10
	s_cbranch_execz .LBB639_35
; %bb.30:                               ;   in Loop: Header=BB639_5 Depth=1
	v_mad_co_u64_u32 v[12:13], null, s36, v10, 0
	v_dual_mov_b32 v42, 0 :: v_dual_mov_b32 v43, 0
	s_mov_b32 s58, exec_lo
	s_delay_alu instid0(VALU_DEP_2) | instskip(NEXT) | instid1(VALU_DEP_1)
	v_mad_co_u64_u32 v[13:14], null, s37, v10, v[13:14]
	v_lshlrev_b64_e32 v[12:13], 1, v[12:13]
	s_delay_alu instid0(VALU_DEP_1) | instskip(SKIP_1) | instid1(VALU_DEP_2)
	v_add_co_u32 v12, s7, s48, v12
	s_wait_alu 0xf1ff
	v_add_co_ci_u32_e64 v13, null, s49, v13, s7
	global_load_u16 v12, v[12:13], off
	v_or_b32_e32 v13, 2, v41
	s_delay_alu instid0(VALU_DEP_1)
	v_cmpx_gt_i32_e64 s9, v13
	s_cbranch_execz .LBB639_34
; %bb.31:                               ;   in Loop: Header=BB639_5 Depth=1
	v_mad_co_u64_u32 v[14:15], null, s36, v13, 0
	v_mov_b32_e32 v42, 0
	s_mov_b32 s59, exec_lo
	s_delay_alu instid0(VALU_DEP_2) | instskip(NEXT) | instid1(VALU_DEP_1)
	v_mad_co_u64_u32 v[15:16], null, s37, v13, v[15:16]
	v_lshlrev_b64_e32 v[13:14], 1, v[14:15]
	s_delay_alu instid0(VALU_DEP_1) | instskip(SKIP_1) | instid1(VALU_DEP_2)
	v_add_co_u32 v13, s7, s48, v13
	s_wait_alu 0xf1ff
	v_add_co_ci_u32_e64 v14, null, s49, v14, s7
	global_load_u16 v13, v[13:14], off
	v_or_b32_e32 v14, 3, v41
	s_delay_alu instid0(VALU_DEP_1)
	v_cmpx_gt_i32_e64 s9, v14
	s_cbranch_execz .LBB639_33
; %bb.32:                               ;   in Loop: Header=BB639_5 Depth=1
	v_mad_co_u64_u32 v[15:16], null, s36, v14, 0
	s_delay_alu instid0(VALU_DEP_1) | instskip(NEXT) | instid1(VALU_DEP_1)
	v_mad_co_u64_u32 v[16:17], null, s37, v14, v[16:17]
	v_lshlrev_b64_e32 v[14:15], 1, v[15:16]
	s_delay_alu instid0(VALU_DEP_1) | instskip(SKIP_1) | instid1(VALU_DEP_2)
	v_add_co_u32 v14, s7, s48, v14
	s_wait_alu 0xf1ff
	v_add_co_ci_u32_e64 v15, null, s49, v15, s7
	global_load_u16 v14, v[14:15], off
	s_wait_loadcnt 0x0
	v_lshlrev_b32_e32 v42, 16, v14
.LBB639_33:                             ;   in Loop: Header=BB639_5 Depth=1
	s_wait_alu 0xfffe
	s_or_b32 exec_lo, exec_lo, s59
	s_wait_loadcnt 0x0
	v_lshlrev_b32_e32 v43, 16, v13
.LBB639_34:                             ;   in Loop: Header=BB639_5 Depth=1
	s_wait_alu 0xfffe
	s_or_b32 exec_lo, exec_lo, s58
	s_wait_loadcnt 0x0
	v_lshlrev_b32_e32 v44, 16, v12
.LBB639_35:                             ;   in Loop: Header=BB639_5 Depth=1
	s_or_b32 exec_lo, exec_lo, s57
	s_wait_loadcnt 0x0
	v_lshlrev_b32_e32 v45, 16, v11
.LBB639_36:                             ;   in Loop: Header=BB639_5 Depth=1
	s_wait_alu 0xfffe
	s_or_b32 exec_lo, exec_lo, s8
	s_and_saveexec_b32 s48, s0
	s_cbranch_execz .LBB639_44
; %bb.37:                               ;   in Loop: Header=BB639_5 Depth=1
	v_mad_co_u64_u32 v[11:12], null, s20, v41, 0
	v_mad_co_u64_u32 v[13:14], null, s20, v10, 0
	v_or_b32_e32 v50, 2, v41
	v_or_b32_e32 v51, 3, v41
	s_mul_u64 s[58:59], s[22:23], s[10:11]
	s_wait_alu 0xfffe
	s_lshl_b64 s[58:59], s[58:59], 1
	v_cmp_gt_i32_e64 s7, s9, v50
	s_delay_alu instid0(VALU_DEP_4) | instskip(SKIP_4) | instid1(VALU_DEP_2)
	v_mad_co_u64_u32 v[15:16], null, s21, v41, v[12:13]
	v_mad_co_u64_u32 v[16:17], null, s20, v50, 0
	;; [unrolled: 1-line block ×3, first 2 shown]
	s_wait_alu 0xfffe
	s_add_nc_u64 s[58:59], s[16:17], s[58:59]
	v_dual_cndmask_b32 v12, 0, v15 :: v_dual_mov_b32 v15, v17
	s_delay_alu instid0(VALU_DEP_2) | instskip(NEXT) | instid1(VALU_DEP_2)
	v_mov_b32_e32 v17, v47
	v_mad_co_u64_u32 v[48:49], null, s21, v10, v[14:15]
	v_cndmask_b32_e32 v11, 0, v11, vcc_lo
	v_cmp_gt_i32_e32 vcc_lo, s9, v10
	s_wait_alu 0xfffd
	s_delay_alu instid0(VALU_DEP_3) | instskip(NEXT) | instid1(VALU_DEP_3)
	v_dual_cndmask_b32 v13, 0, v13 :: v_dual_cndmask_b32 v14, 0, v48
	v_lshlrev_b64_e32 v[11:12], 1, v[11:12]
	s_wait_alu 0xfffe
	s_delay_alu instid0(VALU_DEP_1) | instskip(SKIP_1) | instid1(VALU_DEP_2)
	v_add_co_u32 v10, s8, s58, v11
	s_wait_alu 0xf1ff
	v_add_co_ci_u32_e64 v11, null, s59, v12, s8
	v_lshlrev_b64_e32 v[12:13], 1, v[13:14]
	s_delay_alu instid0(VALU_DEP_3) | instskip(SKIP_1) | instid1(VALU_DEP_3)
	v_add_co_u32 v10, vcc_lo, v10, v6
	s_wait_alu 0xfffd
	v_add_co_ci_u32_e64 v11, null, v11, v7, vcc_lo
	v_cmp_gt_i32_e32 vcc_lo, s9, v51
	v_cndmask_b32_e64 v14, 0, v16, s7
	s_wait_alu 0xfffd
	v_cndmask_b32_e32 v46, 0, v46, vcc_lo
	v_mad_co_u64_u32 v[49:50], null, s21, v50, v[15:16]
	v_mad_co_u64_u32 v[16:17], null, s21, v51, v[17:18]
	s_delay_alu instid0(VALU_DEP_2) | instskip(SKIP_1) | instid1(VALU_DEP_3)
	v_cndmask_b32_e64 v15, 0, v49, s7
	v_add_co_u32 v12, s7, s58, v12
	v_cndmask_b32_e32 v47, 0, v16, vcc_lo
	s_wait_alu 0xf1ff
	v_add_co_ci_u32_e64 v13, null, s59, v13, s7
	v_lshlrev_b64_e32 v[14:15], 1, v[14:15]
	v_add_co_u32 v12, vcc_lo, v12, v6
	v_lshlrev_b64_e32 v[16:17], 1, v[46:47]
	s_wait_alu 0xfffd
	v_add_co_ci_u32_e64 v13, null, v13, v7, vcc_lo
	s_delay_alu instid0(VALU_DEP_4)
	v_add_co_u32 v14, vcc_lo, s58, v14
	s_wait_alu 0xfffd
	v_add_co_ci_u32_e64 v15, null, s59, v15, vcc_lo
	v_add_co_u32 v16, vcc_lo, s58, v16
	s_wait_alu 0xfffd
	v_add_co_ci_u32_e64 v17, null, s59, v17, vcc_lo
	;; [unrolled: 3-line block ×4, first 2 shown]
	s_clause 0x3
	global_load_u16 v48, v[10:11], off
	global_load_u16 v47, v[12:13], off
	;; [unrolled: 1-line block ×4, first 2 shown]
	s_and_saveexec_b32 s7, s1
	s_cbranch_execz .LBB639_43
; %bb.38:                               ;   in Loop: Header=BB639_5 Depth=1
	s_clause 0x3
	global_load_u16 v52, v[10:11], off offset:128
	global_load_u16 v51, v[12:13], off offset:128
	global_load_u16 v50, v[14:15], off offset:128
	global_load_u16 v49, v[16:17], off offset:128
	s_and_saveexec_b32 s8, s2
	s_cbranch_execz .LBB639_42
; %bb.39:                               ;   in Loop: Header=BB639_5 Depth=1
	s_clause 0x3
	global_load_u16 v56, v[10:11], off offset:256
	global_load_u16 v55, v[12:13], off offset:256
	global_load_u16 v54, v[14:15], off offset:256
	global_load_u16 v53, v[16:17], off offset:256
	;; [unrolled: 8-line block ×3, first 2 shown]
	s_wait_loadcnt 0x3
	v_lshlrev_b32_e32 v10, 16, v10
	s_wait_loadcnt 0x2
	s_delay_alu instid0(VALU_DEP_1) | instskip(SKIP_3) | instid1(VALU_DEP_2)
	v_dual_fmac_f32 v40, v45, v10 :: v_dual_lshlrev_b32 v11, 16, v11
	s_wait_loadcnt 0x1
	v_lshlrev_b32_e32 v10, 16, v12
	s_wait_loadcnt 0x0
	v_dual_fmac_f32 v40, v44, v11 :: v_dual_lshlrev_b32 v11, 16, v13
	s_delay_alu instid0(VALU_DEP_1) | instskip(NEXT) | instid1(VALU_DEP_1)
	v_fmac_f32_e32 v40, v43, v10
	v_fmac_f32_e32 v40, v42, v11
.LBB639_41:                             ;   in Loop: Header=BB639_5 Depth=1
	s_wait_alu 0xfffe
	s_or_b32 exec_lo, exec_lo, s49
	s_wait_loadcnt 0x2
	v_lshlrev_b32_e32 v11, 16, v55
	v_lshlrev_b32_e32 v10, 16, v56
	s_delay_alu instid0(VALU_DEP_1) | instskip(SKIP_1) | instid1(VALU_DEP_1)
	v_fmac_f32_e32 v39, v45, v10
	s_wait_loadcnt 0x1
	v_dual_fmac_f32 v39, v44, v11 :: v_dual_lshlrev_b32 v10, 16, v54
	s_wait_loadcnt 0x0
	s_delay_alu instid0(VALU_DEP_1) | instskip(NEXT) | instid1(VALU_DEP_1)
	v_dual_fmac_f32 v39, v43, v10 :: v_dual_lshlrev_b32 v10, 16, v53
	v_fmac_f32_e32 v39, v42, v10
.LBB639_42:                             ;   in Loop: Header=BB639_5 Depth=1
	s_wait_alu 0xfffe
	s_or_b32 exec_lo, exec_lo, s8
	s_wait_loadcnt 0x3
	v_lshlrev_b32_e32 v10, 16, v52
	s_wait_loadcnt 0x2
	s_delay_alu instid0(VALU_DEP_1) | instskip(SKIP_2) | instid1(VALU_DEP_2)
	v_dual_fmac_f32 v38, v45, v10 :: v_dual_lshlrev_b32 v11, 16, v51
	s_wait_loadcnt 0x1
	v_lshlrev_b32_e32 v10, 16, v50
	v_fmac_f32_e32 v38, v44, v11
	s_delay_alu instid0(VALU_DEP_1) | instskip(SKIP_2) | instid1(VALU_DEP_1)
	v_fmac_f32_e32 v38, v43, v10
	s_wait_loadcnt 0x0
	v_lshlrev_b32_e32 v10, 16, v49
	v_fmac_f32_e32 v38, v42, v10
.LBB639_43:                             ;   in Loop: Header=BB639_5 Depth=1
	s_wait_alu 0xfffe
	s_or_b32 exec_lo, exec_lo, s7
	s_wait_loadcnt 0x2
	v_lshlrev_b32_e32 v11, 16, v47
	v_lshlrev_b32_e32 v10, 16, v48
	s_delay_alu instid0(VALU_DEP_1) | instskip(SKIP_1) | instid1(VALU_DEP_1)
	v_fmac_f32_e32 v37, v45, v10
	s_wait_loadcnt 0x1
	v_dual_fmac_f32 v37, v44, v11 :: v_dual_lshlrev_b32 v10, 16, v46
	s_wait_loadcnt 0x0
	s_delay_alu instid0(VALU_DEP_1) | instskip(NEXT) | instid1(VALU_DEP_1)
	v_dual_fmac_f32 v37, v43, v10 :: v_dual_lshlrev_b32 v10, 16, v41
	v_fmac_f32_e32 v37, v42, v10
.LBB639_44:                             ;   in Loop: Header=BB639_5 Depth=1
	s_wait_alu 0xfffe
	s_or_b32 exec_lo, exec_lo, s48
.LBB639_45:                             ;   in Loop: Header=BB639_5 Depth=1
	ds_store_2addr_stride64_b32 v0, v37, v38 offset1:1
	ds_store_2addr_stride64_b32 v0, v39, v40 offset0:2 offset1:3
	s_wait_dscnt 0x0
	s_barrier_signal -1
	s_barrier_wait -1
	global_inv scope:SCOPE_SE
                                        ; implicit-def: $vgpr12
	s_and_saveexec_b32 s7, s5
	s_cbranch_execz .LBB639_51
; %bb.46:                               ;   in Loop: Header=BB639_5 Depth=1
	ds_load_2addr_stride64_b32 v[10:11], v19 offset1:4
	ds_load_2addr_stride64_b32 v[12:13], v19 offset0:8 offset1:12
	ds_load_2addr_stride64_b32 v[14:15], v19 offset0:16 offset1:20
	s_mov_b32 s48, s56
	s_wait_dscnt 0x2
	v_add_f32_e32 v16, v10, v11
	ds_load_2addr_stride64_b32 v[10:11], v19 offset0:24 offset1:28
	s_wait_dscnt 0x2
	v_add_f32_e32 v12, v12, v16
	s_delay_alu instid0(VALU_DEP_1) | instskip(SKIP_3) | instid1(VALU_DEP_1)
	v_add_f32_e32 v16, v13, v12
	ds_load_2addr_stride64_b32 v[12:13], v19 offset0:32 offset1:36
	s_wait_dscnt 0x2
	v_add_f32_e32 v14, v14, v16
	v_add_f32_e32 v16, v15, v14
	ds_load_2addr_stride64_b32 v[14:15], v19 offset0:40 offset1:44
	s_wait_dscnt 0x2
	v_add_f32_e32 v10, v10, v16
	s_delay_alu instid0(VALU_DEP_1) | instskip(SKIP_1) | instid1(VALU_DEP_1)
	v_add_f32_e32 v10, v11, v10
	s_wait_dscnt 0x1
	v_add_f32_e32 v12, v12, v10
	ds_load_2addr_stride64_b32 v[10:11], v19 offset0:48 offset1:52
	v_add_f32_e32 v12, v13, v12
	s_wait_dscnt 0x1
	s_delay_alu instid0(VALU_DEP_1) | instskip(SKIP_3) | instid1(VALU_DEP_1)
	v_add_f32_e32 v14, v14, v12
	ds_load_2addr_stride64_b32 v[12:13], v19 offset0:56 offset1:60
	v_add_f32_e32 v14, v15, v14
	s_wait_dscnt 0x1
	v_add_f32_e32 v10, v10, v14
	s_delay_alu instid0(VALU_DEP_1) | instskip(SKIP_1) | instid1(VALU_DEP_1)
	v_add_f32_e32 v10, v11, v10
	s_wait_dscnt 0x0
	v_add_f32_e32 v10, v12, v10
                                        ; implicit-def: $vgpr12
	s_delay_alu instid0(VALU_DEP_1)
	v_add_f32_e32 v10, v13, v10
	ds_store_b32 v19, v10
	s_and_saveexec_b32 s8, s6
	s_cbranch_execz .LBB639_50
; %bb.47:                               ;   in Loop: Header=BB639_5 Depth=1
	v_mul_f32_e32 v12, v36, v10
	s_cmp_eq_f32 s55, 0
	s_cbranch_scc1 .LBB639_49
; %bb.48:                               ;   in Loop: Header=BB639_5 Depth=1
	v_lshlrev_b64_e32 v[10:11], 2, v[4:5]
	s_delay_alu instid0(VALU_DEP_1) | instskip(SKIP_1) | instid1(VALU_DEP_2)
	v_add_co_u32 v10, vcc_lo, s46, v10
	s_wait_alu 0xfffd
	v_add_co_ci_u32_e64 v11, null, s47, v11, vcc_lo
	global_load_b32 v10, v[10:11], off
	s_wait_loadcnt 0x0
	v_fmac_f32_e32 v12, s55, v10
.LBB639_49:                             ;   in Loop: Header=BB639_5 Depth=1
	s_or_b32 s48, s56, exec_lo
.LBB639_50:                             ;   in Loop: Header=BB639_5 Depth=1
	s_wait_alu 0xfffe
	s_or_b32 exec_lo, exec_lo, s8
	s_delay_alu instid0(SALU_CYCLE_1)
	s_and_not1_b32 s8, s56, exec_lo
	s_and_b32 s48, s48, exec_lo
	s_wait_alu 0xfffe
	s_or_b32 s56, s8, s48
.LBB639_51:                             ;   in Loop: Header=BB639_5 Depth=1
	s_wait_alu 0xfffe
	s_or_b32 exec_lo, exec_lo, s7
	v_dual_mov_b32 v11, v5 :: v_dual_mov_b32 v10, v4
	s_and_saveexec_b32 s7, s56
	s_cbranch_execz .LBB639_3
.LBB639_52:                             ;   in Loop: Header=BB639_5 Depth=1
	s_delay_alu instid0(VALU_DEP_1) | instskip(SKIP_1) | instid1(VALU_DEP_1)
	v_lshlrev_b64_e32 v[10:11], 2, v[10:11]
	s_wait_alu 0xfffe
	v_add_co_u32 v10, vcc_lo, s46, v10
	s_wait_alu 0xfffd
	s_delay_alu instid0(VALU_DEP_2)
	v_add_co_ci_u32_e64 v11, null, s47, v11, vcc_lo
	global_store_b32 v[10:11], v12, off
	s_branch .LBB639_3
.LBB639_53:
	s_endpgm
	.section	.rodata,"a",@progbits
	.p2align	6, 0x0
	.amdhsa_kernel _ZL20rocblas_gemvn_kernelILi64ELi16El16rocblas_bfloat16PKffEviiT3_lPKT2_lT1_lS6_lS7_lS3_lPT4_lS7_li
		.amdhsa_group_segment_fixed_size 16384
		.amdhsa_private_segment_fixed_size 0
		.amdhsa_kernarg_size 400
		.amdhsa_user_sgpr_count 2
		.amdhsa_user_sgpr_dispatch_ptr 0
		.amdhsa_user_sgpr_queue_ptr 0
		.amdhsa_user_sgpr_kernarg_segment_ptr 1
		.amdhsa_user_sgpr_dispatch_id 0
		.amdhsa_user_sgpr_private_segment_size 0
		.amdhsa_wavefront_size32 1
		.amdhsa_uses_dynamic_stack 0
		.amdhsa_enable_private_segment 0
		.amdhsa_system_sgpr_workgroup_id_x 1
		.amdhsa_system_sgpr_workgroup_id_y 0
		.amdhsa_system_sgpr_workgroup_id_z 1
		.amdhsa_system_sgpr_workgroup_info 0
		.amdhsa_system_vgpr_workitem_id 1
		.amdhsa_next_free_vgpr 74
		.amdhsa_next_free_sgpr 60
		.amdhsa_reserve_vcc 1
		.amdhsa_float_round_mode_32 0
		.amdhsa_float_round_mode_16_64 0
		.amdhsa_float_denorm_mode_32 3
		.amdhsa_float_denorm_mode_16_64 3
		.amdhsa_fp16_overflow 0
		.amdhsa_workgroup_processor_mode 1
		.amdhsa_memory_ordered 1
		.amdhsa_forward_progress 1
		.amdhsa_inst_pref_size 32
		.amdhsa_round_robin_scheduling 0
		.amdhsa_exception_fp_ieee_invalid_op 0
		.amdhsa_exception_fp_denorm_src 0
		.amdhsa_exception_fp_ieee_div_zero 0
		.amdhsa_exception_fp_ieee_overflow 0
		.amdhsa_exception_fp_ieee_underflow 0
		.amdhsa_exception_fp_ieee_inexact 0
		.amdhsa_exception_int_div_zero 0
	.end_amdhsa_kernel
	.section	.text._ZL20rocblas_gemvn_kernelILi64ELi16El16rocblas_bfloat16PKffEviiT3_lPKT2_lT1_lS6_lS7_lS3_lPT4_lS7_li,"axG",@progbits,_ZL20rocblas_gemvn_kernelILi64ELi16El16rocblas_bfloat16PKffEviiT3_lPKT2_lT1_lS6_lS7_lS3_lPT4_lS7_li,comdat
.Lfunc_end639:
	.size	_ZL20rocblas_gemvn_kernelILi64ELi16El16rocblas_bfloat16PKffEviiT3_lPKT2_lT1_lS6_lS7_lS3_lPT4_lS7_li, .Lfunc_end639-_ZL20rocblas_gemvn_kernelILi64ELi16El16rocblas_bfloat16PKffEviiT3_lPKT2_lT1_lS6_lS7_lS3_lPT4_lS7_li
                                        ; -- End function
	.set _ZL20rocblas_gemvn_kernelILi64ELi16El16rocblas_bfloat16PKffEviiT3_lPKT2_lT1_lS6_lS7_lS3_lPT4_lS7_li.num_vgpr, 74
	.set _ZL20rocblas_gemvn_kernelILi64ELi16El16rocblas_bfloat16PKffEviiT3_lPKT2_lT1_lS6_lS7_lS3_lPT4_lS7_li.num_agpr, 0
	.set _ZL20rocblas_gemvn_kernelILi64ELi16El16rocblas_bfloat16PKffEviiT3_lPKT2_lT1_lS6_lS7_lS3_lPT4_lS7_li.numbered_sgpr, 60
	.set _ZL20rocblas_gemvn_kernelILi64ELi16El16rocblas_bfloat16PKffEviiT3_lPKT2_lT1_lS6_lS7_lS3_lPT4_lS7_li.num_named_barrier, 0
	.set _ZL20rocblas_gemvn_kernelILi64ELi16El16rocblas_bfloat16PKffEviiT3_lPKT2_lT1_lS6_lS7_lS3_lPT4_lS7_li.private_seg_size, 0
	.set _ZL20rocblas_gemvn_kernelILi64ELi16El16rocblas_bfloat16PKffEviiT3_lPKT2_lT1_lS6_lS7_lS3_lPT4_lS7_li.uses_vcc, 1
	.set _ZL20rocblas_gemvn_kernelILi64ELi16El16rocblas_bfloat16PKffEviiT3_lPKT2_lT1_lS6_lS7_lS3_lPT4_lS7_li.uses_flat_scratch, 0
	.set _ZL20rocblas_gemvn_kernelILi64ELi16El16rocblas_bfloat16PKffEviiT3_lPKT2_lT1_lS6_lS7_lS3_lPT4_lS7_li.has_dyn_sized_stack, 0
	.set _ZL20rocblas_gemvn_kernelILi64ELi16El16rocblas_bfloat16PKffEviiT3_lPKT2_lT1_lS6_lS7_lS3_lPT4_lS7_li.has_recursion, 0
	.set _ZL20rocblas_gemvn_kernelILi64ELi16El16rocblas_bfloat16PKffEviiT3_lPKT2_lT1_lS6_lS7_lS3_lPT4_lS7_li.has_indirect_call, 0
	.section	.AMDGPU.csdata,"",@progbits
; Kernel info:
; codeLenInByte = 4016
; TotalNumSgprs: 62
; NumVgprs: 74
; ScratchSize: 0
; MemoryBound: 0
; FloatMode: 240
; IeeeMode: 1
; LDSByteSize: 16384 bytes/workgroup (compile time only)
; SGPRBlocks: 0
; VGPRBlocks: 9
; NumSGPRsForWavesPerEU: 62
; NumVGPRsForWavesPerEU: 74
; Occupancy: 16
; WaveLimiterHint : 1
; COMPUTE_PGM_RSRC2:SCRATCH_EN: 0
; COMPUTE_PGM_RSRC2:USER_SGPR: 2
; COMPUTE_PGM_RSRC2:TRAP_HANDLER: 0
; COMPUTE_PGM_RSRC2:TGID_X_EN: 1
; COMPUTE_PGM_RSRC2:TGID_Y_EN: 0
; COMPUTE_PGM_RSRC2:TGID_Z_EN: 1
; COMPUTE_PGM_RSRC2:TIDIG_COMP_CNT: 1
	.section	.text._ZL20rocblas_gemvn_kernelILi64ELi16Ei16rocblas_bfloat16ffEviiT3_lPKT2_lT1_lS4_lS5_lS1_lPT4_lS5_li,"axG",@progbits,_ZL20rocblas_gemvn_kernelILi64ELi16Ei16rocblas_bfloat16ffEviiT3_lPKT2_lT1_lS4_lS5_lS1_lPT4_lS5_li,comdat
	.globl	_ZL20rocblas_gemvn_kernelILi64ELi16Ei16rocblas_bfloat16ffEviiT3_lPKT2_lT1_lS4_lS5_lS1_lPT4_lS5_li ; -- Begin function _ZL20rocblas_gemvn_kernelILi64ELi16Ei16rocblas_bfloat16ffEviiT3_lPKT2_lT1_lS4_lS5_lS1_lPT4_lS5_li
	.p2align	8
	.type	_ZL20rocblas_gemvn_kernelILi64ELi16Ei16rocblas_bfloat16ffEviiT3_lPKT2_lT1_lS4_lS5_lS1_lPT4_lS5_li,@function
_ZL20rocblas_gemvn_kernelILi64ELi16Ei16rocblas_bfloat16ffEviiT3_lPKT2_lT1_lS4_lS5_lS1_lPT4_lS5_li: ; @_ZL20rocblas_gemvn_kernelILi64ELi16Ei16rocblas_bfloat16ffEviiT3_lPKT2_lT1_lS4_lS5_lS1_lPT4_lS5_li
; %bb.0:
	s_load_b64 s[2:3], s[0:1], 0x9c
	s_wait_kmcnt 0x0
	s_lshr_b32 s4, s2, 16
	s_and_b32 s2, s2, 0xffff
	s_and_b32 s3, s3, 0xffff
	s_mul_i32 s2, s4, s2
	s_delay_alu instid0(SALU_CYCLE_1) | instskip(NEXT) | instid1(SALU_CYCLE_1)
	s_mul_i32 s2, s2, s3
	s_cmp_lg_u32 s2, 0x400
	s_cbranch_scc1 .LBB640_53
; %bb.1:
	s_load_b32 s19, s[0:1], 0x88
	s_lshr_b32 s28, ttmp7, 16
	s_wait_kmcnt 0x0
	s_cmp_ge_u32 s28, s19
	s_cbranch_scc1 .LBB640_53
; %bb.2:
	s_clause 0x8
	s_load_b128 s[4:7], s[0:1], 0x18
	s_load_b96 s[16:18], s[0:1], 0x40
	s_load_b128 s[12:15], s[0:1], 0x68
	s_load_b32 s34, s[0:1], 0x78
	s_load_b96 s[20:22], s[0:1], 0x0
	s_load_b32 s23, s[0:1], 0x28
	s_load_b128 s[8:11], s[0:1], 0x30
	s_load_b96 s[24:26], s[0:1], 0x50
	s_load_b64 s[30:31], s[0:1], 0x80
	v_dual_mov_b32 v4, 0 :: v_dual_and_b32 v7, 0x3ff, v0
	v_bfe_u32 v6, v0, 10, 10
	s_mov_b32 s29, 0
	s_delay_alu instid0(VALU_DEP_2) | instskip(NEXT) | instid1(VALU_DEP_2)
	v_lshlrev_b32_e32 v5, 2, v7
	v_lshl_add_u32 v8, v6, 6, v7
	v_lshlrev_b32_e32 v17, 2, v6
	s_delay_alu instid0(VALU_DEP_3)
	v_lshl_add_u32 v18, v6, 10, v5
	s_wait_kmcnt 0x0
	s_lshl_b64 s[0:1], s[6:7], 1
	s_lshl_b64 s[2:3], s[16:17], 1
	;; [unrolled: 1-line block ×3, first 2 shown]
	s_ashr_i32 s35, s34, 31
	s_cmp_eq_f32 s22, 0
	s_add_nc_u64 s[14:15], s[4:5], s[0:1]
	v_mul_lo_u32 v9, s23, v17
	s_mov_b32 s16, s20
	s_cselect_b32 s27, -1, 0
	s_cmp_neq_f32 s22, 0
	s_add_nc_u64 s[12:13], s[12:13], s[6:7]
	v_lshl_add_u32 v20, v6, 8, v5
	s_add_nc_u64 s[10:11], s[10:11], s[2:3]
	s_cselect_b32 s36, -1, 0
	s_cmp_neq_f32 s26, 1.0
	v_add3_u32 v21, v9, s23, v7
	v_or_b32_e32 v9, 3, v17
	s_cselect_b32 s0, -1, 0
	s_lshl_b32 s33, ttmp9, 8
	s_ashr_i32 s17, s20, 31
	v_add_nc_u32_e32 v3, s33, v8
	v_or_b32_e32 v10, s33, v8
	s_or_b32 s38, s36, s0
	s_cmp_neq_f32 s26, 0
	v_add_nc_u32_e32 v19, s33, v7
	v_mad_co_u64_u32 v[0:1], null, s34, v3, 0
	v_mul_lo_u32 v2, s34, v10
	s_cselect_b32 s39, -1, 0
	s_ashr_i32 s1, s21, 31
	v_cmp_gt_i64_e32 vcc_lo, s[16:17], v[3:4]
	s_lshr_b32 s1, s1, 26
	v_add_nc_u32_e32 v11, 64, v19
	s_add_co_i32 s40, s21, s1
	v_cmp_gt_i32_e64 s6, s20, v10
	v_mad_co_u64_u32 v[3:4], null, s35, v3, v[1:2]
	s_and_not1_b32 s40, s40, 63
	v_mul_lo_u32 v10, v6, s23
	s_sub_co_i32 s5, s21, s40
	v_cmp_gt_i32_e64 s1, s20, v11
	s_cmp_gt_i32 s5, 0
	v_cmp_gt_u32_e64 s5, 0x100, v8
	v_or_b32_e32 v8, 2, v17
	v_mul_lo_u32 v11, v6, s18
	v_dual_mov_b32 v1, v3 :: v_dual_add_nc_u32 v12, 0x80, v19
	v_add_nc_u32_e32 v13, 0xc0, v19
	s_delay_alu instid0(VALU_DEP_4)
	v_mad_co_u64_u32 v[4:5], null, s23, v8, v[7:8]
	s_mov_b32 s16, s18
	v_mad_co_u64_u32 v[5:6], null, s23, v9, v[7:8]
	v_lshl_add_u32 v22, v10, 2, v7
	s_wait_alu 0xfffe
	v_mad_co_u64_u32 v[6:7], null, s18, v17, s[16:17]
	v_mul_lo_u32 v23, s18, v8
	v_mul_lo_u32 v24, s18, v9
	v_lshlrev_b64_e32 v[7:8], 2, v[0:1]
	v_cmp_gt_i32_e64 s0, s20, v19
	v_cmp_gt_i32_e64 s2, s20, v12
	;; [unrolled: 1-line block ×4, first 2 shown]
	v_ashrrev_i32_e32 v3, 31, v2
	v_lshlrev_b32_e32 v25, 2, v11
	s_cselect_b32 s20, -1, 0
	s_and_b32 s41, s5, vcc_lo
	s_lshl_b32 s42, s23, 6
	s_lshl_b32 s43, s18, 6
	s_branch .LBB640_5
.LBB640_3:                              ;   in Loop: Header=BB640_5 Depth=1
	s_wait_alu 0xfffe
	s_or_b32 exec_lo, exec_lo, s7
.LBB640_4:                              ;   in Loop: Header=BB640_5 Depth=1
	s_add_co_i32 s28, s28, 0x10000
	s_delay_alu instid0(SALU_CYCLE_1)
	s_cmp_lt_u32 s28, s19
	s_cbranch_scc0 .LBB640_53
.LBB640_5:                              ; =>This Loop Header: Depth=1
                                        ;     Child Loop BB640_21 Depth 2
	s_and_not1_b32 vcc_lo, exec_lo, s38
	s_wait_alu 0xfffe
	s_cbranch_vccnz .LBB640_4
; %bb.6:                                ;   in Loop: Header=BB640_5 Depth=1
	s_mul_u64 s[16:17], s[30:31], s[28:29]
	s_and_not1_b32 vcc_lo, exec_lo, s27
	s_wait_alu 0xfffe
	s_lshl_b64 s[16:17], s[16:17], 2
	s_wait_alu 0xfffe
	s_add_nc_u64 s[16:17], s[12:13], s[16:17]
	s_cbranch_vccnz .LBB640_10
; %bb.7:                                ;   in Loop: Header=BB640_5 Depth=1
	s_mov_b32 s7, 0
	s_mov_b32 s44, 0
                                        ; implicit-def: $vgpr11
	s_and_saveexec_b32 s34, s41
	s_cbranch_execz .LBB640_11
; %bb.8:                                ;   in Loop: Header=BB640_5 Depth=1
	s_and_not1_b32 vcc_lo, exec_lo, s39
	s_wait_alu 0xfffe
	s_cbranch_vccnz .LBB640_13
; %bb.9:                                ;   in Loop: Header=BB640_5 Depth=1
	v_add_co_u32 v9, vcc_lo, s16, v7
	s_wait_alu 0xfffd
	v_add_co_ci_u32_e64 v10, null, s17, v8, vcc_lo
	global_load_b32 v9, v[9:10], off
	s_wait_loadcnt 0x0
	v_mul_f32_e32 v11, s26, v9
	s_branch .LBB640_14
.LBB640_10:                             ;   in Loop: Header=BB640_5 Depth=1
	s_mov_b32 s44, 0
                                        ; implicit-def: $vgpr11
	s_cbranch_execz .LBB640_12
	s_branch .LBB640_15
.LBB640_11:                             ;   in Loop: Header=BB640_5 Depth=1
	s_wait_alu 0xfffe
	s_or_b32 exec_lo, exec_lo, s34
	s_delay_alu instid0(SALU_CYCLE_1)
	s_and_b32 vcc_lo, exec_lo, s7
	s_wait_alu 0xfffe
	s_cbranch_vccnz .LBB640_15
.LBB640_12:                             ;   in Loop: Header=BB640_5 Depth=1
	v_dual_mov_b32 v10, v1 :: v_dual_mov_b32 v9, v0
	s_and_saveexec_b32 s7, s44
	s_cbranch_execz .LBB640_3
	s_branch .LBB640_52
.LBB640_13:                             ;   in Loop: Header=BB640_5 Depth=1
	v_mov_b32_e32 v11, 0
.LBB640_14:                             ;   in Loop: Header=BB640_5 Depth=1
	s_mov_b32 s44, exec_lo
	s_wait_alu 0xfffe
	s_or_b32 exec_lo, exec_lo, s34
	s_delay_alu instid0(SALU_CYCLE_1)
	s_and_b32 vcc_lo, exec_lo, s7
	s_wait_alu 0xfffe
	s_cbranch_vccz .LBB640_12
.LBB640_15:                             ;   in Loop: Header=BB640_5 Depth=1
	s_mul_u64 s[34:35], s[8:9], s[28:29]
	s_mul_u64 s[36:37], s[24:25], s[28:29]
	v_dual_mov_b32 v26, 0 :: v_dual_mov_b32 v27, 0
	v_dual_mov_b32 v30, v17 :: v_dual_mov_b32 v29, 0
	v_mov_b32_e32 v28, 0
	s_wait_alu 0xfffe
	s_lshl_b64 s[34:35], s[34:35], 1
	s_lshl_b64 s[36:37], s[36:37], 1
	s_wait_alu 0xfffe
	s_add_nc_u64 s[34:35], s[14:15], s[34:35]
	s_add_nc_u64 s[36:37], s[10:11], s[36:37]
	s_and_saveexec_b32 s7, s4
	s_cbranch_execz .LBB640_27
; %bb.16:                               ;   in Loop: Header=BB640_5 Depth=1
	v_dual_mov_b32 v26, 0 :: v_dual_mov_b32 v31, v22
	v_dual_mov_b32 v32, v5 :: v_dual_mov_b32 v33, v4
	;; [unrolled: 1-line block ×4, first 2 shown]
	v_mov_b32_e32 v28, 0
	s_mov_b32 s45, 0
	s_mov_b32 s46, 0
	s_branch .LBB640_21
.LBB640_17:                             ;   in Loop: Header=BB640_21 Depth=2
	s_or_b32 exec_lo, exec_lo, s50
	s_wait_loadcnt 0x3
	v_lshlrev_b32_e32 v9, 16, v50
	s_wait_loadcnt 0x2
	v_lshlrev_b32_e32 v10, 16, v49
	s_wait_loadcnt 0x1
	s_delay_alu instid0(VALU_DEP_2) | instskip(NEXT) | instid1(VALU_DEP_1)
	v_dual_fmac_f32 v28, v42, v9 :: v_dual_lshlrev_b32 v9, 16, v48
	v_fmac_f32_e32 v28, v38, v10
	s_wait_loadcnt 0x0
	s_delay_alu instid0(VALU_DEP_1) | instskip(NEXT) | instid1(VALU_DEP_1)
	v_dual_fmac_f32 v28, v40, v9 :: v_dual_lshlrev_b32 v9, 16, v47
	v_fmac_f32_e32 v28, v36, v9
.LBB640_18:                             ;   in Loop: Header=BB640_21 Depth=2
	s_or_b32 exec_lo, exec_lo, s49
	s_wait_loadcnt 0x3
	v_lshlrev_b32_e32 v9, 16, v46
	s_wait_loadcnt 0x2
	v_lshlrev_b32_e32 v10, 16, v45
	s_delay_alu instid0(VALU_DEP_2) | instskip(SKIP_2) | instid1(VALU_DEP_2)
	v_fmac_f32_e32 v27, v42, v9
	s_wait_loadcnt 0x1
	v_lshlrev_b32_e32 v9, 16, v44
	v_fmac_f32_e32 v27, v38, v10
	s_delay_alu instid0(VALU_DEP_1) | instskip(SKIP_2) | instid1(VALU_DEP_1)
	v_fmac_f32_e32 v27, v40, v9
	s_wait_loadcnt 0x0
	v_lshlrev_b32_e32 v9, 16, v43
	v_fmac_f32_e32 v27, v36, v9
.LBB640_19:                             ;   in Loop: Header=BB640_21 Depth=2
	s_or_b32 exec_lo, exec_lo, s48
	s_wait_loadcnt 0x2
	v_lshlrev_b32_e32 v10, 16, v39
	v_lshlrev_b32_e32 v9, 16, v41
	s_delay_alu instid0(VALU_DEP_1) | instskip(SKIP_1) | instid1(VALU_DEP_1)
	v_fmac_f32_e32 v26, v42, v9
	s_wait_loadcnt 0x1
	v_dual_fmac_f32 v26, v38, v10 :: v_dual_lshlrev_b32 v9, 16, v37
	s_wait_loadcnt 0x0
	s_delay_alu instid0(VALU_DEP_1) | instskip(NEXT) | instid1(VALU_DEP_1)
	v_dual_fmac_f32 v26, v40, v9 :: v_dual_lshlrev_b32 v9, 16, v35
	v_fmac_f32_e32 v26, v36, v9
.LBB640_20:                             ;   in Loop: Header=BB640_21 Depth=2
	s_wait_alu 0xfffe
	s_or_b32 exec_lo, exec_lo, s47
	v_add_nc_u32_e32 v30, 64, v30
	v_add_nc_u32_e32 v34, s42, v34
	v_add_nc_u32_e32 v33, s42, v33
	v_add_nc_u32_e32 v32, s42, v32
	v_add_nc_u32_e32 v31, s42, v31
	v_cmp_le_i32_e32 vcc_lo, s40, v30
	s_add_co_i32 s46, s46, s43
	s_or_b32 s45, vcc_lo, s45
	s_delay_alu instid0(SALU_CYCLE_1)
	s_and_not1_b32 exec_lo, exec_lo, s45
	s_cbranch_execz .LBB640_26
.LBB640_21:                             ;   Parent Loop BB640_5 Depth=1
                                        ; =>  This Inner Loop Header: Depth=2
	s_and_saveexec_b32 s47, s0
	s_cbranch_execz .LBB640_20
; %bb.22:                               ;   in Loop: Header=BB640_21 Depth=2
	s_wait_alu 0xfffe
	v_add_nc_u32_e32 v9, s46, v25
	v_add_nc_u32_e32 v11, s46, v6
	;; [unrolled: 1-line block ×5, first 2 shown]
	v_ashrrev_i32_e32 v10, 31, v9
	v_ashrrev_i32_e32 v12, 31, v11
	;; [unrolled: 1-line block ×5, first 2 shown]
	v_lshlrev_b64_e32 v[9:10], 1, v[9:10]
	v_lshlrev_b64_e32 v[11:12], 1, v[11:12]
	v_lshlrev_b64_e32 v[13:14], 1, v[13:14]
	v_lshlrev_b64_e32 v[15:16], 1, v[15:16]
	v_add_nc_u32_e32 v37, s33, v34
	v_add_nc_u32_e32 v39, s33, v33
	v_add_co_u32 v9, vcc_lo, s36, v9
	s_wait_alu 0xfffd
	v_add_co_ci_u32_e64 v10, null, s37, v10, vcc_lo
	v_add_co_u32 v11, vcc_lo, s36, v11
	s_wait_alu 0xfffd
	v_add_co_ci_u32_e64 v12, null, s37, v12, vcc_lo
	;; [unrolled: 3-line block ×4, first 2 shown]
	v_lshlrev_b64_e32 v[35:36], 1, v[35:36]
	s_clause 0x3
	global_load_u16 v42, v[9:10], off
	global_load_u16 v43, v[11:12], off
	;; [unrolled: 1-line block ×4, first 2 shown]
	v_add_nc_u32_e32 v13, s33, v32
	v_ashrrev_i32_e32 v38, 31, v37
	v_ashrrev_i32_e32 v40, 31, v39
	v_add_co_u32 v9, vcc_lo, s34, v35
	s_delay_alu instid0(VALU_DEP_4) | instskip(NEXT) | instid1(VALU_DEP_4)
	v_ashrrev_i32_e32 v14, 31, v13
	v_lshlrev_b64_e32 v[11:12], 1, v[37:38]
	s_wait_alu 0xfffd
	v_add_co_ci_u32_e64 v10, null, s35, v36, vcc_lo
	v_lshlrev_b64_e32 v[35:36], 1, v[39:40]
	v_lshlrev_b64_e32 v[13:14], 1, v[13:14]
	s_delay_alu instid0(VALU_DEP_4) | instskip(SKIP_2) | instid1(VALU_DEP_4)
	v_add_co_u32 v15, vcc_lo, s34, v11
	s_wait_alu 0xfffd
	v_add_co_ci_u32_e64 v16, null, s35, v12, vcc_lo
	v_add_co_u32 v11, vcc_lo, s34, v35
	s_wait_alu 0xfffd
	v_add_co_ci_u32_e64 v12, null, s35, v36, vcc_lo
	;; [unrolled: 3-line block ×3, first 2 shown]
	s_clause 0x3
	global_load_u16 v41, v[9:10], off
	global_load_u16 v39, v[15:16], off
	;; [unrolled: 1-line block ×4, first 2 shown]
	s_wait_loadcnt 0x7
	v_lshlrev_b32_e32 v42, 16, v42
	s_wait_loadcnt 0x6
	v_lshlrev_b32_e32 v38, 16, v43
	;; [unrolled: 2-line block ×4, first 2 shown]
	s_and_saveexec_b32 s48, s1
	s_cbranch_execz .LBB640_19
; %bb.23:                               ;   in Loop: Header=BB640_21 Depth=2
	s_clause 0x3
	global_load_u16 v46, v[9:10], off offset:128
	global_load_u16 v45, v[15:16], off offset:128
	global_load_u16 v44, v[11:12], off offset:128
	global_load_u16 v43, v[13:14], off offset:128
	s_and_saveexec_b32 s49, s2
	s_cbranch_execz .LBB640_18
; %bb.24:                               ;   in Loop: Header=BB640_21 Depth=2
	s_clause 0x3
	global_load_u16 v50, v[9:10], off offset:256
	global_load_u16 v49, v[15:16], off offset:256
	global_load_u16 v48, v[11:12], off offset:256
	global_load_u16 v47, v[13:14], off offset:256
	;; [unrolled: 8-line block ×3, first 2 shown]
	s_wait_loadcnt 0x3
	v_lshlrev_b32_e32 v9, 16, v9
	s_wait_loadcnt 0x2
	s_delay_alu instid0(VALU_DEP_1) | instskip(SKIP_3) | instid1(VALU_DEP_2)
	v_dual_fmac_f32 v29, v42, v9 :: v_dual_lshlrev_b32 v10, 16, v10
	s_wait_loadcnt 0x1
	v_lshlrev_b32_e32 v9, 16, v11
	s_wait_loadcnt 0x0
	v_dual_fmac_f32 v29, v38, v10 :: v_dual_lshlrev_b32 v10, 16, v12
	s_delay_alu instid0(VALU_DEP_1) | instskip(NEXT) | instid1(VALU_DEP_1)
	v_fmac_f32_e32 v29, v40, v9
	v_fmac_f32_e32 v29, v36, v10
	s_branch .LBB640_17
.LBB640_26:                             ;   in Loop: Header=BB640_5 Depth=1
	s_or_b32 exec_lo, exec_lo, s45
.LBB640_27:                             ;   in Loop: Header=BB640_5 Depth=1
	s_wait_alu 0xfffe
	s_or_b32 exec_lo, exec_lo, s7
	s_delay_alu instid0(SALU_CYCLE_1)
	s_and_not1_b32 vcc_lo, exec_lo, s20
	s_wait_alu 0xfffe
	s_cbranch_vccnz .LBB640_45
; %bb.28:                               ;   in Loop: Header=BB640_5 Depth=1
	v_cmp_gt_i32_e32 vcc_lo, s21, v30
	v_dual_mov_b32 v32, 0 :: v_dual_mov_b32 v31, 0
	v_or_b32_e32 v9, 1, v30
	v_dual_mov_b32 v34, 0 :: v_dual_mov_b32 v33, 0
	s_and_saveexec_b32 s45, vcc_lo
	s_cbranch_execz .LBB640_36
; %bb.29:                               ;   in Loop: Header=BB640_5 Depth=1
	v_mul_lo_u32 v10, v30, s18
	v_dual_mov_b32 v33, 0 :: v_dual_mov_b32 v32, 0
	v_mov_b32_e32 v31, 0
	s_mov_b32 s46, exec_lo
	s_delay_alu instid0(VALU_DEP_3) | instskip(NEXT) | instid1(VALU_DEP_1)
	v_ashrrev_i32_e32 v11, 31, v10
	v_lshlrev_b64_e32 v[10:11], 1, v[10:11]
	s_delay_alu instid0(VALU_DEP_1) | instskip(SKIP_1) | instid1(VALU_DEP_2)
	v_add_co_u32 v10, s7, s36, v10
	s_wait_alu 0xf1ff
	v_add_co_ci_u32_e64 v11, null, s37, v11, s7
	global_load_u16 v10, v[10:11], off
	v_cmpx_gt_i32_e64 s21, v9
	s_cbranch_execz .LBB640_35
; %bb.30:                               ;   in Loop: Header=BB640_5 Depth=1
	v_mul_lo_u32 v11, v9, s18
	v_dual_mov_b32 v31, 0 :: v_dual_mov_b32 v32, 0
	s_mov_b32 s47, exec_lo
	s_delay_alu instid0(VALU_DEP_2) | instskip(NEXT) | instid1(VALU_DEP_1)
	v_ashrrev_i32_e32 v12, 31, v11
	v_lshlrev_b64_e32 v[11:12], 1, v[11:12]
	s_delay_alu instid0(VALU_DEP_1) | instskip(SKIP_1) | instid1(VALU_DEP_2)
	v_add_co_u32 v11, s7, s36, v11
	s_wait_alu 0xf1ff
	v_add_co_ci_u32_e64 v12, null, s37, v12, s7
	global_load_u16 v11, v[11:12], off
	v_or_b32_e32 v12, 2, v30
	s_delay_alu instid0(VALU_DEP_1)
	v_cmpx_gt_i32_e64 s21, v12
	s_cbranch_execz .LBB640_34
; %bb.31:                               ;   in Loop: Header=BB640_5 Depth=1
	v_mul_lo_u32 v12, v12, s18
	v_mov_b32_e32 v31, 0
	s_mov_b32 s48, exec_lo
	s_delay_alu instid0(VALU_DEP_2) | instskip(NEXT) | instid1(VALU_DEP_1)
	v_ashrrev_i32_e32 v13, 31, v12
	v_lshlrev_b64_e32 v[12:13], 1, v[12:13]
	s_delay_alu instid0(VALU_DEP_1) | instskip(SKIP_1) | instid1(VALU_DEP_2)
	v_add_co_u32 v12, s7, s36, v12
	s_wait_alu 0xf1ff
	v_add_co_ci_u32_e64 v13, null, s37, v13, s7
	global_load_u16 v12, v[12:13], off
	v_or_b32_e32 v13, 3, v30
	s_delay_alu instid0(VALU_DEP_1)
	v_cmpx_gt_i32_e64 s21, v13
	s_cbranch_execz .LBB640_33
; %bb.32:                               ;   in Loop: Header=BB640_5 Depth=1
	v_mul_lo_u32 v13, v13, s18
	s_delay_alu instid0(VALU_DEP_1) | instskip(NEXT) | instid1(VALU_DEP_1)
	v_ashrrev_i32_e32 v14, 31, v13
	v_lshlrev_b64_e32 v[13:14], 1, v[13:14]
	s_delay_alu instid0(VALU_DEP_1) | instskip(SKIP_1) | instid1(VALU_DEP_2)
	v_add_co_u32 v13, s7, s36, v13
	s_wait_alu 0xf1ff
	v_add_co_ci_u32_e64 v14, null, s37, v14, s7
	global_load_u16 v13, v[13:14], off
	s_wait_loadcnt 0x0
	v_lshlrev_b32_e32 v31, 16, v13
.LBB640_33:                             ;   in Loop: Header=BB640_5 Depth=1
	s_or_b32 exec_lo, exec_lo, s48
	s_wait_loadcnt 0x0
	v_lshlrev_b32_e32 v32, 16, v12
.LBB640_34:                             ;   in Loop: Header=BB640_5 Depth=1
	s_wait_alu 0xfffe
	s_or_b32 exec_lo, exec_lo, s47
	s_wait_loadcnt 0x0
	v_lshlrev_b32_e32 v33, 16, v11
.LBB640_35:                             ;   in Loop: Header=BB640_5 Depth=1
	s_wait_alu 0xfffe
	s_or_b32 exec_lo, exec_lo, s46
	s_wait_loadcnt 0x0
	v_lshlrev_b32_e32 v34, 16, v10
.LBB640_36:                             ;   in Loop: Header=BB640_5 Depth=1
	s_or_b32 exec_lo, exec_lo, s45
	s_and_saveexec_b32 s7, s0
	s_cbranch_execz .LBB640_44
; %bb.37:                               ;   in Loop: Header=BB640_5 Depth=1
	v_mul_lo_u32 v11, v30, s23
	v_or_b32_e32 v10, 2, v30
	v_mul_lo_u32 v13, v9, s23
	v_or_b32_e32 v12, 3, v30
	s_delay_alu instid0(VALU_DEP_3) | instskip(NEXT) | instid1(VALU_DEP_2)
	v_mul_lo_u32 v14, v10, s23
	v_mul_lo_u32 v15, v12, s23
	v_cndmask_b32_e32 v11, 0, v11, vcc_lo
	v_cmp_gt_i32_e32 vcc_lo, s21, v9
	s_wait_alu 0xfffd
	v_cndmask_b32_e32 v13, 0, v13, vcc_lo
	v_cmp_gt_i32_e32 vcc_lo, s21, v10
	s_wait_alu 0xfffd
	v_cndmask_b32_e32 v10, 0, v14, vcc_lo
	v_cmp_gt_i32_e32 vcc_lo, s21, v12
	v_add_nc_u32_e32 v9, v11, v19
	s_wait_alu 0xfffd
	v_cndmask_b32_e32 v12, 0, v15, vcc_lo
	v_add_nc_u32_e32 v11, v13, v19
	v_add_nc_u32_e32 v13, v10, v19
	v_ashrrev_i32_e32 v10, 31, v9
	s_delay_alu instid0(VALU_DEP_4) | instskip(NEXT) | instid1(VALU_DEP_4)
	v_add_nc_u32_e32 v15, v12, v19
	v_ashrrev_i32_e32 v12, 31, v11
	s_delay_alu instid0(VALU_DEP_4) | instskip(NEXT) | instid1(VALU_DEP_4)
	v_ashrrev_i32_e32 v14, 31, v13
	v_lshlrev_b64_e32 v[9:10], 1, v[9:10]
	s_delay_alu instid0(VALU_DEP_4) | instskip(NEXT) | instid1(VALU_DEP_4)
	v_ashrrev_i32_e32 v16, 31, v15
	v_lshlrev_b64_e32 v[11:12], 1, v[11:12]
	s_delay_alu instid0(VALU_DEP_4) | instskip(NEXT) | instid1(VALU_DEP_4)
	v_lshlrev_b64_e32 v[35:36], 1, v[13:14]
	v_add_co_u32 v13, vcc_lo, s34, v9
	s_delay_alu instid0(VALU_DEP_4)
	v_lshlrev_b64_e32 v[37:38], 1, v[15:16]
	s_wait_alu 0xfffd
	v_add_co_ci_u32_e64 v14, null, s35, v10, vcc_lo
	v_add_co_u32 v15, vcc_lo, s34, v11
	s_wait_alu 0xfffd
	v_add_co_ci_u32_e64 v16, null, s35, v12, vcc_lo
	v_add_co_u32 v9, vcc_lo, s34, v35
	;; [unrolled: 3-line block ×3, first 2 shown]
	s_wait_alu 0xfffd
	v_add_co_ci_u32_e64 v12, null, s35, v38, vcc_lo
	s_clause 0x3
	global_load_u16 v37, v[13:14], off
	global_load_u16 v36, v[15:16], off
	;; [unrolled: 1-line block ×4, first 2 shown]
	s_and_saveexec_b32 s34, s1
	s_cbranch_execz .LBB640_43
; %bb.38:                               ;   in Loop: Header=BB640_5 Depth=1
	s_clause 0x3
	global_load_u16 v41, v[13:14], off offset:128
	global_load_u16 v40, v[15:16], off offset:128
	global_load_u16 v39, v[9:10], off offset:128
	global_load_u16 v38, v[11:12], off offset:128
	s_and_saveexec_b32 s35, s2
	s_cbranch_execz .LBB640_42
; %bb.39:                               ;   in Loop: Header=BB640_5 Depth=1
	s_clause 0x3
	global_load_u16 v45, v[13:14], off offset:256
	global_load_u16 v44, v[15:16], off offset:256
	global_load_u16 v43, v[9:10], off offset:256
	global_load_u16 v42, v[11:12], off offset:256
	;; [unrolled: 8-line block ×3, first 2 shown]
	s_wait_loadcnt 0x3
	v_lshlrev_b32_e32 v11, 16, v13
	s_wait_loadcnt 0x2
	v_lshlrev_b32_e32 v12, 16, v14
	;; [unrolled: 2-line block ×3, first 2 shown]
	s_wait_loadcnt 0x0
	v_dual_fmac_f32 v29, v34, v11 :: v_dual_lshlrev_b32 v10, 16, v10
	s_delay_alu instid0(VALU_DEP_1) | instskip(NEXT) | instid1(VALU_DEP_1)
	v_fmac_f32_e32 v29, v33, v12
	v_fmac_f32_e32 v29, v32, v9
	s_delay_alu instid0(VALU_DEP_1)
	v_fmac_f32_e32 v29, v31, v10
.LBB640_41:                             ;   in Loop: Header=BB640_5 Depth=1
	s_wait_alu 0xfffe
	s_or_b32 exec_lo, exec_lo, s36
	s_wait_loadcnt 0x2
	v_lshlrev_b32_e32 v10, 16, v44
	v_lshlrev_b32_e32 v9, 16, v45
	s_wait_loadcnt 0x1
	s_delay_alu instid0(VALU_DEP_1) | instskip(NEXT) | instid1(VALU_DEP_1)
	v_dual_fmac_f32 v28, v34, v9 :: v_dual_lshlrev_b32 v9, 16, v43
	v_fmac_f32_e32 v28, v33, v10
	s_wait_loadcnt 0x0
	s_delay_alu instid0(VALU_DEP_1) | instskip(NEXT) | instid1(VALU_DEP_1)
	v_dual_fmac_f32 v28, v32, v9 :: v_dual_lshlrev_b32 v9, 16, v42
	v_fmac_f32_e32 v28, v31, v9
.LBB640_42:                             ;   in Loop: Header=BB640_5 Depth=1
	s_wait_alu 0xfffe
	s_or_b32 exec_lo, exec_lo, s35
	s_wait_loadcnt 0x3
	v_lshlrev_b32_e32 v9, 16, v41
	s_wait_loadcnt 0x2
	s_delay_alu instid0(VALU_DEP_1) | instskip(SKIP_2) | instid1(VALU_DEP_2)
	v_dual_fmac_f32 v27, v34, v9 :: v_dual_lshlrev_b32 v10, 16, v40
	s_wait_loadcnt 0x1
	v_lshlrev_b32_e32 v9, 16, v39
	v_fmac_f32_e32 v27, v33, v10
	s_delay_alu instid0(VALU_DEP_1) | instskip(SKIP_2) | instid1(VALU_DEP_1)
	v_fmac_f32_e32 v27, v32, v9
	s_wait_loadcnt 0x0
	v_lshlrev_b32_e32 v9, 16, v38
	v_fmac_f32_e32 v27, v31, v9
.LBB640_43:                             ;   in Loop: Header=BB640_5 Depth=1
	s_wait_alu 0xfffe
	s_or_b32 exec_lo, exec_lo, s34
	s_wait_loadcnt 0x2
	v_lshlrev_b32_e32 v10, 16, v36
	v_lshlrev_b32_e32 v9, 16, v37
	s_wait_loadcnt 0x1
	s_delay_alu instid0(VALU_DEP_1) | instskip(NEXT) | instid1(VALU_DEP_1)
	v_dual_fmac_f32 v26, v34, v9 :: v_dual_lshlrev_b32 v9, 16, v35
	v_fmac_f32_e32 v26, v33, v10
	s_wait_loadcnt 0x0
	s_delay_alu instid0(VALU_DEP_1) | instskip(NEXT) | instid1(VALU_DEP_1)
	v_dual_fmac_f32 v26, v32, v9 :: v_dual_lshlrev_b32 v9, 16, v30
	v_fmac_f32_e32 v26, v31, v9
.LBB640_44:                             ;   in Loop: Header=BB640_5 Depth=1
	s_wait_alu 0xfffe
	s_or_b32 exec_lo, exec_lo, s7
.LBB640_45:                             ;   in Loop: Header=BB640_5 Depth=1
	ds_store_2addr_stride64_b32 v18, v26, v27 offset1:1
	ds_store_2addr_stride64_b32 v18, v28, v29 offset0:2 offset1:3
	s_wait_dscnt 0x0
	s_barrier_signal -1
	s_barrier_wait -1
	global_inv scope:SCOPE_SE
                                        ; implicit-def: $vgpr11
	s_and_saveexec_b32 s7, s5
	s_cbranch_execz .LBB640_51
; %bb.46:                               ;   in Loop: Header=BB640_5 Depth=1
	ds_load_2addr_stride64_b32 v[9:10], v20 offset1:4
	ds_load_2addr_stride64_b32 v[11:12], v20 offset0:8 offset1:12
	ds_load_2addr_stride64_b32 v[13:14], v20 offset0:16 offset1:20
	s_mov_b32 s35, s44
	s_wait_dscnt 0x2
	v_add_f32_e32 v15, v9, v10
	ds_load_2addr_stride64_b32 v[9:10], v20 offset0:24 offset1:28
	s_wait_dscnt 0x2
	v_add_f32_e32 v11, v11, v15
	s_delay_alu instid0(VALU_DEP_1) | instskip(SKIP_3) | instid1(VALU_DEP_1)
	v_add_f32_e32 v15, v12, v11
	ds_load_2addr_stride64_b32 v[11:12], v20 offset0:32 offset1:36
	s_wait_dscnt 0x2
	v_add_f32_e32 v13, v13, v15
	v_add_f32_e32 v15, v14, v13
	ds_load_2addr_stride64_b32 v[13:14], v20 offset0:40 offset1:44
	s_wait_dscnt 0x2
	v_add_f32_e32 v9, v9, v15
	s_delay_alu instid0(VALU_DEP_1) | instskip(SKIP_1) | instid1(VALU_DEP_1)
	v_add_f32_e32 v9, v10, v9
	s_wait_dscnt 0x1
	v_add_f32_e32 v11, v11, v9
	ds_load_2addr_stride64_b32 v[9:10], v20 offset0:48 offset1:52
	v_add_f32_e32 v11, v12, v11
	s_wait_dscnt 0x1
	s_delay_alu instid0(VALU_DEP_1) | instskip(SKIP_3) | instid1(VALU_DEP_1)
	v_add_f32_e32 v13, v13, v11
	ds_load_2addr_stride64_b32 v[11:12], v20 offset0:56 offset1:60
	v_add_f32_e32 v13, v14, v13
	s_wait_dscnt 0x1
	v_add_f32_e32 v9, v9, v13
	s_delay_alu instid0(VALU_DEP_1) | instskip(SKIP_1) | instid1(VALU_DEP_1)
	v_add_f32_e32 v9, v10, v9
	s_wait_dscnt 0x0
	v_add_f32_e32 v9, v11, v9
                                        ; implicit-def: $vgpr11
	s_delay_alu instid0(VALU_DEP_1)
	v_add_f32_e32 v9, v12, v9
	ds_store_b32 v20, v9
	s_and_saveexec_b32 s34, s6
	s_cbranch_execz .LBB640_50
; %bb.47:                               ;   in Loop: Header=BB640_5 Depth=1
	v_mul_f32_e32 v11, s22, v9
	s_and_not1_b32 vcc_lo, exec_lo, s39
	s_wait_alu 0xfffe
	s_cbranch_vccnz .LBB640_49
; %bb.48:                               ;   in Loop: Header=BB640_5 Depth=1
	v_lshlrev_b64_e32 v[9:10], 2, v[2:3]
	s_delay_alu instid0(VALU_DEP_1) | instskip(SKIP_1) | instid1(VALU_DEP_2)
	v_add_co_u32 v9, vcc_lo, s16, v9
	s_wait_alu 0xfffd
	v_add_co_ci_u32_e64 v10, null, s17, v10, vcc_lo
	global_load_b32 v9, v[9:10], off
	s_wait_loadcnt 0x0
	v_fmac_f32_e32 v11, s26, v9
.LBB640_49:                             ;   in Loop: Header=BB640_5 Depth=1
	s_or_b32 s35, s44, exec_lo
.LBB640_50:                             ;   in Loop: Header=BB640_5 Depth=1
	s_wait_alu 0xfffe
	s_or_b32 exec_lo, exec_lo, s34
	s_delay_alu instid0(SALU_CYCLE_1)
	s_and_not1_b32 s34, s44, exec_lo
	s_and_b32 s35, s35, exec_lo
	s_wait_alu 0xfffe
	s_or_b32 s44, s34, s35
.LBB640_51:                             ;   in Loop: Header=BB640_5 Depth=1
	s_wait_alu 0xfffe
	s_or_b32 exec_lo, exec_lo, s7
	v_dual_mov_b32 v10, v3 :: v_dual_mov_b32 v9, v2
	s_and_saveexec_b32 s7, s44
	s_cbranch_execz .LBB640_3
.LBB640_52:                             ;   in Loop: Header=BB640_5 Depth=1
	s_delay_alu instid0(VALU_DEP_1) | instskip(SKIP_1) | instid1(VALU_DEP_1)
	v_lshlrev_b64_e32 v[9:10], 2, v[9:10]
	s_wait_alu 0xfffe
	v_add_co_u32 v9, vcc_lo, s16, v9
	s_wait_alu 0xfffd
	s_delay_alu instid0(VALU_DEP_2)
	v_add_co_ci_u32_e64 v10, null, s17, v10, vcc_lo
	global_store_b32 v[9:10], v11, off
	s_branch .LBB640_3
.LBB640_53:
	s_endpgm
	.section	.rodata,"a",@progbits
	.p2align	6, 0x0
	.amdhsa_kernel _ZL20rocblas_gemvn_kernelILi64ELi16Ei16rocblas_bfloat16ffEviiT3_lPKT2_lT1_lS4_lS5_lS1_lPT4_lS5_li
		.amdhsa_group_segment_fixed_size 16384
		.amdhsa_private_segment_fixed_size 0
		.amdhsa_kernarg_size 400
		.amdhsa_user_sgpr_count 2
		.amdhsa_user_sgpr_dispatch_ptr 0
		.amdhsa_user_sgpr_queue_ptr 0
		.amdhsa_user_sgpr_kernarg_segment_ptr 1
		.amdhsa_user_sgpr_dispatch_id 0
		.amdhsa_user_sgpr_private_segment_size 0
		.amdhsa_wavefront_size32 1
		.amdhsa_uses_dynamic_stack 0
		.amdhsa_enable_private_segment 0
		.amdhsa_system_sgpr_workgroup_id_x 1
		.amdhsa_system_sgpr_workgroup_id_y 0
		.amdhsa_system_sgpr_workgroup_id_z 1
		.amdhsa_system_sgpr_workgroup_info 0
		.amdhsa_system_vgpr_workitem_id 1
		.amdhsa_next_free_vgpr 51
		.amdhsa_next_free_sgpr 51
		.amdhsa_reserve_vcc 1
		.amdhsa_float_round_mode_32 0
		.amdhsa_float_round_mode_16_64 0
		.amdhsa_float_denorm_mode_32 3
		.amdhsa_float_denorm_mode_16_64 3
		.amdhsa_fp16_overflow 0
		.amdhsa_workgroup_processor_mode 1
		.amdhsa_memory_ordered 1
		.amdhsa_forward_progress 1
		.amdhsa_inst_pref_size 27
		.amdhsa_round_robin_scheduling 0
		.amdhsa_exception_fp_ieee_invalid_op 0
		.amdhsa_exception_fp_denorm_src 0
		.amdhsa_exception_fp_ieee_div_zero 0
		.amdhsa_exception_fp_ieee_overflow 0
		.amdhsa_exception_fp_ieee_underflow 0
		.amdhsa_exception_fp_ieee_inexact 0
		.amdhsa_exception_int_div_zero 0
	.end_amdhsa_kernel
	.section	.text._ZL20rocblas_gemvn_kernelILi64ELi16Ei16rocblas_bfloat16ffEviiT3_lPKT2_lT1_lS4_lS5_lS1_lPT4_lS5_li,"axG",@progbits,_ZL20rocblas_gemvn_kernelILi64ELi16Ei16rocblas_bfloat16ffEviiT3_lPKT2_lT1_lS4_lS5_lS1_lPT4_lS5_li,comdat
.Lfunc_end640:
	.size	_ZL20rocblas_gemvn_kernelILi64ELi16Ei16rocblas_bfloat16ffEviiT3_lPKT2_lT1_lS4_lS5_lS1_lPT4_lS5_li, .Lfunc_end640-_ZL20rocblas_gemvn_kernelILi64ELi16Ei16rocblas_bfloat16ffEviiT3_lPKT2_lT1_lS4_lS5_lS1_lPT4_lS5_li
                                        ; -- End function
	.set _ZL20rocblas_gemvn_kernelILi64ELi16Ei16rocblas_bfloat16ffEviiT3_lPKT2_lT1_lS4_lS5_lS1_lPT4_lS5_li.num_vgpr, 51
	.set _ZL20rocblas_gemvn_kernelILi64ELi16Ei16rocblas_bfloat16ffEviiT3_lPKT2_lT1_lS4_lS5_lS1_lPT4_lS5_li.num_agpr, 0
	.set _ZL20rocblas_gemvn_kernelILi64ELi16Ei16rocblas_bfloat16ffEviiT3_lPKT2_lT1_lS4_lS5_lS1_lPT4_lS5_li.numbered_sgpr, 51
	.set _ZL20rocblas_gemvn_kernelILi64ELi16Ei16rocblas_bfloat16ffEviiT3_lPKT2_lT1_lS4_lS5_lS1_lPT4_lS5_li.num_named_barrier, 0
	.set _ZL20rocblas_gemvn_kernelILi64ELi16Ei16rocblas_bfloat16ffEviiT3_lPKT2_lT1_lS4_lS5_lS1_lPT4_lS5_li.private_seg_size, 0
	.set _ZL20rocblas_gemvn_kernelILi64ELi16Ei16rocblas_bfloat16ffEviiT3_lPKT2_lT1_lS4_lS5_lS1_lPT4_lS5_li.uses_vcc, 1
	.set _ZL20rocblas_gemvn_kernelILi64ELi16Ei16rocblas_bfloat16ffEviiT3_lPKT2_lT1_lS4_lS5_lS1_lPT4_lS5_li.uses_flat_scratch, 0
	.set _ZL20rocblas_gemvn_kernelILi64ELi16Ei16rocblas_bfloat16ffEviiT3_lPKT2_lT1_lS4_lS5_lS1_lPT4_lS5_li.has_dyn_sized_stack, 0
	.set _ZL20rocblas_gemvn_kernelILi64ELi16Ei16rocblas_bfloat16ffEviiT3_lPKT2_lT1_lS4_lS5_lS1_lPT4_lS5_li.has_recursion, 0
	.set _ZL20rocblas_gemvn_kernelILi64ELi16Ei16rocblas_bfloat16ffEviiT3_lPKT2_lT1_lS4_lS5_lS1_lPT4_lS5_li.has_indirect_call, 0
	.section	.AMDGPU.csdata,"",@progbits
; Kernel info:
; codeLenInByte = 3364
; TotalNumSgprs: 53
; NumVgprs: 51
; ScratchSize: 0
; MemoryBound: 0
; FloatMode: 240
; IeeeMode: 1
; LDSByteSize: 16384 bytes/workgroup (compile time only)
; SGPRBlocks: 0
; VGPRBlocks: 6
; NumSGPRsForWavesPerEU: 53
; NumVGPRsForWavesPerEU: 51
; Occupancy: 16
; WaveLimiterHint : 1
; COMPUTE_PGM_RSRC2:SCRATCH_EN: 0
; COMPUTE_PGM_RSRC2:USER_SGPR: 2
; COMPUTE_PGM_RSRC2:TRAP_HANDLER: 0
; COMPUTE_PGM_RSRC2:TGID_X_EN: 1
; COMPUTE_PGM_RSRC2:TGID_Y_EN: 0
; COMPUTE_PGM_RSRC2:TGID_Z_EN: 1
; COMPUTE_PGM_RSRC2:TIDIG_COMP_CNT: 1
	.section	.text._ZL20rocblas_gemvn_kernelILi64ELi16El16rocblas_bfloat16ffEviiT3_lPKT2_lT1_lS4_lS5_lS1_lPT4_lS5_li,"axG",@progbits,_ZL20rocblas_gemvn_kernelILi64ELi16El16rocblas_bfloat16ffEviiT3_lPKT2_lT1_lS4_lS5_lS1_lPT4_lS5_li,comdat
	.globl	_ZL20rocblas_gemvn_kernelILi64ELi16El16rocblas_bfloat16ffEviiT3_lPKT2_lT1_lS4_lS5_lS1_lPT4_lS5_li ; -- Begin function _ZL20rocblas_gemvn_kernelILi64ELi16El16rocblas_bfloat16ffEviiT3_lPKT2_lT1_lS4_lS5_lS1_lPT4_lS5_li
	.p2align	8
	.type	_ZL20rocblas_gemvn_kernelILi64ELi16El16rocblas_bfloat16ffEviiT3_lPKT2_lT1_lS4_lS5_lS1_lPT4_lS5_li,@function
_ZL20rocblas_gemvn_kernelILi64ELi16El16rocblas_bfloat16ffEviiT3_lPKT2_lT1_lS4_lS5_lS1_lPT4_lS5_li: ; @_ZL20rocblas_gemvn_kernelILi64ELi16El16rocblas_bfloat16ffEviiT3_lPKT2_lT1_lS4_lS5_lS1_lPT4_lS5_li
; %bb.0:
	s_load_b64 s[2:3], s[0:1], 0x9c
	s_wait_kmcnt 0x0
	s_lshr_b32 s4, s2, 16
	s_and_b32 s2, s2, 0xffff
	s_and_b32 s3, s3, 0xffff
	s_mul_i32 s2, s4, s2
	s_delay_alu instid0(SALU_CYCLE_1) | instskip(NEXT) | instid1(SALU_CYCLE_1)
	s_mul_i32 s2, s2, s3
	s_cmp_lg_u32 s2, 0x400
	s_cbranch_scc1 .LBB641_53
; %bb.1:
	s_load_b32 s33, s[0:1], 0x88
	s_lshr_b32 s34, ttmp7, 16
	s_wait_kmcnt 0x0
	s_cmp_ge_u32 s34, s33
	s_cbranch_scc1 .LBB641_53
; %bb.2:
	s_clause 0x3
	s_load_b512 s[8:23], s[0:1], 0x18
	s_load_b256 s[24:31], s[0:1], 0x68
	s_load_b96 s[36:38], s[0:1], 0x0
	s_load_b32 s39, s[0:1], 0x58
	v_bfe_u32 v15, v0, 10, 10
	v_and_b32_e32 v1, 0x3ff, v0
	s_mov_b32 s35, 0
	s_delay_alu instid0(VALU_DEP_2) | instskip(NEXT) | instid1(VALU_DEP_2)
	v_dual_mov_b32 v3, 0 :: v_dual_lshlrev_b32 v16, 2, v15
	v_lshlrev_b32_e32 v10, 2, v1
	s_delay_alu instid0(VALU_DEP_2) | instskip(NEXT) | instid1(VALU_DEP_2)
	v_or_b32_e32 v19, 3, v16
	v_lshl_add_u32 v17, v15, 10, v10
	v_lshl_add_u32 v18, v15, 8, v10
	s_wait_kmcnt 0x0
	s_lshl_b64 s[2:3], s[10:11], 1
	s_lshl_b64 s[10:11], s[18:19], 1
	;; [unrolled: 1-line block ×3, first 2 shown]
	s_cmp_eq_f32 s38, 0
	s_add_nc_u64 s[18:19], s[8:9], s[2:3]
	v_mad_co_u64_u32 v[4:5], null, s20, v15, 0
	s_cselect_b32 s46, -1, 0
	s_cmp_neq_f32 s38, 0
	v_mad_co_u64_u32 v[6:7], null, s12, v19, 0
	s_add_nc_u64 s[24:25], s[24:25], s[4:5]
	s_cselect_b32 s1, -1, 0
	s_cmp_neq_f32 s39, 1.0
	s_mov_b32 s6, s36
	s_add_nc_u64 s[26:27], s[16:17], s[10:11]
	s_cselect_b32 s2, -1, 0
	s_lshl_b32 s8, ttmp9, 8
	s_ashr_i32 s7, s36, 31
	v_add_nc_u32_e32 v8, s8, v1
	s_or_b32 s47, s1, s2
	s_cmp_neq_f32 s39, 0
	s_delay_alu instid0(VALU_DEP_1) | instskip(SKIP_2) | instid1(SALU_CYCLE_1)
	v_add_nc_u32_e32 v11, 0x80, v8
	s_cselect_b32 s48, -1, 0
	s_ashr_i32 s2, s37, 31
	s_lshr_b32 s2, s2, 26
	s_delay_alu instid0(VALU_DEP_1)
	v_cmp_gt_i32_e64 s3, s36, v11
	v_mad_co_u64_u32 v[10:11], null, s21, v15, v[5:6]
	v_mov_b32_e32 v5, v7
	s_add_co_i32 s49, s37, s2
	v_or_b32_e32 v23, 2, v16
	s_and_not1_b32 s49, s49, 63
	v_mad_co_u64_u32 v[29:30], null, s20, v16, s[20:21]
	v_mad_co_u64_u32 v[13:14], null, s13, v19, v[5:6]
	v_dual_mov_b32 v5, v10 :: v_dual_add_nc_u32 v12, 0xc0, v8
	s_sub_co_i32 s5, s37, s49
	v_ashrrev_i32_e32 v9, 31, v8
	s_cmp_gt_i32 s5, 0
	s_delay_alu instid0(VALU_DEP_2)
	v_lshlrev_b64_e32 v[4:5], 3, v[4:5]
	v_cmp_gt_i32_e64 s4, s36, v12
	v_mad_co_u64_u32 v[11:12], null, s20, v19, 0
	s_cselect_b32 s50, -1, 0
	v_cmp_gt_i32_e64 s1, s36, v8
	v_mov_b32_e32 v7, v13
	v_mad_co_u64_u32 v[27:28], null, s20, v23, 0
	v_mad_co_u64_u32 v[31:32], null, s12, v16, s[12:13]
	v_mov_b32_e32 v10, v12
	v_lshl_add_u32 v0, v15, 6, v1
	v_lshlrev_b64_e32 v[6:7], 1, v[6:7]
	v_cmp_gt_i32_e64 s5, s49, v16
	s_lshl_b64 s[40:41], s[14:15], 1
	v_mad_co_u64_u32 v[12:13], null, s21, v19, v[10:11]
	v_add_nc_u32_e32 v2, s8, v0
	v_cmp_gt_u32_e64 s0, 0x100, v0
	v_or_b32_e32 v20, s8, v0
	v_mad_co_u64_u32 v[13:14], null, s12, v15, 0
	s_delay_alu instid0(VALU_DEP_4)
	v_mad_co_u64_u32 v[0:1], null, s28, v2, 0
	v_cmp_gt_i64_e32 vcc_lo, s[6:7], v[2:3]
	v_add_nc_u32_e32 v3, 64, v8
	s_ashr_i32 s6, s8, 31
	v_mul_lo_u32 v21, s29, v20
	s_wait_alu 0xfffe
	s_mul_i32 s7, s28, s6
	v_cmp_gt_i32_e64 s6, s36, v20
	v_mad_co_u64_u32 v[1:2], null, s29, v2, v[1:2]
	v_cmp_gt_i32_e64 s2, s36, v3
	v_mad_co_u64_u32 v[2:3], null, s28, v20, 0
	s_and_b32 s36, s0, vcc_lo
	v_add_co_u32 v19, vcc_lo, s16, v4
	s_delay_alu instid0(VALU_DEP_1)
	v_add_co_ci_u32_e64 v20, null, s17, v5, vcc_lo
	v_lshlrev_b64_e32 v[4:5], 1, v[8:9]
	v_mad_co_u64_u32 v[9:10], null, s12, v23, 0
	v_mov_b32_e32 v8, v14
	s_wait_alu 0xfffe
	v_add3_u32 v3, v3, s7, v21
	v_add_co_u32 v21, vcc_lo, s18, v6
	s_wait_alu 0xfffd
	v_add_co_ci_u32_e64 v22, null, s19, v7, vcc_lo
	v_mad_co_u64_u32 v[14:15], null, s13, v15, v[8:9]
	v_lshlrev_b64_e32 v[7:8], 1, v[11:12]
	v_mov_b32_e32 v6, v10
	v_mov_b32_e32 v10, v28
	s_lshl_b64 s[28:29], s[22:23], 1
	s_lshl_b64 s[42:43], s[12:13], 7
	s_delay_alu instid0(VALU_DEP_2) | instskip(SKIP_1) | instid1(VALU_DEP_2)
	v_mad_co_u64_u32 v[11:12], null, s13, v23, v[6:7]
	v_mov_b32_e32 v6, v30
	v_mad_co_u64_u32 v[25:26], null, s21, v23, v[10:11]
	v_add_co_u32 v23, vcc_lo, s16, v7
	s_wait_alu 0xfffd
	v_add_co_ci_u32_e64 v24, null, s17, v8, vcc_lo
	v_lshlrev_b64_e32 v[7:8], 3, v[13:14]
	v_mov_b32_e32 v10, v11
	v_mov_b32_e32 v28, v25
	s_delay_alu instid0(VALU_DEP_3)
	v_add_co_u32 v25, vcc_lo, s18, v7
	v_mad_co_u64_u32 v[11:12], null, s21, v16, v[6:7]
	s_wait_alu 0xfffd
	v_add_co_ci_u32_e64 v26, null, s19, v8, vcc_lo
	v_lshlrev_b64_e32 v[7:8], 1, v[9:10]
	v_mov_b32_e32 v6, v32
	v_lshlrev_b64_e32 v[12:13], 1, v[27:28]
	v_mov_b32_e32 v30, v11
	s_delay_alu instid0(VALU_DEP_3) | instskip(SKIP_1) | instid1(VALU_DEP_3)
	v_mad_co_u64_u32 v[9:10], null, s13, v16, v[6:7]
	v_add_co_u32 v27, vcc_lo, s18, v7
	v_lshlrev_b64_e32 v[6:7], 1, v[29:30]
	s_wait_alu 0xfffd
	v_add_co_ci_u32_e64 v28, null, s19, v8, vcc_lo
	v_add_co_u32 v29, vcc_lo, s16, v12
	v_mov_b32_e32 v32, v9
	s_wait_alu 0xfffd
	v_add_co_ci_u32_e64 v30, null, s17, v13, vcc_lo
	s_delay_alu instid0(VALU_DEP_2) | instskip(SKIP_4) | instid1(VALU_DEP_4)
	v_lshlrev_b64_e32 v[8:9], 1, v[31:32]
	v_add_co_u32 v31, vcc_lo, s16, v6
	s_wait_alu 0xfffd
	v_add_co_ci_u32_e64 v32, null, s17, v7, vcc_lo
	v_lshlrev_b64_e32 v[6:7], 2, v[0:1]
	v_add_co_u32 v33, vcc_lo, s18, v8
	s_wait_alu 0xfffd
	v_add_co_ci_u32_e64 v34, null, s19, v9, vcc_lo
	s_lshl_b64 s[16:17], s[20:21], 7
	s_branch .LBB641_5
.LBB641_3:                              ;   in Loop: Header=BB641_5 Depth=1
	s_wait_alu 0xfffe
	s_or_b32 exec_lo, exec_lo, s7
.LBB641_4:                              ;   in Loop: Header=BB641_5 Depth=1
	s_add_co_i32 s34, s34, 0x10000
	s_delay_alu instid0(SALU_CYCLE_1)
	s_cmp_lt_u32 s34, s33
	s_cbranch_scc0 .LBB641_53
.LBB641_5:                              ; =>This Loop Header: Depth=1
                                        ;     Child Loop BB641_21 Depth 2
	s_and_not1_b32 vcc_lo, exec_lo, s47
	s_wait_alu 0xfffe
	s_cbranch_vccnz .LBB641_4
; %bb.6:                                ;   in Loop: Header=BB641_5 Depth=1
	s_mul_u64 s[8:9], s[30:31], s[34:35]
	s_and_not1_b32 vcc_lo, exec_lo, s46
	s_wait_alu 0xfffe
	s_lshl_b64 s[8:9], s[8:9], 2
	s_wait_alu 0xfffe
	s_add_nc_u64 s[44:45], s[24:25], s[8:9]
	s_cbranch_vccnz .LBB641_10
; %bb.7:                                ;   in Loop: Header=BB641_5 Depth=1
	s_mov_b32 s7, 0
	s_mov_b32 s51, 0
                                        ; implicit-def: $vgpr10
	s_and_saveexec_b32 s8, s36
	s_cbranch_execz .LBB641_11
; %bb.8:                                ;   in Loop: Header=BB641_5 Depth=1
	s_and_not1_b32 vcc_lo, exec_lo, s48
	s_wait_alu 0xfffe
	s_cbranch_vccnz .LBB641_13
; %bb.9:                                ;   in Loop: Header=BB641_5 Depth=1
	v_add_co_u32 v8, vcc_lo, s44, v6
	s_wait_alu 0xfffd
	v_add_co_ci_u32_e64 v9, null, s45, v7, vcc_lo
	global_load_b32 v8, v[8:9], off
	s_wait_loadcnt 0x0
	v_mul_f32_e32 v10, s39, v8
	s_branch .LBB641_14
.LBB641_10:                             ;   in Loop: Header=BB641_5 Depth=1
	s_mov_b32 s51, 0
                                        ; implicit-def: $vgpr10
	s_cbranch_execz .LBB641_12
	s_branch .LBB641_15
.LBB641_11:                             ;   in Loop: Header=BB641_5 Depth=1
	s_wait_alu 0xfffe
	s_or_b32 exec_lo, exec_lo, s8
	s_delay_alu instid0(SALU_CYCLE_1)
	s_and_b32 vcc_lo, exec_lo, s7
	s_wait_alu 0xfffe
	s_cbranch_vccnz .LBB641_15
.LBB641_12:                             ;   in Loop: Header=BB641_5 Depth=1
	v_dual_mov_b32 v9, v1 :: v_dual_mov_b32 v8, v0
	s_and_saveexec_b32 s7, s51
	s_cbranch_execz .LBB641_3
	s_branch .LBB641_52
.LBB641_13:                             ;   in Loop: Header=BB641_5 Depth=1
	v_mov_b32_e32 v10, 0
.LBB641_14:                             ;   in Loop: Header=BB641_5 Depth=1
	s_mov_b32 s51, exec_lo
	s_or_b32 exec_lo, exec_lo, s8
	s_delay_alu instid0(SALU_CYCLE_1)
	s_and_b32 vcc_lo, exec_lo, s7
	s_wait_alu 0xfffe
	s_cbranch_vccz .LBB641_12
.LBB641_15:                             ;   in Loop: Header=BB641_5 Depth=1
	v_dual_mov_b32 v35, 0 :: v_dual_mov_b32 v36, 0
	v_dual_mov_b32 v39, v16 :: v_dual_mov_b32 v38, 0
	v_mov_b32_e32 v37, 0
	s_and_saveexec_b32 s8, s5
	s_cbranch_execz .LBB641_27
; %bb.16:                               ;   in Loop: Header=BB641_5 Depth=1
	s_mul_u64 s[52:53], s[28:29], s[34:35]
	s_mul_u64 s[54:55], s[40:41], s[34:35]
	s_wait_alu 0xfffe
	v_add_co_u32 v40, vcc_lo, v19, s52
	s_wait_alu 0xfffd
	v_add_co_ci_u32_e64 v41, null, s53, v20, vcc_lo
	v_add_co_u32 v42, vcc_lo, v21, s54
	s_wait_alu 0xfffd
	v_add_co_ci_u32_e64 v43, null, s55, v22, vcc_lo
	;; [unrolled: 3-line block ×8, first 2 shown]
	v_dual_mov_b32 v35, 0 :: v_dual_mov_b32 v36, 0
	v_dual_mov_b32 v39, v16 :: v_dual_mov_b32 v38, 0
	v_mov_b32_e32 v37, 0
	s_mov_b32 s9, 0
	s_branch .LBB641_21
.LBB641_17:                             ;   in Loop: Header=BB641_21 Depth=2
	s_wait_alu 0xfffe
	s_or_b32 exec_lo, exec_lo, s54
	s_wait_loadcnt 0x2
	v_lshlrev_b32_e32 v9, 16, v70
	v_lshlrev_b32_e32 v8, 16, v71
	s_wait_loadcnt 0x1
	s_delay_alu instid0(VALU_DEP_1) | instskip(NEXT) | instid1(VALU_DEP_1)
	v_dual_fmac_f32 v37, v63, v8 :: v_dual_lshlrev_b32 v8, 16, v69
	v_fmac_f32_e32 v37, v59, v9
	s_delay_alu instid0(VALU_DEP_1) | instskip(SKIP_2) | instid1(VALU_DEP_1)
	v_fmac_f32_e32 v37, v61, v8
	s_wait_loadcnt 0x0
	v_lshlrev_b32_e32 v8, 16, v68
	v_fmac_f32_e32 v37, v57, v8
.LBB641_18:                             ;   in Loop: Header=BB641_21 Depth=2
	s_wait_alu 0xfffe
	s_or_b32 exec_lo, exec_lo, s53
	s_wait_loadcnt 0x3
	v_lshlrev_b32_e32 v8, 16, v67
	s_wait_loadcnt 0x2
	s_delay_alu instid0(VALU_DEP_1) | instskip(SKIP_2) | instid1(VALU_DEP_2)
	v_dual_fmac_f32 v36, v63, v8 :: v_dual_lshlrev_b32 v9, 16, v66
	s_wait_loadcnt 0x1
	v_lshlrev_b32_e32 v8, 16, v65
	v_fmac_f32_e32 v36, v59, v9
	s_delay_alu instid0(VALU_DEP_1) | instskip(SKIP_2) | instid1(VALU_DEP_1)
	v_fmac_f32_e32 v36, v61, v8
	s_wait_loadcnt 0x0
	v_lshlrev_b32_e32 v8, 16, v64
	v_fmac_f32_e32 v36, v57, v8
.LBB641_19:                             ;   in Loop: Header=BB641_21 Depth=2
	s_wait_alu 0xfffe
	s_or_b32 exec_lo, exec_lo, s52
	s_wait_loadcnt 0x2
	v_lshlrev_b32_e32 v9, 16, v60
	v_lshlrev_b32_e32 v8, 16, v62
	s_wait_loadcnt 0x1
	s_delay_alu instid0(VALU_DEP_1) | instskip(NEXT) | instid1(VALU_DEP_1)
	v_dual_fmac_f32 v35, v63, v8 :: v_dual_lshlrev_b32 v8, 16, v58
	v_fmac_f32_e32 v35, v59, v9
	s_delay_alu instid0(VALU_DEP_1) | instskip(SKIP_2) | instid1(VALU_DEP_1)
	v_fmac_f32_e32 v35, v61, v8
	s_wait_loadcnt 0x0
	v_lshlrev_b32_e32 v8, 16, v56
	v_fmac_f32_e32 v35, v57, v8
.LBB641_20:                             ;   in Loop: Header=BB641_21 Depth=2
	s_wait_alu 0xfffe
	s_or_b32 exec_lo, exec_lo, s7
	v_add_co_u32 v40, vcc_lo, v40, s16
	s_wait_alu 0xfffd
	v_add_co_ci_u32_e64 v41, null, s17, v41, vcc_lo
	v_add_co_u32 v42, vcc_lo, v42, s42
	s_wait_alu 0xfffd
	v_add_co_ci_u32_e64 v43, null, s43, v43, vcc_lo
	;; [unrolled: 3-line block ×4, first 2 shown]
	v_add_co_u32 v48, vcc_lo, v48, s42
	v_add_nc_u32_e32 v39, 64, v39
	s_wait_alu 0xfffd
	v_add_co_ci_u32_e64 v49, null, s43, v49, vcc_lo
	v_add_co_u32 v50, vcc_lo, v50, s16
	s_wait_alu 0xfffd
	v_add_co_ci_u32_e64 v51, null, s17, v51, vcc_lo
	v_add_co_u32 v52, vcc_lo, v52, s16
	s_wait_alu 0xfffd
	v_add_co_ci_u32_e64 v53, null, s17, v53, vcc_lo
	v_cmp_le_i32_e32 vcc_lo, s49, v39
	v_add_co_u32 v54, s7, v54, s42
	s_wait_alu 0xf1ff
	v_add_co_ci_u32_e64 v55, null, s43, v55, s7
	s_or_b32 s9, vcc_lo, s9
	s_wait_alu 0xfffe
	s_and_not1_b32 exec_lo, exec_lo, s9
	s_cbranch_execz .LBB641_26
.LBB641_21:                             ;   Parent Loop BB641_5 Depth=1
                                        ; =>  This Inner Loop Header: Depth=2
	s_and_saveexec_b32 s7, s1
	s_cbranch_execz .LBB641_20
; %bb.22:                               ;   in Loop: Header=BB641_21 Depth=2
	v_add_co_u32 v8, vcc_lo, v40, s10
	s_wait_alu 0xfffd
	v_add_co_ci_u32_e64 v9, null, s11, v41, vcc_lo
	v_add_co_u32 v10, vcc_lo, v52, s10
	s_wait_alu 0xfffd
	v_add_co_ci_u32_e64 v11, null, s11, v53, vcc_lo
	;; [unrolled: 3-line block ×4, first 2 shown]
	global_load_u16 v57, v[8:9], off
	global_load_u16 v59, v[10:11], off
	;; [unrolled: 1-line block ×4, first 2 shown]
	v_add_co_u32 v8, vcc_lo, v46, v4
	s_wait_alu 0xfffd
	v_add_co_ci_u32_e64 v9, null, v47, v5, vcc_lo
	v_add_co_u32 v12, vcc_lo, v54, v4
	s_wait_alu 0xfffd
	v_add_co_ci_u32_e64 v13, null, v55, v5, vcc_lo
	;; [unrolled: 3-line block ×4, first 2 shown]
	global_load_u16 v62, v[8:9], off
	global_load_u16 v60, v[12:13], off
	;; [unrolled: 1-line block ×4, first 2 shown]
	s_wait_loadcnt 0x7
	v_lshlrev_b32_e32 v63, 16, v57
	s_wait_loadcnt 0x6
	v_lshlrev_b32_e32 v59, 16, v59
	;; [unrolled: 2-line block ×4, first 2 shown]
	s_and_saveexec_b32 s52, s2
	s_cbranch_execz .LBB641_19
; %bb.23:                               ;   in Loop: Header=BB641_21 Depth=2
	global_load_u16 v67, v[8:9], off offset:128
	global_load_u16 v66, v[12:13], off offset:128
	global_load_u16 v65, v[10:11], off offset:128
	global_load_u16 v64, v[14:15], off offset:128
	s_and_saveexec_b32 s53, s3
	s_cbranch_execz .LBB641_18
; %bb.24:                               ;   in Loop: Header=BB641_21 Depth=2
	global_load_u16 v71, v[8:9], off offset:256
	global_load_u16 v70, v[12:13], off offset:256
	global_load_u16 v69, v[10:11], off offset:256
	global_load_u16 v68, v[14:15], off offset:256
	;; [unrolled: 7-line block ×3, first 2 shown]
	s_wait_loadcnt 0x3
	v_lshlrev_b32_e32 v8, 16, v8
	s_wait_loadcnt 0x2
	s_delay_alu instid0(VALU_DEP_1) | instskip(SKIP_3) | instid1(VALU_DEP_2)
	v_dual_fmac_f32 v38, v63, v8 :: v_dual_lshlrev_b32 v9, 16, v9
	s_wait_loadcnt 0x1
	v_lshlrev_b32_e32 v8, 16, v10
	s_wait_loadcnt 0x0
	v_dual_fmac_f32 v38, v59, v9 :: v_dual_lshlrev_b32 v9, 16, v11
	s_delay_alu instid0(VALU_DEP_1) | instskip(NEXT) | instid1(VALU_DEP_1)
	v_fmac_f32_e32 v38, v61, v8
	v_fmac_f32_e32 v38, v57, v9
	s_branch .LBB641_17
.LBB641_26:                             ;   in Loop: Header=BB641_5 Depth=1
	s_or_b32 exec_lo, exec_lo, s9
.LBB641_27:                             ;   in Loop: Header=BB641_5 Depth=1
	s_wait_alu 0xfffe
	s_or_b32 exec_lo, exec_lo, s8
	s_delay_alu instid0(SALU_CYCLE_1)
	s_and_not1_b32 vcc_lo, exec_lo, s50
	s_wait_alu 0xfffe
	s_cbranch_vccnz .LBB641_45
; %bb.28:                               ;   in Loop: Header=BB641_5 Depth=1
	v_cmp_gt_i32_e32 vcc_lo, s37, v39
	v_dual_mov_b32 v41, 0 :: v_dual_mov_b32 v40, 0
	v_or_b32_e32 v8, 1, v39
	v_dual_mov_b32 v43, 0 :: v_dual_mov_b32 v42, 0
	s_and_saveexec_b32 s52, vcc_lo
	s_cbranch_execz .LBB641_36
; %bb.29:                               ;   in Loop: Header=BB641_5 Depth=1
	v_mad_co_u64_u32 v[9:10], null, s20, v39, 0
	s_mul_u64 s[8:9], s[22:23], s[34:35]
	v_dual_mov_b32 v42, 0 :: v_dual_mov_b32 v41, 0
	s_wait_alu 0xfffe
	s_lshl_b64 s[8:9], s[8:9], 1
	v_mov_b32_e32 v40, 0
	s_wait_alu 0xfffe
	s_add_nc_u64 s[8:9], s[26:27], s[8:9]
	v_mad_co_u64_u32 v[10:11], null, s21, v39, v[10:11]
	s_mov_b32 s53, exec_lo
	v_lshlrev_b64_e32 v[9:10], 1, v[9:10]
	s_wait_alu 0xfffe
	s_delay_alu instid0(VALU_DEP_1) | instskip(SKIP_1) | instid1(VALU_DEP_2)
	v_add_co_u32 v9, s7, s8, v9
	s_wait_alu 0xf1ff
	v_add_co_ci_u32_e64 v10, null, s9, v10, s7
	global_load_u16 v9, v[9:10], off
	v_cmpx_gt_i32_e64 s37, v8
	s_cbranch_execz .LBB641_35
; %bb.30:                               ;   in Loop: Header=BB641_5 Depth=1
	v_mad_co_u64_u32 v[10:11], null, s20, v8, 0
	v_dual_mov_b32 v40, 0 :: v_dual_mov_b32 v41, 0
	s_mov_b32 s54, exec_lo
	s_delay_alu instid0(VALU_DEP_2) | instskip(NEXT) | instid1(VALU_DEP_1)
	v_mad_co_u64_u32 v[11:12], null, s21, v8, v[11:12]
	v_lshlrev_b64_e32 v[10:11], 1, v[10:11]
	s_delay_alu instid0(VALU_DEP_1) | instskip(SKIP_1) | instid1(VALU_DEP_2)
	v_add_co_u32 v10, s7, s8, v10
	s_wait_alu 0xf1ff
	v_add_co_ci_u32_e64 v11, null, s9, v11, s7
	global_load_u16 v10, v[10:11], off
	v_or_b32_e32 v11, 2, v39
	s_delay_alu instid0(VALU_DEP_1)
	v_cmpx_gt_i32_e64 s37, v11
	s_cbranch_execz .LBB641_34
; %bb.31:                               ;   in Loop: Header=BB641_5 Depth=1
	v_mad_co_u64_u32 v[12:13], null, s20, v11, 0
	v_mov_b32_e32 v40, 0
	s_mov_b32 s55, exec_lo
	s_delay_alu instid0(VALU_DEP_2) | instskip(NEXT) | instid1(VALU_DEP_1)
	v_mad_co_u64_u32 v[13:14], null, s21, v11, v[13:14]
	v_lshlrev_b64_e32 v[11:12], 1, v[12:13]
	s_delay_alu instid0(VALU_DEP_1) | instskip(SKIP_1) | instid1(VALU_DEP_2)
	v_add_co_u32 v11, s7, s8, v11
	s_wait_alu 0xf1ff
	v_add_co_ci_u32_e64 v12, null, s9, v12, s7
	global_load_u16 v11, v[11:12], off
	v_or_b32_e32 v12, 3, v39
	s_delay_alu instid0(VALU_DEP_1)
	v_cmpx_gt_i32_e64 s37, v12
	s_cbranch_execz .LBB641_33
; %bb.32:                               ;   in Loop: Header=BB641_5 Depth=1
	v_mad_co_u64_u32 v[13:14], null, s20, v12, 0
	s_delay_alu instid0(VALU_DEP_1) | instskip(NEXT) | instid1(VALU_DEP_1)
	v_mad_co_u64_u32 v[14:15], null, s21, v12, v[14:15]
	v_lshlrev_b64_e32 v[12:13], 1, v[13:14]
	s_delay_alu instid0(VALU_DEP_1) | instskip(SKIP_1) | instid1(VALU_DEP_2)
	v_add_co_u32 v12, s7, s8, v12
	s_wait_alu 0xf1ff
	v_add_co_ci_u32_e64 v13, null, s9, v13, s7
	global_load_u16 v12, v[12:13], off
	s_wait_loadcnt 0x0
	v_lshlrev_b32_e32 v40, 16, v12
.LBB641_33:                             ;   in Loop: Header=BB641_5 Depth=1
	s_wait_alu 0xfffe
	s_or_b32 exec_lo, exec_lo, s55
	s_wait_loadcnt 0x0
	v_lshlrev_b32_e32 v41, 16, v11
.LBB641_34:                             ;   in Loop: Header=BB641_5 Depth=1
	s_wait_alu 0xfffe
	s_or_b32 exec_lo, exec_lo, s54
	s_wait_loadcnt 0x0
	v_lshlrev_b32_e32 v42, 16, v10
.LBB641_35:                             ;   in Loop: Header=BB641_5 Depth=1
	s_or_b32 exec_lo, exec_lo, s53
	s_wait_loadcnt 0x0
	v_lshlrev_b32_e32 v43, 16, v9
.LBB641_36:                             ;   in Loop: Header=BB641_5 Depth=1
	s_wait_alu 0xfffe
	s_or_b32 exec_lo, exec_lo, s52
	s_and_saveexec_b32 s9, s1
	s_cbranch_execz .LBB641_44
; %bb.37:                               ;   in Loop: Header=BB641_5 Depth=1
	v_mad_co_u64_u32 v[9:10], null, s12, v39, 0
	v_mad_co_u64_u32 v[11:12], null, s12, v8, 0
	v_or_b32_e32 v48, 2, v39
	v_or_b32_e32 v49, 3, v39
	s_mul_u64 s[52:53], s[14:15], s[34:35]
	s_wait_alu 0xfffe
	s_lshl_b64 s[52:53], s[52:53], 1
	v_cmp_gt_i32_e64 s7, s37, v48
	s_delay_alu instid0(VALU_DEP_4) | instskip(SKIP_4) | instid1(VALU_DEP_2)
	v_mad_co_u64_u32 v[13:14], null, s13, v39, v[10:11]
	v_mad_co_u64_u32 v[14:15], null, s12, v48, 0
	;; [unrolled: 1-line block ×3, first 2 shown]
	s_wait_alu 0xfffe
	s_add_nc_u64 s[52:53], s[18:19], s[52:53]
	v_dual_cndmask_b32 v10, 0, v13 :: v_dual_mov_b32 v13, v15
	s_delay_alu instid0(VALU_DEP_2) | instskip(NEXT) | instid1(VALU_DEP_2)
	v_mov_b32_e32 v15, v45
	v_mad_co_u64_u32 v[46:47], null, s13, v8, v[12:13]
	v_cndmask_b32_e32 v9, 0, v9, vcc_lo
	v_cmp_gt_i32_e32 vcc_lo, s37, v8
	s_wait_alu 0xfffd
	s_delay_alu instid0(VALU_DEP_3) | instskip(NEXT) | instid1(VALU_DEP_3)
	v_dual_cndmask_b32 v11, 0, v11 :: v_dual_cndmask_b32 v12, 0, v46
	v_lshlrev_b64_e32 v[9:10], 1, v[9:10]
	s_wait_alu 0xfffe
	s_delay_alu instid0(VALU_DEP_1) | instskip(SKIP_1) | instid1(VALU_DEP_2)
	v_add_co_u32 v8, s8, s52, v9
	s_wait_alu 0xf1ff
	v_add_co_ci_u32_e64 v9, null, s53, v10, s8
	v_lshlrev_b64_e32 v[10:11], 1, v[11:12]
	s_delay_alu instid0(VALU_DEP_3) | instskip(SKIP_1) | instid1(VALU_DEP_3)
	v_add_co_u32 v8, vcc_lo, v8, v4
	s_wait_alu 0xfffd
	v_add_co_ci_u32_e64 v9, null, v9, v5, vcc_lo
	v_cmp_gt_i32_e32 vcc_lo, s37, v49
	v_cndmask_b32_e64 v12, 0, v14, s7
	s_wait_alu 0xfffd
	v_cndmask_b32_e32 v44, 0, v44, vcc_lo
	v_mad_co_u64_u32 v[47:48], null, s13, v48, v[13:14]
	v_mad_co_u64_u32 v[14:15], null, s13, v49, v[15:16]
	s_delay_alu instid0(VALU_DEP_2) | instskip(SKIP_1) | instid1(VALU_DEP_3)
	v_cndmask_b32_e64 v13, 0, v47, s7
	v_add_co_u32 v10, s7, s52, v10
	v_cndmask_b32_e32 v45, 0, v14, vcc_lo
	s_wait_alu 0xf1ff
	v_add_co_ci_u32_e64 v11, null, s53, v11, s7
	v_lshlrev_b64_e32 v[12:13], 1, v[12:13]
	v_add_co_u32 v10, vcc_lo, v10, v4
	v_lshlrev_b64_e32 v[14:15], 1, v[44:45]
	s_wait_alu 0xfffd
	v_add_co_ci_u32_e64 v11, null, v11, v5, vcc_lo
	s_delay_alu instid0(VALU_DEP_4)
	v_add_co_u32 v12, vcc_lo, s52, v12
	s_wait_alu 0xfffd
	v_add_co_ci_u32_e64 v13, null, s53, v13, vcc_lo
	v_add_co_u32 v14, vcc_lo, s52, v14
	s_wait_alu 0xfffd
	v_add_co_ci_u32_e64 v15, null, s53, v15, vcc_lo
	;; [unrolled: 3-line block ×4, first 2 shown]
	s_clause 0x3
	global_load_u16 v46, v[8:9], off
	global_load_u16 v45, v[10:11], off
	;; [unrolled: 1-line block ×4, first 2 shown]
	s_and_saveexec_b32 s7, s2
	s_cbranch_execz .LBB641_43
; %bb.38:                               ;   in Loop: Header=BB641_5 Depth=1
	s_clause 0x3
	global_load_u16 v50, v[8:9], off offset:128
	global_load_u16 v49, v[10:11], off offset:128
	global_load_u16 v48, v[12:13], off offset:128
	global_load_u16 v47, v[14:15], off offset:128
	s_and_saveexec_b32 s8, s3
	s_cbranch_execz .LBB641_42
; %bb.39:                               ;   in Loop: Header=BB641_5 Depth=1
	s_clause 0x3
	global_load_u16 v54, v[8:9], off offset:256
	global_load_u16 v53, v[10:11], off offset:256
	global_load_u16 v52, v[12:13], off offset:256
	global_load_u16 v51, v[14:15], off offset:256
	;; [unrolled: 8-line block ×3, first 2 shown]
	s_wait_loadcnt 0x3
	v_lshlrev_b32_e32 v8, 16, v8
	s_wait_loadcnt 0x2
	s_delay_alu instid0(VALU_DEP_1) | instskip(SKIP_3) | instid1(VALU_DEP_2)
	v_dual_fmac_f32 v38, v43, v8 :: v_dual_lshlrev_b32 v9, 16, v9
	s_wait_loadcnt 0x1
	v_lshlrev_b32_e32 v8, 16, v10
	s_wait_loadcnt 0x0
	v_dual_fmac_f32 v38, v42, v9 :: v_dual_lshlrev_b32 v9, 16, v11
	s_delay_alu instid0(VALU_DEP_1) | instskip(NEXT) | instid1(VALU_DEP_1)
	v_fmac_f32_e32 v38, v41, v8
	v_fmac_f32_e32 v38, v40, v9
.LBB641_41:                             ;   in Loop: Header=BB641_5 Depth=1
	s_wait_alu 0xfffe
	s_or_b32 exec_lo, exec_lo, s52
	s_wait_loadcnt 0x2
	v_lshlrev_b32_e32 v9, 16, v53
	v_lshlrev_b32_e32 v8, 16, v54
	s_delay_alu instid0(VALU_DEP_1) | instskip(SKIP_1) | instid1(VALU_DEP_1)
	v_fmac_f32_e32 v37, v43, v8
	s_wait_loadcnt 0x1
	v_dual_fmac_f32 v37, v42, v9 :: v_dual_lshlrev_b32 v8, 16, v52
	s_wait_loadcnt 0x0
	s_delay_alu instid0(VALU_DEP_1) | instskip(NEXT) | instid1(VALU_DEP_1)
	v_dual_fmac_f32 v37, v41, v8 :: v_dual_lshlrev_b32 v8, 16, v51
	v_fmac_f32_e32 v37, v40, v8
.LBB641_42:                             ;   in Loop: Header=BB641_5 Depth=1
	s_wait_alu 0xfffe
	s_or_b32 exec_lo, exec_lo, s8
	s_wait_loadcnt 0x3
	v_lshlrev_b32_e32 v8, 16, v50
	s_wait_loadcnt 0x2
	s_delay_alu instid0(VALU_DEP_1) | instskip(SKIP_2) | instid1(VALU_DEP_2)
	v_dual_fmac_f32 v36, v43, v8 :: v_dual_lshlrev_b32 v9, 16, v49
	s_wait_loadcnt 0x1
	v_lshlrev_b32_e32 v8, 16, v48
	v_fmac_f32_e32 v36, v42, v9
	s_delay_alu instid0(VALU_DEP_1) | instskip(SKIP_2) | instid1(VALU_DEP_1)
	v_fmac_f32_e32 v36, v41, v8
	s_wait_loadcnt 0x0
	v_lshlrev_b32_e32 v8, 16, v47
	v_fmac_f32_e32 v36, v40, v8
.LBB641_43:                             ;   in Loop: Header=BB641_5 Depth=1
	s_wait_alu 0xfffe
	s_or_b32 exec_lo, exec_lo, s7
	s_wait_loadcnt 0x2
	v_lshlrev_b32_e32 v9, 16, v45
	v_lshlrev_b32_e32 v8, 16, v46
	s_delay_alu instid0(VALU_DEP_1) | instskip(SKIP_1) | instid1(VALU_DEP_1)
	v_fmac_f32_e32 v35, v43, v8
	s_wait_loadcnt 0x1
	v_dual_fmac_f32 v35, v42, v9 :: v_dual_lshlrev_b32 v8, 16, v44
	s_wait_loadcnt 0x0
	s_delay_alu instid0(VALU_DEP_1) | instskip(NEXT) | instid1(VALU_DEP_1)
	v_dual_fmac_f32 v35, v41, v8 :: v_dual_lshlrev_b32 v8, 16, v39
	v_fmac_f32_e32 v35, v40, v8
.LBB641_44:                             ;   in Loop: Header=BB641_5 Depth=1
	s_wait_alu 0xfffe
	s_or_b32 exec_lo, exec_lo, s9
.LBB641_45:                             ;   in Loop: Header=BB641_5 Depth=1
	ds_store_2addr_stride64_b32 v17, v35, v36 offset1:1
	ds_store_2addr_stride64_b32 v17, v37, v38 offset0:2 offset1:3
	s_wait_dscnt 0x0
	s_barrier_signal -1
	s_barrier_wait -1
	global_inv scope:SCOPE_SE
                                        ; implicit-def: $vgpr10
	s_and_saveexec_b32 s7, s0
	s_cbranch_execz .LBB641_51
; %bb.46:                               ;   in Loop: Header=BB641_5 Depth=1
	ds_load_2addr_stride64_b32 v[8:9], v18 offset1:4
	ds_load_2addr_stride64_b32 v[10:11], v18 offset0:8 offset1:12
	ds_load_2addr_stride64_b32 v[12:13], v18 offset0:16 offset1:20
	s_mov_b32 s9, s51
	s_wait_dscnt 0x2
	v_add_f32_e32 v14, v8, v9
	ds_load_2addr_stride64_b32 v[8:9], v18 offset0:24 offset1:28
	s_wait_dscnt 0x2
	v_add_f32_e32 v10, v10, v14
	s_delay_alu instid0(VALU_DEP_1) | instskip(SKIP_3) | instid1(VALU_DEP_1)
	v_add_f32_e32 v14, v11, v10
	ds_load_2addr_stride64_b32 v[10:11], v18 offset0:32 offset1:36
	s_wait_dscnt 0x2
	v_add_f32_e32 v12, v12, v14
	v_add_f32_e32 v14, v13, v12
	ds_load_2addr_stride64_b32 v[12:13], v18 offset0:40 offset1:44
	s_wait_dscnt 0x2
	v_add_f32_e32 v8, v8, v14
	s_delay_alu instid0(VALU_DEP_1) | instskip(SKIP_1) | instid1(VALU_DEP_1)
	v_add_f32_e32 v8, v9, v8
	s_wait_dscnt 0x1
	v_add_f32_e32 v10, v10, v8
	ds_load_2addr_stride64_b32 v[8:9], v18 offset0:48 offset1:52
	v_add_f32_e32 v10, v11, v10
	s_wait_dscnt 0x1
	s_delay_alu instid0(VALU_DEP_1) | instskip(SKIP_3) | instid1(VALU_DEP_1)
	v_add_f32_e32 v12, v12, v10
	ds_load_2addr_stride64_b32 v[10:11], v18 offset0:56 offset1:60
	v_add_f32_e32 v12, v13, v12
	s_wait_dscnt 0x1
	v_add_f32_e32 v8, v8, v12
	s_delay_alu instid0(VALU_DEP_1) | instskip(SKIP_1) | instid1(VALU_DEP_1)
	v_add_f32_e32 v8, v9, v8
	s_wait_dscnt 0x0
	v_add_f32_e32 v8, v10, v8
                                        ; implicit-def: $vgpr10
	s_delay_alu instid0(VALU_DEP_1)
	v_add_f32_e32 v8, v11, v8
	ds_store_b32 v18, v8
	s_and_saveexec_b32 s8, s6
	s_cbranch_execz .LBB641_50
; %bb.47:                               ;   in Loop: Header=BB641_5 Depth=1
	v_mul_f32_e32 v10, s38, v8
	s_and_not1_b32 vcc_lo, exec_lo, s48
	s_wait_alu 0xfffe
	s_cbranch_vccnz .LBB641_49
; %bb.48:                               ;   in Loop: Header=BB641_5 Depth=1
	v_lshlrev_b64_e32 v[8:9], 2, v[2:3]
	s_delay_alu instid0(VALU_DEP_1) | instskip(SKIP_1) | instid1(VALU_DEP_2)
	v_add_co_u32 v8, vcc_lo, s44, v8
	s_wait_alu 0xfffd
	v_add_co_ci_u32_e64 v9, null, s45, v9, vcc_lo
	global_load_b32 v8, v[8:9], off
	s_wait_loadcnt 0x0
	v_fmac_f32_e32 v10, s39, v8
.LBB641_49:                             ;   in Loop: Header=BB641_5 Depth=1
	s_or_b32 s9, s51, exec_lo
.LBB641_50:                             ;   in Loop: Header=BB641_5 Depth=1
	s_wait_alu 0xfffe
	s_or_b32 exec_lo, exec_lo, s8
	s_delay_alu instid0(SALU_CYCLE_1)
	s_and_not1_b32 s8, s51, exec_lo
	s_and_b32 s9, s9, exec_lo
	s_wait_alu 0xfffe
	s_or_b32 s51, s8, s9
.LBB641_51:                             ;   in Loop: Header=BB641_5 Depth=1
	s_wait_alu 0xfffe
	s_or_b32 exec_lo, exec_lo, s7
	v_dual_mov_b32 v9, v3 :: v_dual_mov_b32 v8, v2
	s_and_saveexec_b32 s7, s51
	s_cbranch_execz .LBB641_3
.LBB641_52:                             ;   in Loop: Header=BB641_5 Depth=1
	s_delay_alu instid0(VALU_DEP_1) | instskip(SKIP_1) | instid1(VALU_DEP_1)
	v_lshlrev_b64_e32 v[8:9], 2, v[8:9]
	s_wait_alu 0xfffe
	v_add_co_u32 v8, vcc_lo, s44, v8
	s_wait_alu 0xfffd
	s_delay_alu instid0(VALU_DEP_2)
	v_add_co_ci_u32_e64 v9, null, s45, v9, vcc_lo
	global_store_b32 v[8:9], v10, off
	s_branch .LBB641_3
.LBB641_53:
	s_endpgm
	.section	.rodata,"a",@progbits
	.p2align	6, 0x0
	.amdhsa_kernel _ZL20rocblas_gemvn_kernelILi64ELi16El16rocblas_bfloat16ffEviiT3_lPKT2_lT1_lS4_lS5_lS1_lPT4_lS5_li
		.amdhsa_group_segment_fixed_size 16384
		.amdhsa_private_segment_fixed_size 0
		.amdhsa_kernarg_size 400
		.amdhsa_user_sgpr_count 2
		.amdhsa_user_sgpr_dispatch_ptr 0
		.amdhsa_user_sgpr_queue_ptr 0
		.amdhsa_user_sgpr_kernarg_segment_ptr 1
		.amdhsa_user_sgpr_dispatch_id 0
		.amdhsa_user_sgpr_private_segment_size 0
		.amdhsa_wavefront_size32 1
		.amdhsa_uses_dynamic_stack 0
		.amdhsa_enable_private_segment 0
		.amdhsa_system_sgpr_workgroup_id_x 1
		.amdhsa_system_sgpr_workgroup_id_y 0
		.amdhsa_system_sgpr_workgroup_id_z 1
		.amdhsa_system_sgpr_workgroup_info 0
		.amdhsa_system_vgpr_workitem_id 1
		.amdhsa_next_free_vgpr 72
		.amdhsa_next_free_sgpr 56
		.amdhsa_reserve_vcc 1
		.amdhsa_float_round_mode_32 0
		.amdhsa_float_round_mode_16_64 0
		.amdhsa_float_denorm_mode_32 3
		.amdhsa_float_denorm_mode_16_64 3
		.amdhsa_fp16_overflow 0
		.amdhsa_workgroup_processor_mode 1
		.amdhsa_memory_ordered 1
		.amdhsa_forward_progress 1
		.amdhsa_inst_pref_size 32
		.amdhsa_round_robin_scheduling 0
		.amdhsa_exception_fp_ieee_invalid_op 0
		.amdhsa_exception_fp_denorm_src 0
		.amdhsa_exception_fp_ieee_div_zero 0
		.amdhsa_exception_fp_ieee_overflow 0
		.amdhsa_exception_fp_ieee_underflow 0
		.amdhsa_exception_fp_ieee_inexact 0
		.amdhsa_exception_int_div_zero 0
	.end_amdhsa_kernel
	.section	.text._ZL20rocblas_gemvn_kernelILi64ELi16El16rocblas_bfloat16ffEviiT3_lPKT2_lT1_lS4_lS5_lS1_lPT4_lS5_li,"axG",@progbits,_ZL20rocblas_gemvn_kernelILi64ELi16El16rocblas_bfloat16ffEviiT3_lPKT2_lT1_lS4_lS5_lS1_lPT4_lS5_li,comdat
.Lfunc_end641:
	.size	_ZL20rocblas_gemvn_kernelILi64ELi16El16rocblas_bfloat16ffEviiT3_lPKT2_lT1_lS4_lS5_lS1_lPT4_lS5_li, .Lfunc_end641-_ZL20rocblas_gemvn_kernelILi64ELi16El16rocblas_bfloat16ffEviiT3_lPKT2_lT1_lS4_lS5_lS1_lPT4_lS5_li
                                        ; -- End function
	.set _ZL20rocblas_gemvn_kernelILi64ELi16El16rocblas_bfloat16ffEviiT3_lPKT2_lT1_lS4_lS5_lS1_lPT4_lS5_li.num_vgpr, 72
	.set _ZL20rocblas_gemvn_kernelILi64ELi16El16rocblas_bfloat16ffEviiT3_lPKT2_lT1_lS4_lS5_lS1_lPT4_lS5_li.num_agpr, 0
	.set _ZL20rocblas_gemvn_kernelILi64ELi16El16rocblas_bfloat16ffEviiT3_lPKT2_lT1_lS4_lS5_lS1_lPT4_lS5_li.numbered_sgpr, 56
	.set _ZL20rocblas_gemvn_kernelILi64ELi16El16rocblas_bfloat16ffEviiT3_lPKT2_lT1_lS4_lS5_lS1_lPT4_lS5_li.num_named_barrier, 0
	.set _ZL20rocblas_gemvn_kernelILi64ELi16El16rocblas_bfloat16ffEviiT3_lPKT2_lT1_lS4_lS5_lS1_lPT4_lS5_li.private_seg_size, 0
	.set _ZL20rocblas_gemvn_kernelILi64ELi16El16rocblas_bfloat16ffEviiT3_lPKT2_lT1_lS4_lS5_lS1_lPT4_lS5_li.uses_vcc, 1
	.set _ZL20rocblas_gemvn_kernelILi64ELi16El16rocblas_bfloat16ffEviiT3_lPKT2_lT1_lS4_lS5_lS1_lPT4_lS5_li.uses_flat_scratch, 0
	.set _ZL20rocblas_gemvn_kernelILi64ELi16El16rocblas_bfloat16ffEviiT3_lPKT2_lT1_lS4_lS5_lS1_lPT4_lS5_li.has_dyn_sized_stack, 0
	.set _ZL20rocblas_gemvn_kernelILi64ELi16El16rocblas_bfloat16ffEviiT3_lPKT2_lT1_lS4_lS5_lS1_lPT4_lS5_li.has_recursion, 0
	.set _ZL20rocblas_gemvn_kernelILi64ELi16El16rocblas_bfloat16ffEviiT3_lPKT2_lT1_lS4_lS5_lS1_lPT4_lS5_li.has_indirect_call, 0
	.section	.AMDGPU.csdata,"",@progbits
; Kernel info:
; codeLenInByte = 3984
; TotalNumSgprs: 58
; NumVgprs: 72
; ScratchSize: 0
; MemoryBound: 0
; FloatMode: 240
; IeeeMode: 1
; LDSByteSize: 16384 bytes/workgroup (compile time only)
; SGPRBlocks: 0
; VGPRBlocks: 8
; NumSGPRsForWavesPerEU: 58
; NumVGPRsForWavesPerEU: 72
; Occupancy: 16
; WaveLimiterHint : 1
; COMPUTE_PGM_RSRC2:SCRATCH_EN: 0
; COMPUTE_PGM_RSRC2:USER_SGPR: 2
; COMPUTE_PGM_RSRC2:TRAP_HANDLER: 0
; COMPUTE_PGM_RSRC2:TGID_X_EN: 1
; COMPUTE_PGM_RSRC2:TGID_Y_EN: 0
; COMPUTE_PGM_RSRC2:TGID_Z_EN: 1
; COMPUTE_PGM_RSRC2:TIDIG_COMP_CNT: 1
	.section	.text._ZL22rocblas_gemvtsm_kernelILb0ELi256E16rocblas_bfloat16PKffEviiT2_lPKT1_lilS6_lilS3_lPT3_lil,"axG",@progbits,_ZL22rocblas_gemvtsm_kernelILb0ELi256E16rocblas_bfloat16PKffEviiT2_lPKT1_lilS6_lilS3_lPT3_lil,comdat
	.globl	_ZL22rocblas_gemvtsm_kernelILb0ELi256E16rocblas_bfloat16PKffEviiT2_lPKT1_lilS6_lilS3_lPT3_lil ; -- Begin function _ZL22rocblas_gemvtsm_kernelILb0ELi256E16rocblas_bfloat16PKffEviiT2_lPKT1_lilS6_lilS3_lPT3_lil
	.p2align	8
	.type	_ZL22rocblas_gemvtsm_kernelILb0ELi256E16rocblas_bfloat16PKffEviiT2_lPKT1_lilS6_lilS3_lPT3_lil,@function
_ZL22rocblas_gemvtsm_kernelILb0ELi256E16rocblas_bfloat16PKffEviiT2_lPKT1_lilS6_lilS3_lPT3_lil: ; @_ZL22rocblas_gemvtsm_kernelILb0ELi256E16rocblas_bfloat16PKffEviiT2_lPKT1_lilS6_lilS3_lPT3_lil
; %bb.0:
	s_clause 0x1
	s_load_b256 s[4:11], s[0:1], 0x8
	s_load_b256 s[12:19], s[0:1], 0x50
	s_mov_b32 s24, ttmp9
	s_mov_b32 s25, 0
	s_wait_kmcnt 0x0
	s_mul_u64 s[2:3], s[6:7], s[24:25]
	s_delay_alu instid0(SALU_CYCLE_1) | instskip(NEXT) | instid1(SALU_CYCLE_1)
	s_lshl_b64 s[2:3], s[2:3], 2
	s_add_nc_u64 s[2:3], s[4:5], s[2:3]
	s_mul_u64 s[4:5], s[16:17], s[24:25]
	s_load_b32 s26, s[2:3], 0x0
	s_lshl_b64 s[2:3], s[4:5], 2
	s_delay_alu instid0(SALU_CYCLE_1)
	s_add_nc_u64 s[2:3], s[14:15], s[2:3]
	s_load_b32 s23, s[2:3], 0x0
	s_wait_kmcnt 0x0
	s_cmp_eq_f32 s26, 0
	s_cselect_b32 s2, -1, 0
	s_cmp_eq_f32 s23, 1.0
	s_cselect_b32 s3, -1, 0
	s_delay_alu instid0(SALU_CYCLE_1) | instskip(NEXT) | instid1(SALU_CYCLE_1)
	s_and_b32 s2, s2, s3
	s_and_b32 vcc_lo, exec_lo, s2
	s_cbranch_vccnz .LBB642_58
; %bb.1:
	s_clause 0x2
	s_load_b64 s[4:5], s[0:1], 0x80
	s_load_b96 s[20:22], s[0:1], 0x70
	s_load_b64 s[2:3], s[0:1], 0x0
	s_cmp_neq_f32 s26, 0
	s_wait_kmcnt 0x0
	s_mul_u64 s[14:15], s[4:5], s[24:25]
	s_cbranch_scc1 .LBB642_9
; %bb.2:
	s_cmp_gt_i32 s3, 0
	s_cselect_b32 s6, -1, 0
	s_cmp_neq_f32 s23, 0
	v_cndmask_b32_e64 v1, 0, 1, s6
	s_delay_alu instid0(VALU_DEP_1)
	v_cmp_ne_u32_e32 vcc_lo, 1, v1
	s_cbranch_scc1 .LBB642_10
; %bb.3:
	s_and_b32 vcc_lo, exec_lo, vcc_lo
	s_cbranch_vccnz .LBB642_8
; %bb.4:
	v_mad_co_i64_i32 v[1:2], null, s22, v0, 0
	s_lshl_b64 s[16:17], s[20:21], 2
	s_lshl_b64 s[28:29], s[14:15], 2
	s_add_nc_u64 s[16:17], s[18:19], s[16:17]
	v_mov_b32_e32 v3, 0
	s_add_nc_u64 s[16:17], s[16:17], s[28:29]
	s_ashr_i32 s5, s22, 31
	v_lshlrev_b64_e32 v[1:2], 2, v[1:2]
	s_mov_b32 s4, s22
	s_mov_b32 s7, 0
	s_lshl_b64 s[4:5], s[4:5], 10
	s_delay_alu instid0(VALU_DEP_1) | instskip(NEXT) | instid1(VALU_DEP_1)
	v_add_co_u32 v1, vcc_lo, s16, v1
	v_add_co_ci_u32_e64 v2, null, s17, v2, vcc_lo
	s_branch .LBB642_6
.LBB642_5:                              ;   in Loop: Header=BB642_6 Depth=1
	s_wait_alu 0xfffe
	s_or_b32 exec_lo, exec_lo, s16
	v_add_co_u32 v1, vcc_lo, v1, s4
	s_wait_alu 0xfffd
	v_add_co_ci_u32_e64 v2, null, s5, v2, vcc_lo
	s_addk_co_i32 s7, 0x100
	s_wait_alu 0xfffe
	s_cmp_ge_i32 s7, s3
	s_cbranch_scc1 .LBB642_8
.LBB642_6:                              ; =>This Inner Loop Header: Depth=1
	s_wait_alu 0xfffe
	v_add_nc_u32_e32 v4, s7, v0
	s_mov_b32 s16, exec_lo
	s_delay_alu instid0(VALU_DEP_1)
	v_cmpx_gt_i32_e64 s3, v4
	s_cbranch_execz .LBB642_5
; %bb.7:                                ;   in Loop: Header=BB642_6 Depth=1
	global_store_b32 v[1:2], v3, off
	s_branch .LBB642_5
.LBB642_8:
	s_cbranch_execz .LBB642_11
	s_branch .LBB642_16
.LBB642_9:
	s_branch .LBB642_17
.LBB642_10:
.LBB642_11:
	s_and_not1_b32 vcc_lo, exec_lo, s6
	s_wait_alu 0xfffe
	s_cbranch_vccnz .LBB642_16
; %bb.12:
	v_mad_co_i64_i32 v[1:2], null, s22, v0, 0
	s_lshl_b64 s[6:7], s[20:21], 2
	s_lshl_b64 s[16:17], s[14:15], 2
	s_wait_alu 0xfffe
	s_add_nc_u64 s[6:7], s[18:19], s[6:7]
	s_ashr_i32 s5, s22, 31
	s_wait_alu 0xfffe
	s_add_nc_u64 s[6:7], s[6:7], s[16:17]
	s_mov_b32 s4, s22
	v_lshlrev_b64_e32 v[1:2], 2, v[1:2]
	s_wait_alu 0xfffe
	s_lshl_b64 s[4:5], s[4:5], 10
	s_delay_alu instid0(VALU_DEP_1) | instskip(SKIP_1) | instid1(VALU_DEP_2)
	v_add_co_u32 v1, vcc_lo, s6, v1
	s_wait_alu 0xfffd
	v_add_co_ci_u32_e64 v2, null, s7, v2, vcc_lo
	s_mov_b32 s6, 0
	s_branch .LBB642_14
.LBB642_13:                             ;   in Loop: Header=BB642_14 Depth=1
	s_wait_alu 0xfffe
	s_or_b32 exec_lo, exec_lo, s7
	v_add_co_u32 v1, vcc_lo, v1, s4
	s_wait_alu 0xfffd
	v_add_co_ci_u32_e64 v2, null, s5, v2, vcc_lo
	s_addk_co_i32 s6, 0x100
	s_wait_alu 0xfffe
	s_cmp_ge_i32 s6, s3
	s_cbranch_scc1 .LBB642_16
.LBB642_14:                             ; =>This Inner Loop Header: Depth=1
	s_wait_alu 0xfffe
	v_add_nc_u32_e32 v3, s6, v0
	s_mov_b32 s7, exec_lo
	s_delay_alu instid0(VALU_DEP_1)
	v_cmpx_gt_i32_e64 s3, v3
	s_cbranch_execz .LBB642_13
; %bb.15:                               ;   in Loop: Header=BB642_14 Depth=1
	global_load_b32 v3, v[1:2], off
	s_wait_loadcnt 0x0
	v_mul_f32_e32 v3, s23, v3
	global_store_b32 v[1:2], v3, off
	s_branch .LBB642_13
.LBB642_16:
	s_cbranch_execnz .LBB642_58
.LBB642_17:
	s_clause 0x1
	s_load_b128 s[4:7], s[0:1], 0x30
	s_load_b64 s[16:17], s[0:1], 0x40
	s_mov_b32 s27, exec_lo
	v_cmpx_gt_i32_e64 s2, v0
	s_cbranch_execz .LBB642_23
; %bb.18:
	s_load_b32 s28, s[0:1], 0x48
	s_mul_u64 s[12:13], s[12:13], s[24:25]
	s_wait_kmcnt 0x0
	s_lshl_b64 s[16:17], s[16:17], 1
	s_lshl_b64 s[12:13], s[12:13], 1
	s_delay_alu instid0(SALU_CYCLE_1) | instskip(SKIP_3) | instid1(VALU_DEP_1)
	s_add_nc_u64 s[6:7], s[6:7], s[12:13]
	s_wait_alu 0xfffe
	s_add_nc_u64 s[6:7], s[6:7], s[16:17]
	v_mad_co_i64_i32 v[1:2], null, s28, v0, 0
	v_lshlrev_b64_e32 v[1:2], 1, v[1:2]
	s_wait_alu 0xfffe
	s_delay_alu instid0(VALU_DEP_1) | instskip(SKIP_1) | instid1(VALU_DEP_2)
	v_add_co_u32 v1, vcc_lo, s6, v1
	s_wait_alu 0xfffd
	v_add_co_ci_u32_e64 v2, null, s7, v2, vcc_lo
	global_load_u16 v1, v[1:2], off
	s_wait_loadcnt 0x0
	v_lshlrev_b32_e32 v1, 16, v1
	s_delay_alu instid0(VALU_DEP_1) | instskip(NEXT) | instid1(VALU_DEP_1)
	v_mul_f32_e32 v1, s26, v1
	v_and_b32_e32 v2, 0x7f800000, v1
	s_delay_alu instid0(VALU_DEP_1)
	v_cmp_ne_u32_e32 vcc_lo, 0x7f800000, v2
                                        ; implicit-def: $vgpr2
	s_and_saveexec_b32 s6, vcc_lo
	s_wait_alu 0xfffe
	s_xor_b32 s6, exec_lo, s6
; %bb.19:
	v_bfe_u32 v2, v1, 16, 1
	s_delay_alu instid0(VALU_DEP_1)
	v_add3_u32 v2, v1, v2, 0x7fff
                                        ; implicit-def: $vgpr1
; %bb.20:
	s_wait_alu 0xfffe
	s_and_not1_saveexec_b32 s6, s6
; %bb.21:
	v_and_b32_e32 v2, 0xffff, v1
	v_or_b32_e32 v3, 0x10000, v1
	s_delay_alu instid0(VALU_DEP_2) | instskip(SKIP_1) | instid1(VALU_DEP_2)
	v_cmp_eq_u32_e32 vcc_lo, 0, v2
	s_wait_alu 0xfffd
	v_cndmask_b32_e32 v2, v3, v1, vcc_lo
; %bb.22:
	s_wait_alu 0xfffe
	s_or_b32 exec_lo, exec_lo, s6
	s_delay_alu instid0(VALU_DEP_1)
	v_and_b32_e32 v1, 0xffff0000, v2
	v_lshlrev_b32_e32 v2, 2, v0
	ds_store_b32 v2, v1
.LBB642_23:
	s_or_b32 exec_lo, exec_lo, s27
	s_cmp_lt_i32 s3, 1
	s_wait_storecnt_dscnt 0x0
	s_barrier_signal -1
	s_barrier_wait -1
	global_inv scope:SCOPE_SE
	s_cbranch_scc1 .LBB642_58
; %bb.24:
	s_wait_kmcnt 0x0
	s_load_b32 s16, s[0:1], 0x28
	s_lshl_b64 s[0:1], s[14:15], 2
	s_lshl_b64 s[12:13], s[20:21], 2
	s_ashr_i32 s6, s22, 31
	s_add_nc_u64 s[0:1], s[18:19], s[0:1]
	s_mul_u64 s[4:5], s[4:5], s[24:25]
	s_add_nc_u64 s[0:1], s[0:1], s[12:13]
	s_wait_kmcnt 0x0
	s_ashr_i32 s17, s16, 31
	s_cmp_neq_f32 s23, 0
	v_mad_co_i64_i32 v[1:2], null, s16, v0, 0
	s_cselect_b32 s7, -1, 0
	s_cmp_gt_i32 s2, 0
	s_cselect_b32 s12, -1, 0
	s_and_b32 s13, s2, 3
	s_cmp_gt_u32 s2, 3
	v_lshlrev_b64_e32 v[1:2], 1, v[1:2]
	s_cselect_b32 s14, -1, 0
	s_and_b32 s2, s2, 0x7ffffffc
	s_cmp_lg_u32 s13, 0
	s_cselect_b32 s15, -1, 0
	s_lshl_b64 s[10:11], s[10:11], 1
	s_wait_alu 0xfffe
	s_lshl_b64 s[4:5], s[4:5], 1
	s_add_nc_u64 s[8:9], s[8:9], s[10:11]
	s_wait_alu 0xfffe
	s_add_nc_u64 s[4:5], s[8:9], s[4:5]
	s_mov_b32 s8, s22
	s_wait_alu 0xfffe
	v_add_co_u32 v7, vcc_lo, s4, v1
	s_wait_alu 0xfffd
	v_add_co_ci_u32_e64 v8, null, s5, v2, vcc_lo
	s_mov_b32 s9, 0
	v_add_co_u32 v1, vcc_lo, v7, 4
	s_wait_alu 0xfffd
	v_add_co_ci_u32_e64 v2, null, 0, v8, vcc_lo
	s_lshl_b64 s[4:5], s[16:17], 9
	s_branch .LBB642_27
.LBB642_25:                             ;   in Loop: Header=BB642_27 Depth=1
	v_add_co_u32 v3, vcc_lo, s0, v3
	s_wait_alu 0xfffd
	v_add_co_ci_u32_e64 v4, null, s1, v4, vcc_lo
	global_store_b32 v[3:4], v9, off
.LBB642_26:                             ;   in Loop: Header=BB642_27 Depth=1
	s_wait_alu 0xfffe
	s_or_b32 exec_lo, exec_lo, s10
	v_add_co_u32 v1, vcc_lo, v1, s4
	s_wait_alu 0xfffd
	v_add_co_ci_u32_e64 v2, null, s5, v2, vcc_lo
	v_add_co_u32 v7, vcc_lo, v7, s4
	s_wait_alu 0xfffd
	v_add_co_ci_u32_e64 v8, null, s5, v8, vcc_lo
	s_addk_co_i32 s9, 0x100
	s_wait_alu 0xfffe
	s_cmp_ge_i32 s9, s3
	s_cbranch_scc1 .LBB642_58
.LBB642_27:                             ; =>This Loop Header: Depth=1
                                        ;     Child Loop BB642_34 Depth 2
                                        ;     Child Loop BB642_54 Depth 2
	v_add_nc_u32_e32 v3, s9, v0
	s_mov_b32 s10, exec_lo
	s_delay_alu instid0(VALU_DEP_1)
	v_cmpx_gt_i32_e64 s3, v3
	s_cbranch_execz .LBB642_26
; %bb.28:                               ;   in Loop: Header=BB642_27 Depth=1
	v_mad_co_u64_u32 v[4:5], null, v3, s8, 0
	s_and_not1_b32 vcc_lo, exec_lo, s7
	v_mad_co_u64_u32 v[5:6], null, v3, s6, v[5:6]
	s_delay_alu instid0(VALU_DEP_1)
	v_lshlrev_b64_e32 v[3:4], 2, v[4:5]
	s_wait_alu 0xfffe
	s_cbranch_vccnz .LBB642_30
; %bb.29:                               ;   in Loop: Header=BB642_27 Depth=1
	s_delay_alu instid0(VALU_DEP_1) | instskip(SKIP_1) | instid1(VALU_DEP_2)
	v_add_co_u32 v5, vcc_lo, s0, v3
	s_wait_alu 0xfffd
	v_add_co_ci_u32_e64 v6, null, s1, v4, vcc_lo
	global_load_b32 v5, v[5:6], off
	s_wait_loadcnt 0x0
	v_mul_f32_e32 v9, s23, v5
	s_and_not1_b32 vcc_lo, exec_lo, s12
	s_wait_alu 0xfffe
	s_cbranch_vccz .LBB642_31
	s_branch .LBB642_25
.LBB642_30:                             ;   in Loop: Header=BB642_27 Depth=1
	v_mov_b32_e32 v9, 0
	s_and_not1_b32 vcc_lo, exec_lo, s12
	s_wait_alu 0xfffe
	s_cbranch_vccnz .LBB642_25
.LBB642_31:                             ;   in Loop: Header=BB642_27 Depth=1
	s_and_not1_b32 vcc_lo, exec_lo, s14
	s_mov_b32 s11, 0
	s_wait_alu 0xfffe
	s_cbranch_vccnz .LBB642_51
; %bb.32:                               ;   in Loop: Header=BB642_27 Depth=1
	v_dual_mov_b32 v6, v2 :: v_dual_mov_b32 v5, v1
	s_mov_b32 s16, 0
	s_branch .LBB642_34
.LBB642_33:                             ;   in Loop: Header=BB642_34 Depth=2
	s_wait_alu 0xfffe
	s_or_b32 exec_lo, exec_lo, s17
	v_and_b32_e32 v11, 0xffff0000, v11
	v_and_b32_e32 v10, 0xffff0000, v10
	v_add_co_u32 v5, vcc_lo, v5, 8
	s_wait_alu 0xfffd
	v_add_co_ci_u32_e64 v6, null, 0, v6, vcc_lo
	s_delay_alu instid0(VALU_DEP_3)
	v_dual_add_f32 v9, v9, v10 :: v_dual_and_b32 v10, 0xffff0000, v12
	s_add_co_i32 s16, s16, 4
	s_add_co_i32 s11, s11, 16
	s_wait_alu 0xfffe
	s_cmp_eq_u32 s2, s16
	v_add_f32_e32 v9, v9, v11
	v_and_b32_e32 v11, 0xffff0000, v13
	s_delay_alu instid0(VALU_DEP_2) | instskip(NEXT) | instid1(VALU_DEP_1)
	v_add_f32_e32 v9, v9, v10
	v_add_f32_e32 v9, v9, v11
	s_cbranch_scc1 .LBB642_50
.LBB642_34:                             ;   Parent Loop BB642_27 Depth=1
                                        ; =>  This Inner Loop Header: Depth=2
	global_load_u16 v10, v[5:6], off offset:-4
	s_wait_loadcnt 0x0
	v_dual_mov_b32 v11, s11 :: v_dual_lshlrev_b32 v10, 16, v10
	ds_load_b32 v11, v11
	s_wait_dscnt 0x0
	v_mul_f32_e32 v11, v11, v10
	s_delay_alu instid0(VALU_DEP_1) | instskip(NEXT) | instid1(VALU_DEP_1)
	v_and_b32_e32 v10, 0x7f800000, v11
	v_cmp_ne_u32_e32 vcc_lo, 0x7f800000, v10
                                        ; implicit-def: $vgpr10
	s_and_saveexec_b32 s17, vcc_lo
	s_wait_alu 0xfffe
	s_xor_b32 s17, exec_lo, s17
; %bb.35:                               ;   in Loop: Header=BB642_34 Depth=2
	v_bfe_u32 v10, v11, 16, 1
	s_delay_alu instid0(VALU_DEP_1)
	v_add3_u32 v10, v11, v10, 0x7fff
                                        ; implicit-def: $vgpr11
; %bb.36:                               ;   in Loop: Header=BB642_34 Depth=2
	s_wait_alu 0xfffe
	s_and_not1_saveexec_b32 s17, s17
; %bb.37:                               ;   in Loop: Header=BB642_34 Depth=2
	v_and_b32_e32 v10, 0xffff, v11
	v_or_b32_e32 v12, 0x10000, v11
	s_delay_alu instid0(VALU_DEP_2) | instskip(SKIP_1) | instid1(VALU_DEP_2)
	v_cmp_eq_u32_e32 vcc_lo, 0, v10
	s_wait_alu 0xfffd
	v_cndmask_b32_e32 v10, v12, v11, vcc_lo
; %bb.38:                               ;   in Loop: Header=BB642_34 Depth=2
	s_wait_alu 0xfffe
	s_or_b32 exec_lo, exec_lo, s17
	global_load_u16 v11, v[5:6], off offset:-2
	s_wait_loadcnt 0x0
	v_dual_mov_b32 v12, s11 :: v_dual_lshlrev_b32 v11, 16, v11
	ds_load_b32 v12, v12 offset:4
	s_wait_dscnt 0x0
	v_mul_f32_e32 v12, v12, v11
	s_delay_alu instid0(VALU_DEP_1) | instskip(NEXT) | instid1(VALU_DEP_1)
	v_and_b32_e32 v11, 0x7f800000, v12
	v_cmp_ne_u32_e32 vcc_lo, 0x7f800000, v11
                                        ; implicit-def: $vgpr11
	s_and_saveexec_b32 s17, vcc_lo
	s_wait_alu 0xfffe
	s_xor_b32 s17, exec_lo, s17
; %bb.39:                               ;   in Loop: Header=BB642_34 Depth=2
	v_bfe_u32 v11, v12, 16, 1
	s_delay_alu instid0(VALU_DEP_1)
	v_add3_u32 v11, v12, v11, 0x7fff
                                        ; implicit-def: $vgpr12
; %bb.40:                               ;   in Loop: Header=BB642_34 Depth=2
	s_wait_alu 0xfffe
	s_and_not1_saveexec_b32 s17, s17
; %bb.41:                               ;   in Loop: Header=BB642_34 Depth=2
	v_and_b32_e32 v11, 0xffff, v12
	v_or_b32_e32 v13, 0x10000, v12
	s_delay_alu instid0(VALU_DEP_2) | instskip(SKIP_1) | instid1(VALU_DEP_2)
	v_cmp_eq_u32_e32 vcc_lo, 0, v11
	s_wait_alu 0xfffd
	v_cndmask_b32_e32 v11, v13, v12, vcc_lo
; %bb.42:                               ;   in Loop: Header=BB642_34 Depth=2
	s_wait_alu 0xfffe
	s_or_b32 exec_lo, exec_lo, s17
	global_load_u16 v12, v[5:6], off
	s_wait_loadcnt 0x0
	v_dual_mov_b32 v13, s11 :: v_dual_lshlrev_b32 v12, 16, v12
	ds_load_b32 v13, v13 offset:8
	s_wait_dscnt 0x0
	v_mul_f32_e32 v13, v13, v12
	s_delay_alu instid0(VALU_DEP_1) | instskip(NEXT) | instid1(VALU_DEP_1)
	v_and_b32_e32 v12, 0x7f800000, v13
	v_cmp_ne_u32_e32 vcc_lo, 0x7f800000, v12
                                        ; implicit-def: $vgpr12
	s_and_saveexec_b32 s17, vcc_lo
	s_wait_alu 0xfffe
	s_xor_b32 s17, exec_lo, s17
; %bb.43:                               ;   in Loop: Header=BB642_34 Depth=2
	v_bfe_u32 v12, v13, 16, 1
	s_delay_alu instid0(VALU_DEP_1)
	v_add3_u32 v12, v13, v12, 0x7fff
                                        ; implicit-def: $vgpr13
; %bb.44:                               ;   in Loop: Header=BB642_34 Depth=2
	s_wait_alu 0xfffe
	s_and_not1_saveexec_b32 s17, s17
; %bb.45:                               ;   in Loop: Header=BB642_34 Depth=2
	v_and_b32_e32 v12, 0xffff, v13
	v_or_b32_e32 v14, 0x10000, v13
	s_delay_alu instid0(VALU_DEP_2) | instskip(SKIP_1) | instid1(VALU_DEP_2)
	v_cmp_eq_u32_e32 vcc_lo, 0, v12
	s_wait_alu 0xfffd
	v_cndmask_b32_e32 v12, v14, v13, vcc_lo
; %bb.46:                               ;   in Loop: Header=BB642_34 Depth=2
	s_wait_alu 0xfffe
	s_or_b32 exec_lo, exec_lo, s17
	global_load_u16 v13, v[5:6], off offset:2
	s_wait_loadcnt 0x0
	v_dual_mov_b32 v14, s11 :: v_dual_lshlrev_b32 v13, 16, v13
	ds_load_b32 v14, v14 offset:12
	s_wait_dscnt 0x0
	v_mul_f32_e32 v14, v14, v13
	s_delay_alu instid0(VALU_DEP_1) | instskip(NEXT) | instid1(VALU_DEP_1)
	v_and_b32_e32 v13, 0x7f800000, v14
	v_cmp_ne_u32_e32 vcc_lo, 0x7f800000, v13
                                        ; implicit-def: $vgpr13
	s_and_saveexec_b32 s17, vcc_lo
	s_wait_alu 0xfffe
	s_xor_b32 s17, exec_lo, s17
; %bb.47:                               ;   in Loop: Header=BB642_34 Depth=2
	v_bfe_u32 v13, v14, 16, 1
	s_delay_alu instid0(VALU_DEP_1)
	v_add3_u32 v13, v14, v13, 0x7fff
                                        ; implicit-def: $vgpr14
; %bb.48:                               ;   in Loop: Header=BB642_34 Depth=2
	s_wait_alu 0xfffe
	s_and_not1_saveexec_b32 s17, s17
	s_cbranch_execz .LBB642_33
; %bb.49:                               ;   in Loop: Header=BB642_34 Depth=2
	v_and_b32_e32 v13, 0xffff, v14
	v_or_b32_e32 v15, 0x10000, v14
	s_delay_alu instid0(VALU_DEP_2) | instskip(SKIP_1) | instid1(VALU_DEP_2)
	v_cmp_eq_u32_e32 vcc_lo, 0, v13
	s_wait_alu 0xfffd
	v_cndmask_b32_e32 v13, v15, v14, vcc_lo
	s_branch .LBB642_33
.LBB642_50:                             ;   in Loop: Header=BB642_27 Depth=1
	s_mov_b32 s11, s2
.LBB642_51:                             ;   in Loop: Header=BB642_27 Depth=1
	s_and_not1_b32 vcc_lo, exec_lo, s15
	s_wait_alu 0xfffe
	s_cbranch_vccnz .LBB642_25
; %bb.52:                               ;   in Loop: Header=BB642_27 Depth=1
	s_lshl_b32 s16, s11, 1
	s_lshl_b32 s11, s11, 2
	s_wait_alu 0xfffe
	v_add_co_u32 v5, vcc_lo, v7, s16
	s_wait_alu 0xfffd
	v_add_co_ci_u32_e64 v6, null, 0, v8, vcc_lo
	s_mov_b32 s16, s13
	s_branch .LBB642_54
.LBB642_53:                             ;   in Loop: Header=BB642_54 Depth=2
	s_wait_alu 0xfffe
	s_or_b32 exec_lo, exec_lo, s17
	s_delay_alu instid0(VALU_DEP_1) | instskip(SKIP_3) | instid1(VALU_DEP_3)
	v_and_b32_e32 v10, 0xffff0000, v11
	v_add_co_u32 v5, vcc_lo, v5, 2
	s_wait_alu 0xfffd
	v_add_co_ci_u32_e64 v6, null, 0, v6, vcc_lo
	v_add_f32_e32 v9, v9, v10
	s_add_co_i32 s16, s16, -1
	s_add_co_i32 s11, s11, 4
	s_wait_alu 0xfffe
	s_cmp_lg_u32 s16, 0
	s_cbranch_scc0 .LBB642_25
.LBB642_54:                             ;   Parent Loop BB642_27 Depth=1
                                        ; =>  This Inner Loop Header: Depth=2
	global_load_u16 v10, v[5:6], off
	s_wait_loadcnt 0x0
	v_dual_mov_b32 v11, s11 :: v_dual_lshlrev_b32 v10, 16, v10
	ds_load_b32 v11, v11
	s_wait_dscnt 0x0
	v_mul_f32_e32 v10, v11, v10
	s_delay_alu instid0(VALU_DEP_1) | instskip(NEXT) | instid1(VALU_DEP_1)
	v_and_b32_e32 v11, 0x7f800000, v10
	v_cmp_ne_u32_e32 vcc_lo, 0x7f800000, v11
                                        ; implicit-def: $vgpr11
	s_and_saveexec_b32 s17, vcc_lo
	s_wait_alu 0xfffe
	s_xor_b32 s17, exec_lo, s17
; %bb.55:                               ;   in Loop: Header=BB642_54 Depth=2
	v_bfe_u32 v11, v10, 16, 1
	s_delay_alu instid0(VALU_DEP_1)
	v_add3_u32 v11, v10, v11, 0x7fff
                                        ; implicit-def: $vgpr10
; %bb.56:                               ;   in Loop: Header=BB642_54 Depth=2
	s_wait_alu 0xfffe
	s_and_not1_saveexec_b32 s17, s17
	s_cbranch_execz .LBB642_53
; %bb.57:                               ;   in Loop: Header=BB642_54 Depth=2
	v_and_b32_e32 v11, 0xffff, v10
	v_or_b32_e32 v12, 0x10000, v10
	s_delay_alu instid0(VALU_DEP_2) | instskip(SKIP_1) | instid1(VALU_DEP_2)
	v_cmp_eq_u32_e32 vcc_lo, 0, v11
	s_wait_alu 0xfffd
	v_cndmask_b32_e32 v11, v12, v10, vcc_lo
	s_branch .LBB642_53
.LBB642_58:
	s_endpgm
	.section	.rodata,"a",@progbits
	.p2align	6, 0x0
	.amdhsa_kernel _ZL22rocblas_gemvtsm_kernelILb0ELi256E16rocblas_bfloat16PKffEviiT2_lPKT1_lilS6_lilS3_lPT3_lil
		.amdhsa_group_segment_fixed_size 256
		.amdhsa_private_segment_fixed_size 0
		.amdhsa_kernarg_size 136
		.amdhsa_user_sgpr_count 2
		.amdhsa_user_sgpr_dispatch_ptr 0
		.amdhsa_user_sgpr_queue_ptr 0
		.amdhsa_user_sgpr_kernarg_segment_ptr 1
		.amdhsa_user_sgpr_dispatch_id 0
		.amdhsa_user_sgpr_private_segment_size 0
		.amdhsa_wavefront_size32 1
		.amdhsa_uses_dynamic_stack 0
		.amdhsa_enable_private_segment 0
		.amdhsa_system_sgpr_workgroup_id_x 1
		.amdhsa_system_sgpr_workgroup_id_y 0
		.amdhsa_system_sgpr_workgroup_id_z 0
		.amdhsa_system_sgpr_workgroup_info 0
		.amdhsa_system_vgpr_workitem_id 0
		.amdhsa_next_free_vgpr 16
		.amdhsa_next_free_sgpr 30
		.amdhsa_reserve_vcc 1
		.amdhsa_float_round_mode_32 0
		.amdhsa_float_round_mode_16_64 0
		.amdhsa_float_denorm_mode_32 3
		.amdhsa_float_denorm_mode_16_64 3
		.amdhsa_fp16_overflow 0
		.amdhsa_workgroup_processor_mode 1
		.amdhsa_memory_ordered 1
		.amdhsa_forward_progress 1
		.amdhsa_inst_pref_size 18
		.amdhsa_round_robin_scheduling 0
		.amdhsa_exception_fp_ieee_invalid_op 0
		.amdhsa_exception_fp_denorm_src 0
		.amdhsa_exception_fp_ieee_div_zero 0
		.amdhsa_exception_fp_ieee_overflow 0
		.amdhsa_exception_fp_ieee_underflow 0
		.amdhsa_exception_fp_ieee_inexact 0
		.amdhsa_exception_int_div_zero 0
	.end_amdhsa_kernel
	.section	.text._ZL22rocblas_gemvtsm_kernelILb0ELi256E16rocblas_bfloat16PKffEviiT2_lPKT1_lilS6_lilS3_lPT3_lil,"axG",@progbits,_ZL22rocblas_gemvtsm_kernelILb0ELi256E16rocblas_bfloat16PKffEviiT2_lPKT1_lilS6_lilS3_lPT3_lil,comdat
.Lfunc_end642:
	.size	_ZL22rocblas_gemvtsm_kernelILb0ELi256E16rocblas_bfloat16PKffEviiT2_lPKT1_lilS6_lilS3_lPT3_lil, .Lfunc_end642-_ZL22rocblas_gemvtsm_kernelILb0ELi256E16rocblas_bfloat16PKffEviiT2_lPKT1_lilS6_lilS3_lPT3_lil
                                        ; -- End function
	.set _ZL22rocblas_gemvtsm_kernelILb0ELi256E16rocblas_bfloat16PKffEviiT2_lPKT1_lilS6_lilS3_lPT3_lil.num_vgpr, 16
	.set _ZL22rocblas_gemvtsm_kernelILb0ELi256E16rocblas_bfloat16PKffEviiT2_lPKT1_lilS6_lilS3_lPT3_lil.num_agpr, 0
	.set _ZL22rocblas_gemvtsm_kernelILb0ELi256E16rocblas_bfloat16PKffEviiT2_lPKT1_lilS6_lilS3_lPT3_lil.numbered_sgpr, 30
	.set _ZL22rocblas_gemvtsm_kernelILb0ELi256E16rocblas_bfloat16PKffEviiT2_lPKT1_lilS6_lilS3_lPT3_lil.num_named_barrier, 0
	.set _ZL22rocblas_gemvtsm_kernelILb0ELi256E16rocblas_bfloat16PKffEviiT2_lPKT1_lilS6_lilS3_lPT3_lil.private_seg_size, 0
	.set _ZL22rocblas_gemvtsm_kernelILb0ELi256E16rocblas_bfloat16PKffEviiT2_lPKT1_lilS6_lilS3_lPT3_lil.uses_vcc, 1
	.set _ZL22rocblas_gemvtsm_kernelILb0ELi256E16rocblas_bfloat16PKffEviiT2_lPKT1_lilS6_lilS3_lPT3_lil.uses_flat_scratch, 0
	.set _ZL22rocblas_gemvtsm_kernelILb0ELi256E16rocblas_bfloat16PKffEviiT2_lPKT1_lilS6_lilS3_lPT3_lil.has_dyn_sized_stack, 0
	.set _ZL22rocblas_gemvtsm_kernelILb0ELi256E16rocblas_bfloat16PKffEviiT2_lPKT1_lilS6_lilS3_lPT3_lil.has_recursion, 0
	.set _ZL22rocblas_gemvtsm_kernelILb0ELi256E16rocblas_bfloat16PKffEviiT2_lPKT1_lilS6_lilS3_lPT3_lil.has_indirect_call, 0
	.section	.AMDGPU.csdata,"",@progbits
; Kernel info:
; codeLenInByte = 2284
; TotalNumSgprs: 32
; NumVgprs: 16
; ScratchSize: 0
; MemoryBound: 0
; FloatMode: 240
; IeeeMode: 1
; LDSByteSize: 256 bytes/workgroup (compile time only)
; SGPRBlocks: 0
; VGPRBlocks: 1
; NumSGPRsForWavesPerEU: 32
; NumVGPRsForWavesPerEU: 16
; Occupancy: 16
; WaveLimiterHint : 1
; COMPUTE_PGM_RSRC2:SCRATCH_EN: 0
; COMPUTE_PGM_RSRC2:USER_SGPR: 2
; COMPUTE_PGM_RSRC2:TRAP_HANDLER: 0
; COMPUTE_PGM_RSRC2:TGID_X_EN: 1
; COMPUTE_PGM_RSRC2:TGID_Y_EN: 0
; COMPUTE_PGM_RSRC2:TGID_Z_EN: 0
; COMPUTE_PGM_RSRC2:TIDIG_COMP_CNT: 0
	.section	.text._ZL22rocblas_gemvtsm_kernelILb0ELi256E16rocblas_bfloat16ffEviiT2_lPKT1_lilS4_lilS1_lPT3_lil,"axG",@progbits,_ZL22rocblas_gemvtsm_kernelILb0ELi256E16rocblas_bfloat16ffEviiT2_lPKT1_lilS4_lilS1_lPT3_lil,comdat
	.globl	_ZL22rocblas_gemvtsm_kernelILb0ELi256E16rocblas_bfloat16ffEviiT2_lPKT1_lilS4_lilS1_lPT3_lil ; -- Begin function _ZL22rocblas_gemvtsm_kernelILb0ELi256E16rocblas_bfloat16ffEviiT2_lPKT1_lilS4_lilS1_lPT3_lil
	.p2align	8
	.type	_ZL22rocblas_gemvtsm_kernelILb0ELi256E16rocblas_bfloat16ffEviiT2_lPKT1_lilS4_lilS1_lPT3_lil,@function
_ZL22rocblas_gemvtsm_kernelILb0ELi256E16rocblas_bfloat16ffEviiT2_lPKT1_lilS4_lilS1_lPT3_lil: ; @_ZL22rocblas_gemvtsm_kernelILb0ELi256E16rocblas_bfloat16ffEviiT2_lPKT1_lilS4_lilS1_lPT3_lil
; %bb.0:
	s_clause 0x1
	s_load_b96 s[12:14], s[0:1], 0x0
	s_load_b32 s15, s[0:1], 0x58
	s_mov_b32 s19, 0
	s_wait_kmcnt 0x0
	s_cmp_eq_f32 s14, 0
	s_cselect_b32 s2, -1, 0
	s_cmp_eq_f32 s15, 1.0
	s_cselect_b32 s3, -1, 0
	s_delay_alu instid0(SALU_CYCLE_1) | instskip(NEXT) | instid1(SALU_CYCLE_1)
	s_and_b32 s2, s2, s3
	s_and_b32 vcc_lo, exec_lo, s2
	s_cbranch_vccnz .LBB643_58
; %bb.1:
	s_clause 0x2
	s_load_b64 s[2:3], s[0:1], 0x80
	s_load_b128 s[4:7], s[0:1], 0x68
	s_load_b32 s16, s[0:1], 0x78
	s_mov_b32 s18, ttmp9
	s_cmp_neq_f32 s14, 0
	s_wait_kmcnt 0x0
	s_mul_u64 s[20:21], s[2:3], s[18:19]
	s_cbranch_scc1 .LBB643_9
; %bb.2:
	s_cmp_gt_i32 s13, 0
	s_cselect_b32 s8, -1, 0
	s_cmp_neq_f32 s15, 0
	v_cndmask_b32_e64 v1, 0, 1, s8
	s_delay_alu instid0(VALU_DEP_1)
	v_cmp_ne_u32_e32 vcc_lo, 1, v1
	s_cbranch_scc1 .LBB643_10
; %bb.3:
	s_and_b32 vcc_lo, exec_lo, vcc_lo
	s_cbranch_vccnz .LBB643_8
; %bb.4:
	v_mad_co_i64_i32 v[1:2], null, s16, v0, 0
	s_lshl_b64 s[2:3], s[6:7], 2
	s_lshl_b64 s[10:11], s[20:21], 2
	s_add_nc_u64 s[2:3], s[4:5], s[2:3]
	v_mov_b32_e32 v3, 0
	s_add_nc_u64 s[2:3], s[2:3], s[10:11]
	s_ashr_i32 s17, s16, 31
	v_lshlrev_b64_e32 v[1:2], 2, v[1:2]
	s_mov_b32 s9, 0
	s_delay_alu instid0(VALU_DEP_1) | instskip(NEXT) | instid1(VALU_DEP_1)
	v_add_co_u32 v1, vcc_lo, s2, v1
	v_add_co_ci_u32_e64 v2, null, s3, v2, vcc_lo
	s_wait_alu 0xfffe
	s_lshl_b64 s[2:3], s[16:17], 10
	s_branch .LBB643_6
.LBB643_5:                              ;   in Loop: Header=BB643_6 Depth=1
	s_or_b32 exec_lo, exec_lo, s10
	s_wait_alu 0xfffe
	v_add_co_u32 v1, vcc_lo, v1, s2
	s_wait_alu 0xfffd
	v_add_co_ci_u32_e64 v2, null, s3, v2, vcc_lo
	s_addk_co_i32 s9, 0x100
	s_wait_alu 0xfffe
	s_cmp_ge_i32 s9, s13
	s_cbranch_scc1 .LBB643_8
.LBB643_6:                              ; =>This Inner Loop Header: Depth=1
	v_add_nc_u32_e32 v4, s9, v0
	s_mov_b32 s10, exec_lo
	s_delay_alu instid0(VALU_DEP_1)
	v_cmpx_gt_i32_e64 s13, v4
	s_cbranch_execz .LBB643_5
; %bb.7:                                ;   in Loop: Header=BB643_6 Depth=1
	global_store_b32 v[1:2], v3, off
	s_branch .LBB643_5
.LBB643_8:
	s_cbranch_execz .LBB643_11
	s_branch .LBB643_16
.LBB643_9:
	s_branch .LBB643_17
.LBB643_10:
.LBB643_11:
	s_and_not1_b32 vcc_lo, exec_lo, s8
	s_wait_alu 0xfffe
	s_cbranch_vccnz .LBB643_16
; %bb.12:
	v_mad_co_i64_i32 v[1:2], null, s16, v0, 0
	s_lshl_b64 s[2:3], s[6:7], 2
	s_lshl_b64 s[8:9], s[20:21], 2
	s_wait_alu 0xfffe
	s_add_nc_u64 s[2:3], s[4:5], s[2:3]
	s_ashr_i32 s17, s16, 31
	s_wait_alu 0xfffe
	s_add_nc_u64 s[2:3], s[2:3], s[8:9]
	s_mov_b32 s8, 0
	v_lshlrev_b64_e32 v[1:2], 2, v[1:2]
	s_wait_alu 0xfffe
	s_delay_alu instid0(VALU_DEP_1) | instskip(SKIP_1) | instid1(VALU_DEP_2)
	v_add_co_u32 v1, vcc_lo, s2, v1
	s_wait_alu 0xfffd
	v_add_co_ci_u32_e64 v2, null, s3, v2, vcc_lo
	s_lshl_b64 s[2:3], s[16:17], 10
	s_branch .LBB643_14
.LBB643_13:                             ;   in Loop: Header=BB643_14 Depth=1
	s_wait_alu 0xfffe
	s_or_b32 exec_lo, exec_lo, s9
	v_add_co_u32 v1, vcc_lo, v1, s2
	s_wait_alu 0xfffd
	v_add_co_ci_u32_e64 v2, null, s3, v2, vcc_lo
	s_addk_co_i32 s8, 0x100
	s_wait_alu 0xfffe
	s_cmp_ge_i32 s8, s13
	s_cbranch_scc1 .LBB643_16
.LBB643_14:                             ; =>This Inner Loop Header: Depth=1
	v_add_nc_u32_e32 v3, s8, v0
	s_mov_b32 s9, exec_lo
	s_delay_alu instid0(VALU_DEP_1)
	v_cmpx_gt_i32_e64 s13, v3
	s_cbranch_execz .LBB643_13
; %bb.15:                               ;   in Loop: Header=BB643_14 Depth=1
	global_load_b32 v3, v[1:2], off
	s_wait_loadcnt 0x0
	v_mul_f32_e32 v3, s15, v3
	global_store_b32 v[1:2], v3, off
	s_branch .LBB643_13
.LBB643_16:
	s_cbranch_execnz .LBB643_58
.LBB643_17:
	s_clause 0x1
	s_load_b128 s[8:11], s[0:1], 0x30
	s_load_b64 s[2:3], s[0:1], 0x40
	s_mov_b32 s17, exec_lo
	v_cmpx_gt_i32_e64 s12, v0
	s_cbranch_execz .LBB643_23
; %bb.18:
	s_clause 0x1
	s_load_b32 s24, s[0:1], 0x48
	s_load_b64 s[22:23], s[0:1], 0x50
	s_wait_kmcnt 0x0
	s_lshl_b64 s[2:3], s[2:3], 1
	v_mad_co_i64_i32 v[1:2], null, s24, v0, 0
	s_mul_u64 s[22:23], s[22:23], s[18:19]
	s_delay_alu instid0(SALU_CYCLE_1) | instskip(NEXT) | instid1(SALU_CYCLE_1)
	s_lshl_b64 s[22:23], s[22:23], 1
	s_add_nc_u64 s[10:11], s[10:11], s[22:23]
	s_wait_alu 0xfffe
	s_add_nc_u64 s[2:3], s[10:11], s[2:3]
	v_lshlrev_b64_e32 v[1:2], 1, v[1:2]
	s_wait_alu 0xfffe
	s_delay_alu instid0(VALU_DEP_1) | instskip(SKIP_1) | instid1(VALU_DEP_2)
	v_add_co_u32 v1, vcc_lo, s2, v1
	s_wait_alu 0xfffd
	v_add_co_ci_u32_e64 v2, null, s3, v2, vcc_lo
	global_load_u16 v1, v[1:2], off
	s_wait_loadcnt 0x0
	v_lshlrev_b32_e32 v1, 16, v1
	s_delay_alu instid0(VALU_DEP_1) | instskip(NEXT) | instid1(VALU_DEP_1)
	v_mul_f32_e32 v1, s14, v1
	v_and_b32_e32 v2, 0x7f800000, v1
	s_delay_alu instid0(VALU_DEP_1)
	v_cmp_ne_u32_e32 vcc_lo, 0x7f800000, v2
                                        ; implicit-def: $vgpr2
	s_and_saveexec_b32 s2, vcc_lo
	s_wait_alu 0xfffe
	s_xor_b32 s2, exec_lo, s2
; %bb.19:
	v_bfe_u32 v2, v1, 16, 1
	s_delay_alu instid0(VALU_DEP_1)
	v_add3_u32 v2, v1, v2, 0x7fff
                                        ; implicit-def: $vgpr1
; %bb.20:
	s_wait_alu 0xfffe
	s_and_not1_saveexec_b32 s2, s2
; %bb.21:
	v_and_b32_e32 v2, 0xffff, v1
	v_or_b32_e32 v3, 0x10000, v1
	s_delay_alu instid0(VALU_DEP_2) | instskip(SKIP_1) | instid1(VALU_DEP_2)
	v_cmp_eq_u32_e32 vcc_lo, 0, v2
	s_wait_alu 0xfffd
	v_cndmask_b32_e32 v2, v3, v1, vcc_lo
; %bb.22:
	s_wait_alu 0xfffe
	s_or_b32 exec_lo, exec_lo, s2
	s_delay_alu instid0(VALU_DEP_1)
	v_and_b32_e32 v1, 0xffff0000, v2
	v_lshlrev_b32_e32 v2, 2, v0
	ds_store_b32 v2, v1
.LBB643_23:
	s_wait_alu 0xfffe
	s_or_b32 exec_lo, exec_lo, s17
	s_cmp_lt_i32 s13, 1
	s_wait_storecnt_dscnt 0x0
	s_barrier_signal -1
	s_barrier_wait -1
	global_inv scope:SCOPE_SE
	s_cbranch_scc1 .LBB643_58
; %bb.24:
	s_load_b32 s22, s[0:1], 0x28
	s_wait_kmcnt 0x0
	s_load_b128 s[0:3], s[0:1], 0x18
	s_lshl_b64 s[10:11], s[20:21], 2
	s_lshl_b64 s[20:21], s[6:7], 2
	s_ashr_i32 s6, s16, 31
	s_add_nc_u64 s[24:25], s[4:5], s[10:11]
	s_mul_u64 s[18:19], s[8:9], s[18:19]
	s_mov_b32 s11, 0
	s_ashr_i32 s23, s22, 31
	s_cmp_neq_f32 s15, 0
	v_mad_co_i64_i32 v[1:2], null, s22, v0, 0
	s_cselect_b32 s4, -1, 0
	s_cmp_gt_i32 s12, 0
	s_cselect_b32 s5, -1, 0
	s_and_b32 s7, s12, 3
	s_cmp_gt_u32 s12, 3
	v_lshlrev_b64_e32 v[1:2], 1, v[1:2]
	s_cselect_b32 s8, -1, 0
	s_and_b32 s9, s12, 0x7ffffffc
	s_cmp_lg_u32 s7, 0
	s_cselect_b32 s10, -1, 0
	s_wait_kmcnt 0x0
	s_lshl_b64 s[2:3], s[2:3], 1
	s_lshl_b64 s[18:19], s[18:19], 1
	s_wait_alu 0xfffe
	s_add_nc_u64 s[0:1], s[0:1], s[2:3]
	s_lshl_b64 s[2:3], s[22:23], 9
	s_add_nc_u64 s[0:1], s[0:1], s[18:19]
	s_delay_alu instid0(SALU_CYCLE_1)
	v_add_co_u32 v7, vcc_lo, s0, v1
	s_wait_alu 0xfffd
	v_add_co_ci_u32_e64 v8, null, s1, v2, vcc_lo
	s_add_nc_u64 s[0:1], s[24:25], s[20:21]
	v_add_co_u32 v1, vcc_lo, v7, 4
	s_wait_alu 0xfffd
	v_add_co_ci_u32_e64 v2, null, 0, v8, vcc_lo
	s_branch .LBB643_27
.LBB643_25:                             ;   in Loop: Header=BB643_27 Depth=1
	v_add_co_u32 v3, vcc_lo, s0, v3
	s_wait_alu 0xfffd
	v_add_co_ci_u32_e64 v4, null, s1, v4, vcc_lo
	global_store_b32 v[3:4], v9, off
.LBB643_26:                             ;   in Loop: Header=BB643_27 Depth=1
	s_wait_alu 0xfffe
	s_or_b32 exec_lo, exec_lo, s12
	v_add_co_u32 v1, vcc_lo, v1, s2
	s_wait_alu 0xfffd
	v_add_co_ci_u32_e64 v2, null, s3, v2, vcc_lo
	v_add_co_u32 v7, vcc_lo, v7, s2
	s_wait_alu 0xfffd
	v_add_co_ci_u32_e64 v8, null, s3, v8, vcc_lo
	s_addk_co_i32 s11, 0x100
	s_wait_alu 0xfffe
	s_cmp_ge_i32 s11, s13
	s_cbranch_scc1 .LBB643_58
.LBB643_27:                             ; =>This Loop Header: Depth=1
                                        ;     Child Loop BB643_34 Depth 2
                                        ;     Child Loop BB643_54 Depth 2
	v_add_nc_u32_e32 v3, s11, v0
	s_mov_b32 s12, exec_lo
	s_delay_alu instid0(VALU_DEP_1)
	v_cmpx_gt_i32_e64 s13, v3
	s_cbranch_execz .LBB643_26
; %bb.28:                               ;   in Loop: Header=BB643_27 Depth=1
	v_mad_co_u64_u32 v[4:5], null, v3, s16, 0
	s_and_not1_b32 vcc_lo, exec_lo, s4
	v_mad_co_u64_u32 v[5:6], null, v3, s6, v[5:6]
	s_delay_alu instid0(VALU_DEP_1)
	v_lshlrev_b64_e32 v[3:4], 2, v[4:5]
	s_wait_alu 0xfffe
	s_cbranch_vccnz .LBB643_30
; %bb.29:                               ;   in Loop: Header=BB643_27 Depth=1
	s_delay_alu instid0(VALU_DEP_1) | instskip(SKIP_1) | instid1(VALU_DEP_2)
	v_add_co_u32 v5, vcc_lo, s0, v3
	s_wait_alu 0xfffd
	v_add_co_ci_u32_e64 v6, null, s1, v4, vcc_lo
	global_load_b32 v5, v[5:6], off
	s_wait_loadcnt 0x0
	v_mul_f32_e32 v9, s15, v5
	s_and_not1_b32 vcc_lo, exec_lo, s5
	s_wait_alu 0xfffe
	s_cbranch_vccz .LBB643_31
	s_branch .LBB643_25
.LBB643_30:                             ;   in Loop: Header=BB643_27 Depth=1
	v_mov_b32_e32 v9, 0
	s_and_not1_b32 vcc_lo, exec_lo, s5
	s_wait_alu 0xfffe
	s_cbranch_vccnz .LBB643_25
.LBB643_31:                             ;   in Loop: Header=BB643_27 Depth=1
	s_and_not1_b32 vcc_lo, exec_lo, s8
	s_mov_b32 s14, 0
	s_wait_alu 0xfffe
	s_cbranch_vccnz .LBB643_51
; %bb.32:                               ;   in Loop: Header=BB643_27 Depth=1
	v_dual_mov_b32 v6, v2 :: v_dual_mov_b32 v5, v1
	s_mov_b32 s17, 0
	s_branch .LBB643_34
.LBB643_33:                             ;   in Loop: Header=BB643_34 Depth=2
	s_or_b32 exec_lo, exec_lo, s18
	v_and_b32_e32 v11, 0xffff0000, v11
	v_and_b32_e32 v10, 0xffff0000, v10
	v_add_co_u32 v5, vcc_lo, v5, 8
	s_wait_alu 0xfffd
	v_add_co_ci_u32_e64 v6, null, 0, v6, vcc_lo
	s_delay_alu instid0(VALU_DEP_3)
	v_dual_add_f32 v9, v9, v10 :: v_dual_and_b32 v10, 0xffff0000, v12
	s_wait_alu 0xfffe
	s_add_co_i32 s17, s17, 4
	s_add_co_i32 s14, s14, 16
	s_wait_alu 0xfffe
	s_cmp_eq_u32 s9, s17
	v_add_f32_e32 v9, v9, v11
	v_and_b32_e32 v11, 0xffff0000, v13
	s_delay_alu instid0(VALU_DEP_2) | instskip(NEXT) | instid1(VALU_DEP_1)
	v_add_f32_e32 v9, v9, v10
	v_add_f32_e32 v9, v9, v11
	s_cbranch_scc1 .LBB643_50
.LBB643_34:                             ;   Parent Loop BB643_27 Depth=1
                                        ; =>  This Inner Loop Header: Depth=2
	global_load_u16 v10, v[5:6], off offset:-4
	s_wait_loadcnt 0x0
	v_dual_mov_b32 v11, s14 :: v_dual_lshlrev_b32 v10, 16, v10
	ds_load_b32 v11, v11
	s_wait_dscnt 0x0
	v_mul_f32_e32 v11, v11, v10
	s_delay_alu instid0(VALU_DEP_1) | instskip(NEXT) | instid1(VALU_DEP_1)
	v_and_b32_e32 v10, 0x7f800000, v11
	v_cmp_ne_u32_e32 vcc_lo, 0x7f800000, v10
                                        ; implicit-def: $vgpr10
	s_and_saveexec_b32 s18, vcc_lo
	s_delay_alu instid0(SALU_CYCLE_1)
	s_xor_b32 s18, exec_lo, s18
; %bb.35:                               ;   in Loop: Header=BB643_34 Depth=2
	v_bfe_u32 v10, v11, 16, 1
	s_delay_alu instid0(VALU_DEP_1)
	v_add3_u32 v10, v11, v10, 0x7fff
                                        ; implicit-def: $vgpr11
; %bb.36:                               ;   in Loop: Header=BB643_34 Depth=2
	s_and_not1_saveexec_b32 s18, s18
; %bb.37:                               ;   in Loop: Header=BB643_34 Depth=2
	v_and_b32_e32 v10, 0xffff, v11
	v_or_b32_e32 v12, 0x10000, v11
	s_delay_alu instid0(VALU_DEP_2) | instskip(SKIP_1) | instid1(VALU_DEP_2)
	v_cmp_eq_u32_e32 vcc_lo, 0, v10
	s_wait_alu 0xfffd
	v_cndmask_b32_e32 v10, v12, v11, vcc_lo
; %bb.38:                               ;   in Loop: Header=BB643_34 Depth=2
	s_or_b32 exec_lo, exec_lo, s18
	global_load_u16 v11, v[5:6], off offset:-2
	s_wait_loadcnt 0x0
	v_dual_mov_b32 v12, s14 :: v_dual_lshlrev_b32 v11, 16, v11
	ds_load_b32 v12, v12 offset:4
	s_wait_dscnt 0x0
	v_mul_f32_e32 v12, v12, v11
	s_delay_alu instid0(VALU_DEP_1) | instskip(NEXT) | instid1(VALU_DEP_1)
	v_and_b32_e32 v11, 0x7f800000, v12
	v_cmp_ne_u32_e32 vcc_lo, 0x7f800000, v11
                                        ; implicit-def: $vgpr11
	s_and_saveexec_b32 s18, vcc_lo
	s_delay_alu instid0(SALU_CYCLE_1)
	s_xor_b32 s18, exec_lo, s18
; %bb.39:                               ;   in Loop: Header=BB643_34 Depth=2
	v_bfe_u32 v11, v12, 16, 1
	s_delay_alu instid0(VALU_DEP_1)
	v_add3_u32 v11, v12, v11, 0x7fff
                                        ; implicit-def: $vgpr12
; %bb.40:                               ;   in Loop: Header=BB643_34 Depth=2
	s_and_not1_saveexec_b32 s18, s18
; %bb.41:                               ;   in Loop: Header=BB643_34 Depth=2
	v_and_b32_e32 v11, 0xffff, v12
	v_or_b32_e32 v13, 0x10000, v12
	s_delay_alu instid0(VALU_DEP_2) | instskip(SKIP_1) | instid1(VALU_DEP_2)
	v_cmp_eq_u32_e32 vcc_lo, 0, v11
	s_wait_alu 0xfffd
	v_cndmask_b32_e32 v11, v13, v12, vcc_lo
; %bb.42:                               ;   in Loop: Header=BB643_34 Depth=2
	s_or_b32 exec_lo, exec_lo, s18
	global_load_u16 v12, v[5:6], off
	s_wait_loadcnt 0x0
	v_dual_mov_b32 v13, s14 :: v_dual_lshlrev_b32 v12, 16, v12
	ds_load_b32 v13, v13 offset:8
	s_wait_dscnt 0x0
	v_mul_f32_e32 v13, v13, v12
	s_delay_alu instid0(VALU_DEP_1) | instskip(NEXT) | instid1(VALU_DEP_1)
	v_and_b32_e32 v12, 0x7f800000, v13
	v_cmp_ne_u32_e32 vcc_lo, 0x7f800000, v12
                                        ; implicit-def: $vgpr12
	s_and_saveexec_b32 s18, vcc_lo
	s_delay_alu instid0(SALU_CYCLE_1)
	s_xor_b32 s18, exec_lo, s18
; %bb.43:                               ;   in Loop: Header=BB643_34 Depth=2
	v_bfe_u32 v12, v13, 16, 1
	s_delay_alu instid0(VALU_DEP_1)
	v_add3_u32 v12, v13, v12, 0x7fff
                                        ; implicit-def: $vgpr13
; %bb.44:                               ;   in Loop: Header=BB643_34 Depth=2
	s_and_not1_saveexec_b32 s18, s18
; %bb.45:                               ;   in Loop: Header=BB643_34 Depth=2
	v_and_b32_e32 v12, 0xffff, v13
	v_or_b32_e32 v14, 0x10000, v13
	s_delay_alu instid0(VALU_DEP_2) | instskip(SKIP_1) | instid1(VALU_DEP_2)
	v_cmp_eq_u32_e32 vcc_lo, 0, v12
	s_wait_alu 0xfffd
	v_cndmask_b32_e32 v12, v14, v13, vcc_lo
; %bb.46:                               ;   in Loop: Header=BB643_34 Depth=2
	s_or_b32 exec_lo, exec_lo, s18
	global_load_u16 v13, v[5:6], off offset:2
	s_wait_loadcnt 0x0
	v_dual_mov_b32 v14, s14 :: v_dual_lshlrev_b32 v13, 16, v13
	ds_load_b32 v14, v14 offset:12
	s_wait_dscnt 0x0
	v_mul_f32_e32 v14, v14, v13
	s_delay_alu instid0(VALU_DEP_1) | instskip(NEXT) | instid1(VALU_DEP_1)
	v_and_b32_e32 v13, 0x7f800000, v14
	v_cmp_ne_u32_e32 vcc_lo, 0x7f800000, v13
                                        ; implicit-def: $vgpr13
	s_and_saveexec_b32 s18, vcc_lo
	s_delay_alu instid0(SALU_CYCLE_1)
	s_xor_b32 s18, exec_lo, s18
; %bb.47:                               ;   in Loop: Header=BB643_34 Depth=2
	v_bfe_u32 v13, v14, 16, 1
	s_delay_alu instid0(VALU_DEP_1)
	v_add3_u32 v13, v14, v13, 0x7fff
                                        ; implicit-def: $vgpr14
; %bb.48:                               ;   in Loop: Header=BB643_34 Depth=2
	s_and_not1_saveexec_b32 s18, s18
	s_cbranch_execz .LBB643_33
; %bb.49:                               ;   in Loop: Header=BB643_34 Depth=2
	v_and_b32_e32 v13, 0xffff, v14
	v_or_b32_e32 v15, 0x10000, v14
	s_delay_alu instid0(VALU_DEP_2) | instskip(SKIP_1) | instid1(VALU_DEP_2)
	v_cmp_eq_u32_e32 vcc_lo, 0, v13
	s_wait_alu 0xfffd
	v_cndmask_b32_e32 v13, v15, v14, vcc_lo
	s_branch .LBB643_33
.LBB643_50:                             ;   in Loop: Header=BB643_27 Depth=1
	s_mov_b32 s14, s9
.LBB643_51:                             ;   in Loop: Header=BB643_27 Depth=1
	s_and_not1_b32 vcc_lo, exec_lo, s10
	s_wait_alu 0xfffe
	s_cbranch_vccnz .LBB643_25
; %bb.52:                               ;   in Loop: Header=BB643_27 Depth=1
	s_lshl_b32 s17, s14, 1
	s_lshl_b32 s14, s14, 2
	s_wait_alu 0xfffe
	v_add_co_u32 v5, vcc_lo, v7, s17
	s_wait_alu 0xfffd
	v_add_co_ci_u32_e64 v6, null, 0, v8, vcc_lo
	s_mov_b32 s17, s7
	s_branch .LBB643_54
.LBB643_53:                             ;   in Loop: Header=BB643_54 Depth=2
	s_or_b32 exec_lo, exec_lo, s18
	s_delay_alu instid0(VALU_DEP_1) | instskip(SKIP_3) | instid1(VALU_DEP_3)
	v_and_b32_e32 v10, 0xffff0000, v11
	v_add_co_u32 v5, vcc_lo, v5, 2
	s_wait_alu 0xfffd
	v_add_co_ci_u32_e64 v6, null, 0, v6, vcc_lo
	v_add_f32_e32 v9, v9, v10
	s_wait_alu 0xfffe
	s_add_co_i32 s17, s17, -1
	s_add_co_i32 s14, s14, 4
	s_wait_alu 0xfffe
	s_cmp_lg_u32 s17, 0
	s_cbranch_scc0 .LBB643_25
.LBB643_54:                             ;   Parent Loop BB643_27 Depth=1
                                        ; =>  This Inner Loop Header: Depth=2
	global_load_u16 v10, v[5:6], off
	s_wait_loadcnt 0x0
	v_dual_mov_b32 v11, s14 :: v_dual_lshlrev_b32 v10, 16, v10
	ds_load_b32 v11, v11
	s_wait_dscnt 0x0
	v_mul_f32_e32 v10, v11, v10
	s_delay_alu instid0(VALU_DEP_1) | instskip(NEXT) | instid1(VALU_DEP_1)
	v_and_b32_e32 v11, 0x7f800000, v10
	v_cmp_ne_u32_e32 vcc_lo, 0x7f800000, v11
                                        ; implicit-def: $vgpr11
	s_and_saveexec_b32 s18, vcc_lo
	s_delay_alu instid0(SALU_CYCLE_1)
	s_xor_b32 s18, exec_lo, s18
; %bb.55:                               ;   in Loop: Header=BB643_54 Depth=2
	v_bfe_u32 v11, v10, 16, 1
	s_delay_alu instid0(VALU_DEP_1)
	v_add3_u32 v11, v10, v11, 0x7fff
                                        ; implicit-def: $vgpr10
; %bb.56:                               ;   in Loop: Header=BB643_54 Depth=2
	s_and_not1_saveexec_b32 s18, s18
	s_cbranch_execz .LBB643_53
; %bb.57:                               ;   in Loop: Header=BB643_54 Depth=2
	v_and_b32_e32 v11, 0xffff, v10
	v_or_b32_e32 v12, 0x10000, v10
	s_delay_alu instid0(VALU_DEP_2) | instskip(SKIP_1) | instid1(VALU_DEP_2)
	v_cmp_eq_u32_e32 vcc_lo, 0, v11
	s_wait_alu 0xfffd
	v_cndmask_b32_e32 v11, v12, v10, vcc_lo
	s_branch .LBB643_53
.LBB643_58:
	s_endpgm
	.section	.rodata,"a",@progbits
	.p2align	6, 0x0
	.amdhsa_kernel _ZL22rocblas_gemvtsm_kernelILb0ELi256E16rocblas_bfloat16ffEviiT2_lPKT1_lilS4_lilS1_lPT3_lil
		.amdhsa_group_segment_fixed_size 256
		.amdhsa_private_segment_fixed_size 0
		.amdhsa_kernarg_size 136
		.amdhsa_user_sgpr_count 2
		.amdhsa_user_sgpr_dispatch_ptr 0
		.amdhsa_user_sgpr_queue_ptr 0
		.amdhsa_user_sgpr_kernarg_segment_ptr 1
		.amdhsa_user_sgpr_dispatch_id 0
		.amdhsa_user_sgpr_private_segment_size 0
		.amdhsa_wavefront_size32 1
		.amdhsa_uses_dynamic_stack 0
		.amdhsa_enable_private_segment 0
		.amdhsa_system_sgpr_workgroup_id_x 1
		.amdhsa_system_sgpr_workgroup_id_y 0
		.amdhsa_system_sgpr_workgroup_id_z 0
		.amdhsa_system_sgpr_workgroup_info 0
		.amdhsa_system_vgpr_workitem_id 0
		.amdhsa_next_free_vgpr 16
		.amdhsa_next_free_sgpr 26
		.amdhsa_reserve_vcc 1
		.amdhsa_float_round_mode_32 0
		.amdhsa_float_round_mode_16_64 0
		.amdhsa_float_denorm_mode_32 3
		.amdhsa_float_denorm_mode_16_64 3
		.amdhsa_fp16_overflow 0
		.amdhsa_workgroup_processor_mode 1
		.amdhsa_memory_ordered 1
		.amdhsa_forward_progress 1
		.amdhsa_inst_pref_size 18
		.amdhsa_round_robin_scheduling 0
		.amdhsa_exception_fp_ieee_invalid_op 0
		.amdhsa_exception_fp_denorm_src 0
		.amdhsa_exception_fp_ieee_div_zero 0
		.amdhsa_exception_fp_ieee_overflow 0
		.amdhsa_exception_fp_ieee_underflow 0
		.amdhsa_exception_fp_ieee_inexact 0
		.amdhsa_exception_int_div_zero 0
	.end_amdhsa_kernel
	.section	.text._ZL22rocblas_gemvtsm_kernelILb0ELi256E16rocblas_bfloat16ffEviiT2_lPKT1_lilS4_lilS1_lPT3_lil,"axG",@progbits,_ZL22rocblas_gemvtsm_kernelILb0ELi256E16rocblas_bfloat16ffEviiT2_lPKT1_lilS4_lilS1_lPT3_lil,comdat
.Lfunc_end643:
	.size	_ZL22rocblas_gemvtsm_kernelILb0ELi256E16rocblas_bfloat16ffEviiT2_lPKT1_lilS4_lilS1_lPT3_lil, .Lfunc_end643-_ZL22rocblas_gemvtsm_kernelILb0ELi256E16rocblas_bfloat16ffEviiT2_lPKT1_lilS4_lilS1_lPT3_lil
                                        ; -- End function
	.set _ZL22rocblas_gemvtsm_kernelILb0ELi256E16rocblas_bfloat16ffEviiT2_lPKT1_lilS4_lilS1_lPT3_lil.num_vgpr, 16
	.set _ZL22rocblas_gemvtsm_kernelILb0ELi256E16rocblas_bfloat16ffEviiT2_lPKT1_lilS4_lilS1_lPT3_lil.num_agpr, 0
	.set _ZL22rocblas_gemvtsm_kernelILb0ELi256E16rocblas_bfloat16ffEviiT2_lPKT1_lilS4_lilS1_lPT3_lil.numbered_sgpr, 26
	.set _ZL22rocblas_gemvtsm_kernelILb0ELi256E16rocblas_bfloat16ffEviiT2_lPKT1_lilS4_lilS1_lPT3_lil.num_named_barrier, 0
	.set _ZL22rocblas_gemvtsm_kernelILb0ELi256E16rocblas_bfloat16ffEviiT2_lPKT1_lilS4_lilS1_lPT3_lil.private_seg_size, 0
	.set _ZL22rocblas_gemvtsm_kernelILb0ELi256E16rocblas_bfloat16ffEviiT2_lPKT1_lilS4_lilS1_lPT3_lil.uses_vcc, 1
	.set _ZL22rocblas_gemvtsm_kernelILb0ELi256E16rocblas_bfloat16ffEviiT2_lPKT1_lilS4_lilS1_lPT3_lil.uses_flat_scratch, 0
	.set _ZL22rocblas_gemvtsm_kernelILb0ELi256E16rocblas_bfloat16ffEviiT2_lPKT1_lilS4_lilS1_lPT3_lil.has_dyn_sized_stack, 0
	.set _ZL22rocblas_gemvtsm_kernelILb0ELi256E16rocblas_bfloat16ffEviiT2_lPKT1_lilS4_lilS1_lPT3_lil.has_recursion, 0
	.set _ZL22rocblas_gemvtsm_kernelILb0ELi256E16rocblas_bfloat16ffEviiT2_lPKT1_lilS4_lilS1_lPT3_lil.has_indirect_call, 0
	.section	.AMDGPU.csdata,"",@progbits
; Kernel info:
; codeLenInByte = 2204
; TotalNumSgprs: 28
; NumVgprs: 16
; ScratchSize: 0
; MemoryBound: 0
; FloatMode: 240
; IeeeMode: 1
; LDSByteSize: 256 bytes/workgroup (compile time only)
; SGPRBlocks: 0
; VGPRBlocks: 1
; NumSGPRsForWavesPerEU: 28
; NumVGPRsForWavesPerEU: 16
; Occupancy: 16
; WaveLimiterHint : 1
; COMPUTE_PGM_RSRC2:SCRATCH_EN: 0
; COMPUTE_PGM_RSRC2:USER_SGPR: 2
; COMPUTE_PGM_RSRC2:TRAP_HANDLER: 0
; COMPUTE_PGM_RSRC2:TGID_X_EN: 1
; COMPUTE_PGM_RSRC2:TGID_Y_EN: 0
; COMPUTE_PGM_RSRC2:TGID_Z_EN: 0
; COMPUTE_PGM_RSRC2:TIDIG_COMP_CNT: 0
	.section	.text._ZL32rocblas_gemvt_warp_reduce_kernelILb0ELi256Ei16rocblas_bfloat16PKffEviiT3_lPKT2_lT1_lS6_lS7_lS3_lPT4_lS7_li,"axG",@progbits,_ZL32rocblas_gemvt_warp_reduce_kernelILb0ELi256Ei16rocblas_bfloat16PKffEviiT3_lPKT2_lT1_lS6_lS7_lS3_lPT4_lS7_li,comdat
	.globl	_ZL32rocblas_gemvt_warp_reduce_kernelILb0ELi256Ei16rocblas_bfloat16PKffEviiT3_lPKT2_lT1_lS6_lS7_lS3_lPT4_lS7_li ; -- Begin function _ZL32rocblas_gemvt_warp_reduce_kernelILb0ELi256Ei16rocblas_bfloat16PKffEviiT3_lPKT2_lT1_lS6_lS7_lS3_lPT4_lS7_li
	.p2align	8
	.type	_ZL32rocblas_gemvt_warp_reduce_kernelILb0ELi256Ei16rocblas_bfloat16PKffEviiT3_lPKT2_lT1_lS6_lS7_lS3_lPT4_lS7_li,@function
_ZL32rocblas_gemvt_warp_reduce_kernelILb0ELi256Ei16rocblas_bfloat16PKffEviiT3_lPKT2_lT1_lS6_lS7_lS3_lPT4_lS7_li: ; @_ZL32rocblas_gemvt_warp_reduce_kernelILb0ELi256Ei16rocblas_bfloat16PKffEviiT3_lPKT2_lT1_lS6_lS7_lS3_lPT4_lS7_li
; %bb.0:
	s_load_b32 s7, s[0:1], 0x88
	s_lshr_b32 s28, ttmp7, 16
	s_wait_kmcnt 0x0
	s_cmp_ge_u32 s28, s7
	s_cbranch_scc1 .LBB644_42
; %bb.1:
	s_clause 0x7
	s_load_b96 s[4:6], s[0:1], 0x40
	s_load_b96 s[36:38], s[0:1], 0x70
	s_load_b256 s[8:15], s[0:1], 0x8
	s_load_b32 s33, s[0:1], 0x0
	s_load_b32 s39, s[0:1], 0x28
	s_load_b128 s[24:27], s[0:1], 0x30
	s_load_b256 s[16:23], s[0:1], 0x50
	s_load_b64 s[30:31], s[0:1], 0x80
	v_mov_b32_e32 v9, 0
	v_mbcnt_lo_u32_b32 v14, -1, 0
	v_cmp_eq_u32_e64 s0, 0, v0
	s_mov_b32 s29, 0
	v_lshl_or_b32 v16, v14, 2, 64
	s_wait_kmcnt 0x0
	s_lshl_b64 s[2:3], s[4:5], 1
	s_lshl_b64 s[4:5], s[36:37], 2
	;; [unrolled: 1-line block ×3, first 2 shown]
	v_cmp_gt_i32_e32 vcc_lo, s33, v0
	s_ashr_i32 s1, s33, 31
	s_add_nc_u64 s[14:15], s[26:27], s[2:3]
	s_lshr_b32 s1, s1, 24
	s_add_nc_u64 s[2:3], s[12:13], s[34:35]
	s_add_co_i32 s1, s33, s1
	v_cndmask_b32_e32 v1, 0, v0, vcc_lo
	s_and_b32 s26, s1, 0xffffff00
	s_mul_i32 s36, s38, ttmp9
	v_or_b32_e32 v2, s26, v0
	s_mul_i32 s38, s39, ttmp9
	v_lshlrev_b32_e32 v1, 1, v1
	s_ashr_i32 s39, s38, 31
	v_mul_lo_u32 v15, v0, s6
	v_mul_lo_u32 v3, s6, v2
	s_lshl_b64 s[38:39], s[38:39], 1
	v_add_co_u32 v4, s1, s2, v1
	s_delay_alu instid0(VALU_DEP_1)
	v_add_co_ci_u32_e64 v5, null, s3, 0, s1
	s_add_nc_u64 s[34:35], s[34:35], s[38:39]
	v_add_co_u32 v10, vcc_lo, v4, s38
	v_ashrrev_i32_e32 v4, 31, v3
	s_wait_alu 0xfffd
	v_add_co_ci_u32_e64 v11, null, s39, v5, vcc_lo
	v_cmp_gt_i32_e64 s2, s33, v2
	v_and_b32_e32 v2, 31, v0
	v_lshrrev_b32_e32 v5, 3, v0
	s_add_nc_u64 s[12:13], s[12:13], s[34:35]
	v_lshlrev_b64_e32 v[3:4], 1, v[3:4]
	v_add_co_u32 v1, s12, s12, v1
	s_add_nc_u64 s[22:23], s[22:23], s[4:5]
	v_cmp_gt_i32_e64 s1, s26, v0
	v_cmp_gt_u32_e64 s3, 32, v0
	v_lshlrev_b32_e32 v12, 2, v2
	v_cmp_eq_u32_e64 s4, 0, v2
	v_and_b32_e32 v13, 28, v5
	v_cmp_gt_u32_e64 s5, 8, v0
	s_wait_alu 0xf1ff
	v_add_co_ci_u32_e64 v2, null, s13, 0, s12
	s_ashr_i32 s37, s36, 31
	s_ashr_i32 s27, s26, 31
	s_lshl_b64 s[12:13], s[24:25], 1
	s_lshl_b32 s33, s6, 8
	s_lshl_b64 s[34:35], s[36:37], 2
	s_wait_alu 0xfffe
	s_lshl_b64 s[36:37], s[26:27], 1
	s_branch .LBB644_4
.LBB644_2:                              ;   in Loop: Header=BB644_4 Depth=1
	s_wait_alu 0xfffe
	s_or_b32 exec_lo, exec_lo, s6
.LBB644_3:                              ;   in Loop: Header=BB644_4 Depth=1
	s_add_co_i32 s28, s28, 0x10000
	s_wait_alu 0xfffe
	s_cmp_lt_u32 s28, s7
	s_cbranch_scc0 .LBB644_42
.LBB644_4:                              ; =>This Loop Header: Depth=1
                                        ;     Child Loop BB644_24 Depth 2
	s_mul_u64 s[38:39], s[10:11], s[28:29]
	s_mul_u64 s[40:41], s[20:21], s[28:29]
	s_wait_alu 0xfffe
	s_lshl_b64 s[38:39], s[38:39], 2
	s_lshl_b64 s[40:41], s[40:41], 2
	s_wait_alu 0xfffe
	s_add_nc_u64 s[38:39], s[8:9], s[38:39]
	s_add_nc_u64 s[40:41], s[18:19], s[40:41]
	s_clause 0x1
	global_load_b32 v17, v9, s[38:39]
	global_load_b32 v5, v9, s[40:41]
	s_wait_loadcnt 0x1
	v_cmp_eq_f32_e32 vcc_lo, 0, v17
	s_wait_loadcnt 0x0
	v_cmp_eq_f32_e64 s6, 1.0, v5
	v_readfirstlane_b32 s27, v5
	s_and_b32 s6, vcc_lo, s6
	s_wait_alu 0xfffe
	s_and_b32 vcc_lo, exec_lo, s6
	s_wait_alu 0xfffe
	s_cbranch_vccnz .LBB644_3
; %bb.5:                                ;   in Loop: Header=BB644_4 Depth=1
	v_cmp_neq_f32_e32 vcc_lo, 0, v17
	s_mul_u64 s[38:39], s[30:31], s[28:29]
	s_wait_alu 0xfffe
	s_lshl_b64 s[38:39], s[38:39], 2
	s_wait_alu 0xfffe
	s_add_nc_u64 s[38:39], s[22:23], s[38:39]
	s_cbranch_vccnz .LBB644_9
; %bb.6:                                ;   in Loop: Header=BB644_4 Depth=1
	s_mov_b32 s6, 0
	s_mov_b32 s42, 0
                                        ; implicit-def: $vgpr5
	s_and_saveexec_b32 s40, s0
	s_cbranch_execz .LBB644_10
; %bb.7:                                ;   in Loop: Header=BB644_4 Depth=1
	s_cmp_eq_f32 s27, 0
	s_cbranch_scc1 .LBB644_11
; %bb.8:                                ;   in Loop: Header=BB644_4 Depth=1
	s_wait_alu 0xfffe
	s_add_nc_u64 s[42:43], s[38:39], s[34:35]
	global_load_b32 v5, v9, s[42:43]
	s_wait_loadcnt 0x0
	v_mul_f32_e32 v5, s27, v5
	s_branch .LBB644_12
.LBB644_9:                              ;   in Loop: Header=BB644_4 Depth=1
	s_mov_b32 s42, 0
                                        ; implicit-def: $vgpr5
	s_cbranch_execnz .LBB644_13
	s_branch .LBB644_34
.LBB644_10:                             ;   in Loop: Header=BB644_4 Depth=1
	s_wait_alu 0xfffe
	s_or_b32 exec_lo, exec_lo, s40
	s_delay_alu instid0(SALU_CYCLE_1)
	s_and_b32 vcc_lo, exec_lo, s6
	s_wait_alu 0xfffe
	s_cbranch_vccnz .LBB644_13
	s_branch .LBB644_34
.LBB644_11:                             ;   in Loop: Header=BB644_4 Depth=1
	v_mov_b32_e32 v5, 0
.LBB644_12:                             ;   in Loop: Header=BB644_4 Depth=1
	s_mov_b32 s42, exec_lo
	s_wait_alu 0xfffe
	s_or_b32 exec_lo, exec_lo, s40
	s_delay_alu instid0(SALU_CYCLE_1)
	s_and_b32 vcc_lo, exec_lo, s6
	s_wait_alu 0xfffe
	s_cbranch_vccz .LBB644_34
.LBB644_13:                             ;   in Loop: Header=BB644_4 Depth=1
	s_mul_u64 s[40:41], s[16:17], s[28:29]
	v_mov_b32_e32 v18, 0
	s_wait_alu 0xfffe
	s_lshl_b64 s[40:41], s[40:41], 1
	s_wait_alu 0xfffe
	s_add_nc_u64 s[40:41], s[14:15], s[40:41]
	s_and_saveexec_b32 s43, s1
	s_cbranch_execnz .LBB644_22
; %bb.14:                               ;   in Loop: Header=BB644_4 Depth=1
	s_or_b32 exec_lo, exec_lo, s43
	s_and_saveexec_b32 s6, s2
	s_cbranch_execnz .LBB644_37
.LBB644_15:                             ;   in Loop: Header=BB644_4 Depth=1
	s_wait_alu 0xfffe
	s_or_b32 exec_lo, exec_lo, s6
	s_and_saveexec_b32 s6, s3
.LBB644_16:                             ;   in Loop: Header=BB644_4 Depth=1
	ds_store_b32 v12, v9
.LBB644_17:                             ;   in Loop: Header=BB644_4 Depth=1
	s_wait_alu 0xfffe
	s_or_b32 exec_lo, exec_lo, s6
	ds_bpermute_b32 v5, v16, v18
	v_cmp_gt_u32_e32 vcc_lo, 24, v14
	s_wait_dscnt 0x0
	s_barrier_signal -1
	s_barrier_wait -1
	global_inv scope:SCOPE_SE
	s_wait_alu 0xfffd
	v_cndmask_b32_e64 v6, 0, 8, vcc_lo
	v_cmp_gt_u32_e32 vcc_lo, 28, v14
	s_delay_alu instid0(VALU_DEP_2)
	v_add_lshl_u32 v6, v6, v14, 2
	v_add_f32_e32 v7, v18, v5
	s_wait_alu 0xfffd
	v_cndmask_b32_e64 v5, 0, 4, vcc_lo
	v_cmp_gt_u32_e32 vcc_lo, 30, v14
	ds_bpermute_b32 v6, v6, v7
	v_add_lshl_u32 v5, v5, v14, 2
	s_wait_dscnt 0x0
	v_add_f32_e32 v7, v7, v6
	s_wait_alu 0xfffd
	v_cndmask_b32_e64 v6, 0, 2, vcc_lo
	v_cmp_ne_u32_e32 vcc_lo, 31, v14
	ds_bpermute_b32 v8, v5, v7
	v_add_lshl_u32 v6, v6, v14, 2
	s_wait_alu 0xfffd
	v_add_co_ci_u32_e64 v18, null, 0, v14, vcc_lo
	s_wait_dscnt 0x0
	v_add_f32_e32 v7, v7, v8
	ds_bpermute_b32 v8, v6, v7
	s_wait_dscnt 0x0
	v_dual_add_f32 v8, v7, v8 :: v_dual_lshlrev_b32 v7, 2, v18
	ds_bpermute_b32 v18, v7, v8
	s_and_saveexec_b32 s6, s4
	s_cbranch_execz .LBB644_19
; %bb.18:                               ;   in Loop: Header=BB644_4 Depth=1
	s_wait_dscnt 0x0
	v_add_f32_e32 v8, v8, v18
	ds_store_b32 v13, v8
.LBB644_19:                             ;   in Loop: Header=BB644_4 Depth=1
	s_wait_alu 0xfffe
	s_or_b32 exec_lo, exec_lo, s6
	v_mov_b32_e32 v8, 0
	s_wait_loadcnt_dscnt 0x0
	s_barrier_signal -1
	s_barrier_wait -1
	global_inv scope:SCOPE_SE
	s_and_saveexec_b32 s6, s5
	s_cbranch_execnz .LBB644_28
; %bb.20:                               ;   in Loop: Header=BB644_4 Depth=1
	s_wait_alu 0xfffe
	s_or_b32 exec_lo, exec_lo, s6
	s_and_saveexec_b32 s6, s3
	s_cbranch_execnz .LBB644_29
.LBB644_21:                             ;   in Loop: Header=BB644_4 Depth=1
	s_wait_alu 0xfffe
	s_or_b32 exec_lo, exec_lo, s6
                                        ; implicit-def: $vgpr5
	s_and_saveexec_b32 s6, s0
	s_cbranch_execnz .LBB644_30
	s_branch .LBB644_33
.LBB644_22:                             ;   in Loop: Header=BB644_4 Depth=1
	v_mad_co_u64_u32 v[5:6], null, s12, s28, v[1:2]
	v_dual_mov_b32 v18, 0 :: v_dual_mov_b32 v19, v0
	s_mov_b32 s44, 0
	s_delay_alu instid0(VALU_DEP_2)
	v_mad_co_u64_u32 v[6:7], null, s13, s28, v[6:7]
	v_mov_b32_e32 v7, v15
	s_branch .LBB644_24
.LBB644_23:                             ;   in Loop: Header=BB644_24 Depth=2
	s_wait_alu 0xfffe
	s_or_b32 exec_lo, exec_lo, s6
	s_delay_alu instid0(VALU_DEP_1)
	v_and_b32_e32 v8, 0xffff0000, v20
	v_add_nc_u32_e32 v19, 0x100, v19
	v_add_co_u32 v5, s6, 0x200, v5
	s_wait_alu 0xf1ff
	v_add_co_ci_u32_e64 v6, null, 0, v6, s6
	v_add_f32_e32 v18, v18, v8
	v_cmp_le_i32_e32 vcc_lo, s26, v19
	v_add_nc_u32_e32 v7, s33, v7
	s_or_b32 s44, vcc_lo, s44
	s_wait_alu 0xfffe
	s_and_not1_b32 exec_lo, exec_lo, s44
	s_cbranch_execz .LBB644_36
.LBB644_24:                             ;   Parent Loop BB644_4 Depth=1
                                        ; =>  This Inner Loop Header: Depth=2
	s_wait_dscnt 0x0
	s_delay_alu instid0(VALU_DEP_1) | instskip(NEXT) | instid1(VALU_DEP_1)
	v_ashrrev_i32_e32 v8, 31, v7
	v_lshlrev_b64_e32 v[20:21], 1, v[7:8]
	s_wait_alu 0xfffe
	s_delay_alu instid0(VALU_DEP_1) | instskip(SKIP_1) | instid1(VALU_DEP_2)
	v_add_co_u32 v20, vcc_lo, s40, v20
	s_wait_alu 0xfffd
	v_add_co_ci_u32_e64 v21, null, s41, v21, vcc_lo
	global_load_u16 v8, v[5:6], off
	global_load_u16 v20, v[20:21], off
	s_wait_loadcnt 0x1
	v_lshlrev_b32_e32 v8, 16, v8
	s_wait_loadcnt 0x0
	v_lshlrev_b32_e32 v20, 16, v20
	s_delay_alu instid0(VALU_DEP_1) | instskip(NEXT) | instid1(VALU_DEP_1)
	v_mul_f32_e32 v8, v8, v20
	v_and_b32_e32 v20, 0x7f800000, v8
	s_delay_alu instid0(VALU_DEP_1)
	v_cmp_ne_u32_e32 vcc_lo, 0x7f800000, v20
                                        ; implicit-def: $vgpr20
	s_and_saveexec_b32 s6, vcc_lo
	s_wait_alu 0xfffe
	s_xor_b32 s6, exec_lo, s6
; %bb.25:                               ;   in Loop: Header=BB644_24 Depth=2
	v_bfe_u32 v20, v8, 16, 1
	s_delay_alu instid0(VALU_DEP_1)
	v_add3_u32 v20, v8, v20, 0x7fff
                                        ; implicit-def: $vgpr8
; %bb.26:                               ;   in Loop: Header=BB644_24 Depth=2
	s_wait_alu 0xfffe
	s_and_not1_saveexec_b32 s6, s6
	s_cbranch_execz .LBB644_23
; %bb.27:                               ;   in Loop: Header=BB644_24 Depth=2
	v_and_b32_e32 v20, 0xffff, v8
	v_or_b32_e32 v21, 0x10000, v8
	s_delay_alu instid0(VALU_DEP_2) | instskip(SKIP_1) | instid1(VALU_DEP_2)
	v_cmp_eq_u32_e32 vcc_lo, 0, v20
	s_wait_alu 0xfffd
	v_cndmask_b32_e32 v20, v21, v8, vcc_lo
	s_branch .LBB644_23
.LBB644_28:                             ;   in Loop: Header=BB644_4 Depth=1
	ds_load_b32 v8, v12
	s_wait_alu 0xfffe
	s_or_b32 exec_lo, exec_lo, s6
	s_and_saveexec_b32 s6, s3
	s_cbranch_execz .LBB644_21
.LBB644_29:                             ;   in Loop: Header=BB644_4 Depth=1
	s_wait_dscnt 0x0
	ds_bpermute_b32 v5, v5, v8
	s_wait_dscnt 0x0
	v_add_f32_e32 v5, v8, v5
	ds_bpermute_b32 v6, v6, v5
	s_wait_dscnt 0x0
	v_add_f32_e32 v5, v5, v6
	;; [unrolled: 3-line block ×3, first 2 shown]
	s_wait_alu 0xfffe
	s_or_b32 exec_lo, exec_lo, s6
                                        ; implicit-def: $vgpr5
	s_and_saveexec_b32 s6, s0
	s_cbranch_execz .LBB644_33
.LBB644_30:                             ;   in Loop: Header=BB644_4 Depth=1
	s_wait_dscnt 0x0
	v_mul_f32_e32 v5, v17, v8
	s_cmp_eq_f32 s27, 0
	s_cbranch_scc1 .LBB644_32
; %bb.31:                               ;   in Loop: Header=BB644_4 Depth=1
	s_add_nc_u64 s[40:41], s[38:39], s[34:35]
	global_load_b32 v6, v9, s[40:41]
	s_wait_loadcnt 0x0
	v_fmac_f32_e32 v5, s27, v6
.LBB644_32:                             ;   in Loop: Header=BB644_4 Depth=1
	s_or_b32 s42, s42, exec_lo
.LBB644_33:                             ;   in Loop: Header=BB644_4 Depth=1
	s_wait_alu 0xfffe
	s_or_b32 exec_lo, exec_lo, s6
.LBB644_34:                             ;   in Loop: Header=BB644_4 Depth=1
	s_and_saveexec_b32 s6, s42
	s_cbranch_execz .LBB644_2
; %bb.35:                               ;   in Loop: Header=BB644_4 Depth=1
	s_wait_alu 0xfffe
	s_add_nc_u64 s[38:39], s[38:39], s[34:35]
	global_store_b32 v9, v5, s[38:39]
	s_branch .LBB644_2
.LBB644_36:                             ;   in Loop: Header=BB644_4 Depth=1
	s_or_b32 exec_lo, exec_lo, s44
	s_delay_alu instid0(SALU_CYCLE_1)
	s_or_b32 exec_lo, exec_lo, s43
	s_and_saveexec_b32 s6, s2
	s_cbranch_execz .LBB644_15
.LBB644_37:                             ;   in Loop: Header=BB644_4 Depth=1
	s_mul_u64 s[44:45], s[24:25], s[28:29]
	s_wait_alu 0xfffe
	s_lshl_b64 s[44:45], s[44:45], 1
	s_wait_alu 0xfffe
	v_add_co_u32 v5, vcc_lo, v10, s44
	s_wait_alu 0xfffd
	v_add_co_ci_u32_e64 v6, null, s45, v11, vcc_lo
	s_delay_alu instid0(VALU_DEP_2) | instskip(SKIP_1) | instid1(VALU_DEP_2)
	v_add_co_u32 v5, vcc_lo, v5, s36
	s_wait_alu 0xfffd
	v_add_co_ci_u32_e64 v6, null, s37, v6, vcc_lo
	v_add_co_u32 v7, vcc_lo, s40, v3
	s_wait_dscnt 0x0
	s_wait_alu 0xfffd
	v_add_co_ci_u32_e64 v8, null, s41, v4, vcc_lo
	global_load_u16 v5, v[5:6], off
	global_load_u16 v6, v[7:8], off
	s_wait_loadcnt 0x1
	v_lshlrev_b32_e32 v5, 16, v5
	s_wait_loadcnt 0x0
	v_lshlrev_b32_e32 v6, 16, v6
	s_delay_alu instid0(VALU_DEP_1) | instskip(NEXT) | instid1(VALU_DEP_1)
	v_mul_f32_e32 v5, v5, v6
	v_and_b32_e32 v6, 0x7f800000, v5
	s_delay_alu instid0(VALU_DEP_1)
	v_cmp_ne_u32_e32 vcc_lo, 0x7f800000, v6
                                        ; implicit-def: $vgpr6
	s_and_saveexec_b32 s40, vcc_lo
	s_wait_alu 0xfffe
	s_xor_b32 s40, exec_lo, s40
; %bb.38:                               ;   in Loop: Header=BB644_4 Depth=1
	v_bfe_u32 v6, v5, 16, 1
	s_delay_alu instid0(VALU_DEP_1)
	v_add3_u32 v6, v5, v6, 0x7fff
                                        ; implicit-def: $vgpr5
; %bb.39:                               ;   in Loop: Header=BB644_4 Depth=1
	s_wait_alu 0xfffe
	s_and_not1_saveexec_b32 s40, s40
; %bb.40:                               ;   in Loop: Header=BB644_4 Depth=1
	v_and_b32_e32 v6, 0xffff, v5
	v_or_b32_e32 v7, 0x10000, v5
	s_delay_alu instid0(VALU_DEP_2) | instskip(SKIP_1) | instid1(VALU_DEP_2)
	v_cmp_eq_u32_e32 vcc_lo, 0, v6
	s_wait_alu 0xfffd
	v_cndmask_b32_e32 v6, v7, v5, vcc_lo
; %bb.41:                               ;   in Loop: Header=BB644_4 Depth=1
	s_wait_alu 0xfffe
	s_or_b32 exec_lo, exec_lo, s40
	s_delay_alu instid0(VALU_DEP_1) | instskip(NEXT) | instid1(VALU_DEP_1)
	v_and_b32_e32 v5, 0xffff0000, v6
	v_add_f32_e32 v18, v18, v5
	s_or_b32 exec_lo, exec_lo, s6
	s_and_saveexec_b32 s6, s3
	s_cbranch_execnz .LBB644_16
	s_branch .LBB644_17
.LBB644_42:
	s_endpgm
	.section	.rodata,"a",@progbits
	.p2align	6, 0x0
	.amdhsa_kernel _ZL32rocblas_gemvt_warp_reduce_kernelILb0ELi256Ei16rocblas_bfloat16PKffEviiT3_lPKT2_lT1_lS6_lS7_lS3_lPT4_lS7_li
		.amdhsa_group_segment_fixed_size 128
		.amdhsa_private_segment_fixed_size 0
		.amdhsa_kernarg_size 140
		.amdhsa_user_sgpr_count 2
		.amdhsa_user_sgpr_dispatch_ptr 0
		.amdhsa_user_sgpr_queue_ptr 0
		.amdhsa_user_sgpr_kernarg_segment_ptr 1
		.amdhsa_user_sgpr_dispatch_id 0
		.amdhsa_user_sgpr_private_segment_size 0
		.amdhsa_wavefront_size32 1
		.amdhsa_uses_dynamic_stack 0
		.amdhsa_enable_private_segment 0
		.amdhsa_system_sgpr_workgroup_id_x 1
		.amdhsa_system_sgpr_workgroup_id_y 0
		.amdhsa_system_sgpr_workgroup_id_z 1
		.amdhsa_system_sgpr_workgroup_info 0
		.amdhsa_system_vgpr_workitem_id 0
		.amdhsa_next_free_vgpr 22
		.amdhsa_next_free_sgpr 46
		.amdhsa_reserve_vcc 1
		.amdhsa_float_round_mode_32 0
		.amdhsa_float_round_mode_16_64 0
		.amdhsa_float_denorm_mode_32 3
		.amdhsa_float_denorm_mode_16_64 3
		.amdhsa_fp16_overflow 0
		.amdhsa_workgroup_processor_mode 1
		.amdhsa_memory_ordered 1
		.amdhsa_forward_progress 1
		.amdhsa_inst_pref_size 15
		.amdhsa_round_robin_scheduling 0
		.amdhsa_exception_fp_ieee_invalid_op 0
		.amdhsa_exception_fp_denorm_src 0
		.amdhsa_exception_fp_ieee_div_zero 0
		.amdhsa_exception_fp_ieee_overflow 0
		.amdhsa_exception_fp_ieee_underflow 0
		.amdhsa_exception_fp_ieee_inexact 0
		.amdhsa_exception_int_div_zero 0
	.end_amdhsa_kernel
	.section	.text._ZL32rocblas_gemvt_warp_reduce_kernelILb0ELi256Ei16rocblas_bfloat16PKffEviiT3_lPKT2_lT1_lS6_lS7_lS3_lPT4_lS7_li,"axG",@progbits,_ZL32rocblas_gemvt_warp_reduce_kernelILb0ELi256Ei16rocblas_bfloat16PKffEviiT3_lPKT2_lT1_lS6_lS7_lS3_lPT4_lS7_li,comdat
.Lfunc_end644:
	.size	_ZL32rocblas_gemvt_warp_reduce_kernelILb0ELi256Ei16rocblas_bfloat16PKffEviiT3_lPKT2_lT1_lS6_lS7_lS3_lPT4_lS7_li, .Lfunc_end644-_ZL32rocblas_gemvt_warp_reduce_kernelILb0ELi256Ei16rocblas_bfloat16PKffEviiT3_lPKT2_lT1_lS6_lS7_lS3_lPT4_lS7_li
                                        ; -- End function
	.set _ZL32rocblas_gemvt_warp_reduce_kernelILb0ELi256Ei16rocblas_bfloat16PKffEviiT3_lPKT2_lT1_lS6_lS7_lS3_lPT4_lS7_li.num_vgpr, 22
	.set _ZL32rocblas_gemvt_warp_reduce_kernelILb0ELi256Ei16rocblas_bfloat16PKffEviiT3_lPKT2_lT1_lS6_lS7_lS3_lPT4_lS7_li.num_agpr, 0
	.set _ZL32rocblas_gemvt_warp_reduce_kernelILb0ELi256Ei16rocblas_bfloat16PKffEviiT3_lPKT2_lT1_lS6_lS7_lS3_lPT4_lS7_li.numbered_sgpr, 46
	.set _ZL32rocblas_gemvt_warp_reduce_kernelILb0ELi256Ei16rocblas_bfloat16PKffEviiT3_lPKT2_lT1_lS6_lS7_lS3_lPT4_lS7_li.num_named_barrier, 0
	.set _ZL32rocblas_gemvt_warp_reduce_kernelILb0ELi256Ei16rocblas_bfloat16PKffEviiT3_lPKT2_lT1_lS6_lS7_lS3_lPT4_lS7_li.private_seg_size, 0
	.set _ZL32rocblas_gemvt_warp_reduce_kernelILb0ELi256Ei16rocblas_bfloat16PKffEviiT3_lPKT2_lT1_lS6_lS7_lS3_lPT4_lS7_li.uses_vcc, 1
	.set _ZL32rocblas_gemvt_warp_reduce_kernelILb0ELi256Ei16rocblas_bfloat16PKffEviiT3_lPKT2_lT1_lS6_lS7_lS3_lPT4_lS7_li.uses_flat_scratch, 0
	.set _ZL32rocblas_gemvt_warp_reduce_kernelILb0ELi256Ei16rocblas_bfloat16PKffEviiT3_lPKT2_lT1_lS6_lS7_lS3_lPT4_lS7_li.has_dyn_sized_stack, 0
	.set _ZL32rocblas_gemvt_warp_reduce_kernelILb0ELi256Ei16rocblas_bfloat16PKffEviiT3_lPKT2_lT1_lS6_lS7_lS3_lPT4_lS7_li.has_recursion, 0
	.set _ZL32rocblas_gemvt_warp_reduce_kernelILb0ELi256Ei16rocblas_bfloat16PKffEviiT3_lPKT2_lT1_lS6_lS7_lS3_lPT4_lS7_li.has_indirect_call, 0
	.section	.AMDGPU.csdata,"",@progbits
; Kernel info:
; codeLenInByte = 1820
; TotalNumSgprs: 48
; NumVgprs: 22
; ScratchSize: 0
; MemoryBound: 0
; FloatMode: 240
; IeeeMode: 1
; LDSByteSize: 128 bytes/workgroup (compile time only)
; SGPRBlocks: 0
; VGPRBlocks: 2
; NumSGPRsForWavesPerEU: 48
; NumVGPRsForWavesPerEU: 22
; Occupancy: 16
; WaveLimiterHint : 0
; COMPUTE_PGM_RSRC2:SCRATCH_EN: 0
; COMPUTE_PGM_RSRC2:USER_SGPR: 2
; COMPUTE_PGM_RSRC2:TRAP_HANDLER: 0
; COMPUTE_PGM_RSRC2:TGID_X_EN: 1
; COMPUTE_PGM_RSRC2:TGID_Y_EN: 0
; COMPUTE_PGM_RSRC2:TGID_Z_EN: 1
; COMPUTE_PGM_RSRC2:TIDIG_COMP_CNT: 0
	.section	.text._ZL32rocblas_gemvt_warp_reduce_kernelILb0ELi256El16rocblas_bfloat16PKffEviiT3_lPKT2_lT1_lS6_lS7_lS3_lPT4_lS7_li,"axG",@progbits,_ZL32rocblas_gemvt_warp_reduce_kernelILb0ELi256El16rocblas_bfloat16PKffEviiT3_lPKT2_lT1_lS6_lS7_lS3_lPT4_lS7_li,comdat
	.globl	_ZL32rocblas_gemvt_warp_reduce_kernelILb0ELi256El16rocblas_bfloat16PKffEviiT3_lPKT2_lT1_lS6_lS7_lS3_lPT4_lS7_li ; -- Begin function _ZL32rocblas_gemvt_warp_reduce_kernelILb0ELi256El16rocblas_bfloat16PKffEviiT3_lPKT2_lT1_lS6_lS7_lS3_lPT4_lS7_li
	.p2align	8
	.type	_ZL32rocblas_gemvt_warp_reduce_kernelILb0ELi256El16rocblas_bfloat16PKffEviiT3_lPKT2_lT1_lS6_lS7_lS3_lPT4_lS7_li,@function
_ZL32rocblas_gemvt_warp_reduce_kernelILb0ELi256El16rocblas_bfloat16PKffEviiT3_lPKT2_lT1_lS6_lS7_lS3_lPT4_lS7_li: ; @_ZL32rocblas_gemvt_warp_reduce_kernelILb0ELi256El16rocblas_bfloat16PKffEviiT3_lPKT2_lT1_lS6_lS7_lS3_lPT4_lS7_li
; %bb.0:
	s_load_b32 s7, s[0:1], 0x88
	s_lshr_b32 s24, ttmp7, 16
	s_wait_kmcnt 0x0
	s_cmp_ge_u32 s24, s7
	s_cbranch_scc1 .LBB645_42
; %bb.1:
	s_clause 0x2
	s_load_b512 s[8:23], s[0:1], 0x8
	s_load_b512 s[36:51], s[0:1], 0x48
	s_load_b32 s6, s[0:1], 0x0
	s_mov_b32 s2, ttmp9
	s_ashr_i32 s3, ttmp9, 31
	v_mbcnt_lo_u32_b32 v16, -1, 0
	v_cmp_eq_u32_e64 s0, 0, v0
	s_mov_b32 s25, 0
	v_lshl_or_b32 v17, v16, 2, 64
	s_wait_kmcnt 0x0
	s_lshl_b64 s[4:5], s[22:23], 1
	s_lshl_b64 s[26:27], s[14:15], 1
	v_cmp_gt_i32_e32 vcc_lo, s6, v0
	s_ashr_i32 s1, s6, 31
	v_mad_co_u64_u32 v[1:2], null, s36, v0, 0
	s_lshr_b32 s1, s1, 24
	v_cndmask_b32_e32 v3, 0, v0, vcc_lo
	s_add_nc_u64 s[14:15], s[20:21], s[4:5]
	s_add_nc_u64 s[4:5], s[12:13], s[26:27]
	s_add_co_i32 s1, s6, s1
	s_lshl_b64 s[22:23], s[46:47], 2
	v_lshlrev_b32_e32 v7, 1, v3
	s_and_b32 s20, s1, 0xffffff00
	s_mul_u64 s[28:29], s[48:49], s[2:3]
	s_mul_u64 s[2:3], s[16:17], s[2:3]
	v_or_b32_e32 v4, s20, v0
	v_add_co_u32 v3, s1, s4, v7
	s_delay_alu instid0(VALU_DEP_1)
	v_add_co_ci_u32_e64 v5, null, s5, 0, s1
	s_add_nc_u64 s[16:17], s[44:45], s[22:23]
	s_lshl_b64 s[22:23], s[2:3], 1
	v_mul_lo_u32 v8, s37, v4
	v_add_co_u32 v12, vcc_lo, v3, s22
	v_mad_co_u64_u32 v[2:3], null, s37, v0, v[2:3]
	s_wait_alu 0xfffd
	v_add_co_ci_u32_e64 v13, null, s23, v5, vcc_lo
	v_mad_co_u64_u32 v[5:6], null, s36, v4, 0
	v_and_b32_e32 v3, 31, v0
	v_cmp_gt_i32_e64 s2, s6, v4
	v_lshrrev_b32_e32 v4, 3, v0
	s_ashr_i32 s21, s20, 31
	v_dual_mov_b32 v11, 0 :: v_dual_lshlrev_b32 v14, 2, v3
	s_wait_alu 0xfffe
	s_mul_i32 s3, s36, s21
	v_cmp_eq_u32_e64 s4, 0, v3
	v_and_b32_e32 v15, 28, v4
	v_lshlrev_b64_e32 v[3:4], 1, v[1:2]
	v_add3_u32 v6, v6, s3, v8
	s_add_nc_u64 s[22:23], s[22:23], s[26:27]
	v_cmp_gt_i32_e64 s1, s20, v0
	s_wait_alu 0xfffe
	s_add_nc_u64 s[12:13], s[12:13], s[22:23]
	v_cmp_gt_u32_e64 s3, 32, v0
	v_add_co_u32 v1, s6, s12, v7
	v_add_co_u32 v3, vcc_lo, s14, v3
	v_lshlrev_b64_e32 v[5:6], 1, v[5:6]
	v_cmp_gt_u32_e64 s5, 8, v0
	s_wait_alu 0xf1ff
	v_add_co_ci_u32_e64 v2, null, s13, 0, s6
	s_wait_alu 0xfffd
	v_add_co_ci_u32_e64 v4, null, s15, v4, vcc_lo
	s_lshl_b64 s[12:13], s[18:19], 1
	s_lshl_b64 s[22:23], s[38:39], 1
	;; [unrolled: 1-line block ×5, first 2 shown]
	s_branch .LBB645_4
.LBB645_2:                              ;   in Loop: Header=BB645_4 Depth=1
	s_wait_alu 0xfffe
	s_or_b32 exec_lo, exec_lo, s6
.LBB645_3:                              ;   in Loop: Header=BB645_4 Depth=1
	s_add_co_i32 s24, s24, 0x10000
	s_wait_alu 0xfffe
	s_cmp_lt_u32 s24, s7
	s_cbranch_scc0 .LBB645_42
.LBB645_4:                              ; =>This Loop Header: Depth=1
                                        ;     Child Loop BB645_24 Depth 2
	s_mul_u64 s[34:35], s[10:11], s[24:25]
	s_mul_u64 s[36:37], s[42:43], s[24:25]
	s_lshl_b64 s[34:35], s[34:35], 2
	s_wait_alu 0xfffe
	s_lshl_b64 s[36:37], s[36:37], 2
	s_add_nc_u64 s[34:35], s[8:9], s[34:35]
	s_wait_alu 0xfffe
	s_add_nc_u64 s[36:37], s[40:41], s[36:37]
	s_clause 0x1
	global_load_b32 v18, v11, s[34:35]
	global_load_b32 v7, v11, s[36:37]
	s_wait_loadcnt 0x1
	v_cmp_eq_f32_e32 vcc_lo, 0, v18
	s_wait_loadcnt 0x0
	v_cmp_eq_f32_e64 s6, 1.0, v7
	v_readfirstlane_b32 s21, v7
	s_and_b32 s6, vcc_lo, s6
	s_wait_alu 0xfffe
	s_and_b32 vcc_lo, exec_lo, s6
	s_wait_alu 0xfffe
	s_cbranch_vccnz .LBB645_3
; %bb.5:                                ;   in Loop: Header=BB645_4 Depth=1
	v_cmp_neq_f32_e32 vcc_lo, 0, v18
	s_mul_u64 s[34:35], s[50:51], s[24:25]
	s_delay_alu instid0(SALU_CYCLE_1) | instskip(NEXT) | instid1(SALU_CYCLE_1)
	s_lshl_b64 s[34:35], s[34:35], 2
	s_add_nc_u64 s[34:35], s[16:17], s[34:35]
	s_cbranch_vccnz .LBB645_9
; %bb.6:                                ;   in Loop: Header=BB645_4 Depth=1
	s_mov_b32 s6, 0
	s_mov_b32 s33, 0
                                        ; implicit-def: $vgpr7
	s_and_saveexec_b32 s36, s0
	s_cbranch_execz .LBB645_10
; %bb.7:                                ;   in Loop: Header=BB645_4 Depth=1
	s_cmp_eq_f32 s21, 0
	s_cbranch_scc1 .LBB645_11
; %bb.8:                                ;   in Loop: Header=BB645_4 Depth=1
	s_add_nc_u64 s[44:45], s[34:35], s[28:29]
	global_load_b32 v7, v11, s[44:45]
	s_wait_loadcnt 0x0
	v_mul_f32_e32 v7, s21, v7
	s_branch .LBB645_12
.LBB645_9:                              ;   in Loop: Header=BB645_4 Depth=1
	s_mov_b32 s33, 0
                                        ; implicit-def: $vgpr7
	s_cbranch_execnz .LBB645_13
	s_branch .LBB645_34
.LBB645_10:                             ;   in Loop: Header=BB645_4 Depth=1
	s_wait_alu 0xfffe
	s_or_b32 exec_lo, exec_lo, s36
	s_delay_alu instid0(SALU_CYCLE_1)
	s_and_b32 vcc_lo, exec_lo, s6
	s_wait_alu 0xfffe
	s_cbranch_vccnz .LBB645_13
	s_branch .LBB645_34
.LBB645_11:                             ;   in Loop: Header=BB645_4 Depth=1
	v_mov_b32_e32 v7, 0
.LBB645_12:                             ;   in Loop: Header=BB645_4 Depth=1
	s_mov_b32 s33, exec_lo
	s_wait_alu 0xfffe
	s_or_b32 exec_lo, exec_lo, s36
	s_delay_alu instid0(SALU_CYCLE_1)
	s_and_b32 vcc_lo, exec_lo, s6
	s_wait_alu 0xfffe
	s_cbranch_vccz .LBB645_34
.LBB645_13:                             ;   in Loop: Header=BB645_4 Depth=1
	v_mov_b32_e32 v19, 0
	s_and_saveexec_b32 s36, s1
	s_cbranch_execnz .LBB645_22
; %bb.14:                               ;   in Loop: Header=BB645_4 Depth=1
	s_wait_alu 0xfffe
	s_or_b32 exec_lo, exec_lo, s36
	s_and_saveexec_b32 s6, s2
	s_cbranch_execnz .LBB645_37
.LBB645_15:                             ;   in Loop: Header=BB645_4 Depth=1
	s_wait_alu 0xfffe
	s_or_b32 exec_lo, exec_lo, s6
	s_and_saveexec_b32 s6, s3
.LBB645_16:                             ;   in Loop: Header=BB645_4 Depth=1
	ds_store_b32 v14, v11
.LBB645_17:                             ;   in Loop: Header=BB645_4 Depth=1
	s_wait_alu 0xfffe
	s_or_b32 exec_lo, exec_lo, s6
	ds_bpermute_b32 v7, v17, v19
	v_cmp_gt_u32_e32 vcc_lo, 24, v16
	s_wait_dscnt 0x0
	s_barrier_signal -1
	s_barrier_wait -1
	global_inv scope:SCOPE_SE
	s_wait_alu 0xfffd
	v_cndmask_b32_e64 v8, 0, 8, vcc_lo
	v_cmp_gt_u32_e32 vcc_lo, 28, v16
	s_delay_alu instid0(VALU_DEP_2)
	v_add_lshl_u32 v8, v8, v16, 2
	v_add_f32_e32 v9, v19, v7
	s_wait_alu 0xfffd
	v_cndmask_b32_e64 v7, 0, 4, vcc_lo
	v_cmp_gt_u32_e32 vcc_lo, 30, v16
	ds_bpermute_b32 v8, v8, v9
	v_add_lshl_u32 v7, v7, v16, 2
	s_wait_dscnt 0x0
	v_add_f32_e32 v9, v9, v8
	s_wait_alu 0xfffd
	v_cndmask_b32_e64 v8, 0, 2, vcc_lo
	v_cmp_ne_u32_e32 vcc_lo, 31, v16
	ds_bpermute_b32 v10, v7, v9
	v_add_lshl_u32 v8, v8, v16, 2
	s_wait_alu 0xfffd
	v_add_co_ci_u32_e64 v19, null, 0, v16, vcc_lo
	s_wait_dscnt 0x0
	v_add_f32_e32 v9, v9, v10
	ds_bpermute_b32 v10, v8, v9
	s_wait_dscnt 0x0
	v_dual_add_f32 v10, v9, v10 :: v_dual_lshlrev_b32 v9, 2, v19
	ds_bpermute_b32 v19, v9, v10
	s_and_saveexec_b32 s6, s4
	s_cbranch_execz .LBB645_19
; %bb.18:                               ;   in Loop: Header=BB645_4 Depth=1
	s_wait_dscnt 0x0
	v_add_f32_e32 v10, v10, v19
	ds_store_b32 v15, v10
.LBB645_19:                             ;   in Loop: Header=BB645_4 Depth=1
	s_wait_alu 0xfffe
	s_or_b32 exec_lo, exec_lo, s6
	v_mov_b32_e32 v10, 0
	s_wait_loadcnt_dscnt 0x0
	s_barrier_signal -1
	s_barrier_wait -1
	global_inv scope:SCOPE_SE
	s_and_saveexec_b32 s6, s5
	s_cbranch_execnz .LBB645_28
; %bb.20:                               ;   in Loop: Header=BB645_4 Depth=1
	s_wait_alu 0xfffe
	s_or_b32 exec_lo, exec_lo, s6
	s_and_saveexec_b32 s6, s3
	s_cbranch_execnz .LBB645_29
.LBB645_21:                             ;   in Loop: Header=BB645_4 Depth=1
	s_wait_alu 0xfffe
	s_or_b32 exec_lo, exec_lo, s6
                                        ; implicit-def: $vgpr7
	s_and_saveexec_b32 s6, s0
	s_cbranch_execnz .LBB645_30
	s_branch .LBB645_33
.LBB645_22:                             ;   in Loop: Header=BB645_4 Depth=1
	v_mad_co_u64_u32 v[7:8], null, s12, s24, v[1:2]
	s_wait_dscnt 0x0
	v_mad_co_u64_u32 v[9:10], null, s22, s24, v[3:4]
	s_mov_b32 s37, 0
	v_mad_co_u64_u32 v[20:21], null, s13, s24, v[8:9]
	v_mad_co_u64_u32 v[21:22], null, s23, s24, v[10:11]
	s_delay_alu instid0(VALU_DEP_2) | instskip(SKIP_1) | instid1(VALU_DEP_3)
	v_dual_mov_b32 v19, 0 :: v_dual_mov_b32 v8, v20
	v_mov_b32_e32 v20, v0
	v_mov_b32_e32 v10, v21
	s_branch .LBB645_24
.LBB645_23:                             ;   in Loop: Header=BB645_24 Depth=2
	s_wait_alu 0xfffe
	s_or_b32 exec_lo, exec_lo, s6
	s_delay_alu instid0(VALU_DEP_1)
	v_and_b32_e32 v21, 0xffff0000, v22
	v_add_nc_u32_e32 v20, 0x100, v20
	v_add_co_u32 v7, vcc_lo, 0x200, v7
	s_wait_alu 0xfffd
	v_add_co_ci_u32_e64 v8, null, 0, v8, vcc_lo
	v_add_f32_e32 v19, v19, v21
	v_cmp_le_i32_e32 vcc_lo, s20, v20
	v_add_co_u32 v9, s6, v9, s26
	s_wait_alu 0xf1ff
	v_add_co_ci_u32_e64 v10, null, s27, v10, s6
	s_or_b32 s37, vcc_lo, s37
	s_wait_alu 0xfffe
	s_and_not1_b32 exec_lo, exec_lo, s37
	s_cbranch_execz .LBB645_36
.LBB645_24:                             ;   Parent Loop BB645_4 Depth=1
                                        ; =>  This Inner Loop Header: Depth=2
	global_load_u16 v21, v[9:10], off
	global_load_u16 v22, v[7:8], off
	s_wait_loadcnt 0x1
	v_lshlrev_b32_e32 v21, 16, v21
	s_wait_loadcnt 0x0
	v_lshlrev_b32_e32 v22, 16, v22
	s_delay_alu instid0(VALU_DEP_1) | instskip(NEXT) | instid1(VALU_DEP_1)
	v_mul_f32_e32 v21, v22, v21
	v_and_b32_e32 v22, 0x7f800000, v21
	s_delay_alu instid0(VALU_DEP_1)
	v_cmp_ne_u32_e32 vcc_lo, 0x7f800000, v22
                                        ; implicit-def: $vgpr22
	s_and_saveexec_b32 s6, vcc_lo
	s_wait_alu 0xfffe
	s_xor_b32 s6, exec_lo, s6
; %bb.25:                               ;   in Loop: Header=BB645_24 Depth=2
	v_bfe_u32 v22, v21, 16, 1
	s_delay_alu instid0(VALU_DEP_1)
	v_add3_u32 v22, v21, v22, 0x7fff
                                        ; implicit-def: $vgpr21
; %bb.26:                               ;   in Loop: Header=BB645_24 Depth=2
	s_wait_alu 0xfffe
	s_and_not1_saveexec_b32 s6, s6
	s_cbranch_execz .LBB645_23
; %bb.27:                               ;   in Loop: Header=BB645_24 Depth=2
	v_and_b32_e32 v22, 0xffff, v21
	v_or_b32_e32 v23, 0x10000, v21
	s_delay_alu instid0(VALU_DEP_2) | instskip(SKIP_1) | instid1(VALU_DEP_2)
	v_cmp_eq_u32_e32 vcc_lo, 0, v22
	s_wait_alu 0xfffd
	v_cndmask_b32_e32 v22, v23, v21, vcc_lo
	s_branch .LBB645_23
.LBB645_28:                             ;   in Loop: Header=BB645_4 Depth=1
	ds_load_b32 v10, v14
	s_wait_alu 0xfffe
	s_or_b32 exec_lo, exec_lo, s6
	s_and_saveexec_b32 s6, s3
	s_cbranch_execz .LBB645_21
.LBB645_29:                             ;   in Loop: Header=BB645_4 Depth=1
	s_wait_dscnt 0x0
	ds_bpermute_b32 v7, v7, v10
	s_wait_dscnt 0x0
	v_add_f32_e32 v7, v10, v7
	ds_bpermute_b32 v8, v8, v7
	s_wait_dscnt 0x0
	v_add_f32_e32 v7, v7, v8
	;; [unrolled: 3-line block ×3, first 2 shown]
	s_wait_alu 0xfffe
	s_or_b32 exec_lo, exec_lo, s6
                                        ; implicit-def: $vgpr7
	s_and_saveexec_b32 s6, s0
	s_cbranch_execz .LBB645_33
.LBB645_30:                             ;   in Loop: Header=BB645_4 Depth=1
	s_wait_dscnt 0x0
	v_mul_f32_e32 v7, v18, v10
	s_cmp_eq_f32 s21, 0
	s_cbranch_scc1 .LBB645_32
; %bb.31:                               ;   in Loop: Header=BB645_4 Depth=1
	s_add_nc_u64 s[36:37], s[34:35], s[28:29]
	global_load_b32 v8, v11, s[36:37]
	s_wait_loadcnt 0x0
	v_fmac_f32_e32 v7, s21, v8
.LBB645_32:                             ;   in Loop: Header=BB645_4 Depth=1
	s_or_b32 s33, s33, exec_lo
.LBB645_33:                             ;   in Loop: Header=BB645_4 Depth=1
	s_wait_alu 0xfffe
	s_or_b32 exec_lo, exec_lo, s6
.LBB645_34:                             ;   in Loop: Header=BB645_4 Depth=1
	s_and_saveexec_b32 s6, s33
	s_cbranch_execz .LBB645_2
; %bb.35:                               ;   in Loop: Header=BB645_4 Depth=1
	s_add_nc_u64 s[34:35], s[34:35], s[28:29]
	global_store_b32 v11, v7, s[34:35]
	s_branch .LBB645_2
.LBB645_36:                             ;   in Loop: Header=BB645_4 Depth=1
	s_or_b32 exec_lo, exec_lo, s37
	s_delay_alu instid0(SALU_CYCLE_1)
	s_or_b32 exec_lo, exec_lo, s36
	s_and_saveexec_b32 s6, s2
	s_cbranch_execz .LBB645_15
.LBB645_37:                             ;   in Loop: Header=BB645_4 Depth=1
	s_mul_u64 s[36:37], s[18:19], s[24:25]
	s_mul_u64 s[44:45], s[38:39], s[24:25]
	s_wait_alu 0xfffe
	s_lshl_b64 s[36:37], s[36:37], 1
	s_lshl_b64 s[44:45], s[44:45], 1
	s_wait_alu 0xfffe
	v_add_co_u32 v9, vcc_lo, v12, s36
	s_wait_dscnt 0x0
	s_wait_alu 0xfffd
	v_add_co_ci_u32_e64 v10, null, s37, v13, vcc_lo
	s_add_nc_u64 s[36:37], s[14:15], s[44:45]
	s_wait_alu 0xfffe
	v_add_co_u32 v7, vcc_lo, s36, v5
	s_wait_alu 0xfffd
	v_add_co_ci_u32_e64 v8, null, s37, v6, vcc_lo
	v_add_co_u32 v9, vcc_lo, v9, s30
	s_wait_alu 0xfffd
	v_add_co_ci_u32_e64 v10, null, s31, v10, vcc_lo
	global_load_u16 v7, v[7:8], off
	global_load_u16 v8, v[9:10], off
	s_wait_loadcnt 0x1
	v_lshlrev_b32_e32 v7, 16, v7
	s_wait_loadcnt 0x0
	v_lshlrev_b32_e32 v8, 16, v8
	s_delay_alu instid0(VALU_DEP_1) | instskip(NEXT) | instid1(VALU_DEP_1)
	v_mul_f32_e32 v7, v8, v7
	v_and_b32_e32 v8, 0x7f800000, v7
	s_delay_alu instid0(VALU_DEP_1)
	v_cmp_ne_u32_e32 vcc_lo, 0x7f800000, v8
                                        ; implicit-def: $vgpr8
	s_and_saveexec_b32 s36, vcc_lo
	s_wait_alu 0xfffe
	s_xor_b32 s36, exec_lo, s36
; %bb.38:                               ;   in Loop: Header=BB645_4 Depth=1
	v_bfe_u32 v8, v7, 16, 1
	s_delay_alu instid0(VALU_DEP_1)
	v_add3_u32 v8, v7, v8, 0x7fff
                                        ; implicit-def: $vgpr7
; %bb.39:                               ;   in Loop: Header=BB645_4 Depth=1
	s_wait_alu 0xfffe
	s_and_not1_saveexec_b32 s36, s36
; %bb.40:                               ;   in Loop: Header=BB645_4 Depth=1
	v_and_b32_e32 v8, 0xffff, v7
	v_or_b32_e32 v9, 0x10000, v7
	s_delay_alu instid0(VALU_DEP_2) | instskip(SKIP_1) | instid1(VALU_DEP_2)
	v_cmp_eq_u32_e32 vcc_lo, 0, v8
	s_wait_alu 0xfffd
	v_cndmask_b32_e32 v8, v9, v7, vcc_lo
; %bb.41:                               ;   in Loop: Header=BB645_4 Depth=1
	s_wait_alu 0xfffe
	s_or_b32 exec_lo, exec_lo, s36
	s_delay_alu instid0(VALU_DEP_1) | instskip(NEXT) | instid1(VALU_DEP_1)
	v_and_b32_e32 v7, 0xffff0000, v8
	v_add_f32_e32 v19, v19, v7
	s_or_b32 exec_lo, exec_lo, s6
	s_and_saveexec_b32 s6, s3
	s_cbranch_execnz .LBB645_16
	s_branch .LBB645_17
.LBB645_42:
	s_endpgm
	.section	.rodata,"a",@progbits
	.p2align	6, 0x0
	.amdhsa_kernel _ZL32rocblas_gemvt_warp_reduce_kernelILb0ELi256El16rocblas_bfloat16PKffEviiT3_lPKT2_lT1_lS6_lS7_lS3_lPT4_lS7_li
		.amdhsa_group_segment_fixed_size 128
		.amdhsa_private_segment_fixed_size 0
		.amdhsa_kernarg_size 140
		.amdhsa_user_sgpr_count 2
		.amdhsa_user_sgpr_dispatch_ptr 0
		.amdhsa_user_sgpr_queue_ptr 0
		.amdhsa_user_sgpr_kernarg_segment_ptr 1
		.amdhsa_user_sgpr_dispatch_id 0
		.amdhsa_user_sgpr_private_segment_size 0
		.amdhsa_wavefront_size32 1
		.amdhsa_uses_dynamic_stack 0
		.amdhsa_enable_private_segment 0
		.amdhsa_system_sgpr_workgroup_id_x 1
		.amdhsa_system_sgpr_workgroup_id_y 0
		.amdhsa_system_sgpr_workgroup_id_z 1
		.amdhsa_system_sgpr_workgroup_info 0
		.amdhsa_system_vgpr_workitem_id 0
		.amdhsa_next_free_vgpr 24
		.amdhsa_next_free_sgpr 52
		.amdhsa_reserve_vcc 1
		.amdhsa_float_round_mode_32 0
		.amdhsa_float_round_mode_16_64 0
		.amdhsa_float_denorm_mode_32 3
		.amdhsa_float_denorm_mode_16_64 3
		.amdhsa_fp16_overflow 0
		.amdhsa_workgroup_processor_mode 1
		.amdhsa_memory_ordered 1
		.amdhsa_forward_progress 1
		.amdhsa_inst_pref_size 15
		.amdhsa_round_robin_scheduling 0
		.amdhsa_exception_fp_ieee_invalid_op 0
		.amdhsa_exception_fp_denorm_src 0
		.amdhsa_exception_fp_ieee_div_zero 0
		.amdhsa_exception_fp_ieee_overflow 0
		.amdhsa_exception_fp_ieee_underflow 0
		.amdhsa_exception_fp_ieee_inexact 0
		.amdhsa_exception_int_div_zero 0
	.end_amdhsa_kernel
	.section	.text._ZL32rocblas_gemvt_warp_reduce_kernelILb0ELi256El16rocblas_bfloat16PKffEviiT3_lPKT2_lT1_lS6_lS7_lS3_lPT4_lS7_li,"axG",@progbits,_ZL32rocblas_gemvt_warp_reduce_kernelILb0ELi256El16rocblas_bfloat16PKffEviiT3_lPKT2_lT1_lS6_lS7_lS3_lPT4_lS7_li,comdat
.Lfunc_end645:
	.size	_ZL32rocblas_gemvt_warp_reduce_kernelILb0ELi256El16rocblas_bfloat16PKffEviiT3_lPKT2_lT1_lS6_lS7_lS3_lPT4_lS7_li, .Lfunc_end645-_ZL32rocblas_gemvt_warp_reduce_kernelILb0ELi256El16rocblas_bfloat16PKffEviiT3_lPKT2_lT1_lS6_lS7_lS3_lPT4_lS7_li
                                        ; -- End function
	.set _ZL32rocblas_gemvt_warp_reduce_kernelILb0ELi256El16rocblas_bfloat16PKffEviiT3_lPKT2_lT1_lS6_lS7_lS3_lPT4_lS7_li.num_vgpr, 24
	.set _ZL32rocblas_gemvt_warp_reduce_kernelILb0ELi256El16rocblas_bfloat16PKffEviiT3_lPKT2_lT1_lS6_lS7_lS3_lPT4_lS7_li.num_agpr, 0
	.set _ZL32rocblas_gemvt_warp_reduce_kernelILb0ELi256El16rocblas_bfloat16PKffEviiT3_lPKT2_lT1_lS6_lS7_lS3_lPT4_lS7_li.numbered_sgpr, 52
	.set _ZL32rocblas_gemvt_warp_reduce_kernelILb0ELi256El16rocblas_bfloat16PKffEviiT3_lPKT2_lT1_lS6_lS7_lS3_lPT4_lS7_li.num_named_barrier, 0
	.set _ZL32rocblas_gemvt_warp_reduce_kernelILb0ELi256El16rocblas_bfloat16PKffEviiT3_lPKT2_lT1_lS6_lS7_lS3_lPT4_lS7_li.private_seg_size, 0
	.set _ZL32rocblas_gemvt_warp_reduce_kernelILb0ELi256El16rocblas_bfloat16PKffEviiT3_lPKT2_lT1_lS6_lS7_lS3_lPT4_lS7_li.uses_vcc, 1
	.set _ZL32rocblas_gemvt_warp_reduce_kernelILb0ELi256El16rocblas_bfloat16PKffEviiT3_lPKT2_lT1_lS6_lS7_lS3_lPT4_lS7_li.uses_flat_scratch, 0
	.set _ZL32rocblas_gemvt_warp_reduce_kernelILb0ELi256El16rocblas_bfloat16PKffEviiT3_lPKT2_lT1_lS6_lS7_lS3_lPT4_lS7_li.has_dyn_sized_stack, 0
	.set _ZL32rocblas_gemvt_warp_reduce_kernelILb0ELi256El16rocblas_bfloat16PKffEviiT3_lPKT2_lT1_lS6_lS7_lS3_lPT4_lS7_li.has_recursion, 0
	.set _ZL32rocblas_gemvt_warp_reduce_kernelILb0ELi256El16rocblas_bfloat16PKffEviiT3_lPKT2_lT1_lS6_lS7_lS3_lPT4_lS7_li.has_indirect_call, 0
	.section	.AMDGPU.csdata,"",@progbits
; Kernel info:
; codeLenInByte = 1816
; TotalNumSgprs: 54
; NumVgprs: 24
; ScratchSize: 0
; MemoryBound: 0
; FloatMode: 240
; IeeeMode: 1
; LDSByteSize: 128 bytes/workgroup (compile time only)
; SGPRBlocks: 0
; VGPRBlocks: 2
; NumSGPRsForWavesPerEU: 54
; NumVGPRsForWavesPerEU: 24
; Occupancy: 16
; WaveLimiterHint : 0
; COMPUTE_PGM_RSRC2:SCRATCH_EN: 0
; COMPUTE_PGM_RSRC2:USER_SGPR: 2
; COMPUTE_PGM_RSRC2:TRAP_HANDLER: 0
; COMPUTE_PGM_RSRC2:TGID_X_EN: 1
; COMPUTE_PGM_RSRC2:TGID_Y_EN: 0
; COMPUTE_PGM_RSRC2:TGID_Z_EN: 1
; COMPUTE_PGM_RSRC2:TIDIG_COMP_CNT: 0
	.section	.text._ZL32rocblas_gemvt_warp_reduce_kernelILb0ELi256Ei16rocblas_bfloat16ffEviiT3_lPKT2_lT1_lS4_lS5_lS1_lPT4_lS5_li,"axG",@progbits,_ZL32rocblas_gemvt_warp_reduce_kernelILb0ELi256Ei16rocblas_bfloat16ffEviiT3_lPKT2_lT1_lS4_lS5_lS1_lPT4_lS5_li,comdat
	.globl	_ZL32rocblas_gemvt_warp_reduce_kernelILb0ELi256Ei16rocblas_bfloat16ffEviiT3_lPKT2_lT1_lS4_lS5_lS1_lPT4_lS5_li ; -- Begin function _ZL32rocblas_gemvt_warp_reduce_kernelILb0ELi256Ei16rocblas_bfloat16ffEviiT3_lPKT2_lT1_lS4_lS5_lS1_lPT4_lS5_li
	.p2align	8
	.type	_ZL32rocblas_gemvt_warp_reduce_kernelILb0ELi256Ei16rocblas_bfloat16ffEviiT3_lPKT2_lT1_lS4_lS5_lS1_lPT4_lS5_li,@function
_ZL32rocblas_gemvt_warp_reduce_kernelILb0ELi256Ei16rocblas_bfloat16ffEviiT3_lPKT2_lT1_lS4_lS5_lS1_lPT4_lS5_li: ; @_ZL32rocblas_gemvt_warp_reduce_kernelILb0ELi256Ei16rocblas_bfloat16ffEviiT3_lPKT2_lT1_lS4_lS5_lS1_lPT4_lS5_li
; %bb.0:
	s_load_b32 s19, s[0:1], 0x88
	s_lshr_b32 s24, ttmp7, 16
	s_wait_kmcnt 0x0
	s_cmp_ge_u32 s24, s19
	s_cbranch_scc1 .LBB646_42
; %bb.1:
	s_clause 0x9
	s_load_b96 s[20:22], s[0:1], 0x40
	s_load_b128 s[4:7], s[0:1], 0x68
	s_load_b128 s[12:15], s[0:1], 0x18
	s_load_b32 s33, s[0:1], 0x8
	s_load_b96 s[16:18], s[0:1], 0x50
	s_load_b128 s[8:11], s[0:1], 0x30
	s_load_b32 s23, s[0:1], 0x0
	s_load_b32 s35, s[0:1], 0x28
	;; [unrolled: 1-line block ×3, first 2 shown]
	s_load_b64 s[26:27], s[0:1], 0x80
	v_and_b32_e32 v1, 31, v0
	v_lshrrev_b32_e32 v2, 3, v0
	v_mov_b32_e32 v9, 0
	v_mbcnt_lo_u32_b32 v15, -1, 0
	v_cmp_eq_u32_e64 s0, 0, v0
	v_lshlrev_b32_e32 v10, 2, v1
	v_cmp_eq_u32_e64 s3, 0, v1
	v_and_b32_e32 v11, 28, v2
	v_cmp_gt_u32_e64 s1, 32, v0
	v_cmp_gt_u32_e64 s2, 8, v0
	s_wait_kmcnt 0x0
	s_lshl_b64 s[20:21], s[20:21], 1
	s_lshl_b64 s[28:29], s[6:7], 2
	;; [unrolled: 1-line block ×3, first 2 shown]
	s_cmp_eq_f32 s33, 0
	v_mul_lo_u32 v14, v0, s22
	s_add_nc_u64 s[10:11], s[10:11], s[20:21]
	v_cmp_gt_i32_e32 vcc_lo, s23, v0
	s_cselect_b32 s7, -1, 0
	s_cmp_neq_f32 s33, 0
	s_mul_i32 s38, s35, ttmp9
	s_mul_i32 s34, s34, ttmp9
	v_cndmask_b32_e32 v1, 0, v0, vcc_lo
	s_cselect_b32 s6, -1, 0
	s_cmp_neq_f32 s18, 1.0
	v_lshl_or_b32 v16, v15, 2, 64
	s_mov_b32 s25, 0
	v_lshlrev_b32_e32 v1, 1, v1
	s_cselect_b32 s14, -1, 0
	s_delay_alu instid0(SALU_CYCLE_1)
	s_or_b32 s36, s6, s14
	s_cmp_neq_f32 s18, 0
	s_add_nc_u64 s[14:15], s[4:5], s[28:29]
	s_cselect_b32 s37, -1, 0
	s_ashr_i32 s6, s23, 31
	s_ashr_i32 s39, s38, 31
	s_lshr_b32 s6, s6, 24
	s_ashr_i32 s35, s34, 31
	s_add_co_i32 s4, s23, s6
	s_delay_alu instid0(SALU_CYCLE_1)
	s_and_b32 s20, s4, 0xffffff00
	s_add_nc_u64 s[4:5], s[12:13], s[30:31]
	v_or_b32_e32 v2, s20, v0
	v_add_co_u32 v4, s4, s4, v1
	s_wait_alu 0xf1ff
	v_add_co_ci_u32_e64 v5, null, s5, 0, s4
	s_delay_alu instid0(VALU_DEP_3)
	v_mul_lo_u32 v3, s22, v2
	s_lshl_b64 s[4:5], s[38:39], 1
	s_ashr_i32 s21, s20, 31
	s_wait_alu 0xfffe
	v_add_co_u32 v12, vcc_lo, v4, s4
	s_add_nc_u64 s[28:29], s[30:31], s[4:5]
	s_wait_alu 0xfffd
	v_add_co_ci_u32_e64 v13, null, s5, v5, vcc_lo
	v_ashrrev_i32_e32 v4, 31, v3
	s_add_nc_u64 s[12:13], s[12:13], s[28:29]
	v_cmp_gt_i32_e64 s4, s20, v0
	v_add_co_u32 v1, s6, s12, v1
	s_delay_alu instid0(VALU_DEP_3)
	v_lshlrev_b64_e32 v[3:4], 1, v[3:4]
	v_cmp_gt_i32_e64 s5, s23, v2
	v_add_co_ci_u32_e64 v2, null, s13, 0, s6
	s_lshl_b64 s[12:13], s[8:9], 1
	s_lshl_b32 s38, s22, 8
	s_lshl_b64 s[22:23], s[34:35], 2
	s_lshl_b64 s[28:29], s[20:21], 1
	s_branch .LBB646_4
.LBB646_2:                              ;   in Loop: Header=BB646_4 Depth=1
	s_wait_alu 0xfffe
	s_or_b32 exec_lo, exec_lo, s6
.LBB646_3:                              ;   in Loop: Header=BB646_4 Depth=1
	s_add_co_i32 s24, s24, 0x10000
	s_wait_alu 0xfffe
	s_cmp_lt_u32 s24, s19
	s_cbranch_scc0 .LBB646_42
.LBB646_4:                              ; =>This Loop Header: Depth=1
                                        ;     Child Loop BB646_24 Depth 2
	s_and_not1_b32 vcc_lo, exec_lo, s36
	s_wait_alu 0xfffe
	s_cbranch_vccnz .LBB646_3
; %bb.5:                                ;   in Loop: Header=BB646_4 Depth=1
	s_mul_u64 s[30:31], s[26:27], s[24:25]
	s_and_not1_b32 vcc_lo, exec_lo, s7
	s_lshl_b64 s[30:31], s[30:31], 2
	s_delay_alu instid0(SALU_CYCLE_1)
	s_add_nc_u64 s[30:31], s[14:15], s[30:31]
	s_wait_alu 0xfffe
	s_cbranch_vccnz .LBB646_9
; %bb.6:                                ;   in Loop: Header=BB646_4 Depth=1
	s_mov_b32 s6, 0
	s_mov_b32 s21, 0
                                        ; implicit-def: $vgpr5
	s_and_saveexec_b32 s34, s0
	s_cbranch_execz .LBB646_10
; %bb.7:                                ;   in Loop: Header=BB646_4 Depth=1
	s_and_not1_b32 vcc_lo, exec_lo, s37
	s_wait_alu 0xfffe
	s_cbranch_vccnz .LBB646_11
; %bb.8:                                ;   in Loop: Header=BB646_4 Depth=1
	s_add_nc_u64 s[40:41], s[30:31], s[22:23]
	global_load_b32 v5, v9, s[40:41]
	s_wait_loadcnt 0x0
	v_mul_f32_e32 v5, s18, v5
	s_branch .LBB646_12
.LBB646_9:                              ;   in Loop: Header=BB646_4 Depth=1
	s_mov_b32 s21, 0
                                        ; implicit-def: $vgpr5
	s_cbranch_execnz .LBB646_13
	s_branch .LBB646_34
.LBB646_10:                             ;   in Loop: Header=BB646_4 Depth=1
	s_wait_alu 0xfffe
	s_or_b32 exec_lo, exec_lo, s34
	s_delay_alu instid0(SALU_CYCLE_1)
	s_and_b32 vcc_lo, exec_lo, s6
	s_wait_alu 0xfffe
	s_cbranch_vccnz .LBB646_13
	s_branch .LBB646_34
.LBB646_11:                             ;   in Loop: Header=BB646_4 Depth=1
	v_mov_b32_e32 v5, 0
.LBB646_12:                             ;   in Loop: Header=BB646_4 Depth=1
	s_mov_b32 s21, exec_lo
	s_or_b32 exec_lo, exec_lo, s34
	s_delay_alu instid0(SALU_CYCLE_1)
	s_and_b32 vcc_lo, exec_lo, s6
	s_wait_alu 0xfffe
	s_cbranch_vccz .LBB646_34
.LBB646_13:                             ;   in Loop: Header=BB646_4 Depth=1
	s_mul_u64 s[34:35], s[16:17], s[24:25]
	v_mov_b32_e32 v17, 0
	s_wait_alu 0xfffe
	s_lshl_b64 s[34:35], s[34:35], 1
	s_wait_alu 0xfffe
	s_add_nc_u64 s[34:35], s[10:11], s[34:35]
	s_and_saveexec_b32 s39, s4
	s_cbranch_execnz .LBB646_22
; %bb.14:                               ;   in Loop: Header=BB646_4 Depth=1
	s_wait_alu 0xfffe
	s_or_b32 exec_lo, exec_lo, s39
	s_and_saveexec_b32 s6, s5
	s_cbranch_execnz .LBB646_37
.LBB646_15:                             ;   in Loop: Header=BB646_4 Depth=1
	s_wait_alu 0xfffe
	s_or_b32 exec_lo, exec_lo, s6
	s_and_saveexec_b32 s6, s1
.LBB646_16:                             ;   in Loop: Header=BB646_4 Depth=1
	ds_store_b32 v10, v9
.LBB646_17:                             ;   in Loop: Header=BB646_4 Depth=1
	s_wait_alu 0xfffe
	s_or_b32 exec_lo, exec_lo, s6
	ds_bpermute_b32 v5, v16, v17
	v_cmp_gt_u32_e32 vcc_lo, 24, v15
	s_wait_dscnt 0x0
	s_barrier_signal -1
	s_barrier_wait -1
	global_inv scope:SCOPE_SE
	s_wait_alu 0xfffd
	v_cndmask_b32_e64 v6, 0, 8, vcc_lo
	v_cmp_gt_u32_e32 vcc_lo, 28, v15
	s_delay_alu instid0(VALU_DEP_2)
	v_add_lshl_u32 v6, v6, v15, 2
	v_add_f32_e32 v7, v17, v5
	s_wait_alu 0xfffd
	v_cndmask_b32_e64 v5, 0, 4, vcc_lo
	v_cmp_gt_u32_e32 vcc_lo, 30, v15
	ds_bpermute_b32 v6, v6, v7
	v_add_lshl_u32 v5, v5, v15, 2
	s_wait_dscnt 0x0
	v_add_f32_e32 v7, v7, v6
	s_wait_alu 0xfffd
	v_cndmask_b32_e64 v6, 0, 2, vcc_lo
	v_cmp_ne_u32_e32 vcc_lo, 31, v15
	ds_bpermute_b32 v8, v5, v7
	v_add_lshl_u32 v6, v6, v15, 2
	s_wait_alu 0xfffd
	v_add_co_ci_u32_e64 v17, null, 0, v15, vcc_lo
	s_wait_dscnt 0x0
	v_add_f32_e32 v7, v7, v8
	ds_bpermute_b32 v8, v6, v7
	s_wait_dscnt 0x0
	v_dual_add_f32 v8, v7, v8 :: v_dual_lshlrev_b32 v7, 2, v17
	ds_bpermute_b32 v17, v7, v8
	s_and_saveexec_b32 s6, s3
	s_cbranch_execz .LBB646_19
; %bb.18:                               ;   in Loop: Header=BB646_4 Depth=1
	s_wait_dscnt 0x0
	v_add_f32_e32 v8, v8, v17
	ds_store_b32 v11, v8
.LBB646_19:                             ;   in Loop: Header=BB646_4 Depth=1
	s_wait_alu 0xfffe
	s_or_b32 exec_lo, exec_lo, s6
	v_mov_b32_e32 v8, 0
	s_wait_loadcnt_dscnt 0x0
	s_barrier_signal -1
	s_barrier_wait -1
	global_inv scope:SCOPE_SE
	s_and_saveexec_b32 s6, s2
	s_cbranch_execnz .LBB646_28
; %bb.20:                               ;   in Loop: Header=BB646_4 Depth=1
	s_wait_alu 0xfffe
	s_or_b32 exec_lo, exec_lo, s6
	s_and_saveexec_b32 s6, s1
	s_cbranch_execnz .LBB646_29
.LBB646_21:                             ;   in Loop: Header=BB646_4 Depth=1
	s_wait_alu 0xfffe
	s_or_b32 exec_lo, exec_lo, s6
                                        ; implicit-def: $vgpr5
	s_and_saveexec_b32 s6, s0
	s_cbranch_execnz .LBB646_30
	s_branch .LBB646_33
.LBB646_22:                             ;   in Loop: Header=BB646_4 Depth=1
	v_mad_co_u64_u32 v[5:6], null, s12, s24, v[1:2]
	v_dual_mov_b32 v17, 0 :: v_dual_mov_b32 v18, v0
	s_mov_b32 s40, 0
	s_delay_alu instid0(VALU_DEP_2)
	v_mad_co_u64_u32 v[6:7], null, s13, s24, v[6:7]
	v_mov_b32_e32 v7, v14
	s_branch .LBB646_24
.LBB646_23:                             ;   in Loop: Header=BB646_24 Depth=2
	s_wait_alu 0xfffe
	s_or_b32 exec_lo, exec_lo, s6
	s_delay_alu instid0(VALU_DEP_1)
	v_and_b32_e32 v8, 0xffff0000, v19
	v_add_nc_u32_e32 v18, 0x100, v18
	v_add_co_u32 v5, s6, 0x200, v5
	s_wait_alu 0xf1ff
	v_add_co_ci_u32_e64 v6, null, 0, v6, s6
	v_add_f32_e32 v17, v17, v8
	v_cmp_le_i32_e32 vcc_lo, s20, v18
	v_add_nc_u32_e32 v7, s38, v7
	s_or_b32 s40, vcc_lo, s40
	s_wait_alu 0xfffe
	s_and_not1_b32 exec_lo, exec_lo, s40
	s_cbranch_execz .LBB646_36
.LBB646_24:                             ;   Parent Loop BB646_4 Depth=1
                                        ; =>  This Inner Loop Header: Depth=2
	s_wait_dscnt 0x0
	s_delay_alu instid0(VALU_DEP_1) | instskip(NEXT) | instid1(VALU_DEP_1)
	v_ashrrev_i32_e32 v8, 31, v7
	v_lshlrev_b64_e32 v[19:20], 1, v[7:8]
	s_wait_alu 0xfffe
	s_delay_alu instid0(VALU_DEP_1) | instskip(SKIP_1) | instid1(VALU_DEP_2)
	v_add_co_u32 v19, vcc_lo, s34, v19
	s_wait_alu 0xfffd
	v_add_co_ci_u32_e64 v20, null, s35, v20, vcc_lo
	global_load_u16 v8, v[5:6], off
	global_load_u16 v19, v[19:20], off
	s_wait_loadcnt 0x1
	v_lshlrev_b32_e32 v8, 16, v8
	s_wait_loadcnt 0x0
	v_lshlrev_b32_e32 v19, 16, v19
	s_delay_alu instid0(VALU_DEP_1) | instskip(NEXT) | instid1(VALU_DEP_1)
	v_mul_f32_e32 v8, v8, v19
	v_and_b32_e32 v19, 0x7f800000, v8
	s_delay_alu instid0(VALU_DEP_1)
	v_cmp_ne_u32_e32 vcc_lo, 0x7f800000, v19
                                        ; implicit-def: $vgpr19
	s_and_saveexec_b32 s6, vcc_lo
	s_wait_alu 0xfffe
	s_xor_b32 s6, exec_lo, s6
; %bb.25:                               ;   in Loop: Header=BB646_24 Depth=2
	v_bfe_u32 v19, v8, 16, 1
	s_delay_alu instid0(VALU_DEP_1)
	v_add3_u32 v19, v8, v19, 0x7fff
                                        ; implicit-def: $vgpr8
; %bb.26:                               ;   in Loop: Header=BB646_24 Depth=2
	s_wait_alu 0xfffe
	s_and_not1_saveexec_b32 s6, s6
	s_cbranch_execz .LBB646_23
; %bb.27:                               ;   in Loop: Header=BB646_24 Depth=2
	v_and_b32_e32 v19, 0xffff, v8
	v_or_b32_e32 v20, 0x10000, v8
	s_delay_alu instid0(VALU_DEP_2) | instskip(SKIP_1) | instid1(VALU_DEP_2)
	v_cmp_eq_u32_e32 vcc_lo, 0, v19
	s_wait_alu 0xfffd
	v_cndmask_b32_e32 v19, v20, v8, vcc_lo
	s_branch .LBB646_23
.LBB646_28:                             ;   in Loop: Header=BB646_4 Depth=1
	ds_load_b32 v8, v10
	s_wait_alu 0xfffe
	s_or_b32 exec_lo, exec_lo, s6
	s_and_saveexec_b32 s6, s1
	s_cbranch_execz .LBB646_21
.LBB646_29:                             ;   in Loop: Header=BB646_4 Depth=1
	s_wait_dscnt 0x0
	ds_bpermute_b32 v5, v5, v8
	s_wait_dscnt 0x0
	v_add_f32_e32 v5, v8, v5
	ds_bpermute_b32 v6, v6, v5
	s_wait_dscnt 0x0
	v_add_f32_e32 v5, v5, v6
	;; [unrolled: 3-line block ×3, first 2 shown]
	s_wait_alu 0xfffe
	s_or_b32 exec_lo, exec_lo, s6
                                        ; implicit-def: $vgpr5
	s_and_saveexec_b32 s6, s0
	s_cbranch_execz .LBB646_33
.LBB646_30:                             ;   in Loop: Header=BB646_4 Depth=1
	s_wait_dscnt 0x0
	v_mul_f32_e32 v5, s33, v8
	s_and_not1_b32 vcc_lo, exec_lo, s37
	s_wait_alu 0xfffe
	s_cbranch_vccnz .LBB646_32
; %bb.31:                               ;   in Loop: Header=BB646_4 Depth=1
	s_add_nc_u64 s[34:35], s[30:31], s[22:23]
	global_load_b32 v6, v9, s[34:35]
	s_wait_loadcnt 0x0
	v_fmac_f32_e32 v5, s18, v6
.LBB646_32:                             ;   in Loop: Header=BB646_4 Depth=1
	s_or_b32 s21, s21, exec_lo
.LBB646_33:                             ;   in Loop: Header=BB646_4 Depth=1
	s_wait_alu 0xfffe
	s_or_b32 exec_lo, exec_lo, s6
.LBB646_34:                             ;   in Loop: Header=BB646_4 Depth=1
	s_wait_alu 0xfffe
	s_and_saveexec_b32 s6, s21
	s_cbranch_execz .LBB646_2
; %bb.35:                               ;   in Loop: Header=BB646_4 Depth=1
	s_add_nc_u64 s[30:31], s[30:31], s[22:23]
	global_store_b32 v9, v5, s[30:31]
	s_branch .LBB646_2
.LBB646_36:                             ;   in Loop: Header=BB646_4 Depth=1
	s_or_b32 exec_lo, exec_lo, s40
	s_delay_alu instid0(SALU_CYCLE_1)
	s_or_b32 exec_lo, exec_lo, s39
	s_and_saveexec_b32 s6, s5
	s_cbranch_execz .LBB646_15
.LBB646_37:                             ;   in Loop: Header=BB646_4 Depth=1
	s_mul_u64 s[40:41], s[8:9], s[24:25]
	s_wait_alu 0xfffe
	s_lshl_b64 s[40:41], s[40:41], 1
	s_wait_alu 0xfffe
	v_add_co_u32 v5, vcc_lo, v12, s40
	s_wait_alu 0xfffd
	v_add_co_ci_u32_e64 v6, null, s41, v13, vcc_lo
	s_delay_alu instid0(VALU_DEP_2) | instskip(SKIP_1) | instid1(VALU_DEP_2)
	v_add_co_u32 v5, vcc_lo, v5, s28
	s_wait_alu 0xfffd
	v_add_co_ci_u32_e64 v6, null, s29, v6, vcc_lo
	v_add_co_u32 v7, vcc_lo, s34, v3
	s_wait_dscnt 0x0
	s_wait_alu 0xfffd
	v_add_co_ci_u32_e64 v8, null, s35, v4, vcc_lo
	global_load_u16 v5, v[5:6], off
	global_load_u16 v6, v[7:8], off
	s_wait_loadcnt 0x1
	v_lshlrev_b32_e32 v5, 16, v5
	s_wait_loadcnt 0x0
	v_lshlrev_b32_e32 v6, 16, v6
	s_delay_alu instid0(VALU_DEP_1) | instskip(NEXT) | instid1(VALU_DEP_1)
	v_mul_f32_e32 v5, v5, v6
	v_and_b32_e32 v6, 0x7f800000, v5
	s_delay_alu instid0(VALU_DEP_1)
	v_cmp_ne_u32_e32 vcc_lo, 0x7f800000, v6
                                        ; implicit-def: $vgpr6
	s_and_saveexec_b32 s34, vcc_lo
	s_wait_alu 0xfffe
	s_xor_b32 s34, exec_lo, s34
; %bb.38:                               ;   in Loop: Header=BB646_4 Depth=1
	v_bfe_u32 v6, v5, 16, 1
	s_delay_alu instid0(VALU_DEP_1)
	v_add3_u32 v6, v5, v6, 0x7fff
                                        ; implicit-def: $vgpr5
; %bb.39:                               ;   in Loop: Header=BB646_4 Depth=1
	s_wait_alu 0xfffe
	s_and_not1_saveexec_b32 s34, s34
; %bb.40:                               ;   in Loop: Header=BB646_4 Depth=1
	v_and_b32_e32 v6, 0xffff, v5
	v_or_b32_e32 v7, 0x10000, v5
	s_delay_alu instid0(VALU_DEP_2) | instskip(SKIP_1) | instid1(VALU_DEP_2)
	v_cmp_eq_u32_e32 vcc_lo, 0, v6
	s_wait_alu 0xfffd
	v_cndmask_b32_e32 v6, v7, v5, vcc_lo
; %bb.41:                               ;   in Loop: Header=BB646_4 Depth=1
	s_wait_alu 0xfffe
	s_or_b32 exec_lo, exec_lo, s34
	s_delay_alu instid0(VALU_DEP_1) | instskip(NEXT) | instid1(VALU_DEP_1)
	v_and_b32_e32 v5, 0xffff0000, v6
	v_add_f32_e32 v17, v17, v5
	s_or_b32 exec_lo, exec_lo, s6
	s_and_saveexec_b32 s6, s1
	s_cbranch_execnz .LBB646_16
	s_branch .LBB646_17
.LBB646_42:
	s_endpgm
	.section	.rodata,"a",@progbits
	.p2align	6, 0x0
	.amdhsa_kernel _ZL32rocblas_gemvt_warp_reduce_kernelILb0ELi256Ei16rocblas_bfloat16ffEviiT3_lPKT2_lT1_lS4_lS5_lS1_lPT4_lS5_li
		.amdhsa_group_segment_fixed_size 128
		.amdhsa_private_segment_fixed_size 0
		.amdhsa_kernarg_size 140
		.amdhsa_user_sgpr_count 2
		.amdhsa_user_sgpr_dispatch_ptr 0
		.amdhsa_user_sgpr_queue_ptr 0
		.amdhsa_user_sgpr_kernarg_segment_ptr 1
		.amdhsa_user_sgpr_dispatch_id 0
		.amdhsa_user_sgpr_private_segment_size 0
		.amdhsa_wavefront_size32 1
		.amdhsa_uses_dynamic_stack 0
		.amdhsa_enable_private_segment 0
		.amdhsa_system_sgpr_workgroup_id_x 1
		.amdhsa_system_sgpr_workgroup_id_y 0
		.amdhsa_system_sgpr_workgroup_id_z 1
		.amdhsa_system_sgpr_workgroup_info 0
		.amdhsa_system_vgpr_workitem_id 0
		.amdhsa_next_free_vgpr 21
		.amdhsa_next_free_sgpr 42
		.amdhsa_reserve_vcc 1
		.amdhsa_float_round_mode_32 0
		.amdhsa_float_round_mode_16_64 0
		.amdhsa_float_denorm_mode_32 3
		.amdhsa_float_denorm_mode_16_64 3
		.amdhsa_fp16_overflow 0
		.amdhsa_workgroup_processor_mode 1
		.amdhsa_memory_ordered 1
		.amdhsa_forward_progress 1
		.amdhsa_inst_pref_size 15
		.amdhsa_round_robin_scheduling 0
		.amdhsa_exception_fp_ieee_invalid_op 0
		.amdhsa_exception_fp_denorm_src 0
		.amdhsa_exception_fp_ieee_div_zero 0
		.amdhsa_exception_fp_ieee_overflow 0
		.amdhsa_exception_fp_ieee_underflow 0
		.amdhsa_exception_fp_ieee_inexact 0
		.amdhsa_exception_int_div_zero 0
	.end_amdhsa_kernel
	.section	.text._ZL32rocblas_gemvt_warp_reduce_kernelILb0ELi256Ei16rocblas_bfloat16ffEviiT3_lPKT2_lT1_lS4_lS5_lS1_lPT4_lS5_li,"axG",@progbits,_ZL32rocblas_gemvt_warp_reduce_kernelILb0ELi256Ei16rocblas_bfloat16ffEviiT3_lPKT2_lT1_lS4_lS5_lS1_lPT4_lS5_li,comdat
.Lfunc_end646:
	.size	_ZL32rocblas_gemvt_warp_reduce_kernelILb0ELi256Ei16rocblas_bfloat16ffEviiT3_lPKT2_lT1_lS4_lS5_lS1_lPT4_lS5_li, .Lfunc_end646-_ZL32rocblas_gemvt_warp_reduce_kernelILb0ELi256Ei16rocblas_bfloat16ffEviiT3_lPKT2_lT1_lS4_lS5_lS1_lPT4_lS5_li
                                        ; -- End function
	.set _ZL32rocblas_gemvt_warp_reduce_kernelILb0ELi256Ei16rocblas_bfloat16ffEviiT3_lPKT2_lT1_lS4_lS5_lS1_lPT4_lS5_li.num_vgpr, 21
	.set _ZL32rocblas_gemvt_warp_reduce_kernelILb0ELi256Ei16rocblas_bfloat16ffEviiT3_lPKT2_lT1_lS4_lS5_lS1_lPT4_lS5_li.num_agpr, 0
	.set _ZL32rocblas_gemvt_warp_reduce_kernelILb0ELi256Ei16rocblas_bfloat16ffEviiT3_lPKT2_lT1_lS4_lS5_lS1_lPT4_lS5_li.numbered_sgpr, 42
	.set _ZL32rocblas_gemvt_warp_reduce_kernelILb0ELi256Ei16rocblas_bfloat16ffEviiT3_lPKT2_lT1_lS4_lS5_lS1_lPT4_lS5_li.num_named_barrier, 0
	.set _ZL32rocblas_gemvt_warp_reduce_kernelILb0ELi256Ei16rocblas_bfloat16ffEviiT3_lPKT2_lT1_lS4_lS5_lS1_lPT4_lS5_li.private_seg_size, 0
	.set _ZL32rocblas_gemvt_warp_reduce_kernelILb0ELi256Ei16rocblas_bfloat16ffEviiT3_lPKT2_lT1_lS4_lS5_lS1_lPT4_lS5_li.uses_vcc, 1
	.set _ZL32rocblas_gemvt_warp_reduce_kernelILb0ELi256Ei16rocblas_bfloat16ffEviiT3_lPKT2_lT1_lS4_lS5_lS1_lPT4_lS5_li.uses_flat_scratch, 0
	.set _ZL32rocblas_gemvt_warp_reduce_kernelILb0ELi256Ei16rocblas_bfloat16ffEviiT3_lPKT2_lT1_lS4_lS5_lS1_lPT4_lS5_li.has_dyn_sized_stack, 0
	.set _ZL32rocblas_gemvt_warp_reduce_kernelILb0ELi256Ei16rocblas_bfloat16ffEviiT3_lPKT2_lT1_lS4_lS5_lS1_lPT4_lS5_li.has_recursion, 0
	.set _ZL32rocblas_gemvt_warp_reduce_kernelILb0ELi256Ei16rocblas_bfloat16ffEviiT3_lPKT2_lT1_lS4_lS5_lS1_lPT4_lS5_li.has_indirect_call, 0
	.section	.AMDGPU.csdata,"",@progbits
; Kernel info:
; codeLenInByte = 1796
; TotalNumSgprs: 44
; NumVgprs: 21
; ScratchSize: 0
; MemoryBound: 0
; FloatMode: 240
; IeeeMode: 1
; LDSByteSize: 128 bytes/workgroup (compile time only)
; SGPRBlocks: 0
; VGPRBlocks: 2
; NumSGPRsForWavesPerEU: 44
; NumVGPRsForWavesPerEU: 21
; Occupancy: 16
; WaveLimiterHint : 0
; COMPUTE_PGM_RSRC2:SCRATCH_EN: 0
; COMPUTE_PGM_RSRC2:USER_SGPR: 2
; COMPUTE_PGM_RSRC2:TRAP_HANDLER: 0
; COMPUTE_PGM_RSRC2:TGID_X_EN: 1
; COMPUTE_PGM_RSRC2:TGID_Y_EN: 0
; COMPUTE_PGM_RSRC2:TGID_Z_EN: 1
; COMPUTE_PGM_RSRC2:TIDIG_COMP_CNT: 0
	.section	.text._ZL32rocblas_gemvt_warp_reduce_kernelILb0ELi256El16rocblas_bfloat16ffEviiT3_lPKT2_lT1_lS4_lS5_lS1_lPT4_lS5_li,"axG",@progbits,_ZL32rocblas_gemvt_warp_reduce_kernelILb0ELi256El16rocblas_bfloat16ffEviiT3_lPKT2_lT1_lS4_lS5_lS1_lPT4_lS5_li,comdat
	.globl	_ZL32rocblas_gemvt_warp_reduce_kernelILb0ELi256El16rocblas_bfloat16ffEviiT3_lPKT2_lT1_lS4_lS5_lS1_lPT4_lS5_li ; -- Begin function _ZL32rocblas_gemvt_warp_reduce_kernelILb0ELi256El16rocblas_bfloat16ffEviiT3_lPKT2_lT1_lS4_lS5_lS1_lPT4_lS5_li
	.p2align	8
	.type	_ZL32rocblas_gemvt_warp_reduce_kernelILb0ELi256El16rocblas_bfloat16ffEviiT3_lPKT2_lT1_lS4_lS5_lS1_lPT4_lS5_li,@function
_ZL32rocblas_gemvt_warp_reduce_kernelILb0ELi256El16rocblas_bfloat16ffEviiT3_lPKT2_lT1_lS4_lS5_lS1_lPT4_lS5_li: ; @_ZL32rocblas_gemvt_warp_reduce_kernelILb0ELi256El16rocblas_bfloat16ffEviiT3_lPKT2_lT1_lS4_lS5_lS1_lPT4_lS5_li
; %bb.0:
	s_load_b32 s7, s[0:1], 0x88
	s_lshr_b32 s34, ttmp7, 16
	s_wait_kmcnt 0x0
	s_cmp_ge_u32 s34, s7
	s_cbranch_scc1 .LBB647_42
; %bb.1:
	s_clause 0x4
	s_load_b512 s[8:23], s[0:1], 0x18
	s_load_b256 s[24:31], s[0:1], 0x68
	s_load_b32 s33, s[0:1], 0x8
	s_load_b32 s36, s[0:1], 0x58
	;; [unrolled: 1-line block ×3, first 2 shown]
	v_and_b32_e32 v1, 31, v0
	v_mov_b32_e32 v11, 0
	s_mov_b32 s4, ttmp9
	v_lshrrev_b32_e32 v4, 3, v0
	v_mbcnt_lo_u32_b32 v16, -1, 0
	v_lshlrev_b32_e32 v12, 2, v1
	v_cmp_eq_u32_e64 s2, 0, v1
	v_cmp_eq_u32_e64 s0, 0, v0
	v_and_b32_e32 v15, 28, v4
	v_cmp_gt_u32_e64 s1, 32, v0
	v_lshl_or_b32 v17, v16, 2, 64
	s_mov_b32 s35, 0
	s_wait_kmcnt 0x0
	s_lshl_b64 s[18:19], s[18:19], 1
	s_lshl_b64 s[26:27], s[26:27], 2
	;; [unrolled: 1-line block ×3, first 2 shown]
	s_cmp_eq_f32 s33, 0
	v_cmp_gt_i32_e32 vcc_lo, s6, v0
	v_mad_co_u64_u32 v[1:2], null, s20, v0, 0
	s_cselect_b32 s37, -1, 0
	s_cmp_neq_f32 s33, 0
	v_cndmask_b32_e32 v3, 0, v0, vcc_lo
	s_add_nc_u64 s[10:11], s[16:17], s[18:19]
	s_add_nc_u64 s[18:19], s[8:9], s[40:41]
	s_cselect_b32 s3, -1, 0
	s_cmp_neq_f32 s36, 1.0
	v_lshlrev_b32_e32 v7, 1, v3
	v_mad_co_u64_u32 v[2:3], null, s21, v0, v[2:3]
	s_cselect_b32 s5, -1, 0
	s_add_nc_u64 s[16:17], s[24:25], s[26:27]
	s_or_b32 s38, s3, s5
	s_cmp_neq_f32 s36, 0
	v_add_co_u32 v8, s5, s18, v7
	s_delay_alu instid0(VALU_DEP_1)
	v_add_co_ci_u32_e64 v9, null, s19, 0, s5
	s_cselect_b32 s39, -1, 0
	s_ashr_i32 s3, s6, 31
	s_ashr_i32 s5, ttmp9, 31
	s_lshr_b32 s3, s3, 24
	s_wait_alu 0xfffe
	s_mul_u64 s[12:13], s[12:13], s[4:5]
	s_add_co_i32 s3, s6, s3
	s_mul_u64 s[24:25], s[28:29], s[4:5]
	s_and_b32 s18, s3, 0xffffff00
	s_lshl_b64 s[12:13], s[12:13], 1
	s_wait_alu 0xfffe
	v_or_b32_e32 v10, s18, v0
	s_ashr_i32 s19, s18, 31
	v_add_co_u32 v13, vcc_lo, v8, s12
	s_wait_alu 0xfffe
	s_mul_i32 s5, s20, s19
	v_mul_lo_u32 v3, s21, v10
	v_mad_co_u64_u32 v[5:6], null, s20, v10, 0
	s_wait_alu 0xfffd
	v_add_co_ci_u32_e64 v14, null, s13, v9, vcc_lo
	s_add_nc_u64 s[12:13], s[12:13], s[40:41]
	v_cmp_gt_i32_e64 s4, s6, v10
	s_wait_alu 0xfffe
	s_add_nc_u64 s[8:9], s[8:9], s[12:13]
	v_cmp_gt_i32_e64 s3, s18, v0
	v_add3_u32 v6, v6, s5, v3
	v_lshlrev_b64_e32 v[3:4], 1, v[1:2]
	v_add_co_u32 v1, s6, s8, v7
	v_cmp_gt_u32_e64 s5, 8, v0
	s_delay_alu instid0(VALU_DEP_4)
	v_lshlrev_b64_e32 v[5:6], 1, v[5:6]
	s_wait_alu 0xf1ff
	v_add_co_ci_u32_e64 v2, null, s9, 0, s6
	v_add_co_u32 v3, vcc_lo, s10, v3
	s_wait_alu 0xfffd
	v_add_co_ci_u32_e64 v4, null, s11, v4, vcc_lo
	s_lshl_b64 s[8:9], s[14:15], 1
	s_lshl_b64 s[12:13], s[22:23], 1
	;; [unrolled: 1-line block ×5, first 2 shown]
	s_branch .LBB647_4
.LBB647_2:                              ;   in Loop: Header=BB647_4 Depth=1
	s_wait_alu 0xfffe
	s_or_b32 exec_lo, exec_lo, s6
.LBB647_3:                              ;   in Loop: Header=BB647_4 Depth=1
	s_add_co_i32 s34, s34, 0x10000
	s_wait_alu 0xfffe
	s_cmp_lt_u32 s34, s7
	s_cbranch_scc0 .LBB647_42
.LBB647_4:                              ; =>This Loop Header: Depth=1
                                        ;     Child Loop BB647_24 Depth 2
	s_and_not1_b32 vcc_lo, exec_lo, s38
	s_wait_alu 0xfffe
	s_cbranch_vccnz .LBB647_3
; %bb.5:                                ;   in Loop: Header=BB647_4 Depth=1
	s_mul_u64 s[28:29], s[30:31], s[34:35]
	s_and_not1_b32 vcc_lo, exec_lo, s37
	s_lshl_b64 s[28:29], s[28:29], 2
	s_delay_alu instid0(SALU_CYCLE_1)
	s_add_nc_u64 s[28:29], s[16:17], s[28:29]
	s_wait_alu 0xfffe
	s_cbranch_vccnz .LBB647_9
; %bb.6:                                ;   in Loop: Header=BB647_4 Depth=1
	s_mov_b32 s6, 0
	s_mov_b32 s19, 0
                                        ; implicit-def: $vgpr7
	s_and_saveexec_b32 s40, s0
	s_cbranch_execz .LBB647_10
; %bb.7:                                ;   in Loop: Header=BB647_4 Depth=1
	s_and_not1_b32 vcc_lo, exec_lo, s39
	s_wait_alu 0xfffe
	s_cbranch_vccnz .LBB647_11
; %bb.8:                                ;   in Loop: Header=BB647_4 Depth=1
	s_add_nc_u64 s[42:43], s[28:29], s[24:25]
	global_load_b32 v7, v11, s[42:43]
	s_wait_loadcnt 0x0
	v_mul_f32_e32 v7, s36, v7
	s_branch .LBB647_12
.LBB647_9:                              ;   in Loop: Header=BB647_4 Depth=1
	s_mov_b32 s19, 0
                                        ; implicit-def: $vgpr7
	s_cbranch_execnz .LBB647_13
	s_branch .LBB647_34
.LBB647_10:                             ;   in Loop: Header=BB647_4 Depth=1
	s_wait_alu 0xfffe
	s_or_b32 exec_lo, exec_lo, s40
	s_delay_alu instid0(SALU_CYCLE_1)
	s_and_b32 vcc_lo, exec_lo, s6
	s_wait_alu 0xfffe
	s_cbranch_vccnz .LBB647_13
	s_branch .LBB647_34
.LBB647_11:                             ;   in Loop: Header=BB647_4 Depth=1
	v_mov_b32_e32 v7, 0
.LBB647_12:                             ;   in Loop: Header=BB647_4 Depth=1
	s_mov_b32 s19, exec_lo
	s_or_b32 exec_lo, exec_lo, s40
	s_delay_alu instid0(SALU_CYCLE_1)
	s_and_b32 vcc_lo, exec_lo, s6
	s_wait_alu 0xfffe
	s_cbranch_vccz .LBB647_34
.LBB647_13:                             ;   in Loop: Header=BB647_4 Depth=1
	v_mov_b32_e32 v18, 0
	s_and_saveexec_b32 s40, s3
	s_cbranch_execnz .LBB647_22
; %bb.14:                               ;   in Loop: Header=BB647_4 Depth=1
	s_wait_alu 0xfffe
	s_or_b32 exec_lo, exec_lo, s40
	s_and_saveexec_b32 s6, s4
	s_cbranch_execnz .LBB647_37
.LBB647_15:                             ;   in Loop: Header=BB647_4 Depth=1
	s_wait_alu 0xfffe
	s_or_b32 exec_lo, exec_lo, s6
	s_and_saveexec_b32 s6, s1
.LBB647_16:                             ;   in Loop: Header=BB647_4 Depth=1
	ds_store_b32 v12, v11
.LBB647_17:                             ;   in Loop: Header=BB647_4 Depth=1
	s_wait_alu 0xfffe
	s_or_b32 exec_lo, exec_lo, s6
	ds_bpermute_b32 v7, v17, v18
	v_cmp_gt_u32_e32 vcc_lo, 24, v16
	s_wait_dscnt 0x0
	s_barrier_signal -1
	s_barrier_wait -1
	global_inv scope:SCOPE_SE
	s_wait_alu 0xfffd
	v_cndmask_b32_e64 v8, 0, 8, vcc_lo
	v_cmp_gt_u32_e32 vcc_lo, 28, v16
	s_delay_alu instid0(VALU_DEP_2)
	v_add_lshl_u32 v8, v8, v16, 2
	v_add_f32_e32 v9, v18, v7
	s_wait_alu 0xfffd
	v_cndmask_b32_e64 v7, 0, 4, vcc_lo
	v_cmp_gt_u32_e32 vcc_lo, 30, v16
	ds_bpermute_b32 v8, v8, v9
	v_add_lshl_u32 v7, v7, v16, 2
	s_wait_dscnt 0x0
	v_add_f32_e32 v9, v9, v8
	s_wait_alu 0xfffd
	v_cndmask_b32_e64 v8, 0, 2, vcc_lo
	v_cmp_ne_u32_e32 vcc_lo, 31, v16
	ds_bpermute_b32 v10, v7, v9
	v_add_lshl_u32 v8, v8, v16, 2
	s_wait_alu 0xfffd
	v_add_co_ci_u32_e64 v18, null, 0, v16, vcc_lo
	s_wait_dscnt 0x0
	v_add_f32_e32 v9, v9, v10
	ds_bpermute_b32 v10, v8, v9
	s_wait_dscnt 0x0
	v_add_f32_e32 v10, v9, v10
	v_lshlrev_b32_e32 v9, 2, v18
	ds_bpermute_b32 v18, v9, v10
	s_and_saveexec_b32 s6, s2
	s_cbranch_execz .LBB647_19
; %bb.18:                               ;   in Loop: Header=BB647_4 Depth=1
	s_wait_dscnt 0x0
	v_add_f32_e32 v10, v10, v18
	ds_store_b32 v15, v10
.LBB647_19:                             ;   in Loop: Header=BB647_4 Depth=1
	s_wait_alu 0xfffe
	s_or_b32 exec_lo, exec_lo, s6
	v_mov_b32_e32 v10, 0
	s_wait_loadcnt_dscnt 0x0
	s_barrier_signal -1
	s_barrier_wait -1
	global_inv scope:SCOPE_SE
	s_and_saveexec_b32 s6, s5
	s_cbranch_execnz .LBB647_28
; %bb.20:                               ;   in Loop: Header=BB647_4 Depth=1
	s_wait_alu 0xfffe
	s_or_b32 exec_lo, exec_lo, s6
	s_and_saveexec_b32 s6, s1
	s_cbranch_execnz .LBB647_29
.LBB647_21:                             ;   in Loop: Header=BB647_4 Depth=1
	s_wait_alu 0xfffe
	s_or_b32 exec_lo, exec_lo, s6
                                        ; implicit-def: $vgpr7
	s_and_saveexec_b32 s6, s0
	s_cbranch_execnz .LBB647_30
	s_branch .LBB647_33
.LBB647_22:                             ;   in Loop: Header=BB647_4 Depth=1
	v_mad_co_u64_u32 v[7:8], null, s8, s34, v[1:2]
	s_wait_dscnt 0x0
	v_mad_co_u64_u32 v[9:10], null, s12, s34, v[3:4]
	v_mov_b32_e32 v18, 0
	s_mov_b32 s41, 0
	s_delay_alu instid0(VALU_DEP_2) | instskip(NEXT) | instid1(VALU_DEP_3)
	v_mad_co_u64_u32 v[19:20], null, s9, s34, v[8:9]
	v_mad_co_u64_u32 v[20:21], null, s13, s34, v[10:11]
	s_delay_alu instid0(VALU_DEP_2) | instskip(NEXT) | instid1(VALU_DEP_2)
	v_dual_mov_b32 v8, v19 :: v_dual_mov_b32 v19, v0
	v_mov_b32_e32 v10, v20
	s_branch .LBB647_24
.LBB647_23:                             ;   in Loop: Header=BB647_24 Depth=2
	s_wait_alu 0xfffe
	s_or_b32 exec_lo, exec_lo, s6
	s_delay_alu instid0(VALU_DEP_1)
	v_and_b32_e32 v20, 0xffff0000, v21
	v_add_nc_u32_e32 v19, 0x100, v19
	v_add_co_u32 v7, vcc_lo, 0x200, v7
	s_wait_alu 0xfffd
	v_add_co_ci_u32_e64 v8, null, 0, v8, vcc_lo
	v_add_f32_e32 v18, v18, v20
	v_cmp_le_i32_e32 vcc_lo, s18, v19
	v_add_co_u32 v9, s6, v9, s20
	s_wait_alu 0xf1ff
	v_add_co_ci_u32_e64 v10, null, s21, v10, s6
	s_or_b32 s41, vcc_lo, s41
	s_wait_alu 0xfffe
	s_and_not1_b32 exec_lo, exec_lo, s41
	s_cbranch_execz .LBB647_36
.LBB647_24:                             ;   Parent Loop BB647_4 Depth=1
                                        ; =>  This Inner Loop Header: Depth=2
	global_load_u16 v20, v[9:10], off
	global_load_u16 v21, v[7:8], off
	s_wait_loadcnt 0x1
	v_lshlrev_b32_e32 v20, 16, v20
	s_wait_loadcnt 0x0
	v_lshlrev_b32_e32 v21, 16, v21
	s_delay_alu instid0(VALU_DEP_1) | instskip(NEXT) | instid1(VALU_DEP_1)
	v_mul_f32_e32 v20, v21, v20
	v_and_b32_e32 v21, 0x7f800000, v20
	s_delay_alu instid0(VALU_DEP_1)
	v_cmp_ne_u32_e32 vcc_lo, 0x7f800000, v21
                                        ; implicit-def: $vgpr21
	s_and_saveexec_b32 s6, vcc_lo
	s_wait_alu 0xfffe
	s_xor_b32 s6, exec_lo, s6
; %bb.25:                               ;   in Loop: Header=BB647_24 Depth=2
	v_bfe_u32 v21, v20, 16, 1
	s_delay_alu instid0(VALU_DEP_1)
	v_add3_u32 v21, v20, v21, 0x7fff
                                        ; implicit-def: $vgpr20
; %bb.26:                               ;   in Loop: Header=BB647_24 Depth=2
	s_wait_alu 0xfffe
	s_and_not1_saveexec_b32 s6, s6
	s_cbranch_execz .LBB647_23
; %bb.27:                               ;   in Loop: Header=BB647_24 Depth=2
	v_and_b32_e32 v21, 0xffff, v20
	v_or_b32_e32 v22, 0x10000, v20
	s_delay_alu instid0(VALU_DEP_2) | instskip(SKIP_1) | instid1(VALU_DEP_2)
	v_cmp_eq_u32_e32 vcc_lo, 0, v21
	s_wait_alu 0xfffd
	v_cndmask_b32_e32 v21, v22, v20, vcc_lo
	s_branch .LBB647_23
.LBB647_28:                             ;   in Loop: Header=BB647_4 Depth=1
	ds_load_b32 v10, v12
	s_wait_alu 0xfffe
	s_or_b32 exec_lo, exec_lo, s6
	s_and_saveexec_b32 s6, s1
	s_cbranch_execz .LBB647_21
.LBB647_29:                             ;   in Loop: Header=BB647_4 Depth=1
	s_wait_dscnt 0x0
	ds_bpermute_b32 v7, v7, v10
	s_wait_dscnt 0x0
	v_add_f32_e32 v7, v10, v7
	ds_bpermute_b32 v8, v8, v7
	s_wait_dscnt 0x0
	v_add_f32_e32 v7, v7, v8
	;; [unrolled: 3-line block ×3, first 2 shown]
	s_wait_alu 0xfffe
	s_or_b32 exec_lo, exec_lo, s6
                                        ; implicit-def: $vgpr7
	s_and_saveexec_b32 s6, s0
	s_cbranch_execz .LBB647_33
.LBB647_30:                             ;   in Loop: Header=BB647_4 Depth=1
	s_wait_dscnt 0x0
	v_mul_f32_e32 v7, s33, v10
	s_and_not1_b32 vcc_lo, exec_lo, s39
	s_wait_alu 0xfffe
	s_cbranch_vccnz .LBB647_32
; %bb.31:                               ;   in Loop: Header=BB647_4 Depth=1
	s_add_nc_u64 s[40:41], s[28:29], s[24:25]
	global_load_b32 v8, v11, s[40:41]
	s_wait_loadcnt 0x0
	v_fmac_f32_e32 v7, s36, v8
.LBB647_32:                             ;   in Loop: Header=BB647_4 Depth=1
	s_or_b32 s19, s19, exec_lo
.LBB647_33:                             ;   in Loop: Header=BB647_4 Depth=1
	s_wait_alu 0xfffe
	s_or_b32 exec_lo, exec_lo, s6
.LBB647_34:                             ;   in Loop: Header=BB647_4 Depth=1
	s_wait_alu 0xfffe
	s_and_saveexec_b32 s6, s19
	s_cbranch_execz .LBB647_2
; %bb.35:                               ;   in Loop: Header=BB647_4 Depth=1
	s_add_nc_u64 s[28:29], s[28:29], s[24:25]
	global_store_b32 v11, v7, s[28:29]
	s_branch .LBB647_2
.LBB647_36:                             ;   in Loop: Header=BB647_4 Depth=1
	s_or_b32 exec_lo, exec_lo, s41
	s_delay_alu instid0(SALU_CYCLE_1)
	s_or_b32 exec_lo, exec_lo, s40
	s_and_saveexec_b32 s6, s4
	s_cbranch_execz .LBB647_15
.LBB647_37:                             ;   in Loop: Header=BB647_4 Depth=1
	s_mul_u64 s[40:41], s[14:15], s[34:35]
	s_mul_u64 s[42:43], s[22:23], s[34:35]
	s_wait_alu 0xfffe
	s_lshl_b64 s[40:41], s[40:41], 1
	s_lshl_b64 s[42:43], s[42:43], 1
	s_wait_alu 0xfffe
	v_add_co_u32 v9, vcc_lo, v13, s40
	s_wait_dscnt 0x0
	s_wait_alu 0xfffd
	v_add_co_ci_u32_e64 v10, null, s41, v14, vcc_lo
	s_add_nc_u64 s[40:41], s[10:11], s[42:43]
	s_wait_alu 0xfffe
	v_add_co_u32 v7, vcc_lo, s40, v5
	s_wait_alu 0xfffd
	v_add_co_ci_u32_e64 v8, null, s41, v6, vcc_lo
	v_add_co_u32 v9, vcc_lo, v9, s26
	s_wait_alu 0xfffd
	v_add_co_ci_u32_e64 v10, null, s27, v10, vcc_lo
	global_load_u16 v7, v[7:8], off
	global_load_u16 v8, v[9:10], off
	s_wait_loadcnt 0x1
	v_lshlrev_b32_e32 v7, 16, v7
	s_wait_loadcnt 0x0
	v_lshlrev_b32_e32 v8, 16, v8
	s_delay_alu instid0(VALU_DEP_1) | instskip(NEXT) | instid1(VALU_DEP_1)
	v_mul_f32_e32 v7, v8, v7
	v_and_b32_e32 v8, 0x7f800000, v7
	s_delay_alu instid0(VALU_DEP_1)
	v_cmp_ne_u32_e32 vcc_lo, 0x7f800000, v8
                                        ; implicit-def: $vgpr8
	s_and_saveexec_b32 s40, vcc_lo
	s_wait_alu 0xfffe
	s_xor_b32 s40, exec_lo, s40
; %bb.38:                               ;   in Loop: Header=BB647_4 Depth=1
	v_bfe_u32 v8, v7, 16, 1
	s_delay_alu instid0(VALU_DEP_1)
	v_add3_u32 v8, v7, v8, 0x7fff
                                        ; implicit-def: $vgpr7
; %bb.39:                               ;   in Loop: Header=BB647_4 Depth=1
	s_wait_alu 0xfffe
	s_and_not1_saveexec_b32 s40, s40
; %bb.40:                               ;   in Loop: Header=BB647_4 Depth=1
	v_and_b32_e32 v8, 0xffff, v7
	v_or_b32_e32 v9, 0x10000, v7
	s_delay_alu instid0(VALU_DEP_2) | instskip(SKIP_1) | instid1(VALU_DEP_2)
	v_cmp_eq_u32_e32 vcc_lo, 0, v8
	s_wait_alu 0xfffd
	v_cndmask_b32_e32 v8, v9, v7, vcc_lo
; %bb.41:                               ;   in Loop: Header=BB647_4 Depth=1
	s_wait_alu 0xfffe
	s_or_b32 exec_lo, exec_lo, s40
	s_delay_alu instid0(VALU_DEP_1) | instskip(NEXT) | instid1(VALU_DEP_1)
	v_and_b32_e32 v7, 0xffff0000, v8
	v_add_f32_e32 v18, v18, v7
	s_or_b32 exec_lo, exec_lo, s6
	s_and_saveexec_b32 s6, s1
	s_cbranch_execnz .LBB647_16
	s_branch .LBB647_17
.LBB647_42:
	s_endpgm
	.section	.rodata,"a",@progbits
	.p2align	6, 0x0
	.amdhsa_kernel _ZL32rocblas_gemvt_warp_reduce_kernelILb0ELi256El16rocblas_bfloat16ffEviiT3_lPKT2_lT1_lS4_lS5_lS1_lPT4_lS5_li
		.amdhsa_group_segment_fixed_size 128
		.amdhsa_private_segment_fixed_size 0
		.amdhsa_kernarg_size 140
		.amdhsa_user_sgpr_count 2
		.amdhsa_user_sgpr_dispatch_ptr 0
		.amdhsa_user_sgpr_queue_ptr 0
		.amdhsa_user_sgpr_kernarg_segment_ptr 1
		.amdhsa_user_sgpr_dispatch_id 0
		.amdhsa_user_sgpr_private_segment_size 0
		.amdhsa_wavefront_size32 1
		.amdhsa_uses_dynamic_stack 0
		.amdhsa_enable_private_segment 0
		.amdhsa_system_sgpr_workgroup_id_x 1
		.amdhsa_system_sgpr_workgroup_id_y 0
		.amdhsa_system_sgpr_workgroup_id_z 1
		.amdhsa_system_sgpr_workgroup_info 0
		.amdhsa_system_vgpr_workitem_id 0
		.amdhsa_next_free_vgpr 23
		.amdhsa_next_free_sgpr 44
		.amdhsa_reserve_vcc 1
		.amdhsa_float_round_mode_32 0
		.amdhsa_float_round_mode_16_64 0
		.amdhsa_float_denorm_mode_32 3
		.amdhsa_float_denorm_mode_16_64 3
		.amdhsa_fp16_overflow 0
		.amdhsa_workgroup_processor_mode 1
		.amdhsa_memory_ordered 1
		.amdhsa_forward_progress 1
		.amdhsa_inst_pref_size 15
		.amdhsa_round_robin_scheduling 0
		.amdhsa_exception_fp_ieee_invalid_op 0
		.amdhsa_exception_fp_denorm_src 0
		.amdhsa_exception_fp_ieee_div_zero 0
		.amdhsa_exception_fp_ieee_overflow 0
		.amdhsa_exception_fp_ieee_underflow 0
		.amdhsa_exception_fp_ieee_inexact 0
		.amdhsa_exception_int_div_zero 0
	.end_amdhsa_kernel
	.section	.text._ZL32rocblas_gemvt_warp_reduce_kernelILb0ELi256El16rocblas_bfloat16ffEviiT3_lPKT2_lT1_lS4_lS5_lS1_lPT4_lS5_li,"axG",@progbits,_ZL32rocblas_gemvt_warp_reduce_kernelILb0ELi256El16rocblas_bfloat16ffEviiT3_lPKT2_lT1_lS4_lS5_lS1_lPT4_lS5_li,comdat
.Lfunc_end647:
	.size	_ZL32rocblas_gemvt_warp_reduce_kernelILb0ELi256El16rocblas_bfloat16ffEviiT3_lPKT2_lT1_lS4_lS5_lS1_lPT4_lS5_li, .Lfunc_end647-_ZL32rocblas_gemvt_warp_reduce_kernelILb0ELi256El16rocblas_bfloat16ffEviiT3_lPKT2_lT1_lS4_lS5_lS1_lPT4_lS5_li
                                        ; -- End function
	.set _ZL32rocblas_gemvt_warp_reduce_kernelILb0ELi256El16rocblas_bfloat16ffEviiT3_lPKT2_lT1_lS4_lS5_lS1_lPT4_lS5_li.num_vgpr, 23
	.set _ZL32rocblas_gemvt_warp_reduce_kernelILb0ELi256El16rocblas_bfloat16ffEviiT3_lPKT2_lT1_lS4_lS5_lS1_lPT4_lS5_li.num_agpr, 0
	.set _ZL32rocblas_gemvt_warp_reduce_kernelILb0ELi256El16rocblas_bfloat16ffEviiT3_lPKT2_lT1_lS4_lS5_lS1_lPT4_lS5_li.numbered_sgpr, 44
	.set _ZL32rocblas_gemvt_warp_reduce_kernelILb0ELi256El16rocblas_bfloat16ffEviiT3_lPKT2_lT1_lS4_lS5_lS1_lPT4_lS5_li.num_named_barrier, 0
	.set _ZL32rocblas_gemvt_warp_reduce_kernelILb0ELi256El16rocblas_bfloat16ffEviiT3_lPKT2_lT1_lS4_lS5_lS1_lPT4_lS5_li.private_seg_size, 0
	.set _ZL32rocblas_gemvt_warp_reduce_kernelILb0ELi256El16rocblas_bfloat16ffEviiT3_lPKT2_lT1_lS4_lS5_lS1_lPT4_lS5_li.uses_vcc, 1
	.set _ZL32rocblas_gemvt_warp_reduce_kernelILb0ELi256El16rocblas_bfloat16ffEviiT3_lPKT2_lT1_lS4_lS5_lS1_lPT4_lS5_li.uses_flat_scratch, 0
	.set _ZL32rocblas_gemvt_warp_reduce_kernelILb0ELi256El16rocblas_bfloat16ffEviiT3_lPKT2_lT1_lS4_lS5_lS1_lPT4_lS5_li.has_dyn_sized_stack, 0
	.set _ZL32rocblas_gemvt_warp_reduce_kernelILb0ELi256El16rocblas_bfloat16ffEviiT3_lPKT2_lT1_lS4_lS5_lS1_lPT4_lS5_li.has_recursion, 0
	.set _ZL32rocblas_gemvt_warp_reduce_kernelILb0ELi256El16rocblas_bfloat16ffEviiT3_lPKT2_lT1_lS4_lS5_lS1_lPT4_lS5_li.has_indirect_call, 0
	.section	.AMDGPU.csdata,"",@progbits
; Kernel info:
; codeLenInByte = 1804
; TotalNumSgprs: 46
; NumVgprs: 23
; ScratchSize: 0
; MemoryBound: 0
; FloatMode: 240
; IeeeMode: 1
; LDSByteSize: 128 bytes/workgroup (compile time only)
; SGPRBlocks: 0
; VGPRBlocks: 2
; NumSGPRsForWavesPerEU: 46
; NumVGPRsForWavesPerEU: 23
; Occupancy: 16
; WaveLimiterHint : 0
; COMPUTE_PGM_RSRC2:SCRATCH_EN: 0
; COMPUTE_PGM_RSRC2:USER_SGPR: 2
; COMPUTE_PGM_RSRC2:TRAP_HANDLER: 0
; COMPUTE_PGM_RSRC2:TGID_X_EN: 1
; COMPUTE_PGM_RSRC2:TGID_Y_EN: 0
; COMPUTE_PGM_RSRC2:TGID_Z_EN: 1
; COMPUTE_PGM_RSRC2:TIDIG_COMP_CNT: 0
	.section	.text._ZL20rocblas_gemvt_kernelILb0ELi256E16rocblas_bfloat16PKffEviiT2_lPKT1_lilS6_lilS3_lPT3_lili,"axG",@progbits,_ZL20rocblas_gemvt_kernelILb0ELi256E16rocblas_bfloat16PKffEviiT2_lPKT1_lilS6_lilS3_lPT3_lili,comdat
	.globl	_ZL20rocblas_gemvt_kernelILb0ELi256E16rocblas_bfloat16PKffEviiT2_lPKT1_lilS6_lilS3_lPT3_lili ; -- Begin function _ZL20rocblas_gemvt_kernelILb0ELi256E16rocblas_bfloat16PKffEviiT2_lPKT1_lilS6_lilS3_lPT3_lili
	.p2align	8
	.type	_ZL20rocblas_gemvt_kernelILb0ELi256E16rocblas_bfloat16PKffEviiT2_lPKT1_lilS6_lilS3_lPT3_lili,@function
_ZL20rocblas_gemvt_kernelILb0ELi256E16rocblas_bfloat16PKffEviiT2_lPKT1_lilS6_lilS3_lPT3_lili: ; @_ZL20rocblas_gemvt_kernelILb0ELi256E16rocblas_bfloat16PKffEviiT2_lPKT1_lilS6_lilS3_lPT3_lili
; %bb.0:
	s_load_b32 s33, s[0:1], 0x88
	s_lshr_b32 s10, ttmp7, 16
	s_wait_kmcnt 0x0
	s_cmp_ge_u32 s10, s33
	s_cbranch_scc1 .LBB648_49
; %bb.1:
	s_clause 0x7
	s_load_b32 s8, s[0:1], 0x28
	s_load_b96 s[4:6], s[0:1], 0x40
	s_load_b96 s[36:38], s[0:1], 0x70
	s_load_b256 s[12:19], s[0:1], 0x8
	s_load_b32 s7, s[0:1], 0x0
	s_load_b128 s[28:31], s[0:1], 0x30
	s_load_b256 s[20:27], s[0:1], 0x50
	s_load_b64 s[34:35], s[0:1], 0x80
	s_mov_b32 s2, ttmp9
	s_ashr_i32 s3, ttmp9, 31
	v_lshlrev_b32_e32 v13, 2, v0
	s_mov_b32 s11, 0
	v_mov_b32_e32 v10, 0
	s_wait_kmcnt 0x0
	s_ashr_i32 s9, s8, 31
	s_lshl_b64 s[0:1], s[4:5], 1
	s_lshl_b64 s[4:5], s[36:37], 2
	;; [unrolled: 1-line block ×3, first 2 shown]
	v_cmp_gt_i32_e32 vcc_lo, s7, v0
	s_ashr_i32 s39, s38, 31
	s_add_nc_u64 s[26:27], s[26:27], s[4:5]
	s_add_nc_u64 s[4:5], s[16:17], s[42:43]
	s_mul_u64 s[44:45], s[38:39], s[2:3]
	v_cndmask_b32_e32 v1, 0, v0, vcc_lo
	s_mul_u64 s[2:3], s[8:9], s[2:3]
	s_add_nc_u64 s[18:19], s[30:31], s[0:1]
	s_ashr_i32 s1, s7, 31
	s_lshl_b64 s[38:39], s[2:3], 1
	v_lshlrev_b32_e32 v3, 1, v1
	s_lshr_b32 s1, s1, 24
	s_add_nc_u64 s[42:43], s[38:39], s[42:43]
	s_add_co_i32 s1, s7, s1
	s_ashr_i32 s41, s6, 31
	v_add_co_u32 v1, s4, s4, v3
	s_wait_alu 0xf1ff
	v_add_co_ci_u32_e64 v2, null, s5, 0, s4
	s_and_b32 s30, s1, 0xffffff00
	v_add_co_u32 v11, vcc_lo, v1, s38
	s_wait_alu 0xfffd
	v_add_co_ci_u32_e64 v12, null, s39, v2, vcc_lo
	v_mad_co_i64_i32 v[1:2], null, s6, v0, 0
	v_or_b32_e32 v4, s30, v0
	s_mov_b32 s40, s6
	v_cmp_eq_u32_e64 s0, 0, v0
	s_cmp_gt_i32 s7, 0xff
	v_cmp_gt_u32_e64 s2, 0x80, v0
	v_cmp_gt_i32_e64 s1, s7, v4
	v_lshlrev_b64_e32 v[1:2], 1, v[1:2]
	v_mad_co_i64_i32 v[4:5], null, s6, v4, 0
	v_cmp_gt_u32_e64 s3, 64, v0
	v_cmp_gt_u32_e64 s4, 32, v0
	v_cmp_gt_u32_e64 s5, 16, v0
	v_cmp_gt_u32_e64 s6, 8, v0
	v_cmp_gt_u32_e64 s7, 4, v0
	v_cmp_gt_u32_e64 s8, 2, v0
	v_add_co_u32 v0, vcc_lo, s18, v1
	s_add_nc_u64 s[16:17], s[16:17], s[42:43]
	s_wait_alu 0xfffd
	v_add_co_ci_u32_e64 v1, null, s19, v2, vcc_lo
	v_add_co_u32 v2, s9, s16, v3
	v_lshlrev_b64_e32 v[4:5], 1, v[4:5]
	v_add_co_ci_u32_e64 v3, null, s17, 0, s9
	s_cselect_b32 s46, -1, 0
	s_ashr_i32 s31, s30, 31
	s_lshl_b64 s[36:37], s[20:21], 1
	s_lshl_b64 s[38:39], s[40:41], 9
	;; [unrolled: 1-line block ×4, first 2 shown]
	s_wait_alu 0xfffe
	s_lshl_b64 s[42:43], s[30:31], 1
	s_branch .LBB648_4
.LBB648_2:                              ;   in Loop: Header=BB648_4 Depth=1
	s_wait_alu 0xfffe
	s_or_b32 exec_lo, exec_lo, s31
.LBB648_3:                              ;   in Loop: Header=BB648_4 Depth=1
	s_add_co_i32 s10, s10, 0x10000
	s_wait_alu 0xfffe
	s_cmp_lt_u32 s10, s33
	s_cbranch_scc0 .LBB648_49
.LBB648_4:                              ; =>This Loop Header: Depth=1
                                        ;     Child Loop BB648_16 Depth 2
	s_mul_u64 s[44:45], s[14:15], s[10:11]
	s_mul_u64 s[48:49], s[24:25], s[10:11]
	s_lshl_b64 s[44:45], s[44:45], 2
	s_wait_alu 0xfffe
	s_lshl_b64 s[48:49], s[48:49], 2
	s_add_nc_u64 s[44:45], s[12:13], s[44:45]
	s_wait_alu 0xfffe
	s_add_nc_u64 s[48:49], s[22:23], s[48:49]
	s_clause 0x1
	global_load_b32 v15, v10, s[44:45]
	global_load_b32 v14, v10, s[48:49]
	s_wait_loadcnt 0x1
	v_cmp_eq_f32_e32 vcc_lo, 0, v15
	s_wait_loadcnt 0x0
	v_cmp_eq_f32_e64 s9, 1.0, v14
	s_and_b32 s9, vcc_lo, s9
	s_wait_alu 0xfffe
	s_and_b32 vcc_lo, exec_lo, s9
	s_wait_alu 0xfffe
	s_cbranch_vccnz .LBB648_3
; %bb.5:                                ;   in Loop: Header=BB648_4 Depth=1
	v_cmp_neq_f32_e32 vcc_lo, 0, v15
	s_mul_u64 s[44:45], s[34:35], s[10:11]
	s_delay_alu instid0(SALU_CYCLE_1) | instskip(NEXT) | instid1(SALU_CYCLE_1)
	s_lshl_b64 s[44:45], s[44:45], 2
	s_add_nc_u64 s[44:45], s[26:27], s[44:45]
	s_cbranch_vccnz .LBB648_9
; %bb.6:                                ;   in Loop: Header=BB648_4 Depth=1
	s_mov_b32 s31, 0
	s_mov_b32 s9, 0
                                        ; implicit-def: $vgpr6
	s_and_saveexec_b32 s47, s0
	s_cbranch_execz .LBB648_10
; %bb.7:                                ;   in Loop: Header=BB648_4 Depth=1
	v_cmp_eq_f32_e32 vcc_lo, 0, v14
	s_cbranch_vccnz .LBB648_11
; %bb.8:                                ;   in Loop: Header=BB648_4 Depth=1
	s_add_nc_u64 s[48:49], s[44:45], s[40:41]
	global_load_b32 v6, v10, s[48:49]
	s_wait_loadcnt 0x0
	v_mul_f32_e32 v6, v14, v6
	s_branch .LBB648_12
.LBB648_9:                              ;   in Loop: Header=BB648_4 Depth=1
	s_mov_b32 s9, 0
                                        ; implicit-def: $vgpr6
	s_cbranch_execnz .LBB648_13
	s_branch .LBB648_47
.LBB648_10:                             ;   in Loop: Header=BB648_4 Depth=1
	s_or_b32 exec_lo, exec_lo, s47
	s_wait_alu 0xfffe
	s_and_b32 vcc_lo, exec_lo, s31
	s_wait_alu 0xfffe
	s_cbranch_vccnz .LBB648_13
	s_branch .LBB648_47
.LBB648_11:                             ;   in Loop: Header=BB648_4 Depth=1
	v_mov_b32_e32 v6, 0
.LBB648_12:                             ;   in Loop: Header=BB648_4 Depth=1
	s_mov_b32 s9, exec_lo
	s_or_b32 exec_lo, exec_lo, s47
	s_wait_alu 0xfffe
	s_and_b32 vcc_lo, exec_lo, s31
	s_wait_alu 0xfffe
	s_cbranch_vccz .LBB648_47
.LBB648_13:                             ;   in Loop: Header=BB648_4 Depth=1
	v_mov_b32_e32 v16, 0
	s_and_not1_b32 vcc_lo, exec_lo, s46
	s_wait_alu 0xfffe
	s_cbranch_vccnz .LBB648_20
; %bb.14:                               ;   in Loop: Header=BB648_4 Depth=1
	v_mad_co_u64_u32 v[6:7], null, s36, s10, v[0:1]
	v_mad_co_u64_u32 v[8:9], null, s16, s10, v[2:3]
	s_mov_b32 s31, 0
	v_mad_co_u64_u32 v[16:17], null, s37, s10, v[7:8]
	v_mad_co_u64_u32 v[17:18], null, s17, s10, v[9:10]
	s_delay_alu instid0(VALU_DEP_2) | instskip(NEXT) | instid1(VALU_DEP_2)
	v_dual_mov_b32 v7, v16 :: v_dual_mov_b32 v16, 0
	v_mov_b32_e32 v9, v17
	s_branch .LBB648_16
.LBB648_15:                             ;   in Loop: Header=BB648_16 Depth=2
	s_or_b32 exec_lo, exec_lo, s47
	s_delay_alu instid0(VALU_DEP_1)
	v_and_b32_e32 v17, 0xffff0000, v18
	v_add_co_u32 v6, vcc_lo, v6, s38
	s_wait_alu 0xfffd
	v_add_co_ci_u32_e64 v7, null, s39, v7, vcc_lo
	v_add_co_u32 v8, vcc_lo, 0x200, v8
	v_add_f32_e32 v16, v16, v17
	s_wait_alu 0xfffd
	v_add_co_ci_u32_e64 v9, null, 0, v9, vcc_lo
	s_wait_alu 0xfffe
	s_addk_co_i32 s31, 0x100
	s_wait_alu 0xfffe
	s_cmp_ge_i32 s31, s30
	s_cbranch_scc1 .LBB648_20
.LBB648_16:                             ;   Parent Loop BB648_4 Depth=1
                                        ; =>  This Inner Loop Header: Depth=2
	global_load_u16 v17, v[6:7], off
	global_load_u16 v18, v[8:9], off
	s_wait_loadcnt 0x1
	v_lshlrev_b32_e32 v17, 16, v17
	s_wait_loadcnt 0x0
	v_lshlrev_b32_e32 v18, 16, v18
	s_delay_alu instid0(VALU_DEP_1) | instskip(NEXT) | instid1(VALU_DEP_1)
	v_mul_f32_e32 v17, v18, v17
	v_and_b32_e32 v18, 0x7f800000, v17
	s_delay_alu instid0(VALU_DEP_1) | instskip(SKIP_1) | instid1(SALU_CYCLE_1)
	v_cmp_ne_u32_e32 vcc_lo, 0x7f800000, v18
                                        ; implicit-def: $vgpr18
	s_and_saveexec_b32 s47, vcc_lo
	s_xor_b32 s47, exec_lo, s47
; %bb.17:                               ;   in Loop: Header=BB648_16 Depth=2
	v_bfe_u32 v18, v17, 16, 1
	s_delay_alu instid0(VALU_DEP_1)
	v_add3_u32 v18, v17, v18, 0x7fff
                                        ; implicit-def: $vgpr17
; %bb.18:                               ;   in Loop: Header=BB648_16 Depth=2
	s_and_not1_saveexec_b32 s47, s47
	s_cbranch_execz .LBB648_15
; %bb.19:                               ;   in Loop: Header=BB648_16 Depth=2
	v_and_b32_e32 v18, 0xffff, v17
	v_or_b32_e32 v19, 0x10000, v17
	s_delay_alu instid0(VALU_DEP_2) | instskip(SKIP_1) | instid1(VALU_DEP_2)
	v_cmp_eq_u32_e32 vcc_lo, 0, v18
	s_wait_alu 0xfffd
	v_cndmask_b32_e32 v18, v19, v17, vcc_lo
	s_branch .LBB648_15
.LBB648_20:                             ;   in Loop: Header=BB648_4 Depth=1
	s_and_saveexec_b32 s31, s1
	s_cbranch_execz .LBB648_26
; %bb.21:                               ;   in Loop: Header=BB648_4 Depth=1
	s_mul_u64 s[48:49], s[28:29], s[10:11]
	s_mul_u64 s[50:51], s[20:21], s[10:11]
	s_wait_alu 0xfffe
	s_lshl_b64 s[48:49], s[48:49], 1
	s_lshl_b64 s[50:51], s[50:51], 1
	s_wait_alu 0xfffe
	v_add_co_u32 v8, vcc_lo, v11, s48
	s_wait_alu 0xfffd
	v_add_co_ci_u32_e64 v9, null, s49, v12, vcc_lo
	s_add_nc_u64 s[48:49], s[18:19], s[50:51]
	s_wait_alu 0xfffe
	v_add_co_u32 v6, vcc_lo, s48, v4
	s_wait_alu 0xfffd
	v_add_co_ci_u32_e64 v7, null, s49, v5, vcc_lo
	v_add_co_u32 v8, vcc_lo, v8, s42
	s_wait_alu 0xfffd
	v_add_co_ci_u32_e64 v9, null, s43, v9, vcc_lo
	global_load_u16 v6, v[6:7], off
	global_load_u16 v7, v[8:9], off
	s_wait_loadcnt 0x1
	v_lshlrev_b32_e32 v6, 16, v6
	s_wait_loadcnt 0x0
	v_lshlrev_b32_e32 v7, 16, v7
	s_delay_alu instid0(VALU_DEP_1) | instskip(NEXT) | instid1(VALU_DEP_1)
	v_mul_f32_e32 v6, v7, v6
	v_and_b32_e32 v7, 0x7f800000, v6
	s_delay_alu instid0(VALU_DEP_1) | instskip(SKIP_1) | instid1(SALU_CYCLE_1)
	v_cmp_ne_u32_e32 vcc_lo, 0x7f800000, v7
                                        ; implicit-def: $vgpr7
	s_and_saveexec_b32 s47, vcc_lo
	s_xor_b32 s47, exec_lo, s47
; %bb.22:                               ;   in Loop: Header=BB648_4 Depth=1
	v_bfe_u32 v7, v6, 16, 1
	s_delay_alu instid0(VALU_DEP_1)
	v_add3_u32 v7, v6, v7, 0x7fff
                                        ; implicit-def: $vgpr6
; %bb.23:                               ;   in Loop: Header=BB648_4 Depth=1
	s_and_not1_saveexec_b32 s47, s47
; %bb.24:                               ;   in Loop: Header=BB648_4 Depth=1
	v_and_b32_e32 v7, 0xffff, v6
	v_or_b32_e32 v8, 0x10000, v6
	s_delay_alu instid0(VALU_DEP_2) | instskip(SKIP_1) | instid1(VALU_DEP_2)
	v_cmp_eq_u32_e32 vcc_lo, 0, v7
	s_wait_alu 0xfffd
	v_cndmask_b32_e32 v7, v8, v6, vcc_lo
; %bb.25:                               ;   in Loop: Header=BB648_4 Depth=1
	s_or_b32 exec_lo, exec_lo, s47
	s_delay_alu instid0(VALU_DEP_1) | instskip(NEXT) | instid1(VALU_DEP_1)
	v_and_b32_e32 v6, 0xffff0000, v7
	v_add_f32_e32 v16, v16, v6
.LBB648_26:                             ;   in Loop: Header=BB648_4 Depth=1
	s_wait_alu 0xfffe
	s_or_b32 exec_lo, exec_lo, s31
	ds_store_b32 v13, v16
	s_wait_dscnt 0x0
	s_barrier_signal -1
	s_barrier_wait -1
	global_inv scope:SCOPE_SE
	s_and_saveexec_b32 s31, s2
	s_cbranch_execz .LBB648_28
; %bb.27:                               ;   in Loop: Header=BB648_4 Depth=1
	ds_load_2addr_stride64_b32 v[6:7], v13 offset1:2
	s_wait_dscnt 0x0
	v_add_f32_e32 v6, v7, v6
	ds_store_b32 v13, v6
.LBB648_28:                             ;   in Loop: Header=BB648_4 Depth=1
	s_wait_alu 0xfffe
	s_or_b32 exec_lo, exec_lo, s31
	s_wait_loadcnt_dscnt 0x0
	s_barrier_signal -1
	s_barrier_wait -1
	global_inv scope:SCOPE_SE
	s_and_saveexec_b32 s31, s3
	s_cbranch_execz .LBB648_30
; %bb.29:                               ;   in Loop: Header=BB648_4 Depth=1
	ds_load_2addr_stride64_b32 v[6:7], v13 offset1:1
	s_wait_dscnt 0x0
	v_add_f32_e32 v6, v7, v6
	ds_store_b32 v13, v6
.LBB648_30:                             ;   in Loop: Header=BB648_4 Depth=1
	s_wait_alu 0xfffe
	s_or_b32 exec_lo, exec_lo, s31
	s_wait_loadcnt_dscnt 0x0
	s_barrier_signal -1
	s_barrier_wait -1
	global_inv scope:SCOPE_SE
	s_and_saveexec_b32 s31, s4
	s_cbranch_execz .LBB648_32
; %bb.31:                               ;   in Loop: Header=BB648_4 Depth=1
	ds_load_2addr_b32 v[6:7], v13 offset1:32
	s_wait_dscnt 0x0
	v_add_f32_e32 v6, v7, v6
	ds_store_b32 v13, v6
.LBB648_32:                             ;   in Loop: Header=BB648_4 Depth=1
	s_wait_alu 0xfffe
	s_or_b32 exec_lo, exec_lo, s31
	s_wait_loadcnt_dscnt 0x0
	s_barrier_signal -1
	s_barrier_wait -1
	global_inv scope:SCOPE_SE
	s_and_saveexec_b32 s31, s5
	s_cbranch_execz .LBB648_34
; %bb.33:                               ;   in Loop: Header=BB648_4 Depth=1
	ds_load_2addr_b32 v[6:7], v13 offset1:16
	s_wait_dscnt 0x0
	v_add_f32_e32 v6, v7, v6
	ds_store_b32 v13, v6
.LBB648_34:                             ;   in Loop: Header=BB648_4 Depth=1
	;; [unrolled: 14-line block ×5, first 2 shown]
	s_wait_alu 0xfffe
	s_or_b32 exec_lo, exec_lo, s31
	s_wait_loadcnt_dscnt 0x0
	s_barrier_signal -1
	s_barrier_wait -1
	global_inv scope:SCOPE_SE
	s_and_saveexec_b32 s31, s0
	s_cbranch_execz .LBB648_42
; %bb.41:                               ;   in Loop: Header=BB648_4 Depth=1
	ds_load_b64 v[6:7], v10
	s_wait_dscnt 0x0
	v_add_f32_e32 v6, v7, v6
	ds_store_b32 v10, v6
.LBB648_42:                             ;   in Loop: Header=BB648_4 Depth=1
	s_wait_alu 0xfffe
	s_or_b32 exec_lo, exec_lo, s31
	s_wait_loadcnt_dscnt 0x0
	s_barrier_signal -1
	s_barrier_wait -1
	global_inv scope:SCOPE_SE
                                        ; implicit-def: $vgpr6
	s_and_saveexec_b32 s31, s0
	s_cbranch_execz .LBB648_46
; %bb.43:                               ;   in Loop: Header=BB648_4 Depth=1
	ds_load_b32 v6, v10
	v_cmp_eq_f32_e32 vcc_lo, 0, v14
	s_wait_dscnt 0x0
	v_mul_f32_e32 v6, v15, v6
	s_cbranch_vccnz .LBB648_45
; %bb.44:                               ;   in Loop: Header=BB648_4 Depth=1
	s_add_nc_u64 s[48:49], s[44:45], s[40:41]
	global_load_b32 v7, v10, s[48:49]
	s_wait_loadcnt 0x0
	v_fmac_f32_e32 v6, v14, v7
.LBB648_45:                             ;   in Loop: Header=BB648_4 Depth=1
	s_or_b32 s9, s9, exec_lo
.LBB648_46:                             ;   in Loop: Header=BB648_4 Depth=1
	s_wait_alu 0xfffe
	s_or_b32 exec_lo, exec_lo, s31
.LBB648_47:                             ;   in Loop: Header=BB648_4 Depth=1
	s_wait_alu 0xfffe
	s_and_saveexec_b32 s31, s9
	s_cbranch_execz .LBB648_2
; %bb.48:                               ;   in Loop: Header=BB648_4 Depth=1
	s_add_nc_u64 s[44:45], s[44:45], s[40:41]
	global_store_b32 v10, v6, s[44:45]
	s_branch .LBB648_2
.LBB648_49:
	s_endpgm
	.section	.rodata,"a",@progbits
	.p2align	6, 0x0
	.amdhsa_kernel _ZL20rocblas_gemvt_kernelILb0ELi256E16rocblas_bfloat16PKffEviiT2_lPKT1_lilS6_lilS3_lPT3_lili
		.amdhsa_group_segment_fixed_size 1024
		.amdhsa_private_segment_fixed_size 0
		.amdhsa_kernarg_size 140
		.amdhsa_user_sgpr_count 2
		.amdhsa_user_sgpr_dispatch_ptr 0
		.amdhsa_user_sgpr_queue_ptr 0
		.amdhsa_user_sgpr_kernarg_segment_ptr 1
		.amdhsa_user_sgpr_dispatch_id 0
		.amdhsa_user_sgpr_private_segment_size 0
		.amdhsa_wavefront_size32 1
		.amdhsa_uses_dynamic_stack 0
		.amdhsa_enable_private_segment 0
		.amdhsa_system_sgpr_workgroup_id_x 1
		.amdhsa_system_sgpr_workgroup_id_y 0
		.amdhsa_system_sgpr_workgroup_id_z 1
		.amdhsa_system_sgpr_workgroup_info 0
		.amdhsa_system_vgpr_workitem_id 0
		.amdhsa_next_free_vgpr 20
		.amdhsa_next_free_sgpr 52
		.amdhsa_reserve_vcc 1
		.amdhsa_float_round_mode_32 0
		.amdhsa_float_round_mode_16_64 0
		.amdhsa_float_denorm_mode_32 3
		.amdhsa_float_denorm_mode_16_64 3
		.amdhsa_fp16_overflow 0
		.amdhsa_workgroup_processor_mode 1
		.amdhsa_memory_ordered 1
		.amdhsa_forward_progress 1
		.amdhsa_inst_pref_size 15
		.amdhsa_round_robin_scheduling 0
		.amdhsa_exception_fp_ieee_invalid_op 0
		.amdhsa_exception_fp_denorm_src 0
		.amdhsa_exception_fp_ieee_div_zero 0
		.amdhsa_exception_fp_ieee_overflow 0
		.amdhsa_exception_fp_ieee_underflow 0
		.amdhsa_exception_fp_ieee_inexact 0
		.amdhsa_exception_int_div_zero 0
	.end_amdhsa_kernel
	.section	.text._ZL20rocblas_gemvt_kernelILb0ELi256E16rocblas_bfloat16PKffEviiT2_lPKT1_lilS6_lilS3_lPT3_lili,"axG",@progbits,_ZL20rocblas_gemvt_kernelILb0ELi256E16rocblas_bfloat16PKffEviiT2_lPKT1_lilS6_lilS3_lPT3_lili,comdat
.Lfunc_end648:
	.size	_ZL20rocblas_gemvt_kernelILb0ELi256E16rocblas_bfloat16PKffEviiT2_lPKT1_lilS6_lilS3_lPT3_lili, .Lfunc_end648-_ZL20rocblas_gemvt_kernelILb0ELi256E16rocblas_bfloat16PKffEviiT2_lPKT1_lilS6_lilS3_lPT3_lili
                                        ; -- End function
	.set _ZL20rocblas_gemvt_kernelILb0ELi256E16rocblas_bfloat16PKffEviiT2_lPKT1_lilS6_lilS3_lPT3_lili.num_vgpr, 20
	.set _ZL20rocblas_gemvt_kernelILb0ELi256E16rocblas_bfloat16PKffEviiT2_lPKT1_lilS6_lilS3_lPT3_lili.num_agpr, 0
	.set _ZL20rocblas_gemvt_kernelILb0ELi256E16rocblas_bfloat16PKffEviiT2_lPKT1_lilS6_lilS3_lPT3_lili.numbered_sgpr, 52
	.set _ZL20rocblas_gemvt_kernelILb0ELi256E16rocblas_bfloat16PKffEviiT2_lPKT1_lilS6_lilS3_lPT3_lili.num_named_barrier, 0
	.set _ZL20rocblas_gemvt_kernelILb0ELi256E16rocblas_bfloat16PKffEviiT2_lPKT1_lilS6_lilS3_lPT3_lili.private_seg_size, 0
	.set _ZL20rocblas_gemvt_kernelILb0ELi256E16rocblas_bfloat16PKffEviiT2_lPKT1_lilS6_lilS3_lPT3_lili.uses_vcc, 1
	.set _ZL20rocblas_gemvt_kernelILb0ELi256E16rocblas_bfloat16PKffEviiT2_lPKT1_lilS6_lilS3_lPT3_lili.uses_flat_scratch, 0
	.set _ZL20rocblas_gemvt_kernelILb0ELi256E16rocblas_bfloat16PKffEviiT2_lPKT1_lilS6_lilS3_lPT3_lili.has_dyn_sized_stack, 0
	.set _ZL20rocblas_gemvt_kernelILb0ELi256E16rocblas_bfloat16PKffEviiT2_lPKT1_lilS6_lilS3_lPT3_lili.has_recursion, 0
	.set _ZL20rocblas_gemvt_kernelILb0ELi256E16rocblas_bfloat16PKffEviiT2_lPKT1_lilS6_lilS3_lPT3_lili.has_indirect_call, 0
	.section	.AMDGPU.csdata,"",@progbits
; Kernel info:
; codeLenInByte = 1912
; TotalNumSgprs: 54
; NumVgprs: 20
; ScratchSize: 0
; MemoryBound: 0
; FloatMode: 240
; IeeeMode: 1
; LDSByteSize: 1024 bytes/workgroup (compile time only)
; SGPRBlocks: 0
; VGPRBlocks: 2
; NumSGPRsForWavesPerEU: 54
; NumVGPRsForWavesPerEU: 20
; Occupancy: 16
; WaveLimiterHint : 0
; COMPUTE_PGM_RSRC2:SCRATCH_EN: 0
; COMPUTE_PGM_RSRC2:USER_SGPR: 2
; COMPUTE_PGM_RSRC2:TRAP_HANDLER: 0
; COMPUTE_PGM_RSRC2:TGID_X_EN: 1
; COMPUTE_PGM_RSRC2:TGID_Y_EN: 0
; COMPUTE_PGM_RSRC2:TGID_Z_EN: 1
; COMPUTE_PGM_RSRC2:TIDIG_COMP_CNT: 0
	.section	.text._ZL20rocblas_gemvt_kernelILb0ELi256E16rocblas_bfloat16ffEviiT2_lPKT1_lilS4_lilS1_lPT3_lili,"axG",@progbits,_ZL20rocblas_gemvt_kernelILb0ELi256E16rocblas_bfloat16ffEviiT2_lPKT1_lilS4_lilS1_lPT3_lili,comdat
	.globl	_ZL20rocblas_gemvt_kernelILb0ELi256E16rocblas_bfloat16ffEviiT2_lPKT1_lilS4_lilS1_lPT3_lili ; -- Begin function _ZL20rocblas_gemvt_kernelILb0ELi256E16rocblas_bfloat16ffEviiT2_lPKT1_lilS4_lilS1_lPT3_lili
	.p2align	8
	.type	_ZL20rocblas_gemvt_kernelILb0ELi256E16rocblas_bfloat16ffEviiT2_lPKT1_lilS4_lilS1_lPT3_lili,@function
_ZL20rocblas_gemvt_kernelILb0ELi256E16rocblas_bfloat16ffEviiT2_lPKT1_lilS4_lilS1_lPT3_lili: ; @_ZL20rocblas_gemvt_kernelILb0ELi256E16rocblas_bfloat16ffEviiT2_lPKT1_lilS4_lilS1_lPT3_lili
; %bb.0:
	s_load_b32 s9, s[0:1], 0x88
	s_lshr_b32 s10, ttmp7, 16
	s_wait_kmcnt 0x0
	s_cmp_ge_u32 s10, s9
	s_cbranch_scc1 .LBB649_49
; %bb.1:
	s_clause 0x9
	s_load_b32 s26, s[0:1], 0x28
	s_load_b96 s[4:6], s[0:1], 0x40
	s_load_b32 s34, s[0:1], 0x78
	s_load_b128 s[28:31], s[0:1], 0x68
	s_load_b128 s[16:19], s[0:1], 0x18
	s_load_b32 s23, s[0:1], 0x8
	s_load_b96 s[20:22], s[0:1], 0x50
	s_load_b32 s7, s[0:1], 0x0
	s_load_b128 s[12:15], s[0:1], 0x30
	s_load_b64 s[24:25], s[0:1], 0x80
	s_mov_b32 s2, ttmp9
	v_cmp_eq_u32_e64 s0, 0, v0
	v_lshlrev_b32_e32 v13, 2, v0
	v_cmp_gt_u32_e64 s8, 2, v0
	s_mov_b32 s11, 0
	s_wait_kmcnt 0x0
	s_ashr_i32 s27, s26, 31
	s_ashr_i32 s37, s6, 31
	;; [unrolled: 1-line block ×3, first 2 shown]
	s_lshl_b64 s[4:5], s[4:5], 1
	s_lshl_b64 s[30:31], s[30:31], 2
	;; [unrolled: 1-line block ×3, first 2 shown]
	s_cmp_eq_f32 s23, 0
	v_cmp_gt_i32_e32 vcc_lo, s7, v0
	v_mov_b32_e32 v10, 0
	s_add_nc_u64 s[14:15], s[14:15], s[4:5]
	s_cselect_b32 s33, -1, 0
	s_cmp_neq_f32 s23, 0
	v_cndmask_b32_e32 v1, 0, v0, vcc_lo
	s_add_nc_u64 s[4:5], s[16:17], s[38:39]
	s_add_nc_u64 s[18:19], s[28:29], s[30:31]
	s_cselect_b32 s1, -1, 0
	s_cmp_neq_f32 s22, 1.0
	v_lshlrev_b32_e32 v3, 1, v1
	s_mov_b32 s36, s6
	s_cselect_b32 s3, -1, 0
	s_delay_alu instid0(SALU_CYCLE_1)
	s_or_b32 s40, s1, s3
	s_cmp_neq_f32 s22, 0
	v_add_co_u32 v1, s4, s4, v3
	s_wait_alu 0xf1ff
	v_add_co_ci_u32_e64 v2, null, s5, 0, s4
	s_cselect_b32 s41, -1, 0
	s_ashr_i32 s3, ttmp9, 31
	s_ashr_i32 s1, s7, 31
	s_mul_u64 s[28:29], s[26:27], s[2:3]
	s_lshr_b32 s1, s1, 24
	s_lshl_b64 s[30:31], s[28:29], 1
	s_add_co_i32 s1, s7, s1
	v_add_co_u32 v11, vcc_lo, v1, s30
	s_wait_alu 0xfffd
	v_add_co_ci_u32_e64 v12, null, s31, v2, vcc_lo
	v_mad_co_i64_i32 v[1:2], null, s6, v0, 0
	s_and_b32 s26, s1, 0xffffff00
	s_add_nc_u64 s[38:39], s[30:31], s[38:39]
	v_or_b32_e32 v4, s26, v0
	s_mul_u64 s[34:35], s[34:35], s[2:3]
	s_cmp_gt_i32 s7, 0xff
	v_cmp_gt_u32_e64 s2, 0x80, v0
	v_lshlrev_b64_e32 v[1:2], 1, v[1:2]
	v_cmp_gt_i32_e64 s1, s7, v4
	v_mad_co_i64_i32 v[4:5], null, s6, v4, 0
	v_cmp_gt_u32_e64 s3, 64, v0
	v_cmp_gt_u32_e64 s4, 32, v0
	;; [unrolled: 1-line block ×5, first 2 shown]
	v_add_co_u32 v0, vcc_lo, s14, v1
	s_add_nc_u64 s[16:17], s[16:17], s[38:39]
	s_wait_alu 0xfffd
	v_add_co_ci_u32_e64 v1, null, s15, v2, vcc_lo
	v_add_co_u32 v2, s16, s16, v3
	v_lshlrev_b64_e32 v[4:5], 1, v[4:5]
	s_wait_alu 0xf1ff
	v_add_co_ci_u32_e64 v3, null, s17, 0, s16
	s_cselect_b32 s42, -1, 0
	s_ashr_i32 s27, s26, 31
	s_lshl_b64 s[28:29], s[20:21], 1
	s_lshl_b64 s[30:31], s[36:37], 9
	;; [unrolled: 1-line block ×4, first 2 shown]
	s_wait_alu 0xfffe
	s_lshl_b64 s[36:37], s[26:27], 1
	s_branch .LBB649_4
.LBB649_2:                              ;   in Loop: Header=BB649_4 Depth=1
	s_or_b32 exec_lo, exec_lo, s43
.LBB649_3:                              ;   in Loop: Header=BB649_4 Depth=1
	s_add_co_i32 s10, s10, 0x10000
	s_wait_alu 0xfffe
	s_cmp_lt_u32 s10, s9
	s_cbranch_scc0 .LBB649_49
.LBB649_4:                              ; =>This Loop Header: Depth=1
                                        ;     Child Loop BB649_16 Depth 2
	s_and_not1_b32 vcc_lo, exec_lo, s40
	s_wait_alu 0xfffe
	s_cbranch_vccnz .LBB649_3
; %bb.5:                                ;   in Loop: Header=BB649_4 Depth=1
	s_mul_u64 s[38:39], s[24:25], s[10:11]
	s_and_not1_b32 vcc_lo, exec_lo, s33
	s_lshl_b64 s[38:39], s[38:39], 2
	s_delay_alu instid0(SALU_CYCLE_1)
	s_add_nc_u64 s[38:39], s[18:19], s[38:39]
	s_wait_alu 0xfffe
	s_cbranch_vccnz .LBB649_9
; %bb.6:                                ;   in Loop: Header=BB649_4 Depth=1
	s_mov_b32 s43, 0
	s_mov_b32 s27, 0
                                        ; implicit-def: $vgpr6
	s_and_saveexec_b32 s44, s0
	s_cbranch_execz .LBB649_10
; %bb.7:                                ;   in Loop: Header=BB649_4 Depth=1
	s_and_not1_b32 vcc_lo, exec_lo, s41
	s_wait_alu 0xfffe
	s_cbranch_vccnz .LBB649_11
; %bb.8:                                ;   in Loop: Header=BB649_4 Depth=1
	s_add_nc_u64 s[46:47], s[38:39], s[34:35]
	global_load_b32 v6, v10, s[46:47]
	s_wait_loadcnt 0x0
	v_mul_f32_e32 v6, s22, v6
	s_branch .LBB649_12
.LBB649_9:                              ;   in Loop: Header=BB649_4 Depth=1
	s_mov_b32 s27, 0
                                        ; implicit-def: $vgpr6
	s_cbranch_execnz .LBB649_13
	s_branch .LBB649_47
.LBB649_10:                             ;   in Loop: Header=BB649_4 Depth=1
	s_wait_alu 0xfffe
	s_or_b32 exec_lo, exec_lo, s44
	s_delay_alu instid0(SALU_CYCLE_1)
	s_and_b32 vcc_lo, exec_lo, s43
	s_wait_alu 0xfffe
	s_cbranch_vccnz .LBB649_13
	s_branch .LBB649_47
.LBB649_11:                             ;   in Loop: Header=BB649_4 Depth=1
	v_mov_b32_e32 v6, 0
.LBB649_12:                             ;   in Loop: Header=BB649_4 Depth=1
	s_mov_b32 s27, exec_lo
	s_or_b32 exec_lo, exec_lo, s44
	s_delay_alu instid0(SALU_CYCLE_1)
	s_and_b32 vcc_lo, exec_lo, s43
	s_wait_alu 0xfffe
	s_cbranch_vccz .LBB649_47
.LBB649_13:                             ;   in Loop: Header=BB649_4 Depth=1
	v_mov_b32_e32 v14, 0
	s_and_not1_b32 vcc_lo, exec_lo, s42
	s_wait_alu 0xfffe
	s_cbranch_vccnz .LBB649_20
; %bb.14:                               ;   in Loop: Header=BB649_4 Depth=1
	v_mad_co_u64_u32 v[6:7], null, s28, s10, v[0:1]
	v_mad_co_u64_u32 v[8:9], null, s16, s10, v[2:3]
	s_mov_b32 s43, 0
	v_mad_co_u64_u32 v[14:15], null, s29, s10, v[7:8]
	v_mad_co_u64_u32 v[15:16], null, s17, s10, v[9:10]
	s_delay_alu instid0(VALU_DEP_2) | instskip(NEXT) | instid1(VALU_DEP_2)
	v_dual_mov_b32 v7, v14 :: v_dual_mov_b32 v14, 0
	v_mov_b32_e32 v9, v15
	s_branch .LBB649_16
.LBB649_15:                             ;   in Loop: Header=BB649_16 Depth=2
	s_wait_alu 0xfffe
	s_or_b32 exec_lo, exec_lo, s44
	s_delay_alu instid0(VALU_DEP_1)
	v_and_b32_e32 v15, 0xffff0000, v16
	v_add_co_u32 v6, vcc_lo, v6, s30
	s_wait_alu 0xfffd
	v_add_co_ci_u32_e64 v7, null, s31, v7, vcc_lo
	v_add_co_u32 v8, vcc_lo, 0x200, v8
	v_add_f32_e32 v14, v14, v15
	s_wait_alu 0xfffd
	v_add_co_ci_u32_e64 v9, null, 0, v9, vcc_lo
	s_addk_co_i32 s43, 0x100
	s_delay_alu instid0(SALU_CYCLE_1)
	s_cmp_ge_i32 s43, s26
	s_cbranch_scc1 .LBB649_20
.LBB649_16:                             ;   Parent Loop BB649_4 Depth=1
                                        ; =>  This Inner Loop Header: Depth=2
	global_load_u16 v15, v[6:7], off
	global_load_u16 v16, v[8:9], off
	s_wait_loadcnt 0x1
	v_lshlrev_b32_e32 v15, 16, v15
	s_wait_loadcnt 0x0
	v_lshlrev_b32_e32 v16, 16, v16
	s_delay_alu instid0(VALU_DEP_1) | instskip(NEXT) | instid1(VALU_DEP_1)
	v_mul_f32_e32 v15, v16, v15
	v_and_b32_e32 v16, 0x7f800000, v15
	s_delay_alu instid0(VALU_DEP_1)
	v_cmp_ne_u32_e32 vcc_lo, 0x7f800000, v16
                                        ; implicit-def: $vgpr16
	s_and_saveexec_b32 s44, vcc_lo
	s_wait_alu 0xfffe
	s_xor_b32 s44, exec_lo, s44
; %bb.17:                               ;   in Loop: Header=BB649_16 Depth=2
	v_bfe_u32 v16, v15, 16, 1
	s_delay_alu instid0(VALU_DEP_1)
	v_add3_u32 v16, v15, v16, 0x7fff
                                        ; implicit-def: $vgpr15
; %bb.18:                               ;   in Loop: Header=BB649_16 Depth=2
	s_wait_alu 0xfffe
	s_and_not1_saveexec_b32 s44, s44
	s_cbranch_execz .LBB649_15
; %bb.19:                               ;   in Loop: Header=BB649_16 Depth=2
	v_and_b32_e32 v16, 0xffff, v15
	v_or_b32_e32 v17, 0x10000, v15
	s_delay_alu instid0(VALU_DEP_2) | instskip(SKIP_1) | instid1(VALU_DEP_2)
	v_cmp_eq_u32_e32 vcc_lo, 0, v16
	s_wait_alu 0xfffd
	v_cndmask_b32_e32 v16, v17, v15, vcc_lo
	s_branch .LBB649_15
.LBB649_20:                             ;   in Loop: Header=BB649_4 Depth=1
	s_and_saveexec_b32 s43, s1
	s_cbranch_execz .LBB649_26
; %bb.21:                               ;   in Loop: Header=BB649_4 Depth=1
	s_mul_u64 s[44:45], s[12:13], s[10:11]
	s_mul_u64 s[46:47], s[20:21], s[10:11]
	s_wait_alu 0xfffe
	s_lshl_b64 s[44:45], s[44:45], 1
	s_lshl_b64 s[46:47], s[46:47], 1
	s_wait_alu 0xfffe
	v_add_co_u32 v8, vcc_lo, v11, s44
	s_wait_alu 0xfffd
	v_add_co_ci_u32_e64 v9, null, s45, v12, vcc_lo
	s_add_nc_u64 s[44:45], s[14:15], s[46:47]
	s_wait_alu 0xfffe
	v_add_co_u32 v6, vcc_lo, s44, v4
	s_wait_alu 0xfffd
	v_add_co_ci_u32_e64 v7, null, s45, v5, vcc_lo
	v_add_co_u32 v8, vcc_lo, v8, s36
	s_wait_alu 0xfffd
	v_add_co_ci_u32_e64 v9, null, s37, v9, vcc_lo
	global_load_u16 v6, v[6:7], off
	global_load_u16 v7, v[8:9], off
	s_wait_loadcnt 0x1
	v_lshlrev_b32_e32 v6, 16, v6
	s_wait_loadcnt 0x0
	v_lshlrev_b32_e32 v7, 16, v7
	s_delay_alu instid0(VALU_DEP_1) | instskip(NEXT) | instid1(VALU_DEP_1)
	v_mul_f32_e32 v6, v7, v6
	v_and_b32_e32 v7, 0x7f800000, v6
	s_delay_alu instid0(VALU_DEP_1)
	v_cmp_ne_u32_e32 vcc_lo, 0x7f800000, v7
                                        ; implicit-def: $vgpr7
	s_and_saveexec_b32 s44, vcc_lo
	s_wait_alu 0xfffe
	s_xor_b32 s44, exec_lo, s44
; %bb.22:                               ;   in Loop: Header=BB649_4 Depth=1
	v_bfe_u32 v7, v6, 16, 1
	s_delay_alu instid0(VALU_DEP_1)
	v_add3_u32 v7, v6, v7, 0x7fff
                                        ; implicit-def: $vgpr6
; %bb.23:                               ;   in Loop: Header=BB649_4 Depth=1
	s_wait_alu 0xfffe
	s_and_not1_saveexec_b32 s44, s44
; %bb.24:                               ;   in Loop: Header=BB649_4 Depth=1
	v_and_b32_e32 v7, 0xffff, v6
	v_or_b32_e32 v8, 0x10000, v6
	s_delay_alu instid0(VALU_DEP_2) | instskip(SKIP_1) | instid1(VALU_DEP_2)
	v_cmp_eq_u32_e32 vcc_lo, 0, v7
	s_wait_alu 0xfffd
	v_cndmask_b32_e32 v7, v8, v6, vcc_lo
; %bb.25:                               ;   in Loop: Header=BB649_4 Depth=1
	s_wait_alu 0xfffe
	s_or_b32 exec_lo, exec_lo, s44
	s_delay_alu instid0(VALU_DEP_1) | instskip(NEXT) | instid1(VALU_DEP_1)
	v_and_b32_e32 v6, 0xffff0000, v7
	v_add_f32_e32 v14, v14, v6
.LBB649_26:                             ;   in Loop: Header=BB649_4 Depth=1
	s_or_b32 exec_lo, exec_lo, s43
	ds_store_b32 v13, v14
	s_wait_dscnt 0x0
	s_barrier_signal -1
	s_barrier_wait -1
	global_inv scope:SCOPE_SE
	s_and_saveexec_b32 s43, s2
	s_cbranch_execz .LBB649_28
; %bb.27:                               ;   in Loop: Header=BB649_4 Depth=1
	ds_load_2addr_stride64_b32 v[6:7], v13 offset1:2
	s_wait_dscnt 0x0
	v_add_f32_e32 v6, v7, v6
	ds_store_b32 v13, v6
.LBB649_28:                             ;   in Loop: Header=BB649_4 Depth=1
	s_or_b32 exec_lo, exec_lo, s43
	s_wait_loadcnt_dscnt 0x0
	s_barrier_signal -1
	s_barrier_wait -1
	global_inv scope:SCOPE_SE
	s_and_saveexec_b32 s43, s3
	s_cbranch_execz .LBB649_30
; %bb.29:                               ;   in Loop: Header=BB649_4 Depth=1
	ds_load_2addr_stride64_b32 v[6:7], v13 offset1:1
	s_wait_dscnt 0x0
	v_add_f32_e32 v6, v7, v6
	ds_store_b32 v13, v6
.LBB649_30:                             ;   in Loop: Header=BB649_4 Depth=1
	s_or_b32 exec_lo, exec_lo, s43
	s_wait_loadcnt_dscnt 0x0
	s_barrier_signal -1
	s_barrier_wait -1
	global_inv scope:SCOPE_SE
	s_and_saveexec_b32 s43, s4
	s_cbranch_execz .LBB649_32
; %bb.31:                               ;   in Loop: Header=BB649_4 Depth=1
	ds_load_2addr_b32 v[6:7], v13 offset1:32
	s_wait_dscnt 0x0
	v_add_f32_e32 v6, v7, v6
	ds_store_b32 v13, v6
.LBB649_32:                             ;   in Loop: Header=BB649_4 Depth=1
	s_or_b32 exec_lo, exec_lo, s43
	s_wait_loadcnt_dscnt 0x0
	s_barrier_signal -1
	s_barrier_wait -1
	global_inv scope:SCOPE_SE
	s_and_saveexec_b32 s43, s5
	s_cbranch_execz .LBB649_34
; %bb.33:                               ;   in Loop: Header=BB649_4 Depth=1
	ds_load_2addr_b32 v[6:7], v13 offset1:16
	s_wait_dscnt 0x0
	v_add_f32_e32 v6, v7, v6
	ds_store_b32 v13, v6
.LBB649_34:                             ;   in Loop: Header=BB649_4 Depth=1
	;; [unrolled: 13-line block ×5, first 2 shown]
	s_or_b32 exec_lo, exec_lo, s43
	s_wait_loadcnt_dscnt 0x0
	s_barrier_signal -1
	s_barrier_wait -1
	global_inv scope:SCOPE_SE
	s_and_saveexec_b32 s43, s0
	s_cbranch_execz .LBB649_42
; %bb.41:                               ;   in Loop: Header=BB649_4 Depth=1
	ds_load_b64 v[6:7], v10
	s_wait_dscnt 0x0
	v_add_f32_e32 v6, v7, v6
	ds_store_b32 v10, v6
.LBB649_42:                             ;   in Loop: Header=BB649_4 Depth=1
	s_or_b32 exec_lo, exec_lo, s43
	s_wait_loadcnt_dscnt 0x0
	s_barrier_signal -1
	s_barrier_wait -1
	global_inv scope:SCOPE_SE
                                        ; implicit-def: $vgpr6
	s_and_saveexec_b32 s43, s0
	s_cbranch_execz .LBB649_46
; %bb.43:                               ;   in Loop: Header=BB649_4 Depth=1
	ds_load_b32 v6, v10
	s_and_not1_b32 vcc_lo, exec_lo, s41
	s_wait_dscnt 0x0
	v_mul_f32_e32 v6, s23, v6
	s_wait_alu 0xfffe
	s_cbranch_vccnz .LBB649_45
; %bb.44:                               ;   in Loop: Header=BB649_4 Depth=1
	s_add_nc_u64 s[44:45], s[38:39], s[34:35]
	global_load_b32 v7, v10, s[44:45]
	s_wait_loadcnt 0x0
	v_fmac_f32_e32 v6, s22, v7
.LBB649_45:                             ;   in Loop: Header=BB649_4 Depth=1
	s_or_b32 s27, s27, exec_lo
.LBB649_46:                             ;   in Loop: Header=BB649_4 Depth=1
	s_or_b32 exec_lo, exec_lo, s43
.LBB649_47:                             ;   in Loop: Header=BB649_4 Depth=1
	s_wait_alu 0xfffe
	s_and_saveexec_b32 s43, s27
	s_cbranch_execz .LBB649_2
; %bb.48:                               ;   in Loop: Header=BB649_4 Depth=1
	s_add_nc_u64 s[38:39], s[38:39], s[34:35]
	global_store_b32 v10, v6, s[38:39]
	s_branch .LBB649_2
.LBB649_49:
	s_endpgm
	.section	.rodata,"a",@progbits
	.p2align	6, 0x0
	.amdhsa_kernel _ZL20rocblas_gemvt_kernelILb0ELi256E16rocblas_bfloat16ffEviiT2_lPKT1_lilS4_lilS1_lPT3_lili
		.amdhsa_group_segment_fixed_size 1024
		.amdhsa_private_segment_fixed_size 0
		.amdhsa_kernarg_size 140
		.amdhsa_user_sgpr_count 2
		.amdhsa_user_sgpr_dispatch_ptr 0
		.amdhsa_user_sgpr_queue_ptr 0
		.amdhsa_user_sgpr_kernarg_segment_ptr 1
		.amdhsa_user_sgpr_dispatch_id 0
		.amdhsa_user_sgpr_private_segment_size 0
		.amdhsa_wavefront_size32 1
		.amdhsa_uses_dynamic_stack 0
		.amdhsa_enable_private_segment 0
		.amdhsa_system_sgpr_workgroup_id_x 1
		.amdhsa_system_sgpr_workgroup_id_y 0
		.amdhsa_system_sgpr_workgroup_id_z 1
		.amdhsa_system_sgpr_workgroup_info 0
		.amdhsa_system_vgpr_workitem_id 0
		.amdhsa_next_free_vgpr 18
		.amdhsa_next_free_sgpr 48
		.amdhsa_reserve_vcc 1
		.amdhsa_float_round_mode_32 0
		.amdhsa_float_round_mode_16_64 0
		.amdhsa_float_denorm_mode_32 3
		.amdhsa_float_denorm_mode_16_64 3
		.amdhsa_fp16_overflow 0
		.amdhsa_workgroup_processor_mode 1
		.amdhsa_memory_ordered 1
		.amdhsa_forward_progress 1
		.amdhsa_inst_pref_size 15
		.amdhsa_round_robin_scheduling 0
		.amdhsa_exception_fp_ieee_invalid_op 0
		.amdhsa_exception_fp_denorm_src 0
		.amdhsa_exception_fp_ieee_div_zero 0
		.amdhsa_exception_fp_ieee_overflow 0
		.amdhsa_exception_fp_ieee_underflow 0
		.amdhsa_exception_fp_ieee_inexact 0
		.amdhsa_exception_int_div_zero 0
	.end_amdhsa_kernel
	.section	.text._ZL20rocblas_gemvt_kernelILb0ELi256E16rocblas_bfloat16ffEviiT2_lPKT1_lilS4_lilS1_lPT3_lili,"axG",@progbits,_ZL20rocblas_gemvt_kernelILb0ELi256E16rocblas_bfloat16ffEviiT2_lPKT1_lilS4_lilS1_lPT3_lili,comdat
.Lfunc_end649:
	.size	_ZL20rocblas_gemvt_kernelILb0ELi256E16rocblas_bfloat16ffEviiT2_lPKT1_lilS4_lilS1_lPT3_lili, .Lfunc_end649-_ZL20rocblas_gemvt_kernelILb0ELi256E16rocblas_bfloat16ffEviiT2_lPKT1_lilS4_lilS1_lPT3_lili
                                        ; -- End function
	.set _ZL20rocblas_gemvt_kernelILb0ELi256E16rocblas_bfloat16ffEviiT2_lPKT1_lilS4_lilS1_lPT3_lili.num_vgpr, 18
	.set _ZL20rocblas_gemvt_kernelILb0ELi256E16rocblas_bfloat16ffEviiT2_lPKT1_lilS4_lilS1_lPT3_lili.num_agpr, 0
	.set _ZL20rocblas_gemvt_kernelILb0ELi256E16rocblas_bfloat16ffEviiT2_lPKT1_lilS4_lilS1_lPT3_lili.numbered_sgpr, 48
	.set _ZL20rocblas_gemvt_kernelILb0ELi256E16rocblas_bfloat16ffEviiT2_lPKT1_lilS4_lilS1_lPT3_lili.num_named_barrier, 0
	.set _ZL20rocblas_gemvt_kernelILb0ELi256E16rocblas_bfloat16ffEviiT2_lPKT1_lilS4_lilS1_lPT3_lili.private_seg_size, 0
	.set _ZL20rocblas_gemvt_kernelILb0ELi256E16rocblas_bfloat16ffEviiT2_lPKT1_lilS4_lilS1_lPT3_lili.uses_vcc, 1
	.set _ZL20rocblas_gemvt_kernelILb0ELi256E16rocblas_bfloat16ffEviiT2_lPKT1_lilS4_lilS1_lPT3_lili.uses_flat_scratch, 0
	.set _ZL20rocblas_gemvt_kernelILb0ELi256E16rocblas_bfloat16ffEviiT2_lPKT1_lilS4_lilS1_lPT3_lili.has_dyn_sized_stack, 0
	.set _ZL20rocblas_gemvt_kernelILb0ELi256E16rocblas_bfloat16ffEviiT2_lPKT1_lilS4_lilS1_lPT3_lili.has_recursion, 0
	.set _ZL20rocblas_gemvt_kernelILb0ELi256E16rocblas_bfloat16ffEviiT2_lPKT1_lilS4_lilS1_lPT3_lili.has_indirect_call, 0
	.section	.AMDGPU.csdata,"",@progbits
; Kernel info:
; codeLenInByte = 1876
; TotalNumSgprs: 50
; NumVgprs: 18
; ScratchSize: 0
; MemoryBound: 0
; FloatMode: 240
; IeeeMode: 1
; LDSByteSize: 1024 bytes/workgroup (compile time only)
; SGPRBlocks: 0
; VGPRBlocks: 2
; NumSGPRsForWavesPerEU: 50
; NumVGPRsForWavesPerEU: 18
; Occupancy: 16
; WaveLimiterHint : 0
; COMPUTE_PGM_RSRC2:SCRATCH_EN: 0
; COMPUTE_PGM_RSRC2:USER_SGPR: 2
; COMPUTE_PGM_RSRC2:TRAP_HANDLER: 0
; COMPUTE_PGM_RSRC2:TGID_X_EN: 1
; COMPUTE_PGM_RSRC2:TGID_Y_EN: 0
; COMPUTE_PGM_RSRC2:TGID_Z_EN: 1
; COMPUTE_PGM_RSRC2:TIDIG_COMP_CNT: 0
	.section	.text._ZL32rocblas_gemvt_warp_reduce_kernelILb0ELi1024Ei16rocblas_bfloat16PKffEviiT3_lPKT2_lT1_lS6_lS7_lS3_lPT4_lS7_li,"axG",@progbits,_ZL32rocblas_gemvt_warp_reduce_kernelILb0ELi1024Ei16rocblas_bfloat16PKffEviiT3_lPKT2_lT1_lS6_lS7_lS3_lPT4_lS7_li,comdat
	.globl	_ZL32rocblas_gemvt_warp_reduce_kernelILb0ELi1024Ei16rocblas_bfloat16PKffEviiT3_lPKT2_lT1_lS6_lS7_lS3_lPT4_lS7_li ; -- Begin function _ZL32rocblas_gemvt_warp_reduce_kernelILb0ELi1024Ei16rocblas_bfloat16PKffEviiT3_lPKT2_lT1_lS6_lS7_lS3_lPT4_lS7_li
	.p2align	8
	.type	_ZL32rocblas_gemvt_warp_reduce_kernelILb0ELi1024Ei16rocblas_bfloat16PKffEviiT3_lPKT2_lT1_lS6_lS7_lS3_lPT4_lS7_li,@function
_ZL32rocblas_gemvt_warp_reduce_kernelILb0ELi1024Ei16rocblas_bfloat16PKffEviiT3_lPKT2_lT1_lS6_lS7_lS3_lPT4_lS7_li: ; @_ZL32rocblas_gemvt_warp_reduce_kernelILb0ELi1024Ei16rocblas_bfloat16PKffEviiT3_lPKT2_lT1_lS6_lS7_lS3_lPT4_lS7_li
; %bb.0:
	s_load_b32 s33, s[0:1], 0x88
	s_lshr_b32 s28, ttmp7, 16
	s_wait_kmcnt 0x0
	s_cmp_ge_u32 s28, s33
	s_cbranch_scc1 .LBB650_42
; %bb.1:
	s_clause 0x7
	s_load_b96 s[4:6], s[0:1], 0x40
	s_load_b96 s[36:38], s[0:1], 0x70
	s_load_b256 s[8:15], s[0:1], 0x8
	s_load_b32 s7, s[0:1], 0x0
	s_load_b32 s39, s[0:1], 0x28
	s_load_b128 s[24:27], s[0:1], 0x30
	s_load_b256 s[16:23], s[0:1], 0x50
	s_load_b64 s[30:31], s[0:1], 0x80
	v_mov_b32_e32 v9, 0
	v_mbcnt_lo_u32_b32 v15, -1, 0
	v_cmp_eq_u32_e64 s0, 0, v0
	s_mov_b32 s29, 0
	v_lshl_or_b32 v16, v15, 2, 64
	s_wait_kmcnt 0x0
	s_lshl_b64 s[2:3], s[4:5], 1
	s_lshl_b64 s[4:5], s[36:37], 2
	;; [unrolled: 1-line block ×3, first 2 shown]
	v_cmp_gt_i32_e32 vcc_lo, s7, v0
	s_ashr_i32 s1, s7, 31
	s_add_nc_u64 s[14:15], s[26:27], s[2:3]
	s_lshr_b32 s1, s1, 22
	s_add_nc_u64 s[2:3], s[12:13], s[34:35]
	s_add_co_i32 s1, s7, s1
	v_cndmask_b32_e32 v1, 0, v0, vcc_lo
	s_and_b32 s26, s1, 0xfffffc00
	s_mul_i32 s36, s38, ttmp9
	v_or_b32_e32 v2, s26, v0
	s_mul_i32 s38, s39, ttmp9
	v_lshlrev_b32_e32 v1, 1, v1
	s_ashr_i32 s39, s38, 31
	v_mul_lo_u32 v14, v0, s6
	v_mul_lo_u32 v3, s6, v2
	s_lshl_b64 s[38:39], s[38:39], 1
	v_add_co_u32 v4, s1, s2, v1
	s_delay_alu instid0(VALU_DEP_1)
	v_add_co_ci_u32_e64 v5, null, s3, 0, s1
	s_add_nc_u64 s[34:35], s[34:35], s[38:39]
	v_add_co_u32 v10, vcc_lo, v4, s38
	v_ashrrev_i32_e32 v4, 31, v3
	s_wait_alu 0xfffd
	v_add_co_ci_u32_e64 v11, null, s39, v5, vcc_lo
	v_cmp_gt_i32_e64 s2, s7, v2
	v_and_b32_e32 v2, 31, v0
	v_lshrrev_b32_e32 v5, 3, v0
	s_lshl_b32 s40, s6, 10
	s_add_nc_u64 s[6:7], s[12:13], s[34:35]
	s_add_nc_u64 s[22:23], s[22:23], s[4:5]
	s_wait_alu 0xfffe
	v_add_co_u32 v1, s5, s6, v1
	v_lshlrev_b64_e32 v[3:4], 1, v[3:4]
	v_cmp_gt_i32_e64 s1, s26, v0
	v_cmp_gt_u32_e64 s3, 32, v0
	v_lshlrev_b32_e32 v12, 2, v2
	v_cmp_eq_u32_e64 s4, 0, v2
	v_and_b32_e32 v13, 0x7c, v5
	v_add_co_ci_u32_e64 v2, null, s7, 0, s5
	s_ashr_i32 s37, s36, 31
	s_ashr_i32 s27, s26, 31
	s_lshl_b64 s[6:7], s[24:25], 1
	s_lshl_b64 s[12:13], s[36:37], 2
	s_wait_alu 0xfffe
	s_lshl_b64 s[34:35], s[26:27], 1
	s_branch .LBB650_4
.LBB650_2:                              ;   in Loop: Header=BB650_4 Depth=1
	s_wait_alu 0xfffe
	s_or_b32 exec_lo, exec_lo, s5
.LBB650_3:                              ;   in Loop: Header=BB650_4 Depth=1
	s_add_co_i32 s28, s28, 0x10000
	s_wait_alu 0xfffe
	s_cmp_lt_u32 s28, s33
	s_cbranch_scc0 .LBB650_42
.LBB650_4:                              ; =>This Loop Header: Depth=1
                                        ;     Child Loop BB650_24 Depth 2
	s_mul_u64 s[36:37], s[10:11], s[28:29]
	s_mul_u64 s[38:39], s[20:21], s[28:29]
	s_lshl_b64 s[36:37], s[36:37], 2
	s_wait_alu 0xfffe
	s_lshl_b64 s[38:39], s[38:39], 2
	s_add_nc_u64 s[36:37], s[8:9], s[36:37]
	s_wait_alu 0xfffe
	s_add_nc_u64 s[38:39], s[18:19], s[38:39]
	s_clause 0x1
	global_load_b32 v17, v9, s[36:37]
	global_load_b32 v5, v9, s[38:39]
	s_wait_loadcnt 0x1
	v_cmp_eq_f32_e32 vcc_lo, 0, v17
	s_wait_loadcnt 0x0
	v_cmp_eq_f32_e64 s5, 1.0, v5
	v_readfirstlane_b32 s27, v5
	s_and_b32 s5, vcc_lo, s5
	s_wait_alu 0xfffe
	s_and_b32 vcc_lo, exec_lo, s5
	s_wait_alu 0xfffe
	s_cbranch_vccnz .LBB650_3
; %bb.5:                                ;   in Loop: Header=BB650_4 Depth=1
	v_cmp_neq_f32_e32 vcc_lo, 0, v17
	s_mul_u64 s[36:37], s[30:31], s[28:29]
	s_delay_alu instid0(SALU_CYCLE_1) | instskip(NEXT) | instid1(SALU_CYCLE_1)
	s_lshl_b64 s[36:37], s[36:37], 2
	s_add_nc_u64 s[36:37], s[22:23], s[36:37]
	s_cbranch_vccnz .LBB650_9
; %bb.6:                                ;   in Loop: Header=BB650_4 Depth=1
	s_mov_b32 s5, 0
	s_mov_b32 s41, 0
                                        ; implicit-def: $vgpr5
	s_and_saveexec_b32 s38, s0
	s_cbranch_execz .LBB650_10
; %bb.7:                                ;   in Loop: Header=BB650_4 Depth=1
	s_cmp_eq_f32 s27, 0
	s_cbranch_scc1 .LBB650_11
; %bb.8:                                ;   in Loop: Header=BB650_4 Depth=1
	s_add_nc_u64 s[42:43], s[36:37], s[12:13]
	global_load_b32 v5, v9, s[42:43]
	s_wait_loadcnt 0x0
	v_mul_f32_e32 v5, s27, v5
	s_branch .LBB650_12
.LBB650_9:                              ;   in Loop: Header=BB650_4 Depth=1
	s_mov_b32 s41, 0
                                        ; implicit-def: $vgpr5
	s_cbranch_execnz .LBB650_13
	s_branch .LBB650_34
.LBB650_10:                             ;   in Loop: Header=BB650_4 Depth=1
	s_wait_alu 0xfffe
	s_or_b32 exec_lo, exec_lo, s38
	s_delay_alu instid0(SALU_CYCLE_1)
	s_and_b32 vcc_lo, exec_lo, s5
	s_wait_alu 0xfffe
	s_cbranch_vccnz .LBB650_13
	s_branch .LBB650_34
.LBB650_11:                             ;   in Loop: Header=BB650_4 Depth=1
	v_mov_b32_e32 v5, 0
.LBB650_12:                             ;   in Loop: Header=BB650_4 Depth=1
	s_mov_b32 s41, exec_lo
	s_wait_alu 0xfffe
	s_or_b32 exec_lo, exec_lo, s38
	s_delay_alu instid0(SALU_CYCLE_1)
	s_and_b32 vcc_lo, exec_lo, s5
	s_wait_alu 0xfffe
	s_cbranch_vccz .LBB650_34
.LBB650_13:                             ;   in Loop: Header=BB650_4 Depth=1
	s_mul_u64 s[38:39], s[16:17], s[28:29]
	s_wait_dscnt 0x0
	v_mov_b32_e32 v18, 0
	s_wait_alu 0xfffe
	s_lshl_b64 s[38:39], s[38:39], 1
	s_wait_alu 0xfffe
	s_add_nc_u64 s[38:39], s[14:15], s[38:39]
	s_and_saveexec_b32 s42, s1
	s_cbranch_execnz .LBB650_22
; %bb.14:                               ;   in Loop: Header=BB650_4 Depth=1
	s_wait_alu 0xfffe
	s_or_b32 exec_lo, exec_lo, s42
	s_and_saveexec_b32 s5, s2
	s_cbranch_execnz .LBB650_37
.LBB650_15:                             ;   in Loop: Header=BB650_4 Depth=1
	s_wait_alu 0xfffe
	s_or_b32 exec_lo, exec_lo, s5
	s_and_saveexec_b32 s5, s3
.LBB650_16:                             ;   in Loop: Header=BB650_4 Depth=1
	ds_store_b32 v12, v9
.LBB650_17:                             ;   in Loop: Header=BB650_4 Depth=1
	s_wait_alu 0xfffe
	s_or_b32 exec_lo, exec_lo, s5
	ds_bpermute_b32 v6, v16, v18
	v_cmp_gt_u32_e32 vcc_lo, 24, v15
	s_wait_dscnt 0x0
	s_barrier_signal -1
	s_barrier_wait -1
	global_inv scope:SCOPE_SE
	s_wait_alu 0xfffd
	v_cndmask_b32_e64 v5, 0, 8, vcc_lo
	v_cmp_gt_u32_e32 vcc_lo, 28, v15
	s_delay_alu instid0(VALU_DEP_2)
	v_add_lshl_u32 v5, v5, v15, 2
	v_add_f32_e32 v7, v18, v6
	s_wait_alu 0xfffd
	v_cndmask_b32_e64 v6, 0, 4, vcc_lo
	v_cmp_gt_u32_e32 vcc_lo, 30, v15
	ds_bpermute_b32 v8, v5, v7
	v_add_lshl_u32 v6, v6, v15, 2
	s_wait_dscnt 0x0
	v_add_f32_e32 v8, v7, v8
	s_wait_alu 0xfffd
	v_cndmask_b32_e64 v7, 0, 2, vcc_lo
	v_cmp_ne_u32_e32 vcc_lo, 31, v15
	ds_bpermute_b32 v18, v6, v8
	v_add_lshl_u32 v7, v7, v15, 2
	s_wait_alu 0xfffd
	v_add_co_ci_u32_e64 v19, null, 0, v15, vcc_lo
	s_wait_dscnt 0x0
	v_add_f32_e32 v8, v8, v18
	ds_bpermute_b32 v18, v7, v8
	s_wait_dscnt 0x0
	v_add_f32_e32 v18, v8, v18
	v_lshlrev_b32_e32 v8, 2, v19
	ds_bpermute_b32 v19, v8, v18
	s_and_saveexec_b32 s5, s4
	s_cbranch_execz .LBB650_19
; %bb.18:                               ;   in Loop: Header=BB650_4 Depth=1
	s_wait_dscnt 0x0
	v_add_f32_e32 v18, v18, v19
	ds_store_b32 v13, v18
.LBB650_19:                             ;   in Loop: Header=BB650_4 Depth=1
	s_wait_alu 0xfffe
	s_or_b32 exec_lo, exec_lo, s5
	v_mov_b32_e32 v18, 0
	s_wait_loadcnt_dscnt 0x0
	s_barrier_signal -1
	s_barrier_wait -1
	global_inv scope:SCOPE_SE
	s_and_saveexec_b32 s5, s3
	s_cbranch_execnz .LBB650_28
; %bb.20:                               ;   in Loop: Header=BB650_4 Depth=1
	s_wait_alu 0xfffe
	s_or_b32 exec_lo, exec_lo, s5
	s_and_saveexec_b32 s5, s3
	s_cbranch_execnz .LBB650_29
.LBB650_21:                             ;   in Loop: Header=BB650_4 Depth=1
	s_wait_alu 0xfffe
	s_or_b32 exec_lo, exec_lo, s5
                                        ; implicit-def: $vgpr5
	s_and_saveexec_b32 s5, s0
	s_cbranch_execnz .LBB650_30
	s_branch .LBB650_33
.LBB650_22:                             ;   in Loop: Header=BB650_4 Depth=1
	v_mad_co_u64_u32 v[5:6], null, s6, s28, v[1:2]
	v_dual_mov_b32 v18, 0 :: v_dual_mov_b32 v19, v0
	s_mov_b32 s43, 0
	s_delay_alu instid0(VALU_DEP_2)
	v_mad_co_u64_u32 v[6:7], null, s7, s28, v[6:7]
	v_mov_b32_e32 v7, v14
	s_branch .LBB650_24
.LBB650_23:                             ;   in Loop: Header=BB650_24 Depth=2
	s_wait_alu 0xfffe
	s_or_b32 exec_lo, exec_lo, s5
	s_delay_alu instid0(VALU_DEP_1) | instskip(SKIP_2) | instid1(VALU_DEP_3)
	v_and_b32_e32 v8, 0xffff0000, v20
	v_add_nc_u32_e32 v19, 0x400, v19
	v_add_co_u32 v5, s5, 0x800, v5
	v_dual_add_f32 v18, v18, v8 :: v_dual_add_nc_u32 v7, s40, v7
	s_delay_alu instid0(VALU_DEP_3)
	v_cmp_le_i32_e32 vcc_lo, s26, v19
	s_wait_alu 0xf1ff
	v_add_co_ci_u32_e64 v6, null, 0, v6, s5
	s_or_b32 s43, vcc_lo, s43
	s_wait_alu 0xfffe
	s_and_not1_b32 exec_lo, exec_lo, s43
	s_cbranch_execz .LBB650_36
.LBB650_24:                             ;   Parent Loop BB650_4 Depth=1
                                        ; =>  This Inner Loop Header: Depth=2
	s_delay_alu instid0(VALU_DEP_1) | instskip(NEXT) | instid1(VALU_DEP_1)
	v_ashrrev_i32_e32 v8, 31, v7
	v_lshlrev_b64_e32 v[20:21], 1, v[7:8]
	s_wait_alu 0xfffe
	s_delay_alu instid0(VALU_DEP_1) | instskip(SKIP_1) | instid1(VALU_DEP_2)
	v_add_co_u32 v20, vcc_lo, s38, v20
	s_wait_alu 0xfffd
	v_add_co_ci_u32_e64 v21, null, s39, v21, vcc_lo
	global_load_u16 v8, v[5:6], off
	global_load_u16 v20, v[20:21], off
	s_wait_loadcnt 0x1
	v_lshlrev_b32_e32 v8, 16, v8
	s_wait_loadcnt 0x0
	v_lshlrev_b32_e32 v20, 16, v20
	s_delay_alu instid0(VALU_DEP_1) | instskip(NEXT) | instid1(VALU_DEP_1)
	v_mul_f32_e32 v8, v8, v20
	v_and_b32_e32 v20, 0x7f800000, v8
	s_delay_alu instid0(VALU_DEP_1)
	v_cmp_ne_u32_e32 vcc_lo, 0x7f800000, v20
                                        ; implicit-def: $vgpr20
	s_and_saveexec_b32 s5, vcc_lo
	s_wait_alu 0xfffe
	s_xor_b32 s5, exec_lo, s5
; %bb.25:                               ;   in Loop: Header=BB650_24 Depth=2
	v_bfe_u32 v20, v8, 16, 1
	s_delay_alu instid0(VALU_DEP_1)
	v_add3_u32 v20, v8, v20, 0x7fff
                                        ; implicit-def: $vgpr8
; %bb.26:                               ;   in Loop: Header=BB650_24 Depth=2
	s_wait_alu 0xfffe
	s_and_not1_saveexec_b32 s5, s5
	s_cbranch_execz .LBB650_23
; %bb.27:                               ;   in Loop: Header=BB650_24 Depth=2
	v_and_b32_e32 v20, 0xffff, v8
	v_or_b32_e32 v21, 0x10000, v8
	s_delay_alu instid0(VALU_DEP_2) | instskip(SKIP_1) | instid1(VALU_DEP_2)
	v_cmp_eq_u32_e32 vcc_lo, 0, v20
	s_wait_alu 0xfffd
	v_cndmask_b32_e32 v20, v21, v8, vcc_lo
	s_branch .LBB650_23
.LBB650_28:                             ;   in Loop: Header=BB650_4 Depth=1
	ds_load_b32 v18, v12
	s_wait_alu 0xfffe
	s_or_b32 exec_lo, exec_lo, s5
	s_and_saveexec_b32 s5, s3
	s_cbranch_execz .LBB650_21
.LBB650_29:                             ;   in Loop: Header=BB650_4 Depth=1
	s_wait_dscnt 0x0
	ds_bpermute_b32 v19, v16, v18
	s_wait_dscnt 0x0
	v_add_f32_e32 v18, v18, v19
	ds_bpermute_b32 v5, v5, v18
	s_wait_dscnt 0x0
	v_add_f32_e32 v5, v18, v5
	;; [unrolled: 3-line block ×5, first 2 shown]
	s_wait_alu 0xfffe
	s_or_b32 exec_lo, exec_lo, s5
                                        ; implicit-def: $vgpr5
	s_and_saveexec_b32 s5, s0
	s_cbranch_execz .LBB650_33
.LBB650_30:                             ;   in Loop: Header=BB650_4 Depth=1
	s_wait_dscnt 0x0
	v_mul_f32_e32 v5, v17, v18
	s_cmp_eq_f32 s27, 0
	s_cbranch_scc1 .LBB650_32
; %bb.31:                               ;   in Loop: Header=BB650_4 Depth=1
	s_add_nc_u64 s[38:39], s[36:37], s[12:13]
	global_load_b32 v6, v9, s[38:39]
	s_wait_loadcnt 0x0
	v_fmac_f32_e32 v5, s27, v6
.LBB650_32:                             ;   in Loop: Header=BB650_4 Depth=1
	s_or_b32 s41, s41, exec_lo
.LBB650_33:                             ;   in Loop: Header=BB650_4 Depth=1
	s_wait_alu 0xfffe
	s_or_b32 exec_lo, exec_lo, s5
.LBB650_34:                             ;   in Loop: Header=BB650_4 Depth=1
	s_wait_alu 0xfffe
	s_and_saveexec_b32 s5, s41
	s_cbranch_execz .LBB650_2
; %bb.35:                               ;   in Loop: Header=BB650_4 Depth=1
	s_add_nc_u64 s[36:37], s[36:37], s[12:13]
	global_store_b32 v9, v5, s[36:37]
	s_branch .LBB650_2
.LBB650_36:                             ;   in Loop: Header=BB650_4 Depth=1
	s_or_b32 exec_lo, exec_lo, s43
	s_delay_alu instid0(SALU_CYCLE_1)
	s_or_b32 exec_lo, exec_lo, s42
	s_and_saveexec_b32 s5, s2
	s_cbranch_execz .LBB650_15
.LBB650_37:                             ;   in Loop: Header=BB650_4 Depth=1
	s_mul_u64 s[42:43], s[24:25], s[28:29]
	s_wait_alu 0xfffe
	s_lshl_b64 s[42:43], s[42:43], 1
	s_wait_alu 0xfffe
	v_add_co_u32 v5, vcc_lo, v10, s42
	s_wait_alu 0xfffd
	v_add_co_ci_u32_e64 v6, null, s43, v11, vcc_lo
	s_delay_alu instid0(VALU_DEP_2) | instskip(SKIP_1) | instid1(VALU_DEP_2)
	v_add_co_u32 v5, vcc_lo, v5, s34
	s_wait_alu 0xfffd
	v_add_co_ci_u32_e64 v6, null, s35, v6, vcc_lo
	v_add_co_u32 v7, vcc_lo, s38, v3
	s_wait_alu 0xfffd
	v_add_co_ci_u32_e64 v8, null, s39, v4, vcc_lo
	global_load_u16 v5, v[5:6], off
	global_load_u16 v6, v[7:8], off
	s_wait_loadcnt 0x1
	v_lshlrev_b32_e32 v5, 16, v5
	s_wait_loadcnt 0x0
	v_lshlrev_b32_e32 v6, 16, v6
	s_delay_alu instid0(VALU_DEP_1) | instskip(NEXT) | instid1(VALU_DEP_1)
	v_mul_f32_e32 v5, v5, v6
	v_and_b32_e32 v6, 0x7f800000, v5
	s_delay_alu instid0(VALU_DEP_1)
	v_cmp_ne_u32_e32 vcc_lo, 0x7f800000, v6
                                        ; implicit-def: $vgpr6
	s_and_saveexec_b32 s38, vcc_lo
	s_wait_alu 0xfffe
	s_xor_b32 s38, exec_lo, s38
; %bb.38:                               ;   in Loop: Header=BB650_4 Depth=1
	v_bfe_u32 v6, v5, 16, 1
	s_delay_alu instid0(VALU_DEP_1)
	v_add3_u32 v6, v5, v6, 0x7fff
                                        ; implicit-def: $vgpr5
; %bb.39:                               ;   in Loop: Header=BB650_4 Depth=1
	s_wait_alu 0xfffe
	s_and_not1_saveexec_b32 s38, s38
; %bb.40:                               ;   in Loop: Header=BB650_4 Depth=1
	v_and_b32_e32 v6, 0xffff, v5
	v_or_b32_e32 v7, 0x10000, v5
	s_delay_alu instid0(VALU_DEP_2) | instskip(SKIP_1) | instid1(VALU_DEP_2)
	v_cmp_eq_u32_e32 vcc_lo, 0, v6
	s_wait_alu 0xfffd
	v_cndmask_b32_e32 v6, v7, v5, vcc_lo
; %bb.41:                               ;   in Loop: Header=BB650_4 Depth=1
	s_wait_alu 0xfffe
	s_or_b32 exec_lo, exec_lo, s38
	s_delay_alu instid0(VALU_DEP_1) | instskip(NEXT) | instid1(VALU_DEP_1)
	v_and_b32_e32 v5, 0xffff0000, v6
	v_add_f32_e32 v18, v18, v5
	s_or_b32 exec_lo, exec_lo, s5
	s_and_saveexec_b32 s5, s3
	s_cbranch_execnz .LBB650_16
	s_branch .LBB650_17
.LBB650_42:
	s_endpgm
	.section	.rodata,"a",@progbits
	.p2align	6, 0x0
	.amdhsa_kernel _ZL32rocblas_gemvt_warp_reduce_kernelILb0ELi1024Ei16rocblas_bfloat16PKffEviiT3_lPKT2_lT1_lS6_lS7_lS3_lPT4_lS7_li
		.amdhsa_group_segment_fixed_size 128
		.amdhsa_private_segment_fixed_size 0
		.amdhsa_kernarg_size 140
		.amdhsa_user_sgpr_count 2
		.amdhsa_user_sgpr_dispatch_ptr 0
		.amdhsa_user_sgpr_queue_ptr 0
		.amdhsa_user_sgpr_kernarg_segment_ptr 1
		.amdhsa_user_sgpr_dispatch_id 0
		.amdhsa_user_sgpr_private_segment_size 0
		.amdhsa_wavefront_size32 1
		.amdhsa_uses_dynamic_stack 0
		.amdhsa_enable_private_segment 0
		.amdhsa_system_sgpr_workgroup_id_x 1
		.amdhsa_system_sgpr_workgroup_id_y 0
		.amdhsa_system_sgpr_workgroup_id_z 1
		.amdhsa_system_sgpr_workgroup_info 0
		.amdhsa_system_vgpr_workitem_id 0
		.amdhsa_next_free_vgpr 22
		.amdhsa_next_free_sgpr 44
		.amdhsa_reserve_vcc 1
		.amdhsa_float_round_mode_32 0
		.amdhsa_float_round_mode_16_64 0
		.amdhsa_float_denorm_mode_32 3
		.amdhsa_float_denorm_mode_16_64 3
		.amdhsa_fp16_overflow 0
		.amdhsa_workgroup_processor_mode 1
		.amdhsa_memory_ordered 1
		.amdhsa_forward_progress 1
		.amdhsa_inst_pref_size 15
		.amdhsa_round_robin_scheduling 0
		.amdhsa_exception_fp_ieee_invalid_op 0
		.amdhsa_exception_fp_denorm_src 0
		.amdhsa_exception_fp_ieee_div_zero 0
		.amdhsa_exception_fp_ieee_overflow 0
		.amdhsa_exception_fp_ieee_underflow 0
		.amdhsa_exception_fp_ieee_inexact 0
		.amdhsa_exception_int_div_zero 0
	.end_amdhsa_kernel
	.section	.text._ZL32rocblas_gemvt_warp_reduce_kernelILb0ELi1024Ei16rocblas_bfloat16PKffEviiT3_lPKT2_lT1_lS6_lS7_lS3_lPT4_lS7_li,"axG",@progbits,_ZL32rocblas_gemvt_warp_reduce_kernelILb0ELi1024Ei16rocblas_bfloat16PKffEviiT3_lPKT2_lT1_lS6_lS7_lS3_lPT4_lS7_li,comdat
.Lfunc_end650:
	.size	_ZL32rocblas_gemvt_warp_reduce_kernelILb0ELi1024Ei16rocblas_bfloat16PKffEviiT3_lPKT2_lT1_lS6_lS7_lS3_lPT4_lS7_li, .Lfunc_end650-_ZL32rocblas_gemvt_warp_reduce_kernelILb0ELi1024Ei16rocblas_bfloat16PKffEviiT3_lPKT2_lT1_lS6_lS7_lS3_lPT4_lS7_li
                                        ; -- End function
	.set _ZL32rocblas_gemvt_warp_reduce_kernelILb0ELi1024Ei16rocblas_bfloat16PKffEviiT3_lPKT2_lT1_lS6_lS7_lS3_lPT4_lS7_li.num_vgpr, 22
	.set _ZL32rocblas_gemvt_warp_reduce_kernelILb0ELi1024Ei16rocblas_bfloat16PKffEviiT3_lPKT2_lT1_lS6_lS7_lS3_lPT4_lS7_li.num_agpr, 0
	.set _ZL32rocblas_gemvt_warp_reduce_kernelILb0ELi1024Ei16rocblas_bfloat16PKffEviiT3_lPKT2_lT1_lS6_lS7_lS3_lPT4_lS7_li.numbered_sgpr, 44
	.set _ZL32rocblas_gemvt_warp_reduce_kernelILb0ELi1024Ei16rocblas_bfloat16PKffEviiT3_lPKT2_lT1_lS6_lS7_lS3_lPT4_lS7_li.num_named_barrier, 0
	.set _ZL32rocblas_gemvt_warp_reduce_kernelILb0ELi1024Ei16rocblas_bfloat16PKffEviiT3_lPKT2_lT1_lS6_lS7_lS3_lPT4_lS7_li.private_seg_size, 0
	.set _ZL32rocblas_gemvt_warp_reduce_kernelILb0ELi1024Ei16rocblas_bfloat16PKffEviiT3_lPKT2_lT1_lS6_lS7_lS3_lPT4_lS7_li.uses_vcc, 1
	.set _ZL32rocblas_gemvt_warp_reduce_kernelILb0ELi1024Ei16rocblas_bfloat16PKffEviiT3_lPKT2_lT1_lS6_lS7_lS3_lPT4_lS7_li.uses_flat_scratch, 0
	.set _ZL32rocblas_gemvt_warp_reduce_kernelILb0ELi1024Ei16rocblas_bfloat16PKffEviiT3_lPKT2_lT1_lS6_lS7_lS3_lPT4_lS7_li.has_dyn_sized_stack, 0
	.set _ZL32rocblas_gemvt_warp_reduce_kernelILb0ELi1024Ei16rocblas_bfloat16PKffEviiT3_lPKT2_lT1_lS6_lS7_lS3_lPT4_lS7_li.has_recursion, 0
	.set _ZL32rocblas_gemvt_warp_reduce_kernelILb0ELi1024Ei16rocblas_bfloat16PKffEviiT3_lPKT2_lT1_lS6_lS7_lS3_lPT4_lS7_li.has_indirect_call, 0
	.section	.AMDGPU.csdata,"",@progbits
; Kernel info:
; codeLenInByte = 1844
; TotalNumSgprs: 46
; NumVgprs: 22
; ScratchSize: 0
; MemoryBound: 0
; FloatMode: 240
; IeeeMode: 1
; LDSByteSize: 128 bytes/workgroup (compile time only)
; SGPRBlocks: 0
; VGPRBlocks: 2
; NumSGPRsForWavesPerEU: 46
; NumVGPRsForWavesPerEU: 22
; Occupancy: 16
; WaveLimiterHint : 0
; COMPUTE_PGM_RSRC2:SCRATCH_EN: 0
; COMPUTE_PGM_RSRC2:USER_SGPR: 2
; COMPUTE_PGM_RSRC2:TRAP_HANDLER: 0
; COMPUTE_PGM_RSRC2:TGID_X_EN: 1
; COMPUTE_PGM_RSRC2:TGID_Y_EN: 0
; COMPUTE_PGM_RSRC2:TGID_Z_EN: 1
; COMPUTE_PGM_RSRC2:TIDIG_COMP_CNT: 0
	.section	.text._ZL32rocblas_gemvt_warp_reduce_kernelILb0ELi1024El16rocblas_bfloat16PKffEviiT3_lPKT2_lT1_lS6_lS7_lS3_lPT4_lS7_li,"axG",@progbits,_ZL32rocblas_gemvt_warp_reduce_kernelILb0ELi1024El16rocblas_bfloat16PKffEviiT3_lPKT2_lT1_lS6_lS7_lS3_lPT4_lS7_li,comdat
	.globl	_ZL32rocblas_gemvt_warp_reduce_kernelILb0ELi1024El16rocblas_bfloat16PKffEviiT3_lPKT2_lT1_lS6_lS7_lS3_lPT4_lS7_li ; -- Begin function _ZL32rocblas_gemvt_warp_reduce_kernelILb0ELi1024El16rocblas_bfloat16PKffEviiT3_lPKT2_lT1_lS6_lS7_lS3_lPT4_lS7_li
	.p2align	8
	.type	_ZL32rocblas_gemvt_warp_reduce_kernelILb0ELi1024El16rocblas_bfloat16PKffEviiT3_lPKT2_lT1_lS6_lS7_lS3_lPT4_lS7_li,@function
_ZL32rocblas_gemvt_warp_reduce_kernelILb0ELi1024El16rocblas_bfloat16PKffEviiT3_lPKT2_lT1_lS6_lS7_lS3_lPT4_lS7_li: ; @_ZL32rocblas_gemvt_warp_reduce_kernelILb0ELi1024El16rocblas_bfloat16PKffEviiT3_lPKT2_lT1_lS6_lS7_lS3_lPT4_lS7_li
; %bb.0:
	s_load_b32 s33, s[0:1], 0x88
	s_lshr_b32 s6, ttmp7, 16
	s_wait_kmcnt 0x0
	s_cmp_ge_u32 s6, s33
	s_cbranch_scc1 .LBB651_42
; %bb.1:
	s_clause 0x2
	s_load_b512 s[8:23], s[0:1], 0x8
	s_load_b512 s[36:51], s[0:1], 0x48
	s_load_b32 s28, s[0:1], 0x0
	s_mov_b32 s2, ttmp9
	s_ashr_i32 s3, ttmp9, 31
	v_mbcnt_lo_u32_b32 v16, -1, 0
	v_cmp_eq_u32_e64 s0, 0, v0
	s_mov_b32 s7, 0
	v_lshl_or_b32 v17, v16, 2, 64
	s_wait_kmcnt 0x0
	s_lshl_b64 s[4:5], s[22:23], 1
	s_lshl_b64 s[24:25], s[14:15], 1
	v_cmp_gt_i32_e32 vcc_lo, s28, v0
	s_ashr_i32 s1, s28, 31
	v_mad_co_u64_u32 v[1:2], null, s36, v0, 0
	s_lshr_b32 s1, s1, 22
	v_cndmask_b32_e32 v3, 0, v0, vcc_lo
	s_add_nc_u64 s[14:15], s[20:21], s[4:5]
	s_add_nc_u64 s[4:5], s[12:13], s[24:25]
	s_add_co_i32 s1, s28, s1
	s_lshl_b64 s[22:23], s[46:47], 2
	v_lshlrev_b32_e32 v7, 1, v3
	s_and_b32 s20, s1, 0xfffffc00
	s_mul_u64 s[26:27], s[48:49], s[2:3]
	s_mul_u64 s[2:3], s[16:17], s[2:3]
	v_or_b32_e32 v4, s20, v0
	v_add_co_u32 v3, s1, s4, v7
	s_delay_alu instid0(VALU_DEP_1)
	v_add_co_ci_u32_e64 v5, null, s5, 0, s1
	s_add_nc_u64 s[16:17], s[44:45], s[22:23]
	s_lshl_b64 s[22:23], s[2:3], 1
	v_mul_lo_u32 v8, s37, v4
	v_add_co_u32 v12, vcc_lo, v3, s22
	v_mad_co_u64_u32 v[2:3], null, s37, v0, v[2:3]
	s_wait_alu 0xfffd
	v_add_co_ci_u32_e64 v13, null, s23, v5, vcc_lo
	v_mad_co_u64_u32 v[5:6], null, s36, v4, 0
	v_and_b32_e32 v3, 31, v0
	v_cmp_gt_i32_e64 s2, s28, v4
	v_lshrrev_b32_e32 v4, 3, v0
	s_ashr_i32 s21, s20, 31
	v_dual_mov_b32 v11, 0 :: v_dual_lshlrev_b32 v14, 2, v3
	s_wait_alu 0xfffe
	s_mul_i32 s3, s36, s21
	v_cmp_eq_u32_e64 s4, 0, v3
	v_and_b32_e32 v15, 0x7c, v4
	v_lshlrev_b64_e32 v[3:4], 1, v[1:2]
	v_add3_u32 v6, v6, s3, v8
	s_add_nc_u64 s[22:23], s[22:23], s[24:25]
	v_cmp_gt_i32_e64 s1, s20, v0
	s_wait_alu 0xfffe
	s_add_nc_u64 s[12:13], s[12:13], s[22:23]
	v_cmp_gt_u32_e64 s3, 32, v0
	v_add_co_u32 v1, s5, s12, v7
	v_add_co_u32 v3, vcc_lo, s14, v3
	v_lshlrev_b64_e32 v[5:6], 1, v[5:6]
	s_wait_alu 0xf1ff
	v_add_co_ci_u32_e64 v2, null, s13, 0, s5
	s_wait_alu 0xfffd
	v_add_co_ci_u32_e64 v4, null, s15, v4, vcc_lo
	s_lshl_b64 s[12:13], s[18:19], 1
	s_lshl_b64 s[22:23], s[38:39], 1
	;; [unrolled: 1-line block ×5, first 2 shown]
	s_branch .LBB651_4
.LBB651_2:                              ;   in Loop: Header=BB651_4 Depth=1
	s_wait_alu 0xfffe
	s_or_b32 exec_lo, exec_lo, s5
.LBB651_3:                              ;   in Loop: Header=BB651_4 Depth=1
	s_add_co_i32 s6, s6, 0x10000
	s_wait_alu 0xfffe
	s_cmp_lt_u32 s6, s33
	s_cbranch_scc0 .LBB651_42
.LBB651_4:                              ; =>This Loop Header: Depth=1
                                        ;     Child Loop BB651_24 Depth 2
	s_mul_u64 s[30:31], s[10:11], s[6:7]
	s_mul_u64 s[34:35], s[42:43], s[6:7]
	s_lshl_b64 s[30:31], s[30:31], 2
	s_lshl_b64 s[34:35], s[34:35], 2
	s_add_nc_u64 s[30:31], s[8:9], s[30:31]
	s_add_nc_u64 s[34:35], s[40:41], s[34:35]
	s_clause 0x1
	global_load_b32 v18, v11, s[30:31]
	global_load_b32 v7, v11, s[34:35]
	s_wait_loadcnt 0x1
	v_cmp_eq_f32_e32 vcc_lo, 0, v18
	s_wait_loadcnt 0x0
	v_cmp_eq_f32_e64 s5, 1.0, v7
	v_readfirstlane_b32 s21, v7
	s_and_b32 s5, vcc_lo, s5
	s_wait_alu 0xfffe
	s_and_b32 vcc_lo, exec_lo, s5
	s_wait_alu 0xfffe
	s_cbranch_vccnz .LBB651_3
; %bb.5:                                ;   in Loop: Header=BB651_4 Depth=1
	v_cmp_neq_f32_e32 vcc_lo, 0, v18
	s_mul_u64 s[30:31], s[50:51], s[6:7]
	s_delay_alu instid0(SALU_CYCLE_1) | instskip(NEXT) | instid1(SALU_CYCLE_1)
	s_lshl_b64 s[30:31], s[30:31], 2
	s_add_nc_u64 s[30:31], s[16:17], s[30:31]
	s_cbranch_vccnz .LBB651_9
; %bb.6:                                ;   in Loop: Header=BB651_4 Depth=1
	s_mov_b32 s5, 0
	s_mov_b32 s34, 0
                                        ; implicit-def: $vgpr7
	s_and_saveexec_b32 s35, s0
	s_cbranch_execz .LBB651_10
; %bb.7:                                ;   in Loop: Header=BB651_4 Depth=1
	s_cmp_eq_f32 s21, 0
	s_cbranch_scc1 .LBB651_11
; %bb.8:                                ;   in Loop: Header=BB651_4 Depth=1
	s_add_nc_u64 s[36:37], s[30:31], s[26:27]
	global_load_b32 v7, v11, s[36:37]
	s_wait_loadcnt 0x0
	v_mul_f32_e32 v7, s21, v7
	s_branch .LBB651_12
.LBB651_9:                              ;   in Loop: Header=BB651_4 Depth=1
	s_mov_b32 s34, 0
                                        ; implicit-def: $vgpr7
	s_cbranch_execnz .LBB651_13
	s_branch .LBB651_34
.LBB651_10:                             ;   in Loop: Header=BB651_4 Depth=1
	s_or_b32 exec_lo, exec_lo, s35
	s_wait_alu 0xfffe
	s_and_b32 vcc_lo, exec_lo, s5
	s_wait_alu 0xfffe
	s_cbranch_vccnz .LBB651_13
	s_branch .LBB651_34
.LBB651_11:                             ;   in Loop: Header=BB651_4 Depth=1
	v_mov_b32_e32 v7, 0
.LBB651_12:                             ;   in Loop: Header=BB651_4 Depth=1
	s_mov_b32 s34, exec_lo
	s_or_b32 exec_lo, exec_lo, s35
	s_wait_alu 0xfffe
	s_and_b32 vcc_lo, exec_lo, s5
	s_wait_alu 0xfffe
	s_cbranch_vccz .LBB651_34
.LBB651_13:                             ;   in Loop: Header=BB651_4 Depth=1
	s_wait_dscnt 0x0
	v_mov_b32_e32 v19, 0
	s_and_saveexec_b32 s35, s1
	s_cbranch_execnz .LBB651_22
; %bb.14:                               ;   in Loop: Header=BB651_4 Depth=1
	s_or_b32 exec_lo, exec_lo, s35
	s_and_saveexec_b32 s5, s2
	s_cbranch_execnz .LBB651_37
.LBB651_15:                             ;   in Loop: Header=BB651_4 Depth=1
	s_wait_alu 0xfffe
	s_or_b32 exec_lo, exec_lo, s5
	s_and_saveexec_b32 s5, s3
.LBB651_16:                             ;   in Loop: Header=BB651_4 Depth=1
	ds_store_b32 v14, v11
.LBB651_17:                             ;   in Loop: Header=BB651_4 Depth=1
	s_wait_alu 0xfffe
	s_or_b32 exec_lo, exec_lo, s5
	ds_bpermute_b32 v8, v17, v19
	v_cmp_gt_u32_e32 vcc_lo, 24, v16
	s_wait_dscnt 0x0
	s_barrier_signal -1
	s_barrier_wait -1
	global_inv scope:SCOPE_SE
	s_wait_alu 0xfffd
	v_cndmask_b32_e64 v7, 0, 8, vcc_lo
	v_cmp_gt_u32_e32 vcc_lo, 28, v16
	s_delay_alu instid0(VALU_DEP_2)
	v_add_lshl_u32 v7, v7, v16, 2
	v_add_f32_e32 v9, v19, v8
	s_wait_alu 0xfffd
	v_cndmask_b32_e64 v8, 0, 4, vcc_lo
	v_cmp_gt_u32_e32 vcc_lo, 30, v16
	ds_bpermute_b32 v10, v7, v9
	v_add_lshl_u32 v8, v8, v16, 2
	s_wait_dscnt 0x0
	v_add_f32_e32 v10, v9, v10
	s_wait_alu 0xfffd
	v_cndmask_b32_e64 v9, 0, 2, vcc_lo
	v_cmp_ne_u32_e32 vcc_lo, 31, v16
	ds_bpermute_b32 v19, v8, v10
	v_add_lshl_u32 v9, v9, v16, 2
	s_wait_alu 0xfffd
	v_add_co_ci_u32_e64 v20, null, 0, v16, vcc_lo
	s_wait_dscnt 0x0
	v_add_f32_e32 v10, v10, v19
	ds_bpermute_b32 v19, v9, v10
	s_wait_dscnt 0x0
	v_dual_add_f32 v19, v10, v19 :: v_dual_lshlrev_b32 v10, 2, v20
	ds_bpermute_b32 v20, v10, v19
	s_and_saveexec_b32 s5, s4
	s_cbranch_execz .LBB651_19
; %bb.18:                               ;   in Loop: Header=BB651_4 Depth=1
	s_wait_dscnt 0x0
	v_add_f32_e32 v19, v19, v20
	ds_store_b32 v15, v19
.LBB651_19:                             ;   in Loop: Header=BB651_4 Depth=1
	s_wait_alu 0xfffe
	s_or_b32 exec_lo, exec_lo, s5
	v_mov_b32_e32 v19, 0
	s_wait_loadcnt_dscnt 0x0
	s_barrier_signal -1
	s_barrier_wait -1
	global_inv scope:SCOPE_SE
	s_and_saveexec_b32 s5, s3
	s_cbranch_execnz .LBB651_28
; %bb.20:                               ;   in Loop: Header=BB651_4 Depth=1
	s_wait_alu 0xfffe
	s_or_b32 exec_lo, exec_lo, s5
	s_and_saveexec_b32 s5, s3
	s_cbranch_execnz .LBB651_29
.LBB651_21:                             ;   in Loop: Header=BB651_4 Depth=1
	s_wait_alu 0xfffe
	s_or_b32 exec_lo, exec_lo, s5
                                        ; implicit-def: $vgpr7
	s_and_saveexec_b32 s5, s0
	s_cbranch_execnz .LBB651_30
	s_branch .LBB651_33
.LBB651_22:                             ;   in Loop: Header=BB651_4 Depth=1
	v_mad_co_u64_u32 v[7:8], null, s12, s6, v[1:2]
	v_mad_co_u64_u32 v[9:10], null, s22, s6, v[3:4]
	s_mov_b32 s36, 0
	v_mad_co_u64_u32 v[20:21], null, s13, s6, v[8:9]
	v_mad_co_u64_u32 v[21:22], null, s23, s6, v[10:11]
	s_delay_alu instid0(VALU_DEP_2) | instskip(SKIP_1) | instid1(VALU_DEP_3)
	v_dual_mov_b32 v19, 0 :: v_dual_mov_b32 v8, v20
	v_mov_b32_e32 v20, v0
	v_mov_b32_e32 v10, v21
	s_branch .LBB651_24
.LBB651_23:                             ;   in Loop: Header=BB651_24 Depth=2
	s_wait_alu 0xfffe
	s_or_b32 exec_lo, exec_lo, s5
	s_delay_alu instid0(VALU_DEP_1)
	v_and_b32_e32 v21, 0xffff0000, v22
	v_add_nc_u32_e32 v20, 0x400, v20
	v_add_co_u32 v7, vcc_lo, 0x800, v7
	s_wait_alu 0xfffd
	v_add_co_ci_u32_e64 v8, null, 0, v8, vcc_lo
	v_add_f32_e32 v19, v19, v21
	v_cmp_le_i32_e32 vcc_lo, s20, v20
	v_add_co_u32 v9, s5, v9, s24
	s_wait_alu 0xf1ff
	v_add_co_ci_u32_e64 v10, null, s25, v10, s5
	s_or_b32 s36, vcc_lo, s36
	s_wait_alu 0xfffe
	s_and_not1_b32 exec_lo, exec_lo, s36
	s_cbranch_execz .LBB651_36
.LBB651_24:                             ;   Parent Loop BB651_4 Depth=1
                                        ; =>  This Inner Loop Header: Depth=2
	global_load_u16 v21, v[9:10], off
	global_load_u16 v22, v[7:8], off
	s_wait_loadcnt 0x1
	v_lshlrev_b32_e32 v21, 16, v21
	s_wait_loadcnt 0x0
	v_lshlrev_b32_e32 v22, 16, v22
	s_delay_alu instid0(VALU_DEP_1) | instskip(NEXT) | instid1(VALU_DEP_1)
	v_mul_f32_e32 v21, v22, v21
	v_and_b32_e32 v22, 0x7f800000, v21
	s_delay_alu instid0(VALU_DEP_1)
	v_cmp_ne_u32_e32 vcc_lo, 0x7f800000, v22
                                        ; implicit-def: $vgpr22
	s_and_saveexec_b32 s5, vcc_lo
	s_wait_alu 0xfffe
	s_xor_b32 s5, exec_lo, s5
; %bb.25:                               ;   in Loop: Header=BB651_24 Depth=2
	v_bfe_u32 v22, v21, 16, 1
	s_delay_alu instid0(VALU_DEP_1)
	v_add3_u32 v22, v21, v22, 0x7fff
                                        ; implicit-def: $vgpr21
; %bb.26:                               ;   in Loop: Header=BB651_24 Depth=2
	s_wait_alu 0xfffe
	s_and_not1_saveexec_b32 s5, s5
	s_cbranch_execz .LBB651_23
; %bb.27:                               ;   in Loop: Header=BB651_24 Depth=2
	v_and_b32_e32 v22, 0xffff, v21
	v_or_b32_e32 v23, 0x10000, v21
	s_delay_alu instid0(VALU_DEP_2) | instskip(SKIP_1) | instid1(VALU_DEP_2)
	v_cmp_eq_u32_e32 vcc_lo, 0, v22
	s_wait_alu 0xfffd
	v_cndmask_b32_e32 v22, v23, v21, vcc_lo
	s_branch .LBB651_23
.LBB651_28:                             ;   in Loop: Header=BB651_4 Depth=1
	ds_load_b32 v19, v14
	s_wait_alu 0xfffe
	s_or_b32 exec_lo, exec_lo, s5
	s_and_saveexec_b32 s5, s3
	s_cbranch_execz .LBB651_21
.LBB651_29:                             ;   in Loop: Header=BB651_4 Depth=1
	s_wait_dscnt 0x0
	ds_bpermute_b32 v20, v17, v19
	s_wait_dscnt 0x0
	v_add_f32_e32 v19, v19, v20
	ds_bpermute_b32 v7, v7, v19
	s_wait_dscnt 0x0
	v_add_f32_e32 v7, v19, v7
	;; [unrolled: 3-line block ×5, first 2 shown]
	s_wait_alu 0xfffe
	s_or_b32 exec_lo, exec_lo, s5
                                        ; implicit-def: $vgpr7
	s_and_saveexec_b32 s5, s0
	s_cbranch_execz .LBB651_33
.LBB651_30:                             ;   in Loop: Header=BB651_4 Depth=1
	s_wait_dscnt 0x0
	v_mul_f32_e32 v7, v18, v19
	s_cmp_eq_f32 s21, 0
	s_cbranch_scc1 .LBB651_32
; %bb.31:                               ;   in Loop: Header=BB651_4 Depth=1
	s_add_nc_u64 s[36:37], s[30:31], s[26:27]
	global_load_b32 v8, v11, s[36:37]
	s_wait_loadcnt 0x0
	v_fmac_f32_e32 v7, s21, v8
.LBB651_32:                             ;   in Loop: Header=BB651_4 Depth=1
	s_or_b32 s34, s34, exec_lo
.LBB651_33:                             ;   in Loop: Header=BB651_4 Depth=1
	s_wait_alu 0xfffe
	s_or_b32 exec_lo, exec_lo, s5
.LBB651_34:                             ;   in Loop: Header=BB651_4 Depth=1
	s_and_saveexec_b32 s5, s34
	s_cbranch_execz .LBB651_2
; %bb.35:                               ;   in Loop: Header=BB651_4 Depth=1
	s_add_nc_u64 s[30:31], s[30:31], s[26:27]
	global_store_b32 v11, v7, s[30:31]
	s_branch .LBB651_2
.LBB651_36:                             ;   in Loop: Header=BB651_4 Depth=1
	s_or_b32 exec_lo, exec_lo, s36
	s_delay_alu instid0(SALU_CYCLE_1)
	s_or_b32 exec_lo, exec_lo, s35
	s_and_saveexec_b32 s5, s2
	s_cbranch_execz .LBB651_15
.LBB651_37:                             ;   in Loop: Header=BB651_4 Depth=1
	s_mul_u64 s[36:37], s[18:19], s[6:7]
	s_mul_u64 s[44:45], s[38:39], s[6:7]
	s_wait_alu 0xfffe
	s_lshl_b64 s[36:37], s[36:37], 1
	s_lshl_b64 s[44:45], s[44:45], 1
	s_wait_alu 0xfffe
	v_add_co_u32 v9, vcc_lo, v12, s36
	s_wait_alu 0xfffd
	v_add_co_ci_u32_e64 v10, null, s37, v13, vcc_lo
	s_add_nc_u64 s[36:37], s[14:15], s[44:45]
	s_wait_alu 0xfffe
	v_add_co_u32 v7, vcc_lo, s36, v5
	s_wait_alu 0xfffd
	v_add_co_ci_u32_e64 v8, null, s37, v6, vcc_lo
	v_add_co_u32 v9, vcc_lo, v9, s28
	s_wait_alu 0xfffd
	v_add_co_ci_u32_e64 v10, null, s29, v10, vcc_lo
	global_load_u16 v7, v[7:8], off
	global_load_u16 v8, v[9:10], off
	s_wait_loadcnt 0x1
	v_lshlrev_b32_e32 v7, 16, v7
	s_wait_loadcnt 0x0
	v_lshlrev_b32_e32 v8, 16, v8
	s_delay_alu instid0(VALU_DEP_1) | instskip(NEXT) | instid1(VALU_DEP_1)
	v_mul_f32_e32 v7, v8, v7
	v_and_b32_e32 v8, 0x7f800000, v7
	s_delay_alu instid0(VALU_DEP_1) | instskip(SKIP_1) | instid1(SALU_CYCLE_1)
	v_cmp_ne_u32_e32 vcc_lo, 0x7f800000, v8
                                        ; implicit-def: $vgpr8
	s_and_saveexec_b32 s35, vcc_lo
	s_xor_b32 s35, exec_lo, s35
; %bb.38:                               ;   in Loop: Header=BB651_4 Depth=1
	v_bfe_u32 v8, v7, 16, 1
	s_delay_alu instid0(VALU_DEP_1)
	v_add3_u32 v8, v7, v8, 0x7fff
                                        ; implicit-def: $vgpr7
; %bb.39:                               ;   in Loop: Header=BB651_4 Depth=1
	s_and_not1_saveexec_b32 s35, s35
; %bb.40:                               ;   in Loop: Header=BB651_4 Depth=1
	v_and_b32_e32 v8, 0xffff, v7
	v_or_b32_e32 v9, 0x10000, v7
	s_delay_alu instid0(VALU_DEP_2) | instskip(SKIP_1) | instid1(VALU_DEP_2)
	v_cmp_eq_u32_e32 vcc_lo, 0, v8
	s_wait_alu 0xfffd
	v_cndmask_b32_e32 v8, v9, v7, vcc_lo
; %bb.41:                               ;   in Loop: Header=BB651_4 Depth=1
	s_or_b32 exec_lo, exec_lo, s35
	s_delay_alu instid0(VALU_DEP_1) | instskip(NEXT) | instid1(VALU_DEP_1)
	v_and_b32_e32 v7, 0xffff0000, v8
	v_add_f32_e32 v19, v19, v7
	s_or_b32 exec_lo, exec_lo, s5
	s_and_saveexec_b32 s5, s3
	s_cbranch_execnz .LBB651_16
	s_branch .LBB651_17
.LBB651_42:
	s_endpgm
	.section	.rodata,"a",@progbits
	.p2align	6, 0x0
	.amdhsa_kernel _ZL32rocblas_gemvt_warp_reduce_kernelILb0ELi1024El16rocblas_bfloat16PKffEviiT3_lPKT2_lT1_lS6_lS7_lS3_lPT4_lS7_li
		.amdhsa_group_segment_fixed_size 128
		.amdhsa_private_segment_fixed_size 0
		.amdhsa_kernarg_size 140
		.amdhsa_user_sgpr_count 2
		.amdhsa_user_sgpr_dispatch_ptr 0
		.amdhsa_user_sgpr_queue_ptr 0
		.amdhsa_user_sgpr_kernarg_segment_ptr 1
		.amdhsa_user_sgpr_dispatch_id 0
		.amdhsa_user_sgpr_private_segment_size 0
		.amdhsa_wavefront_size32 1
		.amdhsa_uses_dynamic_stack 0
		.amdhsa_enable_private_segment 0
		.amdhsa_system_sgpr_workgroup_id_x 1
		.amdhsa_system_sgpr_workgroup_id_y 0
		.amdhsa_system_sgpr_workgroup_id_z 1
		.amdhsa_system_sgpr_workgroup_info 0
		.amdhsa_system_vgpr_workitem_id 0
		.amdhsa_next_free_vgpr 24
		.amdhsa_next_free_sgpr 52
		.amdhsa_reserve_vcc 1
		.amdhsa_float_round_mode_32 0
		.amdhsa_float_round_mode_16_64 0
		.amdhsa_float_denorm_mode_32 3
		.amdhsa_float_denorm_mode_16_64 3
		.amdhsa_fp16_overflow 0
		.amdhsa_workgroup_processor_mode 1
		.amdhsa_memory_ordered 1
		.amdhsa_forward_progress 1
		.amdhsa_inst_pref_size 15
		.amdhsa_round_robin_scheduling 0
		.amdhsa_exception_fp_ieee_invalid_op 0
		.amdhsa_exception_fp_denorm_src 0
		.amdhsa_exception_fp_ieee_div_zero 0
		.amdhsa_exception_fp_ieee_overflow 0
		.amdhsa_exception_fp_ieee_underflow 0
		.amdhsa_exception_fp_ieee_inexact 0
		.amdhsa_exception_int_div_zero 0
	.end_amdhsa_kernel
	.section	.text._ZL32rocblas_gemvt_warp_reduce_kernelILb0ELi1024El16rocblas_bfloat16PKffEviiT3_lPKT2_lT1_lS6_lS7_lS3_lPT4_lS7_li,"axG",@progbits,_ZL32rocblas_gemvt_warp_reduce_kernelILb0ELi1024El16rocblas_bfloat16PKffEviiT3_lPKT2_lT1_lS6_lS7_lS3_lPT4_lS7_li,comdat
.Lfunc_end651:
	.size	_ZL32rocblas_gemvt_warp_reduce_kernelILb0ELi1024El16rocblas_bfloat16PKffEviiT3_lPKT2_lT1_lS6_lS7_lS3_lPT4_lS7_li, .Lfunc_end651-_ZL32rocblas_gemvt_warp_reduce_kernelILb0ELi1024El16rocblas_bfloat16PKffEviiT3_lPKT2_lT1_lS6_lS7_lS3_lPT4_lS7_li
                                        ; -- End function
	.set _ZL32rocblas_gemvt_warp_reduce_kernelILb0ELi1024El16rocblas_bfloat16PKffEviiT3_lPKT2_lT1_lS6_lS7_lS3_lPT4_lS7_li.num_vgpr, 24
	.set _ZL32rocblas_gemvt_warp_reduce_kernelILb0ELi1024El16rocblas_bfloat16PKffEviiT3_lPKT2_lT1_lS6_lS7_lS3_lPT4_lS7_li.num_agpr, 0
	.set _ZL32rocblas_gemvt_warp_reduce_kernelILb0ELi1024El16rocblas_bfloat16PKffEviiT3_lPKT2_lT1_lS6_lS7_lS3_lPT4_lS7_li.numbered_sgpr, 52
	.set _ZL32rocblas_gemvt_warp_reduce_kernelILb0ELi1024El16rocblas_bfloat16PKffEviiT3_lPKT2_lT1_lS6_lS7_lS3_lPT4_lS7_li.num_named_barrier, 0
	.set _ZL32rocblas_gemvt_warp_reduce_kernelILb0ELi1024El16rocblas_bfloat16PKffEviiT3_lPKT2_lT1_lS6_lS7_lS3_lPT4_lS7_li.private_seg_size, 0
	.set _ZL32rocblas_gemvt_warp_reduce_kernelILb0ELi1024El16rocblas_bfloat16PKffEviiT3_lPKT2_lT1_lS6_lS7_lS3_lPT4_lS7_li.uses_vcc, 1
	.set _ZL32rocblas_gemvt_warp_reduce_kernelILb0ELi1024El16rocblas_bfloat16PKffEviiT3_lPKT2_lT1_lS6_lS7_lS3_lPT4_lS7_li.uses_flat_scratch, 0
	.set _ZL32rocblas_gemvt_warp_reduce_kernelILb0ELi1024El16rocblas_bfloat16PKffEviiT3_lPKT2_lT1_lS6_lS7_lS3_lPT4_lS7_li.has_dyn_sized_stack, 0
	.set _ZL32rocblas_gemvt_warp_reduce_kernelILb0ELi1024El16rocblas_bfloat16PKffEviiT3_lPKT2_lT1_lS6_lS7_lS3_lPT4_lS7_li.has_recursion, 0
	.set _ZL32rocblas_gemvt_warp_reduce_kernelILb0ELi1024El16rocblas_bfloat16PKffEviiT3_lPKT2_lT1_lS6_lS7_lS3_lPT4_lS7_li.has_indirect_call, 0
	.section	.AMDGPU.csdata,"",@progbits
; Kernel info:
; codeLenInByte = 1808
; TotalNumSgprs: 54
; NumVgprs: 24
; ScratchSize: 0
; MemoryBound: 0
; FloatMode: 240
; IeeeMode: 1
; LDSByteSize: 128 bytes/workgroup (compile time only)
; SGPRBlocks: 0
; VGPRBlocks: 2
; NumSGPRsForWavesPerEU: 54
; NumVGPRsForWavesPerEU: 24
; Occupancy: 16
; WaveLimiterHint : 0
; COMPUTE_PGM_RSRC2:SCRATCH_EN: 0
; COMPUTE_PGM_RSRC2:USER_SGPR: 2
; COMPUTE_PGM_RSRC2:TRAP_HANDLER: 0
; COMPUTE_PGM_RSRC2:TGID_X_EN: 1
; COMPUTE_PGM_RSRC2:TGID_Y_EN: 0
; COMPUTE_PGM_RSRC2:TGID_Z_EN: 1
; COMPUTE_PGM_RSRC2:TIDIG_COMP_CNT: 0
	.section	.text._ZL32rocblas_gemvt_warp_reduce_kernelILb0ELi1024Ei16rocblas_bfloat16ffEviiT3_lPKT2_lT1_lS4_lS5_lS1_lPT4_lS5_li,"axG",@progbits,_ZL32rocblas_gemvt_warp_reduce_kernelILb0ELi1024Ei16rocblas_bfloat16ffEviiT3_lPKT2_lT1_lS4_lS5_lS1_lPT4_lS5_li,comdat
	.globl	_ZL32rocblas_gemvt_warp_reduce_kernelILb0ELi1024Ei16rocblas_bfloat16ffEviiT3_lPKT2_lT1_lS4_lS5_lS1_lPT4_lS5_li ; -- Begin function _ZL32rocblas_gemvt_warp_reduce_kernelILb0ELi1024Ei16rocblas_bfloat16ffEviiT3_lPKT2_lT1_lS4_lS5_lS1_lPT4_lS5_li
	.p2align	8
	.type	_ZL32rocblas_gemvt_warp_reduce_kernelILb0ELi1024Ei16rocblas_bfloat16ffEviiT3_lPKT2_lT1_lS4_lS5_lS1_lPT4_lS5_li,@function
_ZL32rocblas_gemvt_warp_reduce_kernelILb0ELi1024Ei16rocblas_bfloat16ffEviiT3_lPKT2_lT1_lS4_lS5_lS1_lPT4_lS5_li: ; @_ZL32rocblas_gemvt_warp_reduce_kernelILb0ELi1024Ei16rocblas_bfloat16ffEviiT3_lPKT2_lT1_lS4_lS5_lS1_lPT4_lS5_li
; %bb.0:
	s_load_b32 s19, s[0:1], 0x88
	s_lshr_b32 s24, ttmp7, 16
	s_wait_kmcnt 0x0
	s_cmp_ge_u32 s24, s19
	s_cbranch_scc1 .LBB652_42
; %bb.1:
	s_clause 0x9
	s_load_b96 s[20:22], s[0:1], 0x40
	s_load_b128 s[4:7], s[0:1], 0x68
	s_load_b128 s[12:15], s[0:1], 0x18
	s_load_b32 s33, s[0:1], 0x8
	s_load_b96 s[16:18], s[0:1], 0x50
	s_load_b128 s[8:11], s[0:1], 0x30
	s_load_b32 s23, s[0:1], 0x0
	s_load_b32 s3, s[0:1], 0x28
	s_load_b32 s35, s[0:1], 0x78
	s_load_b64 s[26:27], s[0:1], 0x80
	v_and_b32_e32 v1, 31, v0
	v_lshrrev_b32_e32 v2, 3, v0
	v_mov_b32_e32 v9, 0
	v_mbcnt_lo_u32_b32 v15, -1, 0
	v_cmp_eq_u32_e64 s0, 0, v0
	v_lshlrev_b32_e32 v10, 2, v1
	v_cmp_eq_u32_e64 s2, 0, v1
	v_and_b32_e32 v11, 0x7c, v2
	v_cmp_gt_u32_e64 s1, 32, v0
	v_lshl_or_b32 v16, v15, 2, 64
	s_wait_kmcnt 0x0
	s_lshl_b64 s[20:21], s[20:21], 1
	s_lshl_b64 s[28:29], s[6:7], 2
	;; [unrolled: 1-line block ×3, first 2 shown]
	s_cmp_eq_f32 s33, 0
	v_mul_lo_u32 v12, v0, s22
	s_mov_b32 s25, 0
	v_cmp_gt_i32_e32 vcc_lo, s23, v0
	s_cselect_b32 s34, -1, 0
	s_cmp_neq_f32 s33, 0
	s_mul_i32 s38, s35, ttmp9
	s_mul_i32 s40, s3, ttmp9
	v_cndmask_b32_e32 v1, 0, v0, vcc_lo
	s_cselect_b32 s6, -1, 0
	s_cmp_neq_f32 s18, 1.0
	s_delay_alu instid0(VALU_DEP_1) | instskip(SKIP_1) | instid1(SALU_CYCLE_1)
	v_lshlrev_b32_e32 v1, 1, v1
	s_cselect_b32 s7, -1, 0
	s_or_b32 s35, s6, s7
	s_cmp_neq_f32 s18, 0
	s_add_nc_u64 s[6:7], s[10:11], s[20:21]
	s_add_nc_u64 s[10:11], s[4:5], s[28:29]
	;; [unrolled: 1-line block ×3, first 2 shown]
	s_cselect_b32 s36, -1, 0
	s_ashr_i32 s3, s23, 31
	s_ashr_i32 s41, s40, 31
	s_lshr_b32 s3, s3, 22
	s_ashr_i32 s39, s38, 31
	s_add_co_i32 s3, s23, s3
	s_lshl_b32 s37, s22, 10
	s_and_b32 s14, s3, 0xfffffc00
	v_add_co_u32 v4, s3, s4, v1
	v_or_b32_e32 v2, s14, v0
	v_add_co_ci_u32_e64 v5, null, s5, 0, s3
	s_lshl_b64 s[4:5], s[40:41], 1
	v_cmp_gt_i32_e64 s3, s14, v0
	v_mul_lo_u32 v3, s22, v2
	s_wait_alu 0xfffe
	v_add_co_u32 v13, vcc_lo, v4, s4
	s_add_nc_u64 s[20:21], s[30:31], s[4:5]
	s_wait_alu 0xfffd
	v_add_co_ci_u32_e64 v14, null, s5, v5, vcc_lo
	s_add_nc_u64 s[12:13], s[12:13], s[20:21]
	v_cmp_gt_i32_e64 s4, s23, v2
	v_ashrrev_i32_e32 v4, 31, v3
	v_add_co_u32 v1, s5, s12, v1
	s_wait_alu 0xf1ff
	v_add_co_ci_u32_e64 v2, null, s13, 0, s5
	s_delay_alu instid0(VALU_DEP_3)
	v_lshlrev_b64_e32 v[3:4], 1, v[3:4]
	s_ashr_i32 s15, s14, 31
	s_lshl_b64 s[12:13], s[8:9], 1
	s_lshl_b64 s[20:21], s[38:39], 2
	s_wait_alu 0xfffe
	s_lshl_b64 s[22:23], s[14:15], 1
	s_branch .LBB652_4
.LBB652_2:                              ;   in Loop: Header=BB652_4 Depth=1
	s_wait_alu 0xfffe
	s_or_b32 exec_lo, exec_lo, s5
.LBB652_3:                              ;   in Loop: Header=BB652_4 Depth=1
	s_add_co_i32 s24, s24, 0x10000
	s_wait_alu 0xfffe
	s_cmp_lt_u32 s24, s19
	s_cbranch_scc0 .LBB652_42
.LBB652_4:                              ; =>This Loop Header: Depth=1
                                        ;     Child Loop BB652_24 Depth 2
	s_and_not1_b32 vcc_lo, exec_lo, s35
	s_wait_alu 0xfffe
	s_cbranch_vccnz .LBB652_3
; %bb.5:                                ;   in Loop: Header=BB652_4 Depth=1
	s_mul_u64 s[28:29], s[26:27], s[24:25]
	s_and_not1_b32 vcc_lo, exec_lo, s34
	s_lshl_b64 s[28:29], s[28:29], 2
	s_delay_alu instid0(SALU_CYCLE_1)
	s_add_nc_u64 s[28:29], s[10:11], s[28:29]
	s_wait_alu 0xfffe
	s_cbranch_vccnz .LBB652_9
; %bb.6:                                ;   in Loop: Header=BB652_4 Depth=1
	s_mov_b32 s5, 0
	s_mov_b32 s15, 0
                                        ; implicit-def: $vgpr5
	s_and_saveexec_b32 s30, s0
	s_cbranch_execz .LBB652_10
; %bb.7:                                ;   in Loop: Header=BB652_4 Depth=1
	s_and_not1_b32 vcc_lo, exec_lo, s36
	s_wait_alu 0xfffe
	s_cbranch_vccnz .LBB652_11
; %bb.8:                                ;   in Loop: Header=BB652_4 Depth=1
	s_add_nc_u64 s[38:39], s[28:29], s[20:21]
	global_load_b32 v5, v9, s[38:39]
	s_wait_loadcnt 0x0
	v_mul_f32_e32 v5, s18, v5
	s_branch .LBB652_12
.LBB652_9:                              ;   in Loop: Header=BB652_4 Depth=1
	s_mov_b32 s15, 0
                                        ; implicit-def: $vgpr5
	s_cbranch_execnz .LBB652_13
	s_branch .LBB652_34
.LBB652_10:                             ;   in Loop: Header=BB652_4 Depth=1
	s_wait_alu 0xfffe
	s_or_b32 exec_lo, exec_lo, s30
	s_delay_alu instid0(SALU_CYCLE_1)
	s_and_b32 vcc_lo, exec_lo, s5
	s_wait_alu 0xfffe
	s_cbranch_vccnz .LBB652_13
	s_branch .LBB652_34
.LBB652_11:                             ;   in Loop: Header=BB652_4 Depth=1
	v_mov_b32_e32 v5, 0
.LBB652_12:                             ;   in Loop: Header=BB652_4 Depth=1
	s_mov_b32 s15, exec_lo
	s_or_b32 exec_lo, exec_lo, s30
	s_delay_alu instid0(SALU_CYCLE_1)
	s_and_b32 vcc_lo, exec_lo, s5
	s_wait_alu 0xfffe
	s_cbranch_vccz .LBB652_34
.LBB652_13:                             ;   in Loop: Header=BB652_4 Depth=1
	s_mul_u64 s[30:31], s[16:17], s[24:25]
	s_wait_dscnt 0x0
	v_mov_b32_e32 v17, 0
	s_wait_alu 0xfffe
	s_lshl_b64 s[30:31], s[30:31], 1
	s_wait_alu 0xfffe
	s_add_nc_u64 s[30:31], s[6:7], s[30:31]
	s_and_saveexec_b32 s38, s3
	s_cbranch_execnz .LBB652_22
; %bb.14:                               ;   in Loop: Header=BB652_4 Depth=1
	s_wait_alu 0xfffe
	s_or_b32 exec_lo, exec_lo, s38
	s_and_saveexec_b32 s5, s4
	s_cbranch_execnz .LBB652_37
.LBB652_15:                             ;   in Loop: Header=BB652_4 Depth=1
	s_wait_alu 0xfffe
	s_or_b32 exec_lo, exec_lo, s5
	s_and_saveexec_b32 s5, s1
.LBB652_16:                             ;   in Loop: Header=BB652_4 Depth=1
	ds_store_b32 v10, v9
.LBB652_17:                             ;   in Loop: Header=BB652_4 Depth=1
	s_wait_alu 0xfffe
	s_or_b32 exec_lo, exec_lo, s5
	ds_bpermute_b32 v6, v16, v17
	v_cmp_gt_u32_e32 vcc_lo, 24, v15
	s_wait_dscnt 0x0
	s_barrier_signal -1
	s_barrier_wait -1
	global_inv scope:SCOPE_SE
	s_wait_alu 0xfffd
	v_cndmask_b32_e64 v5, 0, 8, vcc_lo
	v_cmp_gt_u32_e32 vcc_lo, 28, v15
	s_delay_alu instid0(VALU_DEP_2)
	v_add_lshl_u32 v5, v5, v15, 2
	v_add_f32_e32 v7, v17, v6
	s_wait_alu 0xfffd
	v_cndmask_b32_e64 v6, 0, 4, vcc_lo
	v_cmp_gt_u32_e32 vcc_lo, 30, v15
	ds_bpermute_b32 v8, v5, v7
	v_add_lshl_u32 v6, v6, v15, 2
	s_wait_dscnt 0x0
	v_add_f32_e32 v8, v7, v8
	s_wait_alu 0xfffd
	v_cndmask_b32_e64 v7, 0, 2, vcc_lo
	v_cmp_ne_u32_e32 vcc_lo, 31, v15
	ds_bpermute_b32 v17, v6, v8
	v_add_lshl_u32 v7, v7, v15, 2
	s_wait_alu 0xfffd
	v_add_co_ci_u32_e64 v18, null, 0, v15, vcc_lo
	s_wait_dscnt 0x0
	v_add_f32_e32 v8, v8, v17
	ds_bpermute_b32 v17, v7, v8
	s_wait_dscnt 0x0
	v_dual_add_f32 v17, v8, v17 :: v_dual_lshlrev_b32 v8, 2, v18
	ds_bpermute_b32 v18, v8, v17
	s_and_saveexec_b32 s5, s2
	s_cbranch_execz .LBB652_19
; %bb.18:                               ;   in Loop: Header=BB652_4 Depth=1
	s_wait_dscnt 0x0
	v_add_f32_e32 v17, v17, v18
	ds_store_b32 v11, v17
.LBB652_19:                             ;   in Loop: Header=BB652_4 Depth=1
	s_wait_alu 0xfffe
	s_or_b32 exec_lo, exec_lo, s5
	v_mov_b32_e32 v17, 0
	s_wait_loadcnt_dscnt 0x0
	s_barrier_signal -1
	s_barrier_wait -1
	global_inv scope:SCOPE_SE
	s_and_saveexec_b32 s5, s1
	s_cbranch_execnz .LBB652_28
; %bb.20:                               ;   in Loop: Header=BB652_4 Depth=1
	s_wait_alu 0xfffe
	s_or_b32 exec_lo, exec_lo, s5
	s_and_saveexec_b32 s5, s1
	s_cbranch_execnz .LBB652_29
.LBB652_21:                             ;   in Loop: Header=BB652_4 Depth=1
	s_wait_alu 0xfffe
	s_or_b32 exec_lo, exec_lo, s5
                                        ; implicit-def: $vgpr5
	s_and_saveexec_b32 s5, s0
	s_cbranch_execnz .LBB652_30
	s_branch .LBB652_33
.LBB652_22:                             ;   in Loop: Header=BB652_4 Depth=1
	v_mad_co_u64_u32 v[5:6], null, s12, s24, v[1:2]
	v_dual_mov_b32 v17, 0 :: v_dual_mov_b32 v18, v0
	s_mov_b32 s39, 0
	s_delay_alu instid0(VALU_DEP_2)
	v_mad_co_u64_u32 v[6:7], null, s13, s24, v[6:7]
	v_mov_b32_e32 v7, v12
	s_branch .LBB652_24
.LBB652_23:                             ;   in Loop: Header=BB652_24 Depth=2
	s_wait_alu 0xfffe
	s_or_b32 exec_lo, exec_lo, s5
	s_delay_alu instid0(VALU_DEP_1) | instskip(SKIP_3) | instid1(VALU_DEP_4)
	v_and_b32_e32 v8, 0xffff0000, v19
	v_add_nc_u32_e32 v18, 0x400, v18
	v_add_co_u32 v5, s5, 0x800, v5
	v_add_nc_u32_e32 v7, s37, v7
	v_add_f32_e32 v17, v17, v8
	s_delay_alu instid0(VALU_DEP_4)
	v_cmp_le_i32_e32 vcc_lo, s14, v18
	s_wait_alu 0xf1ff
	v_add_co_ci_u32_e64 v6, null, 0, v6, s5
	s_or_b32 s39, vcc_lo, s39
	s_wait_alu 0xfffe
	s_and_not1_b32 exec_lo, exec_lo, s39
	s_cbranch_execz .LBB652_36
.LBB652_24:                             ;   Parent Loop BB652_4 Depth=1
                                        ; =>  This Inner Loop Header: Depth=2
	s_delay_alu instid0(VALU_DEP_1) | instskip(NEXT) | instid1(VALU_DEP_1)
	v_ashrrev_i32_e32 v8, 31, v7
	v_lshlrev_b64_e32 v[19:20], 1, v[7:8]
	s_wait_alu 0xfffe
	s_delay_alu instid0(VALU_DEP_1) | instskip(SKIP_1) | instid1(VALU_DEP_2)
	v_add_co_u32 v19, vcc_lo, s30, v19
	s_wait_alu 0xfffd
	v_add_co_ci_u32_e64 v20, null, s31, v20, vcc_lo
	global_load_u16 v8, v[5:6], off
	global_load_u16 v19, v[19:20], off
	s_wait_loadcnt 0x1
	v_lshlrev_b32_e32 v8, 16, v8
	s_wait_loadcnt 0x0
	v_lshlrev_b32_e32 v19, 16, v19
	s_delay_alu instid0(VALU_DEP_1) | instskip(NEXT) | instid1(VALU_DEP_1)
	v_mul_f32_e32 v8, v8, v19
	v_and_b32_e32 v19, 0x7f800000, v8
	s_delay_alu instid0(VALU_DEP_1)
	v_cmp_ne_u32_e32 vcc_lo, 0x7f800000, v19
                                        ; implicit-def: $vgpr19
	s_and_saveexec_b32 s5, vcc_lo
	s_wait_alu 0xfffe
	s_xor_b32 s5, exec_lo, s5
; %bb.25:                               ;   in Loop: Header=BB652_24 Depth=2
	v_bfe_u32 v19, v8, 16, 1
	s_delay_alu instid0(VALU_DEP_1)
	v_add3_u32 v19, v8, v19, 0x7fff
                                        ; implicit-def: $vgpr8
; %bb.26:                               ;   in Loop: Header=BB652_24 Depth=2
	s_wait_alu 0xfffe
	s_and_not1_saveexec_b32 s5, s5
	s_cbranch_execz .LBB652_23
; %bb.27:                               ;   in Loop: Header=BB652_24 Depth=2
	v_and_b32_e32 v19, 0xffff, v8
	v_or_b32_e32 v20, 0x10000, v8
	s_delay_alu instid0(VALU_DEP_2) | instskip(SKIP_1) | instid1(VALU_DEP_2)
	v_cmp_eq_u32_e32 vcc_lo, 0, v19
	s_wait_alu 0xfffd
	v_cndmask_b32_e32 v19, v20, v8, vcc_lo
	s_branch .LBB652_23
.LBB652_28:                             ;   in Loop: Header=BB652_4 Depth=1
	ds_load_b32 v17, v10
	s_wait_alu 0xfffe
	s_or_b32 exec_lo, exec_lo, s5
	s_and_saveexec_b32 s5, s1
	s_cbranch_execz .LBB652_21
.LBB652_29:                             ;   in Loop: Header=BB652_4 Depth=1
	s_wait_dscnt 0x0
	ds_bpermute_b32 v18, v16, v17
	s_wait_dscnt 0x0
	v_add_f32_e32 v17, v17, v18
	ds_bpermute_b32 v5, v5, v17
	s_wait_dscnt 0x0
	v_add_f32_e32 v5, v17, v5
	;; [unrolled: 3-line block ×5, first 2 shown]
	s_wait_alu 0xfffe
	s_or_b32 exec_lo, exec_lo, s5
                                        ; implicit-def: $vgpr5
	s_and_saveexec_b32 s5, s0
	s_cbranch_execz .LBB652_33
.LBB652_30:                             ;   in Loop: Header=BB652_4 Depth=1
	s_wait_dscnt 0x0
	v_mul_f32_e32 v5, s33, v17
	s_and_not1_b32 vcc_lo, exec_lo, s36
	s_wait_alu 0xfffe
	s_cbranch_vccnz .LBB652_32
; %bb.31:                               ;   in Loop: Header=BB652_4 Depth=1
	s_add_nc_u64 s[30:31], s[28:29], s[20:21]
	global_load_b32 v6, v9, s[30:31]
	s_wait_loadcnt 0x0
	v_fmac_f32_e32 v5, s18, v6
.LBB652_32:                             ;   in Loop: Header=BB652_4 Depth=1
	s_or_b32 s15, s15, exec_lo
.LBB652_33:                             ;   in Loop: Header=BB652_4 Depth=1
	s_wait_alu 0xfffe
	s_or_b32 exec_lo, exec_lo, s5
.LBB652_34:                             ;   in Loop: Header=BB652_4 Depth=1
	s_wait_alu 0xfffe
	s_and_saveexec_b32 s5, s15
	s_cbranch_execz .LBB652_2
; %bb.35:                               ;   in Loop: Header=BB652_4 Depth=1
	s_add_nc_u64 s[28:29], s[28:29], s[20:21]
	global_store_b32 v9, v5, s[28:29]
	s_branch .LBB652_2
.LBB652_36:                             ;   in Loop: Header=BB652_4 Depth=1
	s_or_b32 exec_lo, exec_lo, s39
	s_delay_alu instid0(SALU_CYCLE_1)
	s_or_b32 exec_lo, exec_lo, s38
	s_and_saveexec_b32 s5, s4
	s_cbranch_execz .LBB652_15
.LBB652_37:                             ;   in Loop: Header=BB652_4 Depth=1
	s_mul_u64 s[38:39], s[8:9], s[24:25]
	s_wait_alu 0xfffe
	s_lshl_b64 s[38:39], s[38:39], 1
	s_wait_alu 0xfffe
	v_add_co_u32 v5, vcc_lo, v13, s38
	s_wait_alu 0xfffd
	v_add_co_ci_u32_e64 v6, null, s39, v14, vcc_lo
	s_delay_alu instid0(VALU_DEP_2) | instskip(SKIP_1) | instid1(VALU_DEP_2)
	v_add_co_u32 v5, vcc_lo, v5, s22
	s_wait_alu 0xfffd
	v_add_co_ci_u32_e64 v6, null, s23, v6, vcc_lo
	v_add_co_u32 v7, vcc_lo, s30, v3
	s_wait_alu 0xfffd
	v_add_co_ci_u32_e64 v8, null, s31, v4, vcc_lo
	global_load_u16 v5, v[5:6], off
	global_load_u16 v6, v[7:8], off
	s_wait_loadcnt 0x1
	v_lshlrev_b32_e32 v5, 16, v5
	s_wait_loadcnt 0x0
	v_lshlrev_b32_e32 v6, 16, v6
	s_delay_alu instid0(VALU_DEP_1) | instskip(NEXT) | instid1(VALU_DEP_1)
	v_mul_f32_e32 v5, v5, v6
	v_and_b32_e32 v6, 0x7f800000, v5
	s_delay_alu instid0(VALU_DEP_1)
	v_cmp_ne_u32_e32 vcc_lo, 0x7f800000, v6
                                        ; implicit-def: $vgpr6
	s_and_saveexec_b32 s30, vcc_lo
	s_wait_alu 0xfffe
	s_xor_b32 s30, exec_lo, s30
; %bb.38:                               ;   in Loop: Header=BB652_4 Depth=1
	v_bfe_u32 v6, v5, 16, 1
	s_delay_alu instid0(VALU_DEP_1)
	v_add3_u32 v6, v5, v6, 0x7fff
                                        ; implicit-def: $vgpr5
; %bb.39:                               ;   in Loop: Header=BB652_4 Depth=1
	s_wait_alu 0xfffe
	s_and_not1_saveexec_b32 s30, s30
; %bb.40:                               ;   in Loop: Header=BB652_4 Depth=1
	v_and_b32_e32 v6, 0xffff, v5
	v_or_b32_e32 v7, 0x10000, v5
	s_delay_alu instid0(VALU_DEP_2) | instskip(SKIP_1) | instid1(VALU_DEP_2)
	v_cmp_eq_u32_e32 vcc_lo, 0, v6
	s_wait_alu 0xfffd
	v_cndmask_b32_e32 v6, v7, v5, vcc_lo
; %bb.41:                               ;   in Loop: Header=BB652_4 Depth=1
	s_wait_alu 0xfffe
	s_or_b32 exec_lo, exec_lo, s30
	s_delay_alu instid0(VALU_DEP_1) | instskip(NEXT) | instid1(VALU_DEP_1)
	v_and_b32_e32 v5, 0xffff0000, v6
	v_add_f32_e32 v17, v17, v5
	s_or_b32 exec_lo, exec_lo, s5
	s_and_saveexec_b32 s5, s1
	s_cbranch_execnz .LBB652_16
	s_branch .LBB652_17
.LBB652_42:
	s_endpgm
	.section	.rodata,"a",@progbits
	.p2align	6, 0x0
	.amdhsa_kernel _ZL32rocblas_gemvt_warp_reduce_kernelILb0ELi1024Ei16rocblas_bfloat16ffEviiT3_lPKT2_lT1_lS4_lS5_lS1_lPT4_lS5_li
		.amdhsa_group_segment_fixed_size 128
		.amdhsa_private_segment_fixed_size 0
		.amdhsa_kernarg_size 140
		.amdhsa_user_sgpr_count 2
		.amdhsa_user_sgpr_dispatch_ptr 0
		.amdhsa_user_sgpr_queue_ptr 0
		.amdhsa_user_sgpr_kernarg_segment_ptr 1
		.amdhsa_user_sgpr_dispatch_id 0
		.amdhsa_user_sgpr_private_segment_size 0
		.amdhsa_wavefront_size32 1
		.amdhsa_uses_dynamic_stack 0
		.amdhsa_enable_private_segment 0
		.amdhsa_system_sgpr_workgroup_id_x 1
		.amdhsa_system_sgpr_workgroup_id_y 0
		.amdhsa_system_sgpr_workgroup_id_z 1
		.amdhsa_system_sgpr_workgroup_info 0
		.amdhsa_system_vgpr_workitem_id 0
		.amdhsa_next_free_vgpr 21
		.amdhsa_next_free_sgpr 42
		.amdhsa_reserve_vcc 1
		.amdhsa_float_round_mode_32 0
		.amdhsa_float_round_mode_16_64 0
		.amdhsa_float_denorm_mode_32 3
		.amdhsa_float_denorm_mode_16_64 3
		.amdhsa_fp16_overflow 0
		.amdhsa_workgroup_processor_mode 1
		.amdhsa_memory_ordered 1
		.amdhsa_forward_progress 1
		.amdhsa_inst_pref_size 15
		.amdhsa_round_robin_scheduling 0
		.amdhsa_exception_fp_ieee_invalid_op 0
		.amdhsa_exception_fp_denorm_src 0
		.amdhsa_exception_fp_ieee_div_zero 0
		.amdhsa_exception_fp_ieee_overflow 0
		.amdhsa_exception_fp_ieee_underflow 0
		.amdhsa_exception_fp_ieee_inexact 0
		.amdhsa_exception_int_div_zero 0
	.end_amdhsa_kernel
	.section	.text._ZL32rocblas_gemvt_warp_reduce_kernelILb0ELi1024Ei16rocblas_bfloat16ffEviiT3_lPKT2_lT1_lS4_lS5_lS1_lPT4_lS5_li,"axG",@progbits,_ZL32rocblas_gemvt_warp_reduce_kernelILb0ELi1024Ei16rocblas_bfloat16ffEviiT3_lPKT2_lT1_lS4_lS5_lS1_lPT4_lS5_li,comdat
.Lfunc_end652:
	.size	_ZL32rocblas_gemvt_warp_reduce_kernelILb0ELi1024Ei16rocblas_bfloat16ffEviiT3_lPKT2_lT1_lS4_lS5_lS1_lPT4_lS5_li, .Lfunc_end652-_ZL32rocblas_gemvt_warp_reduce_kernelILb0ELi1024Ei16rocblas_bfloat16ffEviiT3_lPKT2_lT1_lS4_lS5_lS1_lPT4_lS5_li
                                        ; -- End function
	.set _ZL32rocblas_gemvt_warp_reduce_kernelILb0ELi1024Ei16rocblas_bfloat16ffEviiT3_lPKT2_lT1_lS4_lS5_lS1_lPT4_lS5_li.num_vgpr, 21
	.set _ZL32rocblas_gemvt_warp_reduce_kernelILb0ELi1024Ei16rocblas_bfloat16ffEviiT3_lPKT2_lT1_lS4_lS5_lS1_lPT4_lS5_li.num_agpr, 0
	.set _ZL32rocblas_gemvt_warp_reduce_kernelILb0ELi1024Ei16rocblas_bfloat16ffEviiT3_lPKT2_lT1_lS4_lS5_lS1_lPT4_lS5_li.numbered_sgpr, 42
	.set _ZL32rocblas_gemvt_warp_reduce_kernelILb0ELi1024Ei16rocblas_bfloat16ffEviiT3_lPKT2_lT1_lS4_lS5_lS1_lPT4_lS5_li.num_named_barrier, 0
	.set _ZL32rocblas_gemvt_warp_reduce_kernelILb0ELi1024Ei16rocblas_bfloat16ffEviiT3_lPKT2_lT1_lS4_lS5_lS1_lPT4_lS5_li.private_seg_size, 0
	.set _ZL32rocblas_gemvt_warp_reduce_kernelILb0ELi1024Ei16rocblas_bfloat16ffEviiT3_lPKT2_lT1_lS4_lS5_lS1_lPT4_lS5_li.uses_vcc, 1
	.set _ZL32rocblas_gemvt_warp_reduce_kernelILb0ELi1024Ei16rocblas_bfloat16ffEviiT3_lPKT2_lT1_lS4_lS5_lS1_lPT4_lS5_li.uses_flat_scratch, 0
	.set _ZL32rocblas_gemvt_warp_reduce_kernelILb0ELi1024Ei16rocblas_bfloat16ffEviiT3_lPKT2_lT1_lS4_lS5_lS1_lPT4_lS5_li.has_dyn_sized_stack, 0
	.set _ZL32rocblas_gemvt_warp_reduce_kernelILb0ELi1024Ei16rocblas_bfloat16ffEviiT3_lPKT2_lT1_lS4_lS5_lS1_lPT4_lS5_li.has_recursion, 0
	.set _ZL32rocblas_gemvt_warp_reduce_kernelILb0ELi1024Ei16rocblas_bfloat16ffEviiT3_lPKT2_lT1_lS4_lS5_lS1_lPT4_lS5_li.has_indirect_call, 0
	.section	.AMDGPU.csdata,"",@progbits
; Kernel info:
; codeLenInByte = 1820
; TotalNumSgprs: 44
; NumVgprs: 21
; ScratchSize: 0
; MemoryBound: 0
; FloatMode: 240
; IeeeMode: 1
; LDSByteSize: 128 bytes/workgroup (compile time only)
; SGPRBlocks: 0
; VGPRBlocks: 2
; NumSGPRsForWavesPerEU: 44
; NumVGPRsForWavesPerEU: 21
; Occupancy: 16
; WaveLimiterHint : 0
; COMPUTE_PGM_RSRC2:SCRATCH_EN: 0
; COMPUTE_PGM_RSRC2:USER_SGPR: 2
; COMPUTE_PGM_RSRC2:TRAP_HANDLER: 0
; COMPUTE_PGM_RSRC2:TGID_X_EN: 1
; COMPUTE_PGM_RSRC2:TGID_Y_EN: 0
; COMPUTE_PGM_RSRC2:TGID_Z_EN: 1
; COMPUTE_PGM_RSRC2:TIDIG_COMP_CNT: 0
	.section	.text._ZL32rocblas_gemvt_warp_reduce_kernelILb0ELi1024El16rocblas_bfloat16ffEviiT3_lPKT2_lT1_lS4_lS5_lS1_lPT4_lS5_li,"axG",@progbits,_ZL32rocblas_gemvt_warp_reduce_kernelILb0ELi1024El16rocblas_bfloat16ffEviiT3_lPKT2_lT1_lS4_lS5_lS1_lPT4_lS5_li,comdat
	.globl	_ZL32rocblas_gemvt_warp_reduce_kernelILb0ELi1024El16rocblas_bfloat16ffEviiT3_lPKT2_lT1_lS4_lS5_lS1_lPT4_lS5_li ; -- Begin function _ZL32rocblas_gemvt_warp_reduce_kernelILb0ELi1024El16rocblas_bfloat16ffEviiT3_lPKT2_lT1_lS4_lS5_lS1_lPT4_lS5_li
	.p2align	8
	.type	_ZL32rocblas_gemvt_warp_reduce_kernelILb0ELi1024El16rocblas_bfloat16ffEviiT3_lPKT2_lT1_lS4_lS5_lS1_lPT4_lS5_li,@function
_ZL32rocblas_gemvt_warp_reduce_kernelILb0ELi1024El16rocblas_bfloat16ffEviiT3_lPKT2_lT1_lS4_lS5_lS1_lPT4_lS5_li: ; @_ZL32rocblas_gemvt_warp_reduce_kernelILb0ELi1024El16rocblas_bfloat16ffEviiT3_lPKT2_lT1_lS4_lS5_lS1_lPT4_lS5_li
; %bb.0:
	s_load_b32 s33, s[0:1], 0x88
	s_lshr_b32 s6, ttmp7, 16
	s_wait_kmcnt 0x0
	s_cmp_ge_u32 s6, s33
	s_cbranch_scc1 .LBB653_42
; %bb.1:
	s_clause 0x4
	s_load_b512 s[8:23], s[0:1], 0x18
	s_load_b256 s[24:31], s[0:1], 0x68
	s_load_b32 s34, s[0:1], 0x8
	s_load_b32 s35, s[0:1], 0x58
	;; [unrolled: 1-line block ×3, first 2 shown]
	s_mov_b32 s2, ttmp9
	v_dual_mov_b32 v11, 0 :: v_dual_and_b32 v4, 31, v0
	v_lshrrev_b32_e32 v7, 3, v0
	v_mbcnt_lo_u32_b32 v16, -1, 0
	v_cmp_eq_u32_e64 s0, 0, v0
	v_cmp_gt_u32_e64 s1, 32, v0
	v_lshlrev_b32_e32 v12, 2, v4
	s_mov_b32 s7, 0
	v_lshl_or_b32 v17, v16, 2, 64
	s_wait_kmcnt 0x0
	s_lshl_b64 s[4:5], s[18:19], 1
	s_lshl_b64 s[18:19], s[26:27], 2
	;; [unrolled: 1-line block ×3, first 2 shown]
	s_cmp_eq_f32 s34, 0
	v_cmp_gt_i32_e32 vcc_lo, s39, v0
	v_mad_co_u64_u32 v[1:2], null, s20, v0, 0
	s_cselect_b32 s36, -1, 0
	s_cmp_neq_f32 s34, 0
	v_cndmask_b32_e32 v3, 0, v0, vcc_lo
	s_add_nc_u64 s[10:11], s[16:17], s[4:5]
	s_add_nc_u64 s[16:17], s[24:25], s[18:19]
	s_cselect_b32 s3, -1, 0
	s_cmp_neq_f32 s35, 1.0
	v_lshlrev_b32_e32 v8, 1, v3
	s_add_nc_u64 s[4:5], s[8:9], s[26:27]
	v_mad_co_u64_u32 v[2:3], null, s21, v0, v[2:3]
	s_cselect_b32 s37, -1, 0
	v_add_co_u32 v3, s4, s4, v8
	s_or_b32 s37, s3, s37
	s_cmp_neq_f32 s35, 0
	s_wait_alu 0xf1ff
	v_add_co_ci_u32_e64 v9, null, s5, 0, s4
	s_cselect_b32 s38, -1, 0
	s_ashr_i32 s3, s39, 31
	s_delay_alu instid0(SALU_CYCLE_1) | instskip(NEXT) | instid1(SALU_CYCLE_1)
	s_lshr_b32 s3, s3, 22
	s_add_co_i32 s3, s39, s3
	s_delay_alu instid0(SALU_CYCLE_1)
	s_and_b32 s18, s3, 0xfffffc00
	s_ashr_i32 s3, ttmp9, 31
	v_or_b32_e32 v10, s18, v0
	s_mul_u64 s[4:5], s[12:13], s[2:3]
	s_ashr_i32 s19, s18, 31
	s_wait_alu 0xfffe
	s_lshl_b64 s[12:13], s[4:5], 1
	s_mul_i32 s4, s20, s19
	v_mul_lo_u32 v15, s21, v10
	v_mad_co_u64_u32 v[5:6], null, s20, v10, 0
	v_add_co_u32 v13, vcc_lo, v3, s12
	s_wait_alu 0xfffd
	v_add_co_ci_u32_e64 v14, null, s13, v9, vcc_lo
	s_add_nc_u64 s[12:13], s[12:13], s[26:27]
	s_mul_u64 s[24:25], s[28:29], s[2:3]
	s_wait_alu 0xfffe
	v_add3_u32 v6, v6, s4, v15
	v_cmp_eq_u32_e64 s4, 0, v4
	v_lshlrev_b64_e32 v[3:4], 1, v[1:2]
	s_add_nc_u64 s[8:9], s[8:9], s[12:13]
	v_cmp_gt_i32_e64 s2, s18, v0
	v_add_co_u32 v1, s5, s8, v8
	v_lshlrev_b64_e32 v[5:6], 1, v[5:6]
	s_delay_alu instid0(VALU_DEP_4)
	v_add_co_u32 v3, vcc_lo, s10, v3
	v_cmp_gt_i32_e64 s3, s39, v10
	v_and_b32_e32 v15, 0x7c, v7
	s_wait_alu 0xf1ff
	v_add_co_ci_u32_e64 v2, null, s9, 0, s5
	s_wait_alu 0xfffd
	v_add_co_ci_u32_e64 v4, null, s11, v4, vcc_lo
	s_lshl_b64 s[8:9], s[14:15], 1
	s_lshl_b64 s[12:13], s[22:23], 1
	;; [unrolled: 1-line block ×5, first 2 shown]
	s_branch .LBB653_4
.LBB653_2:                              ;   in Loop: Header=BB653_4 Depth=1
	s_wait_alu 0xfffe
	s_or_b32 exec_lo, exec_lo, s5
.LBB653_3:                              ;   in Loop: Header=BB653_4 Depth=1
	s_add_co_i32 s6, s6, 0x10000
	s_wait_alu 0xfffe
	s_cmp_lt_u32 s6, s33
	s_cbranch_scc0 .LBB653_42
.LBB653_4:                              ; =>This Loop Header: Depth=1
                                        ;     Child Loop BB653_24 Depth 2
	s_and_not1_b32 vcc_lo, exec_lo, s37
	s_wait_alu 0xfffe
	s_cbranch_vccnz .LBB653_3
; %bb.5:                                ;   in Loop: Header=BB653_4 Depth=1
	s_mul_u64 s[28:29], s[30:31], s[6:7]
	s_and_not1_b32 vcc_lo, exec_lo, s36
	s_lshl_b64 s[28:29], s[28:29], 2
	s_delay_alu instid0(SALU_CYCLE_1)
	s_add_nc_u64 s[28:29], s[16:17], s[28:29]
	s_wait_alu 0xfffe
	s_cbranch_vccnz .LBB653_9
; %bb.6:                                ;   in Loop: Header=BB653_4 Depth=1
	s_mov_b32 s5, 0
	s_mov_b32 s19, 0
                                        ; implicit-def: $vgpr7
	s_and_saveexec_b32 s39, s0
	s_cbranch_execz .LBB653_10
; %bb.7:                                ;   in Loop: Header=BB653_4 Depth=1
	s_and_not1_b32 vcc_lo, exec_lo, s38
	s_wait_alu 0xfffe
	s_cbranch_vccnz .LBB653_11
; %bb.8:                                ;   in Loop: Header=BB653_4 Depth=1
	s_add_nc_u64 s[40:41], s[28:29], s[24:25]
	global_load_b32 v7, v11, s[40:41]
	s_wait_loadcnt 0x0
	v_mul_f32_e32 v7, s35, v7
	s_branch .LBB653_12
.LBB653_9:                              ;   in Loop: Header=BB653_4 Depth=1
	s_mov_b32 s19, 0
                                        ; implicit-def: $vgpr7
	s_cbranch_execnz .LBB653_13
	s_branch .LBB653_34
.LBB653_10:                             ;   in Loop: Header=BB653_4 Depth=1
	s_wait_alu 0xfffe
	s_or_b32 exec_lo, exec_lo, s39
	s_delay_alu instid0(SALU_CYCLE_1)
	s_and_b32 vcc_lo, exec_lo, s5
	s_wait_alu 0xfffe
	s_cbranch_vccnz .LBB653_13
	s_branch .LBB653_34
.LBB653_11:                             ;   in Loop: Header=BB653_4 Depth=1
	v_mov_b32_e32 v7, 0
.LBB653_12:                             ;   in Loop: Header=BB653_4 Depth=1
	s_mov_b32 s19, exec_lo
	s_or_b32 exec_lo, exec_lo, s39
	s_delay_alu instid0(SALU_CYCLE_1)
	s_and_b32 vcc_lo, exec_lo, s5
	s_wait_alu 0xfffe
	s_cbranch_vccz .LBB653_34
.LBB653_13:                             ;   in Loop: Header=BB653_4 Depth=1
	s_wait_dscnt 0x0
	v_mov_b32_e32 v18, 0
	s_and_saveexec_b32 s39, s2
	s_cbranch_execnz .LBB653_22
; %bb.14:                               ;   in Loop: Header=BB653_4 Depth=1
	s_wait_alu 0xfffe
	s_or_b32 exec_lo, exec_lo, s39
	s_and_saveexec_b32 s5, s3
	s_cbranch_execnz .LBB653_37
.LBB653_15:                             ;   in Loop: Header=BB653_4 Depth=1
	s_wait_alu 0xfffe
	s_or_b32 exec_lo, exec_lo, s5
	s_and_saveexec_b32 s5, s1
.LBB653_16:                             ;   in Loop: Header=BB653_4 Depth=1
	ds_store_b32 v12, v11
.LBB653_17:                             ;   in Loop: Header=BB653_4 Depth=1
	s_wait_alu 0xfffe
	s_or_b32 exec_lo, exec_lo, s5
	ds_bpermute_b32 v8, v17, v18
	v_cmp_gt_u32_e32 vcc_lo, 24, v16
	s_wait_dscnt 0x0
	s_barrier_signal -1
	s_barrier_wait -1
	global_inv scope:SCOPE_SE
	s_wait_alu 0xfffd
	v_cndmask_b32_e64 v7, 0, 8, vcc_lo
	v_cmp_gt_u32_e32 vcc_lo, 28, v16
	s_delay_alu instid0(VALU_DEP_2)
	v_add_lshl_u32 v7, v7, v16, 2
	v_add_f32_e32 v9, v18, v8
	s_wait_alu 0xfffd
	v_cndmask_b32_e64 v8, 0, 4, vcc_lo
	v_cmp_gt_u32_e32 vcc_lo, 30, v16
	ds_bpermute_b32 v10, v7, v9
	v_add_lshl_u32 v8, v8, v16, 2
	s_wait_dscnt 0x0
	v_add_f32_e32 v10, v9, v10
	s_wait_alu 0xfffd
	v_cndmask_b32_e64 v9, 0, 2, vcc_lo
	v_cmp_ne_u32_e32 vcc_lo, 31, v16
	ds_bpermute_b32 v18, v8, v10
	v_add_lshl_u32 v9, v9, v16, 2
	s_wait_alu 0xfffd
	v_add_co_ci_u32_e64 v19, null, 0, v16, vcc_lo
	s_wait_dscnt 0x0
	v_add_f32_e32 v10, v10, v18
	ds_bpermute_b32 v18, v9, v10
	s_wait_dscnt 0x0
	v_add_f32_e32 v18, v10, v18
	v_lshlrev_b32_e32 v10, 2, v19
	ds_bpermute_b32 v19, v10, v18
	s_and_saveexec_b32 s5, s4
	s_cbranch_execz .LBB653_19
; %bb.18:                               ;   in Loop: Header=BB653_4 Depth=1
	s_wait_dscnt 0x0
	v_add_f32_e32 v18, v18, v19
	ds_store_b32 v15, v18
.LBB653_19:                             ;   in Loop: Header=BB653_4 Depth=1
	s_wait_alu 0xfffe
	s_or_b32 exec_lo, exec_lo, s5
	v_mov_b32_e32 v18, 0
	s_wait_loadcnt_dscnt 0x0
	s_barrier_signal -1
	s_barrier_wait -1
	global_inv scope:SCOPE_SE
	s_and_saveexec_b32 s5, s1
	s_cbranch_execnz .LBB653_28
; %bb.20:                               ;   in Loop: Header=BB653_4 Depth=1
	s_wait_alu 0xfffe
	s_or_b32 exec_lo, exec_lo, s5
	s_and_saveexec_b32 s5, s1
	s_cbranch_execnz .LBB653_29
.LBB653_21:                             ;   in Loop: Header=BB653_4 Depth=1
	s_wait_alu 0xfffe
	s_or_b32 exec_lo, exec_lo, s5
                                        ; implicit-def: $vgpr7
	s_and_saveexec_b32 s5, s0
	s_cbranch_execnz .LBB653_30
	s_branch .LBB653_33
.LBB653_22:                             ;   in Loop: Header=BB653_4 Depth=1
	v_mad_co_u64_u32 v[7:8], null, s8, s6, v[1:2]
	v_mad_co_u64_u32 v[9:10], null, s12, s6, v[3:4]
	v_mov_b32_e32 v18, 0
	s_mov_b32 s40, 0
	s_delay_alu instid0(VALU_DEP_2) | instskip(NEXT) | instid1(VALU_DEP_3)
	v_mad_co_u64_u32 v[19:20], null, s9, s6, v[8:9]
	v_mad_co_u64_u32 v[20:21], null, s13, s6, v[10:11]
	s_delay_alu instid0(VALU_DEP_2) | instskip(NEXT) | instid1(VALU_DEP_2)
	v_dual_mov_b32 v8, v19 :: v_dual_mov_b32 v19, v0
	v_mov_b32_e32 v10, v20
	s_branch .LBB653_24
.LBB653_23:                             ;   in Loop: Header=BB653_24 Depth=2
	s_wait_alu 0xfffe
	s_or_b32 exec_lo, exec_lo, s5
	s_delay_alu instid0(VALU_DEP_1)
	v_and_b32_e32 v20, 0xffff0000, v21
	v_add_nc_u32_e32 v19, 0x400, v19
	v_add_co_u32 v7, vcc_lo, 0x800, v7
	s_wait_alu 0xfffd
	v_add_co_ci_u32_e64 v8, null, 0, v8, vcc_lo
	v_add_f32_e32 v18, v18, v20
	v_cmp_le_i32_e32 vcc_lo, s18, v19
	v_add_co_u32 v9, s5, v9, s20
	s_wait_alu 0xf1ff
	v_add_co_ci_u32_e64 v10, null, s21, v10, s5
	s_or_b32 s40, vcc_lo, s40
	s_wait_alu 0xfffe
	s_and_not1_b32 exec_lo, exec_lo, s40
	s_cbranch_execz .LBB653_36
.LBB653_24:                             ;   Parent Loop BB653_4 Depth=1
                                        ; =>  This Inner Loop Header: Depth=2
	global_load_u16 v20, v[9:10], off
	global_load_u16 v21, v[7:8], off
	s_wait_loadcnt 0x1
	v_lshlrev_b32_e32 v20, 16, v20
	s_wait_loadcnt 0x0
	v_lshlrev_b32_e32 v21, 16, v21
	s_delay_alu instid0(VALU_DEP_1) | instskip(NEXT) | instid1(VALU_DEP_1)
	v_mul_f32_e32 v20, v21, v20
	v_and_b32_e32 v21, 0x7f800000, v20
	s_delay_alu instid0(VALU_DEP_1)
	v_cmp_ne_u32_e32 vcc_lo, 0x7f800000, v21
                                        ; implicit-def: $vgpr21
	s_and_saveexec_b32 s5, vcc_lo
	s_wait_alu 0xfffe
	s_xor_b32 s5, exec_lo, s5
; %bb.25:                               ;   in Loop: Header=BB653_24 Depth=2
	v_bfe_u32 v21, v20, 16, 1
	s_delay_alu instid0(VALU_DEP_1)
	v_add3_u32 v21, v20, v21, 0x7fff
                                        ; implicit-def: $vgpr20
; %bb.26:                               ;   in Loop: Header=BB653_24 Depth=2
	s_wait_alu 0xfffe
	s_and_not1_saveexec_b32 s5, s5
	s_cbranch_execz .LBB653_23
; %bb.27:                               ;   in Loop: Header=BB653_24 Depth=2
	v_and_b32_e32 v21, 0xffff, v20
	v_or_b32_e32 v22, 0x10000, v20
	s_delay_alu instid0(VALU_DEP_2) | instskip(SKIP_1) | instid1(VALU_DEP_2)
	v_cmp_eq_u32_e32 vcc_lo, 0, v21
	s_wait_alu 0xfffd
	v_cndmask_b32_e32 v21, v22, v20, vcc_lo
	s_branch .LBB653_23
.LBB653_28:                             ;   in Loop: Header=BB653_4 Depth=1
	ds_load_b32 v18, v12
	s_wait_alu 0xfffe
	s_or_b32 exec_lo, exec_lo, s5
	s_and_saveexec_b32 s5, s1
	s_cbranch_execz .LBB653_21
.LBB653_29:                             ;   in Loop: Header=BB653_4 Depth=1
	s_wait_dscnt 0x0
	ds_bpermute_b32 v19, v17, v18
	s_wait_dscnt 0x0
	v_add_f32_e32 v18, v18, v19
	ds_bpermute_b32 v7, v7, v18
	s_wait_dscnt 0x0
	v_add_f32_e32 v7, v18, v7
	;; [unrolled: 3-line block ×5, first 2 shown]
	s_wait_alu 0xfffe
	s_or_b32 exec_lo, exec_lo, s5
                                        ; implicit-def: $vgpr7
	s_and_saveexec_b32 s5, s0
	s_cbranch_execz .LBB653_33
.LBB653_30:                             ;   in Loop: Header=BB653_4 Depth=1
	s_wait_dscnt 0x0
	v_mul_f32_e32 v7, s34, v18
	s_and_not1_b32 vcc_lo, exec_lo, s38
	s_wait_alu 0xfffe
	s_cbranch_vccnz .LBB653_32
; %bb.31:                               ;   in Loop: Header=BB653_4 Depth=1
	s_add_nc_u64 s[40:41], s[28:29], s[24:25]
	global_load_b32 v8, v11, s[40:41]
	s_wait_loadcnt 0x0
	v_fmac_f32_e32 v7, s35, v8
.LBB653_32:                             ;   in Loop: Header=BB653_4 Depth=1
	s_or_b32 s19, s19, exec_lo
.LBB653_33:                             ;   in Loop: Header=BB653_4 Depth=1
	s_wait_alu 0xfffe
	s_or_b32 exec_lo, exec_lo, s5
.LBB653_34:                             ;   in Loop: Header=BB653_4 Depth=1
	s_wait_alu 0xfffe
	s_and_saveexec_b32 s5, s19
	s_cbranch_execz .LBB653_2
; %bb.35:                               ;   in Loop: Header=BB653_4 Depth=1
	s_add_nc_u64 s[28:29], s[28:29], s[24:25]
	global_store_b32 v11, v7, s[28:29]
	s_branch .LBB653_2
.LBB653_36:                             ;   in Loop: Header=BB653_4 Depth=1
	s_or_b32 exec_lo, exec_lo, s40
	s_delay_alu instid0(SALU_CYCLE_1)
	s_or_b32 exec_lo, exec_lo, s39
	s_and_saveexec_b32 s5, s3
	s_cbranch_execz .LBB653_15
.LBB653_37:                             ;   in Loop: Header=BB653_4 Depth=1
	s_mul_u64 s[40:41], s[14:15], s[6:7]
	s_mul_u64 s[42:43], s[22:23], s[6:7]
	s_wait_alu 0xfffe
	s_lshl_b64 s[40:41], s[40:41], 1
	s_lshl_b64 s[42:43], s[42:43], 1
	s_wait_alu 0xfffe
	v_add_co_u32 v9, vcc_lo, v13, s40
	s_wait_alu 0xfffd
	v_add_co_ci_u32_e64 v10, null, s41, v14, vcc_lo
	s_add_nc_u64 s[40:41], s[10:11], s[42:43]
	s_wait_alu 0xfffe
	v_add_co_u32 v7, vcc_lo, s40, v5
	s_wait_alu 0xfffd
	v_add_co_ci_u32_e64 v8, null, s41, v6, vcc_lo
	v_add_co_u32 v9, vcc_lo, v9, s26
	s_wait_alu 0xfffd
	v_add_co_ci_u32_e64 v10, null, s27, v10, vcc_lo
	global_load_u16 v7, v[7:8], off
	global_load_u16 v8, v[9:10], off
	s_wait_loadcnt 0x1
	v_lshlrev_b32_e32 v7, 16, v7
	s_wait_loadcnt 0x0
	v_lshlrev_b32_e32 v8, 16, v8
	s_delay_alu instid0(VALU_DEP_1) | instskip(NEXT) | instid1(VALU_DEP_1)
	v_mul_f32_e32 v7, v8, v7
	v_and_b32_e32 v8, 0x7f800000, v7
	s_delay_alu instid0(VALU_DEP_1)
	v_cmp_ne_u32_e32 vcc_lo, 0x7f800000, v8
                                        ; implicit-def: $vgpr8
	s_and_saveexec_b32 s39, vcc_lo
	s_wait_alu 0xfffe
	s_xor_b32 s39, exec_lo, s39
; %bb.38:                               ;   in Loop: Header=BB653_4 Depth=1
	v_bfe_u32 v8, v7, 16, 1
	s_delay_alu instid0(VALU_DEP_1)
	v_add3_u32 v8, v7, v8, 0x7fff
                                        ; implicit-def: $vgpr7
; %bb.39:                               ;   in Loop: Header=BB653_4 Depth=1
	s_wait_alu 0xfffe
	s_and_not1_saveexec_b32 s39, s39
; %bb.40:                               ;   in Loop: Header=BB653_4 Depth=1
	v_and_b32_e32 v8, 0xffff, v7
	v_or_b32_e32 v9, 0x10000, v7
	s_delay_alu instid0(VALU_DEP_2) | instskip(SKIP_1) | instid1(VALU_DEP_2)
	v_cmp_eq_u32_e32 vcc_lo, 0, v8
	s_wait_alu 0xfffd
	v_cndmask_b32_e32 v8, v9, v7, vcc_lo
; %bb.41:                               ;   in Loop: Header=BB653_4 Depth=1
	s_wait_alu 0xfffe
	s_or_b32 exec_lo, exec_lo, s39
	s_delay_alu instid0(VALU_DEP_1) | instskip(NEXT) | instid1(VALU_DEP_1)
	v_and_b32_e32 v7, 0xffff0000, v8
	v_add_f32_e32 v18, v18, v7
	s_or_b32 exec_lo, exec_lo, s5
	s_and_saveexec_b32 s5, s1
	s_cbranch_execnz .LBB653_16
	s_branch .LBB653_17
.LBB653_42:
	s_endpgm
	.section	.rodata,"a",@progbits
	.p2align	6, 0x0
	.amdhsa_kernel _ZL32rocblas_gemvt_warp_reduce_kernelILb0ELi1024El16rocblas_bfloat16ffEviiT3_lPKT2_lT1_lS4_lS5_lS1_lPT4_lS5_li
		.amdhsa_group_segment_fixed_size 128
		.amdhsa_private_segment_fixed_size 0
		.amdhsa_kernarg_size 140
		.amdhsa_user_sgpr_count 2
		.amdhsa_user_sgpr_dispatch_ptr 0
		.amdhsa_user_sgpr_queue_ptr 0
		.amdhsa_user_sgpr_kernarg_segment_ptr 1
		.amdhsa_user_sgpr_dispatch_id 0
		.amdhsa_user_sgpr_private_segment_size 0
		.amdhsa_wavefront_size32 1
		.amdhsa_uses_dynamic_stack 0
		.amdhsa_enable_private_segment 0
		.amdhsa_system_sgpr_workgroup_id_x 1
		.amdhsa_system_sgpr_workgroup_id_y 0
		.amdhsa_system_sgpr_workgroup_id_z 1
		.amdhsa_system_sgpr_workgroup_info 0
		.amdhsa_system_vgpr_workitem_id 0
		.amdhsa_next_free_vgpr 23
		.amdhsa_next_free_sgpr 44
		.amdhsa_reserve_vcc 1
		.amdhsa_float_round_mode_32 0
		.amdhsa_float_round_mode_16_64 0
		.amdhsa_float_denorm_mode_32 3
		.amdhsa_float_denorm_mode_16_64 3
		.amdhsa_fp16_overflow 0
		.amdhsa_workgroup_processor_mode 1
		.amdhsa_memory_ordered 1
		.amdhsa_forward_progress 1
		.amdhsa_inst_pref_size 15
		.amdhsa_round_robin_scheduling 0
		.amdhsa_exception_fp_ieee_invalid_op 0
		.amdhsa_exception_fp_denorm_src 0
		.amdhsa_exception_fp_ieee_div_zero 0
		.amdhsa_exception_fp_ieee_overflow 0
		.amdhsa_exception_fp_ieee_underflow 0
		.amdhsa_exception_fp_ieee_inexact 0
		.amdhsa_exception_int_div_zero 0
	.end_amdhsa_kernel
	.section	.text._ZL32rocblas_gemvt_warp_reduce_kernelILb0ELi1024El16rocblas_bfloat16ffEviiT3_lPKT2_lT1_lS4_lS5_lS1_lPT4_lS5_li,"axG",@progbits,_ZL32rocblas_gemvt_warp_reduce_kernelILb0ELi1024El16rocblas_bfloat16ffEviiT3_lPKT2_lT1_lS4_lS5_lS1_lPT4_lS5_li,comdat
.Lfunc_end653:
	.size	_ZL32rocblas_gemvt_warp_reduce_kernelILb0ELi1024El16rocblas_bfloat16ffEviiT3_lPKT2_lT1_lS4_lS5_lS1_lPT4_lS5_li, .Lfunc_end653-_ZL32rocblas_gemvt_warp_reduce_kernelILb0ELi1024El16rocblas_bfloat16ffEviiT3_lPKT2_lT1_lS4_lS5_lS1_lPT4_lS5_li
                                        ; -- End function
	.set _ZL32rocblas_gemvt_warp_reduce_kernelILb0ELi1024El16rocblas_bfloat16ffEviiT3_lPKT2_lT1_lS4_lS5_lS1_lPT4_lS5_li.num_vgpr, 23
	.set _ZL32rocblas_gemvt_warp_reduce_kernelILb0ELi1024El16rocblas_bfloat16ffEviiT3_lPKT2_lT1_lS4_lS5_lS1_lPT4_lS5_li.num_agpr, 0
	.set _ZL32rocblas_gemvt_warp_reduce_kernelILb0ELi1024El16rocblas_bfloat16ffEviiT3_lPKT2_lT1_lS4_lS5_lS1_lPT4_lS5_li.numbered_sgpr, 44
	.set _ZL32rocblas_gemvt_warp_reduce_kernelILb0ELi1024El16rocblas_bfloat16ffEviiT3_lPKT2_lT1_lS4_lS5_lS1_lPT4_lS5_li.num_named_barrier, 0
	.set _ZL32rocblas_gemvt_warp_reduce_kernelILb0ELi1024El16rocblas_bfloat16ffEviiT3_lPKT2_lT1_lS4_lS5_lS1_lPT4_lS5_li.private_seg_size, 0
	.set _ZL32rocblas_gemvt_warp_reduce_kernelILb0ELi1024El16rocblas_bfloat16ffEviiT3_lPKT2_lT1_lS4_lS5_lS1_lPT4_lS5_li.uses_vcc, 1
	.set _ZL32rocblas_gemvt_warp_reduce_kernelILb0ELi1024El16rocblas_bfloat16ffEviiT3_lPKT2_lT1_lS4_lS5_lS1_lPT4_lS5_li.uses_flat_scratch, 0
	.set _ZL32rocblas_gemvt_warp_reduce_kernelILb0ELi1024El16rocblas_bfloat16ffEviiT3_lPKT2_lT1_lS4_lS5_lS1_lPT4_lS5_li.has_dyn_sized_stack, 0
	.set _ZL32rocblas_gemvt_warp_reduce_kernelILb0ELi1024El16rocblas_bfloat16ffEviiT3_lPKT2_lT1_lS4_lS5_lS1_lPT4_lS5_li.has_recursion, 0
	.set _ZL32rocblas_gemvt_warp_reduce_kernelILb0ELi1024El16rocblas_bfloat16ffEviiT3_lPKT2_lT1_lS4_lS5_lS1_lPT4_lS5_li.has_indirect_call, 0
	.section	.AMDGPU.csdata,"",@progbits
; Kernel info:
; codeLenInByte = 1828
; TotalNumSgprs: 46
; NumVgprs: 23
; ScratchSize: 0
; MemoryBound: 0
; FloatMode: 240
; IeeeMode: 1
; LDSByteSize: 128 bytes/workgroup (compile time only)
; SGPRBlocks: 0
; VGPRBlocks: 2
; NumSGPRsForWavesPerEU: 46
; NumVGPRsForWavesPerEU: 23
; Occupancy: 16
; WaveLimiterHint : 0
; COMPUTE_PGM_RSRC2:SCRATCH_EN: 0
; COMPUTE_PGM_RSRC2:USER_SGPR: 2
; COMPUTE_PGM_RSRC2:TRAP_HANDLER: 0
; COMPUTE_PGM_RSRC2:TGID_X_EN: 1
; COMPUTE_PGM_RSRC2:TGID_Y_EN: 0
; COMPUTE_PGM_RSRC2:TGID_Z_EN: 1
; COMPUTE_PGM_RSRC2:TIDIG_COMP_CNT: 0
	.section	.text._ZL22rocblas_gemvtsm_kernelILb1ELi256E16rocblas_bfloat16PKffEviiT2_lPKT1_lilS6_lilS3_lPT3_lil,"axG",@progbits,_ZL22rocblas_gemvtsm_kernelILb1ELi256E16rocblas_bfloat16PKffEviiT2_lPKT1_lilS6_lilS3_lPT3_lil,comdat
	.globl	_ZL22rocblas_gemvtsm_kernelILb1ELi256E16rocblas_bfloat16PKffEviiT2_lPKT1_lilS6_lilS3_lPT3_lil ; -- Begin function _ZL22rocblas_gemvtsm_kernelILb1ELi256E16rocblas_bfloat16PKffEviiT2_lPKT1_lilS6_lilS3_lPT3_lil
	.p2align	8
	.type	_ZL22rocblas_gemvtsm_kernelILb1ELi256E16rocblas_bfloat16PKffEviiT2_lPKT1_lilS6_lilS3_lPT3_lil,@function
_ZL22rocblas_gemvtsm_kernelILb1ELi256E16rocblas_bfloat16PKffEviiT2_lPKT1_lilS6_lilS3_lPT3_lil: ; @_ZL22rocblas_gemvtsm_kernelILb1ELi256E16rocblas_bfloat16PKffEviiT2_lPKT1_lilS6_lilS3_lPT3_lil
; %bb.0:
	s_clause 0x1
	s_load_b256 s[4:11], s[0:1], 0x8
	s_load_b256 s[12:19], s[0:1], 0x50
	s_mov_b32 s24, ttmp9
	s_mov_b32 s25, 0
	s_wait_kmcnt 0x0
	s_mul_u64 s[2:3], s[6:7], s[24:25]
	s_delay_alu instid0(SALU_CYCLE_1) | instskip(NEXT) | instid1(SALU_CYCLE_1)
	s_lshl_b64 s[2:3], s[2:3], 2
	s_add_nc_u64 s[2:3], s[4:5], s[2:3]
	s_mul_u64 s[4:5], s[16:17], s[24:25]
	s_load_b32 s26, s[2:3], 0x0
	s_lshl_b64 s[2:3], s[4:5], 2
	s_delay_alu instid0(SALU_CYCLE_1)
	s_add_nc_u64 s[2:3], s[14:15], s[2:3]
	s_load_b32 s23, s[2:3], 0x0
	s_wait_kmcnt 0x0
	s_cmp_eq_f32 s26, 0
	s_cselect_b32 s2, -1, 0
	s_cmp_eq_f32 s23, 1.0
	s_cselect_b32 s3, -1, 0
	s_delay_alu instid0(SALU_CYCLE_1) | instskip(NEXT) | instid1(SALU_CYCLE_1)
	s_and_b32 s2, s2, s3
	s_and_b32 vcc_lo, exec_lo, s2
	s_cbranch_vccnz .LBB654_58
; %bb.1:
	s_clause 0x2
	s_load_b64 s[4:5], s[0:1], 0x80
	s_load_b96 s[20:22], s[0:1], 0x70
	s_load_b64 s[2:3], s[0:1], 0x0
	s_cmp_neq_f32 s26, 0
	s_wait_kmcnt 0x0
	s_mul_u64 s[14:15], s[4:5], s[24:25]
	s_cbranch_scc1 .LBB654_9
; %bb.2:
	s_cmp_gt_i32 s3, 0
	s_cselect_b32 s6, -1, 0
	s_cmp_neq_f32 s23, 0
	v_cndmask_b32_e64 v1, 0, 1, s6
	s_delay_alu instid0(VALU_DEP_1)
	v_cmp_ne_u32_e32 vcc_lo, 1, v1
	s_cbranch_scc1 .LBB654_10
; %bb.3:
	s_and_b32 vcc_lo, exec_lo, vcc_lo
	s_cbranch_vccnz .LBB654_8
; %bb.4:
	v_mad_co_i64_i32 v[1:2], null, s22, v0, 0
	s_lshl_b64 s[16:17], s[20:21], 2
	s_lshl_b64 s[28:29], s[14:15], 2
	s_add_nc_u64 s[16:17], s[18:19], s[16:17]
	v_mov_b32_e32 v3, 0
	s_add_nc_u64 s[16:17], s[16:17], s[28:29]
	s_ashr_i32 s5, s22, 31
	v_lshlrev_b64_e32 v[1:2], 2, v[1:2]
	s_mov_b32 s4, s22
	s_mov_b32 s7, 0
	s_lshl_b64 s[4:5], s[4:5], 10
	s_delay_alu instid0(VALU_DEP_1) | instskip(NEXT) | instid1(VALU_DEP_1)
	v_add_co_u32 v1, vcc_lo, s16, v1
	v_add_co_ci_u32_e64 v2, null, s17, v2, vcc_lo
	s_branch .LBB654_6
.LBB654_5:                              ;   in Loop: Header=BB654_6 Depth=1
	s_wait_alu 0xfffe
	s_or_b32 exec_lo, exec_lo, s16
	v_add_co_u32 v1, vcc_lo, v1, s4
	s_wait_alu 0xfffd
	v_add_co_ci_u32_e64 v2, null, s5, v2, vcc_lo
	s_addk_co_i32 s7, 0x100
	s_wait_alu 0xfffe
	s_cmp_ge_i32 s7, s3
	s_cbranch_scc1 .LBB654_8
.LBB654_6:                              ; =>This Inner Loop Header: Depth=1
	s_wait_alu 0xfffe
	v_add_nc_u32_e32 v4, s7, v0
	s_mov_b32 s16, exec_lo
	s_delay_alu instid0(VALU_DEP_1)
	v_cmpx_gt_i32_e64 s3, v4
	s_cbranch_execz .LBB654_5
; %bb.7:                                ;   in Loop: Header=BB654_6 Depth=1
	global_store_b32 v[1:2], v3, off
	s_branch .LBB654_5
.LBB654_8:
	s_cbranch_execz .LBB654_11
	s_branch .LBB654_16
.LBB654_9:
	s_branch .LBB654_17
.LBB654_10:
.LBB654_11:
	s_and_not1_b32 vcc_lo, exec_lo, s6
	s_wait_alu 0xfffe
	s_cbranch_vccnz .LBB654_16
; %bb.12:
	v_mad_co_i64_i32 v[1:2], null, s22, v0, 0
	s_lshl_b64 s[6:7], s[20:21], 2
	s_lshl_b64 s[16:17], s[14:15], 2
	s_wait_alu 0xfffe
	s_add_nc_u64 s[6:7], s[18:19], s[6:7]
	s_ashr_i32 s5, s22, 31
	s_wait_alu 0xfffe
	s_add_nc_u64 s[6:7], s[6:7], s[16:17]
	s_mov_b32 s4, s22
	v_lshlrev_b64_e32 v[1:2], 2, v[1:2]
	s_wait_alu 0xfffe
	s_lshl_b64 s[4:5], s[4:5], 10
	s_delay_alu instid0(VALU_DEP_1) | instskip(SKIP_1) | instid1(VALU_DEP_2)
	v_add_co_u32 v1, vcc_lo, s6, v1
	s_wait_alu 0xfffd
	v_add_co_ci_u32_e64 v2, null, s7, v2, vcc_lo
	s_mov_b32 s6, 0
	s_branch .LBB654_14
.LBB654_13:                             ;   in Loop: Header=BB654_14 Depth=1
	s_wait_alu 0xfffe
	s_or_b32 exec_lo, exec_lo, s7
	v_add_co_u32 v1, vcc_lo, v1, s4
	s_wait_alu 0xfffd
	v_add_co_ci_u32_e64 v2, null, s5, v2, vcc_lo
	s_addk_co_i32 s6, 0x100
	s_wait_alu 0xfffe
	s_cmp_ge_i32 s6, s3
	s_cbranch_scc1 .LBB654_16
.LBB654_14:                             ; =>This Inner Loop Header: Depth=1
	s_wait_alu 0xfffe
	v_add_nc_u32_e32 v3, s6, v0
	s_mov_b32 s7, exec_lo
	s_delay_alu instid0(VALU_DEP_1)
	v_cmpx_gt_i32_e64 s3, v3
	s_cbranch_execz .LBB654_13
; %bb.15:                               ;   in Loop: Header=BB654_14 Depth=1
	global_load_b32 v3, v[1:2], off
	s_wait_loadcnt 0x0
	v_mul_f32_e32 v3, s23, v3
	global_store_b32 v[1:2], v3, off
	s_branch .LBB654_13
.LBB654_16:
	s_cbranch_execnz .LBB654_58
.LBB654_17:
	s_clause 0x1
	s_load_b128 s[4:7], s[0:1], 0x30
	s_load_b64 s[16:17], s[0:1], 0x40
	s_mov_b32 s27, exec_lo
	v_cmpx_gt_i32_e64 s2, v0
	s_cbranch_execz .LBB654_23
; %bb.18:
	s_load_b32 s28, s[0:1], 0x48
	s_mul_u64 s[12:13], s[12:13], s[24:25]
	s_wait_kmcnt 0x0
	s_lshl_b64 s[16:17], s[16:17], 1
	s_lshl_b64 s[12:13], s[12:13], 1
	s_delay_alu instid0(SALU_CYCLE_1) | instskip(SKIP_3) | instid1(VALU_DEP_1)
	s_add_nc_u64 s[6:7], s[6:7], s[12:13]
	s_wait_alu 0xfffe
	s_add_nc_u64 s[6:7], s[6:7], s[16:17]
	v_mad_co_i64_i32 v[1:2], null, s28, v0, 0
	v_lshlrev_b64_e32 v[1:2], 1, v[1:2]
	s_wait_alu 0xfffe
	s_delay_alu instid0(VALU_DEP_1) | instskip(SKIP_1) | instid1(VALU_DEP_2)
	v_add_co_u32 v1, vcc_lo, s6, v1
	s_wait_alu 0xfffd
	v_add_co_ci_u32_e64 v2, null, s7, v2, vcc_lo
	global_load_u16 v1, v[1:2], off
	s_wait_loadcnt 0x0
	v_lshlrev_b32_e32 v1, 16, v1
	s_delay_alu instid0(VALU_DEP_1) | instskip(NEXT) | instid1(VALU_DEP_1)
	v_mul_f32_e32 v1, s26, v1
	v_and_b32_e32 v2, 0x7f800000, v1
	s_delay_alu instid0(VALU_DEP_1)
	v_cmp_ne_u32_e32 vcc_lo, 0x7f800000, v2
                                        ; implicit-def: $vgpr2
	s_and_saveexec_b32 s6, vcc_lo
	s_wait_alu 0xfffe
	s_xor_b32 s6, exec_lo, s6
; %bb.19:
	v_bfe_u32 v2, v1, 16, 1
	s_delay_alu instid0(VALU_DEP_1)
	v_add3_u32 v2, v1, v2, 0x7fff
                                        ; implicit-def: $vgpr1
; %bb.20:
	s_wait_alu 0xfffe
	s_and_not1_saveexec_b32 s6, s6
; %bb.21:
	v_and_b32_e32 v2, 0xffff, v1
	v_or_b32_e32 v3, 0x10000, v1
	s_delay_alu instid0(VALU_DEP_2) | instskip(SKIP_1) | instid1(VALU_DEP_2)
	v_cmp_eq_u32_e32 vcc_lo, 0, v2
	s_wait_alu 0xfffd
	v_cndmask_b32_e32 v2, v3, v1, vcc_lo
; %bb.22:
	s_wait_alu 0xfffe
	s_or_b32 exec_lo, exec_lo, s6
	s_delay_alu instid0(VALU_DEP_1)
	v_and_b32_e32 v1, 0xffff0000, v2
	v_lshlrev_b32_e32 v2, 2, v0
	ds_store_b32 v2, v1
.LBB654_23:
	s_or_b32 exec_lo, exec_lo, s27
	s_cmp_lt_i32 s3, 1
	s_wait_storecnt_dscnt 0x0
	s_barrier_signal -1
	s_barrier_wait -1
	global_inv scope:SCOPE_SE
	s_cbranch_scc1 .LBB654_58
; %bb.24:
	s_wait_kmcnt 0x0
	s_load_b32 s16, s[0:1], 0x28
	s_lshl_b64 s[0:1], s[14:15], 2
	s_lshl_b64 s[12:13], s[20:21], 2
	s_ashr_i32 s6, s22, 31
	s_add_nc_u64 s[0:1], s[18:19], s[0:1]
	s_mul_u64 s[4:5], s[4:5], s[24:25]
	s_add_nc_u64 s[0:1], s[0:1], s[12:13]
	s_wait_kmcnt 0x0
	s_ashr_i32 s17, s16, 31
	s_cmp_neq_f32 s23, 0
	v_mad_co_i64_i32 v[1:2], null, s16, v0, 0
	s_cselect_b32 s7, -1, 0
	s_cmp_gt_i32 s2, 0
	s_cselect_b32 s12, -1, 0
	s_and_b32 s13, s2, 3
	s_cmp_gt_u32 s2, 3
	v_lshlrev_b64_e32 v[1:2], 1, v[1:2]
	s_cselect_b32 s14, -1, 0
	s_and_b32 s2, s2, 0x7ffffffc
	s_cmp_lg_u32 s13, 0
	s_cselect_b32 s15, -1, 0
	s_lshl_b64 s[10:11], s[10:11], 1
	s_wait_alu 0xfffe
	s_lshl_b64 s[4:5], s[4:5], 1
	s_add_nc_u64 s[8:9], s[8:9], s[10:11]
	s_wait_alu 0xfffe
	s_add_nc_u64 s[4:5], s[8:9], s[4:5]
	s_mov_b32 s8, s22
	s_wait_alu 0xfffe
	v_add_co_u32 v7, vcc_lo, s4, v1
	s_wait_alu 0xfffd
	v_add_co_ci_u32_e64 v8, null, s5, v2, vcc_lo
	s_mov_b32 s9, 0
	v_add_co_u32 v1, vcc_lo, v7, 4
	s_wait_alu 0xfffd
	v_add_co_ci_u32_e64 v2, null, 0, v8, vcc_lo
	s_lshl_b64 s[4:5], s[16:17], 9
	s_branch .LBB654_27
.LBB654_25:                             ;   in Loop: Header=BB654_27 Depth=1
	v_add_co_u32 v3, vcc_lo, s0, v3
	s_wait_alu 0xfffd
	v_add_co_ci_u32_e64 v4, null, s1, v4, vcc_lo
	global_store_b32 v[3:4], v9, off
.LBB654_26:                             ;   in Loop: Header=BB654_27 Depth=1
	s_wait_alu 0xfffe
	s_or_b32 exec_lo, exec_lo, s10
	v_add_co_u32 v1, vcc_lo, v1, s4
	s_wait_alu 0xfffd
	v_add_co_ci_u32_e64 v2, null, s5, v2, vcc_lo
	v_add_co_u32 v7, vcc_lo, v7, s4
	s_wait_alu 0xfffd
	v_add_co_ci_u32_e64 v8, null, s5, v8, vcc_lo
	s_addk_co_i32 s9, 0x100
	s_wait_alu 0xfffe
	s_cmp_ge_i32 s9, s3
	s_cbranch_scc1 .LBB654_58
.LBB654_27:                             ; =>This Loop Header: Depth=1
                                        ;     Child Loop BB654_34 Depth 2
                                        ;     Child Loop BB654_54 Depth 2
	v_add_nc_u32_e32 v3, s9, v0
	s_mov_b32 s10, exec_lo
	s_delay_alu instid0(VALU_DEP_1)
	v_cmpx_gt_i32_e64 s3, v3
	s_cbranch_execz .LBB654_26
; %bb.28:                               ;   in Loop: Header=BB654_27 Depth=1
	v_mad_co_u64_u32 v[4:5], null, v3, s8, 0
	s_and_not1_b32 vcc_lo, exec_lo, s7
	v_mad_co_u64_u32 v[5:6], null, v3, s6, v[5:6]
	s_delay_alu instid0(VALU_DEP_1)
	v_lshlrev_b64_e32 v[3:4], 2, v[4:5]
	s_wait_alu 0xfffe
	s_cbranch_vccnz .LBB654_30
; %bb.29:                               ;   in Loop: Header=BB654_27 Depth=1
	s_delay_alu instid0(VALU_DEP_1) | instskip(SKIP_1) | instid1(VALU_DEP_2)
	v_add_co_u32 v5, vcc_lo, s0, v3
	s_wait_alu 0xfffd
	v_add_co_ci_u32_e64 v6, null, s1, v4, vcc_lo
	global_load_b32 v5, v[5:6], off
	s_wait_loadcnt 0x0
	v_mul_f32_e32 v9, s23, v5
	s_and_not1_b32 vcc_lo, exec_lo, s12
	s_wait_alu 0xfffe
	s_cbranch_vccz .LBB654_31
	s_branch .LBB654_25
.LBB654_30:                             ;   in Loop: Header=BB654_27 Depth=1
	v_mov_b32_e32 v9, 0
	s_and_not1_b32 vcc_lo, exec_lo, s12
	s_wait_alu 0xfffe
	s_cbranch_vccnz .LBB654_25
.LBB654_31:                             ;   in Loop: Header=BB654_27 Depth=1
	s_and_not1_b32 vcc_lo, exec_lo, s14
	s_mov_b32 s11, 0
	s_wait_alu 0xfffe
	s_cbranch_vccnz .LBB654_51
; %bb.32:                               ;   in Loop: Header=BB654_27 Depth=1
	v_dual_mov_b32 v6, v2 :: v_dual_mov_b32 v5, v1
	s_mov_b32 s16, 0
	s_branch .LBB654_34
.LBB654_33:                             ;   in Loop: Header=BB654_34 Depth=2
	s_wait_alu 0xfffe
	s_or_b32 exec_lo, exec_lo, s17
	v_and_b32_e32 v11, 0xffff0000, v11
	v_and_b32_e32 v10, 0xffff0000, v10
	v_add_co_u32 v5, vcc_lo, v5, 8
	s_wait_alu 0xfffd
	v_add_co_ci_u32_e64 v6, null, 0, v6, vcc_lo
	s_delay_alu instid0(VALU_DEP_3)
	v_dual_add_f32 v9, v9, v10 :: v_dual_and_b32 v10, 0xffff0000, v12
	s_add_co_i32 s16, s16, 4
	s_add_co_i32 s11, s11, 16
	s_wait_alu 0xfffe
	s_cmp_eq_u32 s2, s16
	v_add_f32_e32 v9, v9, v11
	v_and_b32_e32 v11, 0xffff0000, v13
	s_delay_alu instid0(VALU_DEP_2) | instskip(NEXT) | instid1(VALU_DEP_1)
	v_add_f32_e32 v9, v9, v10
	v_add_f32_e32 v9, v9, v11
	s_cbranch_scc1 .LBB654_50
.LBB654_34:                             ;   Parent Loop BB654_27 Depth=1
                                        ; =>  This Inner Loop Header: Depth=2
	global_load_u16 v10, v[5:6], off offset:-4
	s_wait_loadcnt 0x0
	v_dual_mov_b32 v11, s11 :: v_dual_lshlrev_b32 v10, 16, v10
	ds_load_b32 v11, v11
	s_wait_dscnt 0x0
	v_mul_f32_e32 v11, v11, v10
	s_delay_alu instid0(VALU_DEP_1) | instskip(NEXT) | instid1(VALU_DEP_1)
	v_and_b32_e32 v10, 0x7f800000, v11
	v_cmp_ne_u32_e32 vcc_lo, 0x7f800000, v10
                                        ; implicit-def: $vgpr10
	s_and_saveexec_b32 s17, vcc_lo
	s_wait_alu 0xfffe
	s_xor_b32 s17, exec_lo, s17
; %bb.35:                               ;   in Loop: Header=BB654_34 Depth=2
	v_bfe_u32 v10, v11, 16, 1
	s_delay_alu instid0(VALU_DEP_1)
	v_add3_u32 v10, v11, v10, 0x7fff
                                        ; implicit-def: $vgpr11
; %bb.36:                               ;   in Loop: Header=BB654_34 Depth=2
	s_wait_alu 0xfffe
	s_and_not1_saveexec_b32 s17, s17
; %bb.37:                               ;   in Loop: Header=BB654_34 Depth=2
	v_and_b32_e32 v10, 0xffff, v11
	v_or_b32_e32 v12, 0x10000, v11
	s_delay_alu instid0(VALU_DEP_2) | instskip(SKIP_1) | instid1(VALU_DEP_2)
	v_cmp_eq_u32_e32 vcc_lo, 0, v10
	s_wait_alu 0xfffd
	v_cndmask_b32_e32 v10, v12, v11, vcc_lo
; %bb.38:                               ;   in Loop: Header=BB654_34 Depth=2
	s_wait_alu 0xfffe
	s_or_b32 exec_lo, exec_lo, s17
	global_load_u16 v11, v[5:6], off offset:-2
	s_wait_loadcnt 0x0
	v_dual_mov_b32 v12, s11 :: v_dual_lshlrev_b32 v11, 16, v11
	ds_load_b32 v12, v12 offset:4
	s_wait_dscnt 0x0
	v_mul_f32_e32 v12, v12, v11
	s_delay_alu instid0(VALU_DEP_1) | instskip(NEXT) | instid1(VALU_DEP_1)
	v_and_b32_e32 v11, 0x7f800000, v12
	v_cmp_ne_u32_e32 vcc_lo, 0x7f800000, v11
                                        ; implicit-def: $vgpr11
	s_and_saveexec_b32 s17, vcc_lo
	s_wait_alu 0xfffe
	s_xor_b32 s17, exec_lo, s17
; %bb.39:                               ;   in Loop: Header=BB654_34 Depth=2
	v_bfe_u32 v11, v12, 16, 1
	s_delay_alu instid0(VALU_DEP_1)
	v_add3_u32 v11, v12, v11, 0x7fff
                                        ; implicit-def: $vgpr12
; %bb.40:                               ;   in Loop: Header=BB654_34 Depth=2
	s_wait_alu 0xfffe
	s_and_not1_saveexec_b32 s17, s17
; %bb.41:                               ;   in Loop: Header=BB654_34 Depth=2
	v_and_b32_e32 v11, 0xffff, v12
	v_or_b32_e32 v13, 0x10000, v12
	s_delay_alu instid0(VALU_DEP_2) | instskip(SKIP_1) | instid1(VALU_DEP_2)
	v_cmp_eq_u32_e32 vcc_lo, 0, v11
	s_wait_alu 0xfffd
	v_cndmask_b32_e32 v11, v13, v12, vcc_lo
; %bb.42:                               ;   in Loop: Header=BB654_34 Depth=2
	s_wait_alu 0xfffe
	s_or_b32 exec_lo, exec_lo, s17
	global_load_u16 v12, v[5:6], off
	s_wait_loadcnt 0x0
	v_dual_mov_b32 v13, s11 :: v_dual_lshlrev_b32 v12, 16, v12
	ds_load_b32 v13, v13 offset:8
	s_wait_dscnt 0x0
	v_mul_f32_e32 v13, v13, v12
	s_delay_alu instid0(VALU_DEP_1) | instskip(NEXT) | instid1(VALU_DEP_1)
	v_and_b32_e32 v12, 0x7f800000, v13
	v_cmp_ne_u32_e32 vcc_lo, 0x7f800000, v12
                                        ; implicit-def: $vgpr12
	s_and_saveexec_b32 s17, vcc_lo
	s_wait_alu 0xfffe
	s_xor_b32 s17, exec_lo, s17
; %bb.43:                               ;   in Loop: Header=BB654_34 Depth=2
	v_bfe_u32 v12, v13, 16, 1
	s_delay_alu instid0(VALU_DEP_1)
	v_add3_u32 v12, v13, v12, 0x7fff
                                        ; implicit-def: $vgpr13
; %bb.44:                               ;   in Loop: Header=BB654_34 Depth=2
	s_wait_alu 0xfffe
	s_and_not1_saveexec_b32 s17, s17
; %bb.45:                               ;   in Loop: Header=BB654_34 Depth=2
	v_and_b32_e32 v12, 0xffff, v13
	v_or_b32_e32 v14, 0x10000, v13
	s_delay_alu instid0(VALU_DEP_2) | instskip(SKIP_1) | instid1(VALU_DEP_2)
	v_cmp_eq_u32_e32 vcc_lo, 0, v12
	s_wait_alu 0xfffd
	v_cndmask_b32_e32 v12, v14, v13, vcc_lo
; %bb.46:                               ;   in Loop: Header=BB654_34 Depth=2
	s_wait_alu 0xfffe
	s_or_b32 exec_lo, exec_lo, s17
	global_load_u16 v13, v[5:6], off offset:2
	s_wait_loadcnt 0x0
	v_dual_mov_b32 v14, s11 :: v_dual_lshlrev_b32 v13, 16, v13
	ds_load_b32 v14, v14 offset:12
	s_wait_dscnt 0x0
	v_mul_f32_e32 v14, v14, v13
	s_delay_alu instid0(VALU_DEP_1) | instskip(NEXT) | instid1(VALU_DEP_1)
	v_and_b32_e32 v13, 0x7f800000, v14
	v_cmp_ne_u32_e32 vcc_lo, 0x7f800000, v13
                                        ; implicit-def: $vgpr13
	s_and_saveexec_b32 s17, vcc_lo
	s_wait_alu 0xfffe
	s_xor_b32 s17, exec_lo, s17
; %bb.47:                               ;   in Loop: Header=BB654_34 Depth=2
	v_bfe_u32 v13, v14, 16, 1
	s_delay_alu instid0(VALU_DEP_1)
	v_add3_u32 v13, v14, v13, 0x7fff
                                        ; implicit-def: $vgpr14
; %bb.48:                               ;   in Loop: Header=BB654_34 Depth=2
	s_wait_alu 0xfffe
	s_and_not1_saveexec_b32 s17, s17
	s_cbranch_execz .LBB654_33
; %bb.49:                               ;   in Loop: Header=BB654_34 Depth=2
	v_and_b32_e32 v13, 0xffff, v14
	v_or_b32_e32 v15, 0x10000, v14
	s_delay_alu instid0(VALU_DEP_2) | instskip(SKIP_1) | instid1(VALU_DEP_2)
	v_cmp_eq_u32_e32 vcc_lo, 0, v13
	s_wait_alu 0xfffd
	v_cndmask_b32_e32 v13, v15, v14, vcc_lo
	s_branch .LBB654_33
.LBB654_50:                             ;   in Loop: Header=BB654_27 Depth=1
	s_mov_b32 s11, s2
.LBB654_51:                             ;   in Loop: Header=BB654_27 Depth=1
	s_and_not1_b32 vcc_lo, exec_lo, s15
	s_wait_alu 0xfffe
	s_cbranch_vccnz .LBB654_25
; %bb.52:                               ;   in Loop: Header=BB654_27 Depth=1
	s_lshl_b32 s16, s11, 1
	s_lshl_b32 s11, s11, 2
	s_wait_alu 0xfffe
	v_add_co_u32 v5, vcc_lo, v7, s16
	s_wait_alu 0xfffd
	v_add_co_ci_u32_e64 v6, null, 0, v8, vcc_lo
	s_mov_b32 s16, s13
	s_branch .LBB654_54
.LBB654_53:                             ;   in Loop: Header=BB654_54 Depth=2
	s_wait_alu 0xfffe
	s_or_b32 exec_lo, exec_lo, s17
	s_delay_alu instid0(VALU_DEP_1) | instskip(SKIP_3) | instid1(VALU_DEP_3)
	v_and_b32_e32 v10, 0xffff0000, v11
	v_add_co_u32 v5, vcc_lo, v5, 2
	s_wait_alu 0xfffd
	v_add_co_ci_u32_e64 v6, null, 0, v6, vcc_lo
	v_add_f32_e32 v9, v9, v10
	s_add_co_i32 s16, s16, -1
	s_add_co_i32 s11, s11, 4
	s_wait_alu 0xfffe
	s_cmp_lg_u32 s16, 0
	s_cbranch_scc0 .LBB654_25
.LBB654_54:                             ;   Parent Loop BB654_27 Depth=1
                                        ; =>  This Inner Loop Header: Depth=2
	global_load_u16 v10, v[5:6], off
	s_wait_loadcnt 0x0
	v_dual_mov_b32 v11, s11 :: v_dual_lshlrev_b32 v10, 16, v10
	ds_load_b32 v11, v11
	s_wait_dscnt 0x0
	v_mul_f32_e32 v10, v11, v10
	s_delay_alu instid0(VALU_DEP_1) | instskip(NEXT) | instid1(VALU_DEP_1)
	v_and_b32_e32 v11, 0x7f800000, v10
	v_cmp_ne_u32_e32 vcc_lo, 0x7f800000, v11
                                        ; implicit-def: $vgpr11
	s_and_saveexec_b32 s17, vcc_lo
	s_wait_alu 0xfffe
	s_xor_b32 s17, exec_lo, s17
; %bb.55:                               ;   in Loop: Header=BB654_54 Depth=2
	v_bfe_u32 v11, v10, 16, 1
	s_delay_alu instid0(VALU_DEP_1)
	v_add3_u32 v11, v10, v11, 0x7fff
                                        ; implicit-def: $vgpr10
; %bb.56:                               ;   in Loop: Header=BB654_54 Depth=2
	s_wait_alu 0xfffe
	s_and_not1_saveexec_b32 s17, s17
	s_cbranch_execz .LBB654_53
; %bb.57:                               ;   in Loop: Header=BB654_54 Depth=2
	v_and_b32_e32 v11, 0xffff, v10
	v_or_b32_e32 v12, 0x10000, v10
	s_delay_alu instid0(VALU_DEP_2) | instskip(SKIP_1) | instid1(VALU_DEP_2)
	v_cmp_eq_u32_e32 vcc_lo, 0, v11
	s_wait_alu 0xfffd
	v_cndmask_b32_e32 v11, v12, v10, vcc_lo
	s_branch .LBB654_53
.LBB654_58:
	s_endpgm
	.section	.rodata,"a",@progbits
	.p2align	6, 0x0
	.amdhsa_kernel _ZL22rocblas_gemvtsm_kernelILb1ELi256E16rocblas_bfloat16PKffEviiT2_lPKT1_lilS6_lilS3_lPT3_lil
		.amdhsa_group_segment_fixed_size 256
		.amdhsa_private_segment_fixed_size 0
		.amdhsa_kernarg_size 136
		.amdhsa_user_sgpr_count 2
		.amdhsa_user_sgpr_dispatch_ptr 0
		.amdhsa_user_sgpr_queue_ptr 0
		.amdhsa_user_sgpr_kernarg_segment_ptr 1
		.amdhsa_user_sgpr_dispatch_id 0
		.amdhsa_user_sgpr_private_segment_size 0
		.amdhsa_wavefront_size32 1
		.amdhsa_uses_dynamic_stack 0
		.amdhsa_enable_private_segment 0
		.amdhsa_system_sgpr_workgroup_id_x 1
		.amdhsa_system_sgpr_workgroup_id_y 0
		.amdhsa_system_sgpr_workgroup_id_z 0
		.amdhsa_system_sgpr_workgroup_info 0
		.amdhsa_system_vgpr_workitem_id 0
		.amdhsa_next_free_vgpr 16
		.amdhsa_next_free_sgpr 30
		.amdhsa_reserve_vcc 1
		.amdhsa_float_round_mode_32 0
		.amdhsa_float_round_mode_16_64 0
		.amdhsa_float_denorm_mode_32 3
		.amdhsa_float_denorm_mode_16_64 3
		.amdhsa_fp16_overflow 0
		.amdhsa_workgroup_processor_mode 1
		.amdhsa_memory_ordered 1
		.amdhsa_forward_progress 1
		.amdhsa_inst_pref_size 18
		.amdhsa_round_robin_scheduling 0
		.amdhsa_exception_fp_ieee_invalid_op 0
		.amdhsa_exception_fp_denorm_src 0
		.amdhsa_exception_fp_ieee_div_zero 0
		.amdhsa_exception_fp_ieee_overflow 0
		.amdhsa_exception_fp_ieee_underflow 0
		.amdhsa_exception_fp_ieee_inexact 0
		.amdhsa_exception_int_div_zero 0
	.end_amdhsa_kernel
	.section	.text._ZL22rocblas_gemvtsm_kernelILb1ELi256E16rocblas_bfloat16PKffEviiT2_lPKT1_lilS6_lilS3_lPT3_lil,"axG",@progbits,_ZL22rocblas_gemvtsm_kernelILb1ELi256E16rocblas_bfloat16PKffEviiT2_lPKT1_lilS6_lilS3_lPT3_lil,comdat
.Lfunc_end654:
	.size	_ZL22rocblas_gemvtsm_kernelILb1ELi256E16rocblas_bfloat16PKffEviiT2_lPKT1_lilS6_lilS3_lPT3_lil, .Lfunc_end654-_ZL22rocblas_gemvtsm_kernelILb1ELi256E16rocblas_bfloat16PKffEviiT2_lPKT1_lilS6_lilS3_lPT3_lil
                                        ; -- End function
	.set _ZL22rocblas_gemvtsm_kernelILb1ELi256E16rocblas_bfloat16PKffEviiT2_lPKT1_lilS6_lilS3_lPT3_lil.num_vgpr, 16
	.set _ZL22rocblas_gemvtsm_kernelILb1ELi256E16rocblas_bfloat16PKffEviiT2_lPKT1_lilS6_lilS3_lPT3_lil.num_agpr, 0
	.set _ZL22rocblas_gemvtsm_kernelILb1ELi256E16rocblas_bfloat16PKffEviiT2_lPKT1_lilS6_lilS3_lPT3_lil.numbered_sgpr, 30
	.set _ZL22rocblas_gemvtsm_kernelILb1ELi256E16rocblas_bfloat16PKffEviiT2_lPKT1_lilS6_lilS3_lPT3_lil.num_named_barrier, 0
	.set _ZL22rocblas_gemvtsm_kernelILb1ELi256E16rocblas_bfloat16PKffEviiT2_lPKT1_lilS6_lilS3_lPT3_lil.private_seg_size, 0
	.set _ZL22rocblas_gemvtsm_kernelILb1ELi256E16rocblas_bfloat16PKffEviiT2_lPKT1_lilS6_lilS3_lPT3_lil.uses_vcc, 1
	.set _ZL22rocblas_gemvtsm_kernelILb1ELi256E16rocblas_bfloat16PKffEviiT2_lPKT1_lilS6_lilS3_lPT3_lil.uses_flat_scratch, 0
	.set _ZL22rocblas_gemvtsm_kernelILb1ELi256E16rocblas_bfloat16PKffEviiT2_lPKT1_lilS6_lilS3_lPT3_lil.has_dyn_sized_stack, 0
	.set _ZL22rocblas_gemvtsm_kernelILb1ELi256E16rocblas_bfloat16PKffEviiT2_lPKT1_lilS6_lilS3_lPT3_lil.has_recursion, 0
	.set _ZL22rocblas_gemvtsm_kernelILb1ELi256E16rocblas_bfloat16PKffEviiT2_lPKT1_lilS6_lilS3_lPT3_lil.has_indirect_call, 0
	.section	.AMDGPU.csdata,"",@progbits
; Kernel info:
; codeLenInByte = 2284
; TotalNumSgprs: 32
; NumVgprs: 16
; ScratchSize: 0
; MemoryBound: 0
; FloatMode: 240
; IeeeMode: 1
; LDSByteSize: 256 bytes/workgroup (compile time only)
; SGPRBlocks: 0
; VGPRBlocks: 1
; NumSGPRsForWavesPerEU: 32
; NumVGPRsForWavesPerEU: 16
; Occupancy: 16
; WaveLimiterHint : 1
; COMPUTE_PGM_RSRC2:SCRATCH_EN: 0
; COMPUTE_PGM_RSRC2:USER_SGPR: 2
; COMPUTE_PGM_RSRC2:TRAP_HANDLER: 0
; COMPUTE_PGM_RSRC2:TGID_X_EN: 1
; COMPUTE_PGM_RSRC2:TGID_Y_EN: 0
; COMPUTE_PGM_RSRC2:TGID_Z_EN: 0
; COMPUTE_PGM_RSRC2:TIDIG_COMP_CNT: 0
	.section	.text._ZL22rocblas_gemvtsm_kernelILb1ELi256E16rocblas_bfloat16ffEviiT2_lPKT1_lilS4_lilS1_lPT3_lil,"axG",@progbits,_ZL22rocblas_gemvtsm_kernelILb1ELi256E16rocblas_bfloat16ffEviiT2_lPKT1_lilS4_lilS1_lPT3_lil,comdat
	.globl	_ZL22rocblas_gemvtsm_kernelILb1ELi256E16rocblas_bfloat16ffEviiT2_lPKT1_lilS4_lilS1_lPT3_lil ; -- Begin function _ZL22rocblas_gemvtsm_kernelILb1ELi256E16rocblas_bfloat16ffEviiT2_lPKT1_lilS4_lilS1_lPT3_lil
	.p2align	8
	.type	_ZL22rocblas_gemvtsm_kernelILb1ELi256E16rocblas_bfloat16ffEviiT2_lPKT1_lilS4_lilS1_lPT3_lil,@function
_ZL22rocblas_gemvtsm_kernelILb1ELi256E16rocblas_bfloat16ffEviiT2_lPKT1_lilS4_lilS1_lPT3_lil: ; @_ZL22rocblas_gemvtsm_kernelILb1ELi256E16rocblas_bfloat16ffEviiT2_lPKT1_lilS4_lilS1_lPT3_lil
; %bb.0:
	s_clause 0x1
	s_load_b96 s[12:14], s[0:1], 0x0
	s_load_b32 s15, s[0:1], 0x58
	s_mov_b32 s19, 0
	s_wait_kmcnt 0x0
	s_cmp_eq_f32 s14, 0
	s_cselect_b32 s2, -1, 0
	s_cmp_eq_f32 s15, 1.0
	s_cselect_b32 s3, -1, 0
	s_delay_alu instid0(SALU_CYCLE_1) | instskip(NEXT) | instid1(SALU_CYCLE_1)
	s_and_b32 s2, s2, s3
	s_and_b32 vcc_lo, exec_lo, s2
	s_cbranch_vccnz .LBB655_58
; %bb.1:
	s_clause 0x2
	s_load_b64 s[2:3], s[0:1], 0x80
	s_load_b128 s[4:7], s[0:1], 0x68
	s_load_b32 s16, s[0:1], 0x78
	s_mov_b32 s18, ttmp9
	s_cmp_neq_f32 s14, 0
	s_wait_kmcnt 0x0
	s_mul_u64 s[20:21], s[2:3], s[18:19]
	s_cbranch_scc1 .LBB655_9
; %bb.2:
	s_cmp_gt_i32 s13, 0
	s_cselect_b32 s8, -1, 0
	s_cmp_neq_f32 s15, 0
	v_cndmask_b32_e64 v1, 0, 1, s8
	s_delay_alu instid0(VALU_DEP_1)
	v_cmp_ne_u32_e32 vcc_lo, 1, v1
	s_cbranch_scc1 .LBB655_10
; %bb.3:
	s_and_b32 vcc_lo, exec_lo, vcc_lo
	s_cbranch_vccnz .LBB655_8
; %bb.4:
	v_mad_co_i64_i32 v[1:2], null, s16, v0, 0
	s_lshl_b64 s[2:3], s[6:7], 2
	s_lshl_b64 s[10:11], s[20:21], 2
	s_add_nc_u64 s[2:3], s[4:5], s[2:3]
	v_mov_b32_e32 v3, 0
	s_add_nc_u64 s[2:3], s[2:3], s[10:11]
	s_ashr_i32 s17, s16, 31
	v_lshlrev_b64_e32 v[1:2], 2, v[1:2]
	s_mov_b32 s9, 0
	s_delay_alu instid0(VALU_DEP_1) | instskip(NEXT) | instid1(VALU_DEP_1)
	v_add_co_u32 v1, vcc_lo, s2, v1
	v_add_co_ci_u32_e64 v2, null, s3, v2, vcc_lo
	s_wait_alu 0xfffe
	s_lshl_b64 s[2:3], s[16:17], 10
	s_branch .LBB655_6
.LBB655_5:                              ;   in Loop: Header=BB655_6 Depth=1
	s_or_b32 exec_lo, exec_lo, s10
	s_wait_alu 0xfffe
	v_add_co_u32 v1, vcc_lo, v1, s2
	s_wait_alu 0xfffd
	v_add_co_ci_u32_e64 v2, null, s3, v2, vcc_lo
	s_addk_co_i32 s9, 0x100
	s_wait_alu 0xfffe
	s_cmp_ge_i32 s9, s13
	s_cbranch_scc1 .LBB655_8
.LBB655_6:                              ; =>This Inner Loop Header: Depth=1
	v_add_nc_u32_e32 v4, s9, v0
	s_mov_b32 s10, exec_lo
	s_delay_alu instid0(VALU_DEP_1)
	v_cmpx_gt_i32_e64 s13, v4
	s_cbranch_execz .LBB655_5
; %bb.7:                                ;   in Loop: Header=BB655_6 Depth=1
	global_store_b32 v[1:2], v3, off
	s_branch .LBB655_5
.LBB655_8:
	s_cbranch_execz .LBB655_11
	s_branch .LBB655_16
.LBB655_9:
	s_branch .LBB655_17
.LBB655_10:
.LBB655_11:
	s_and_not1_b32 vcc_lo, exec_lo, s8
	s_wait_alu 0xfffe
	s_cbranch_vccnz .LBB655_16
; %bb.12:
	v_mad_co_i64_i32 v[1:2], null, s16, v0, 0
	s_lshl_b64 s[2:3], s[6:7], 2
	s_lshl_b64 s[8:9], s[20:21], 2
	s_wait_alu 0xfffe
	s_add_nc_u64 s[2:3], s[4:5], s[2:3]
	s_ashr_i32 s17, s16, 31
	s_wait_alu 0xfffe
	s_add_nc_u64 s[2:3], s[2:3], s[8:9]
	s_mov_b32 s8, 0
	v_lshlrev_b64_e32 v[1:2], 2, v[1:2]
	s_wait_alu 0xfffe
	s_delay_alu instid0(VALU_DEP_1) | instskip(SKIP_1) | instid1(VALU_DEP_2)
	v_add_co_u32 v1, vcc_lo, s2, v1
	s_wait_alu 0xfffd
	v_add_co_ci_u32_e64 v2, null, s3, v2, vcc_lo
	s_lshl_b64 s[2:3], s[16:17], 10
	s_branch .LBB655_14
.LBB655_13:                             ;   in Loop: Header=BB655_14 Depth=1
	s_wait_alu 0xfffe
	s_or_b32 exec_lo, exec_lo, s9
	v_add_co_u32 v1, vcc_lo, v1, s2
	s_wait_alu 0xfffd
	v_add_co_ci_u32_e64 v2, null, s3, v2, vcc_lo
	s_addk_co_i32 s8, 0x100
	s_wait_alu 0xfffe
	s_cmp_ge_i32 s8, s13
	s_cbranch_scc1 .LBB655_16
.LBB655_14:                             ; =>This Inner Loop Header: Depth=1
	v_add_nc_u32_e32 v3, s8, v0
	s_mov_b32 s9, exec_lo
	s_delay_alu instid0(VALU_DEP_1)
	v_cmpx_gt_i32_e64 s13, v3
	s_cbranch_execz .LBB655_13
; %bb.15:                               ;   in Loop: Header=BB655_14 Depth=1
	global_load_b32 v3, v[1:2], off
	s_wait_loadcnt 0x0
	v_mul_f32_e32 v3, s15, v3
	global_store_b32 v[1:2], v3, off
	s_branch .LBB655_13
.LBB655_16:
	s_cbranch_execnz .LBB655_58
.LBB655_17:
	s_clause 0x1
	s_load_b128 s[8:11], s[0:1], 0x30
	s_load_b64 s[2:3], s[0:1], 0x40
	s_mov_b32 s17, exec_lo
	v_cmpx_gt_i32_e64 s12, v0
	s_cbranch_execz .LBB655_23
; %bb.18:
	s_clause 0x1
	s_load_b32 s24, s[0:1], 0x48
	s_load_b64 s[22:23], s[0:1], 0x50
	s_wait_kmcnt 0x0
	s_lshl_b64 s[2:3], s[2:3], 1
	v_mad_co_i64_i32 v[1:2], null, s24, v0, 0
	s_mul_u64 s[22:23], s[22:23], s[18:19]
	s_delay_alu instid0(SALU_CYCLE_1) | instskip(NEXT) | instid1(SALU_CYCLE_1)
	s_lshl_b64 s[22:23], s[22:23], 1
	s_add_nc_u64 s[10:11], s[10:11], s[22:23]
	s_wait_alu 0xfffe
	s_add_nc_u64 s[2:3], s[10:11], s[2:3]
	v_lshlrev_b64_e32 v[1:2], 1, v[1:2]
	s_wait_alu 0xfffe
	s_delay_alu instid0(VALU_DEP_1) | instskip(SKIP_1) | instid1(VALU_DEP_2)
	v_add_co_u32 v1, vcc_lo, s2, v1
	s_wait_alu 0xfffd
	v_add_co_ci_u32_e64 v2, null, s3, v2, vcc_lo
	global_load_u16 v1, v[1:2], off
	s_wait_loadcnt 0x0
	v_lshlrev_b32_e32 v1, 16, v1
	s_delay_alu instid0(VALU_DEP_1) | instskip(NEXT) | instid1(VALU_DEP_1)
	v_mul_f32_e32 v1, s14, v1
	v_and_b32_e32 v2, 0x7f800000, v1
	s_delay_alu instid0(VALU_DEP_1)
	v_cmp_ne_u32_e32 vcc_lo, 0x7f800000, v2
                                        ; implicit-def: $vgpr2
	s_and_saveexec_b32 s2, vcc_lo
	s_wait_alu 0xfffe
	s_xor_b32 s2, exec_lo, s2
; %bb.19:
	v_bfe_u32 v2, v1, 16, 1
	s_delay_alu instid0(VALU_DEP_1)
	v_add3_u32 v2, v1, v2, 0x7fff
                                        ; implicit-def: $vgpr1
; %bb.20:
	s_wait_alu 0xfffe
	s_and_not1_saveexec_b32 s2, s2
; %bb.21:
	v_and_b32_e32 v2, 0xffff, v1
	v_or_b32_e32 v3, 0x10000, v1
	s_delay_alu instid0(VALU_DEP_2) | instskip(SKIP_1) | instid1(VALU_DEP_2)
	v_cmp_eq_u32_e32 vcc_lo, 0, v2
	s_wait_alu 0xfffd
	v_cndmask_b32_e32 v2, v3, v1, vcc_lo
; %bb.22:
	s_wait_alu 0xfffe
	s_or_b32 exec_lo, exec_lo, s2
	s_delay_alu instid0(VALU_DEP_1)
	v_and_b32_e32 v1, 0xffff0000, v2
	v_lshlrev_b32_e32 v2, 2, v0
	ds_store_b32 v2, v1
.LBB655_23:
	s_wait_alu 0xfffe
	s_or_b32 exec_lo, exec_lo, s17
	s_cmp_lt_i32 s13, 1
	s_wait_storecnt_dscnt 0x0
	s_barrier_signal -1
	s_barrier_wait -1
	global_inv scope:SCOPE_SE
	s_cbranch_scc1 .LBB655_58
; %bb.24:
	s_load_b32 s22, s[0:1], 0x28
	s_wait_kmcnt 0x0
	s_load_b128 s[0:3], s[0:1], 0x18
	s_lshl_b64 s[10:11], s[20:21], 2
	s_lshl_b64 s[20:21], s[6:7], 2
	s_ashr_i32 s6, s16, 31
	s_add_nc_u64 s[24:25], s[4:5], s[10:11]
	s_mul_u64 s[18:19], s[8:9], s[18:19]
	s_mov_b32 s11, 0
	s_ashr_i32 s23, s22, 31
	s_cmp_neq_f32 s15, 0
	v_mad_co_i64_i32 v[1:2], null, s22, v0, 0
	s_cselect_b32 s4, -1, 0
	s_cmp_gt_i32 s12, 0
	s_cselect_b32 s5, -1, 0
	s_and_b32 s7, s12, 3
	s_cmp_gt_u32 s12, 3
	v_lshlrev_b64_e32 v[1:2], 1, v[1:2]
	s_cselect_b32 s8, -1, 0
	s_and_b32 s9, s12, 0x7ffffffc
	s_cmp_lg_u32 s7, 0
	s_cselect_b32 s10, -1, 0
	s_wait_kmcnt 0x0
	s_lshl_b64 s[2:3], s[2:3], 1
	s_lshl_b64 s[18:19], s[18:19], 1
	s_wait_alu 0xfffe
	s_add_nc_u64 s[0:1], s[0:1], s[2:3]
	s_lshl_b64 s[2:3], s[22:23], 9
	s_add_nc_u64 s[0:1], s[0:1], s[18:19]
	s_delay_alu instid0(SALU_CYCLE_1)
	v_add_co_u32 v7, vcc_lo, s0, v1
	s_wait_alu 0xfffd
	v_add_co_ci_u32_e64 v8, null, s1, v2, vcc_lo
	s_add_nc_u64 s[0:1], s[24:25], s[20:21]
	v_add_co_u32 v1, vcc_lo, v7, 4
	s_wait_alu 0xfffd
	v_add_co_ci_u32_e64 v2, null, 0, v8, vcc_lo
	s_branch .LBB655_27
.LBB655_25:                             ;   in Loop: Header=BB655_27 Depth=1
	v_add_co_u32 v3, vcc_lo, s0, v3
	s_wait_alu 0xfffd
	v_add_co_ci_u32_e64 v4, null, s1, v4, vcc_lo
	global_store_b32 v[3:4], v9, off
.LBB655_26:                             ;   in Loop: Header=BB655_27 Depth=1
	s_wait_alu 0xfffe
	s_or_b32 exec_lo, exec_lo, s12
	v_add_co_u32 v1, vcc_lo, v1, s2
	s_wait_alu 0xfffd
	v_add_co_ci_u32_e64 v2, null, s3, v2, vcc_lo
	v_add_co_u32 v7, vcc_lo, v7, s2
	s_wait_alu 0xfffd
	v_add_co_ci_u32_e64 v8, null, s3, v8, vcc_lo
	s_addk_co_i32 s11, 0x100
	s_wait_alu 0xfffe
	s_cmp_ge_i32 s11, s13
	s_cbranch_scc1 .LBB655_58
.LBB655_27:                             ; =>This Loop Header: Depth=1
                                        ;     Child Loop BB655_34 Depth 2
                                        ;     Child Loop BB655_54 Depth 2
	v_add_nc_u32_e32 v3, s11, v0
	s_mov_b32 s12, exec_lo
	s_delay_alu instid0(VALU_DEP_1)
	v_cmpx_gt_i32_e64 s13, v3
	s_cbranch_execz .LBB655_26
; %bb.28:                               ;   in Loop: Header=BB655_27 Depth=1
	v_mad_co_u64_u32 v[4:5], null, v3, s16, 0
	s_and_not1_b32 vcc_lo, exec_lo, s4
	v_mad_co_u64_u32 v[5:6], null, v3, s6, v[5:6]
	s_delay_alu instid0(VALU_DEP_1)
	v_lshlrev_b64_e32 v[3:4], 2, v[4:5]
	s_wait_alu 0xfffe
	s_cbranch_vccnz .LBB655_30
; %bb.29:                               ;   in Loop: Header=BB655_27 Depth=1
	s_delay_alu instid0(VALU_DEP_1) | instskip(SKIP_1) | instid1(VALU_DEP_2)
	v_add_co_u32 v5, vcc_lo, s0, v3
	s_wait_alu 0xfffd
	v_add_co_ci_u32_e64 v6, null, s1, v4, vcc_lo
	global_load_b32 v5, v[5:6], off
	s_wait_loadcnt 0x0
	v_mul_f32_e32 v9, s15, v5
	s_and_not1_b32 vcc_lo, exec_lo, s5
	s_wait_alu 0xfffe
	s_cbranch_vccz .LBB655_31
	s_branch .LBB655_25
.LBB655_30:                             ;   in Loop: Header=BB655_27 Depth=1
	v_mov_b32_e32 v9, 0
	s_and_not1_b32 vcc_lo, exec_lo, s5
	s_wait_alu 0xfffe
	s_cbranch_vccnz .LBB655_25
.LBB655_31:                             ;   in Loop: Header=BB655_27 Depth=1
	s_and_not1_b32 vcc_lo, exec_lo, s8
	s_mov_b32 s14, 0
	s_wait_alu 0xfffe
	s_cbranch_vccnz .LBB655_51
; %bb.32:                               ;   in Loop: Header=BB655_27 Depth=1
	v_dual_mov_b32 v6, v2 :: v_dual_mov_b32 v5, v1
	s_mov_b32 s17, 0
	s_branch .LBB655_34
.LBB655_33:                             ;   in Loop: Header=BB655_34 Depth=2
	s_or_b32 exec_lo, exec_lo, s18
	v_and_b32_e32 v11, 0xffff0000, v11
	v_and_b32_e32 v10, 0xffff0000, v10
	v_add_co_u32 v5, vcc_lo, v5, 8
	s_wait_alu 0xfffd
	v_add_co_ci_u32_e64 v6, null, 0, v6, vcc_lo
	s_delay_alu instid0(VALU_DEP_3)
	v_dual_add_f32 v9, v9, v10 :: v_dual_and_b32 v10, 0xffff0000, v12
	s_wait_alu 0xfffe
	s_add_co_i32 s17, s17, 4
	s_add_co_i32 s14, s14, 16
	s_wait_alu 0xfffe
	s_cmp_eq_u32 s9, s17
	v_add_f32_e32 v9, v9, v11
	v_and_b32_e32 v11, 0xffff0000, v13
	s_delay_alu instid0(VALU_DEP_2) | instskip(NEXT) | instid1(VALU_DEP_1)
	v_add_f32_e32 v9, v9, v10
	v_add_f32_e32 v9, v9, v11
	s_cbranch_scc1 .LBB655_50
.LBB655_34:                             ;   Parent Loop BB655_27 Depth=1
                                        ; =>  This Inner Loop Header: Depth=2
	global_load_u16 v10, v[5:6], off offset:-4
	s_wait_loadcnt 0x0
	v_dual_mov_b32 v11, s14 :: v_dual_lshlrev_b32 v10, 16, v10
	ds_load_b32 v11, v11
	s_wait_dscnt 0x0
	v_mul_f32_e32 v11, v11, v10
	s_delay_alu instid0(VALU_DEP_1) | instskip(NEXT) | instid1(VALU_DEP_1)
	v_and_b32_e32 v10, 0x7f800000, v11
	v_cmp_ne_u32_e32 vcc_lo, 0x7f800000, v10
                                        ; implicit-def: $vgpr10
	s_and_saveexec_b32 s18, vcc_lo
	s_delay_alu instid0(SALU_CYCLE_1)
	s_xor_b32 s18, exec_lo, s18
; %bb.35:                               ;   in Loop: Header=BB655_34 Depth=2
	v_bfe_u32 v10, v11, 16, 1
	s_delay_alu instid0(VALU_DEP_1)
	v_add3_u32 v10, v11, v10, 0x7fff
                                        ; implicit-def: $vgpr11
; %bb.36:                               ;   in Loop: Header=BB655_34 Depth=2
	s_and_not1_saveexec_b32 s18, s18
; %bb.37:                               ;   in Loop: Header=BB655_34 Depth=2
	v_and_b32_e32 v10, 0xffff, v11
	v_or_b32_e32 v12, 0x10000, v11
	s_delay_alu instid0(VALU_DEP_2) | instskip(SKIP_1) | instid1(VALU_DEP_2)
	v_cmp_eq_u32_e32 vcc_lo, 0, v10
	s_wait_alu 0xfffd
	v_cndmask_b32_e32 v10, v12, v11, vcc_lo
; %bb.38:                               ;   in Loop: Header=BB655_34 Depth=2
	s_or_b32 exec_lo, exec_lo, s18
	global_load_u16 v11, v[5:6], off offset:-2
	s_wait_loadcnt 0x0
	v_dual_mov_b32 v12, s14 :: v_dual_lshlrev_b32 v11, 16, v11
	ds_load_b32 v12, v12 offset:4
	s_wait_dscnt 0x0
	v_mul_f32_e32 v12, v12, v11
	s_delay_alu instid0(VALU_DEP_1) | instskip(NEXT) | instid1(VALU_DEP_1)
	v_and_b32_e32 v11, 0x7f800000, v12
	v_cmp_ne_u32_e32 vcc_lo, 0x7f800000, v11
                                        ; implicit-def: $vgpr11
	s_and_saveexec_b32 s18, vcc_lo
	s_delay_alu instid0(SALU_CYCLE_1)
	s_xor_b32 s18, exec_lo, s18
; %bb.39:                               ;   in Loop: Header=BB655_34 Depth=2
	v_bfe_u32 v11, v12, 16, 1
	s_delay_alu instid0(VALU_DEP_1)
	v_add3_u32 v11, v12, v11, 0x7fff
                                        ; implicit-def: $vgpr12
; %bb.40:                               ;   in Loop: Header=BB655_34 Depth=2
	s_and_not1_saveexec_b32 s18, s18
; %bb.41:                               ;   in Loop: Header=BB655_34 Depth=2
	v_and_b32_e32 v11, 0xffff, v12
	v_or_b32_e32 v13, 0x10000, v12
	s_delay_alu instid0(VALU_DEP_2) | instskip(SKIP_1) | instid1(VALU_DEP_2)
	v_cmp_eq_u32_e32 vcc_lo, 0, v11
	s_wait_alu 0xfffd
	v_cndmask_b32_e32 v11, v13, v12, vcc_lo
; %bb.42:                               ;   in Loop: Header=BB655_34 Depth=2
	s_or_b32 exec_lo, exec_lo, s18
	global_load_u16 v12, v[5:6], off
	s_wait_loadcnt 0x0
	v_dual_mov_b32 v13, s14 :: v_dual_lshlrev_b32 v12, 16, v12
	ds_load_b32 v13, v13 offset:8
	s_wait_dscnt 0x0
	v_mul_f32_e32 v13, v13, v12
	s_delay_alu instid0(VALU_DEP_1) | instskip(NEXT) | instid1(VALU_DEP_1)
	v_and_b32_e32 v12, 0x7f800000, v13
	v_cmp_ne_u32_e32 vcc_lo, 0x7f800000, v12
                                        ; implicit-def: $vgpr12
	s_and_saveexec_b32 s18, vcc_lo
	s_delay_alu instid0(SALU_CYCLE_1)
	s_xor_b32 s18, exec_lo, s18
; %bb.43:                               ;   in Loop: Header=BB655_34 Depth=2
	v_bfe_u32 v12, v13, 16, 1
	s_delay_alu instid0(VALU_DEP_1)
	v_add3_u32 v12, v13, v12, 0x7fff
                                        ; implicit-def: $vgpr13
; %bb.44:                               ;   in Loop: Header=BB655_34 Depth=2
	s_and_not1_saveexec_b32 s18, s18
; %bb.45:                               ;   in Loop: Header=BB655_34 Depth=2
	v_and_b32_e32 v12, 0xffff, v13
	v_or_b32_e32 v14, 0x10000, v13
	s_delay_alu instid0(VALU_DEP_2) | instskip(SKIP_1) | instid1(VALU_DEP_2)
	v_cmp_eq_u32_e32 vcc_lo, 0, v12
	s_wait_alu 0xfffd
	v_cndmask_b32_e32 v12, v14, v13, vcc_lo
; %bb.46:                               ;   in Loop: Header=BB655_34 Depth=2
	s_or_b32 exec_lo, exec_lo, s18
	global_load_u16 v13, v[5:6], off offset:2
	s_wait_loadcnt 0x0
	v_dual_mov_b32 v14, s14 :: v_dual_lshlrev_b32 v13, 16, v13
	ds_load_b32 v14, v14 offset:12
	s_wait_dscnt 0x0
	v_mul_f32_e32 v14, v14, v13
	s_delay_alu instid0(VALU_DEP_1) | instskip(NEXT) | instid1(VALU_DEP_1)
	v_and_b32_e32 v13, 0x7f800000, v14
	v_cmp_ne_u32_e32 vcc_lo, 0x7f800000, v13
                                        ; implicit-def: $vgpr13
	s_and_saveexec_b32 s18, vcc_lo
	s_delay_alu instid0(SALU_CYCLE_1)
	s_xor_b32 s18, exec_lo, s18
; %bb.47:                               ;   in Loop: Header=BB655_34 Depth=2
	v_bfe_u32 v13, v14, 16, 1
	s_delay_alu instid0(VALU_DEP_1)
	v_add3_u32 v13, v14, v13, 0x7fff
                                        ; implicit-def: $vgpr14
; %bb.48:                               ;   in Loop: Header=BB655_34 Depth=2
	s_and_not1_saveexec_b32 s18, s18
	s_cbranch_execz .LBB655_33
; %bb.49:                               ;   in Loop: Header=BB655_34 Depth=2
	v_and_b32_e32 v13, 0xffff, v14
	v_or_b32_e32 v15, 0x10000, v14
	s_delay_alu instid0(VALU_DEP_2) | instskip(SKIP_1) | instid1(VALU_DEP_2)
	v_cmp_eq_u32_e32 vcc_lo, 0, v13
	s_wait_alu 0xfffd
	v_cndmask_b32_e32 v13, v15, v14, vcc_lo
	s_branch .LBB655_33
.LBB655_50:                             ;   in Loop: Header=BB655_27 Depth=1
	s_mov_b32 s14, s9
.LBB655_51:                             ;   in Loop: Header=BB655_27 Depth=1
	s_and_not1_b32 vcc_lo, exec_lo, s10
	s_wait_alu 0xfffe
	s_cbranch_vccnz .LBB655_25
; %bb.52:                               ;   in Loop: Header=BB655_27 Depth=1
	s_lshl_b32 s17, s14, 1
	s_lshl_b32 s14, s14, 2
	s_wait_alu 0xfffe
	v_add_co_u32 v5, vcc_lo, v7, s17
	s_wait_alu 0xfffd
	v_add_co_ci_u32_e64 v6, null, 0, v8, vcc_lo
	s_mov_b32 s17, s7
	s_branch .LBB655_54
.LBB655_53:                             ;   in Loop: Header=BB655_54 Depth=2
	s_or_b32 exec_lo, exec_lo, s18
	s_delay_alu instid0(VALU_DEP_1) | instskip(SKIP_3) | instid1(VALU_DEP_3)
	v_and_b32_e32 v10, 0xffff0000, v11
	v_add_co_u32 v5, vcc_lo, v5, 2
	s_wait_alu 0xfffd
	v_add_co_ci_u32_e64 v6, null, 0, v6, vcc_lo
	v_add_f32_e32 v9, v9, v10
	s_wait_alu 0xfffe
	s_add_co_i32 s17, s17, -1
	s_add_co_i32 s14, s14, 4
	s_wait_alu 0xfffe
	s_cmp_lg_u32 s17, 0
	s_cbranch_scc0 .LBB655_25
.LBB655_54:                             ;   Parent Loop BB655_27 Depth=1
                                        ; =>  This Inner Loop Header: Depth=2
	global_load_u16 v10, v[5:6], off
	s_wait_loadcnt 0x0
	v_dual_mov_b32 v11, s14 :: v_dual_lshlrev_b32 v10, 16, v10
	ds_load_b32 v11, v11
	s_wait_dscnt 0x0
	v_mul_f32_e32 v10, v11, v10
	s_delay_alu instid0(VALU_DEP_1) | instskip(NEXT) | instid1(VALU_DEP_1)
	v_and_b32_e32 v11, 0x7f800000, v10
	v_cmp_ne_u32_e32 vcc_lo, 0x7f800000, v11
                                        ; implicit-def: $vgpr11
	s_and_saveexec_b32 s18, vcc_lo
	s_delay_alu instid0(SALU_CYCLE_1)
	s_xor_b32 s18, exec_lo, s18
; %bb.55:                               ;   in Loop: Header=BB655_54 Depth=2
	v_bfe_u32 v11, v10, 16, 1
	s_delay_alu instid0(VALU_DEP_1)
	v_add3_u32 v11, v10, v11, 0x7fff
                                        ; implicit-def: $vgpr10
; %bb.56:                               ;   in Loop: Header=BB655_54 Depth=2
	s_and_not1_saveexec_b32 s18, s18
	s_cbranch_execz .LBB655_53
; %bb.57:                               ;   in Loop: Header=BB655_54 Depth=2
	v_and_b32_e32 v11, 0xffff, v10
	v_or_b32_e32 v12, 0x10000, v10
	s_delay_alu instid0(VALU_DEP_2) | instskip(SKIP_1) | instid1(VALU_DEP_2)
	v_cmp_eq_u32_e32 vcc_lo, 0, v11
	s_wait_alu 0xfffd
	v_cndmask_b32_e32 v11, v12, v10, vcc_lo
	s_branch .LBB655_53
.LBB655_58:
	s_endpgm
	.section	.rodata,"a",@progbits
	.p2align	6, 0x0
	.amdhsa_kernel _ZL22rocblas_gemvtsm_kernelILb1ELi256E16rocblas_bfloat16ffEviiT2_lPKT1_lilS4_lilS1_lPT3_lil
		.amdhsa_group_segment_fixed_size 256
		.amdhsa_private_segment_fixed_size 0
		.amdhsa_kernarg_size 136
		.amdhsa_user_sgpr_count 2
		.amdhsa_user_sgpr_dispatch_ptr 0
		.amdhsa_user_sgpr_queue_ptr 0
		.amdhsa_user_sgpr_kernarg_segment_ptr 1
		.amdhsa_user_sgpr_dispatch_id 0
		.amdhsa_user_sgpr_private_segment_size 0
		.amdhsa_wavefront_size32 1
		.amdhsa_uses_dynamic_stack 0
		.amdhsa_enable_private_segment 0
		.amdhsa_system_sgpr_workgroup_id_x 1
		.amdhsa_system_sgpr_workgroup_id_y 0
		.amdhsa_system_sgpr_workgroup_id_z 0
		.amdhsa_system_sgpr_workgroup_info 0
		.amdhsa_system_vgpr_workitem_id 0
		.amdhsa_next_free_vgpr 16
		.amdhsa_next_free_sgpr 26
		.amdhsa_reserve_vcc 1
		.amdhsa_float_round_mode_32 0
		.amdhsa_float_round_mode_16_64 0
		.amdhsa_float_denorm_mode_32 3
		.amdhsa_float_denorm_mode_16_64 3
		.amdhsa_fp16_overflow 0
		.amdhsa_workgroup_processor_mode 1
		.amdhsa_memory_ordered 1
		.amdhsa_forward_progress 1
		.amdhsa_inst_pref_size 18
		.amdhsa_round_robin_scheduling 0
		.amdhsa_exception_fp_ieee_invalid_op 0
		.amdhsa_exception_fp_denorm_src 0
		.amdhsa_exception_fp_ieee_div_zero 0
		.amdhsa_exception_fp_ieee_overflow 0
		.amdhsa_exception_fp_ieee_underflow 0
		.amdhsa_exception_fp_ieee_inexact 0
		.amdhsa_exception_int_div_zero 0
	.end_amdhsa_kernel
	.section	.text._ZL22rocblas_gemvtsm_kernelILb1ELi256E16rocblas_bfloat16ffEviiT2_lPKT1_lilS4_lilS1_lPT3_lil,"axG",@progbits,_ZL22rocblas_gemvtsm_kernelILb1ELi256E16rocblas_bfloat16ffEviiT2_lPKT1_lilS4_lilS1_lPT3_lil,comdat
.Lfunc_end655:
	.size	_ZL22rocblas_gemvtsm_kernelILb1ELi256E16rocblas_bfloat16ffEviiT2_lPKT1_lilS4_lilS1_lPT3_lil, .Lfunc_end655-_ZL22rocblas_gemvtsm_kernelILb1ELi256E16rocblas_bfloat16ffEviiT2_lPKT1_lilS4_lilS1_lPT3_lil
                                        ; -- End function
	.set _ZL22rocblas_gemvtsm_kernelILb1ELi256E16rocblas_bfloat16ffEviiT2_lPKT1_lilS4_lilS1_lPT3_lil.num_vgpr, 16
	.set _ZL22rocblas_gemvtsm_kernelILb1ELi256E16rocblas_bfloat16ffEviiT2_lPKT1_lilS4_lilS1_lPT3_lil.num_agpr, 0
	.set _ZL22rocblas_gemvtsm_kernelILb1ELi256E16rocblas_bfloat16ffEviiT2_lPKT1_lilS4_lilS1_lPT3_lil.numbered_sgpr, 26
	.set _ZL22rocblas_gemvtsm_kernelILb1ELi256E16rocblas_bfloat16ffEviiT2_lPKT1_lilS4_lilS1_lPT3_lil.num_named_barrier, 0
	.set _ZL22rocblas_gemvtsm_kernelILb1ELi256E16rocblas_bfloat16ffEviiT2_lPKT1_lilS4_lilS1_lPT3_lil.private_seg_size, 0
	.set _ZL22rocblas_gemvtsm_kernelILb1ELi256E16rocblas_bfloat16ffEviiT2_lPKT1_lilS4_lilS1_lPT3_lil.uses_vcc, 1
	.set _ZL22rocblas_gemvtsm_kernelILb1ELi256E16rocblas_bfloat16ffEviiT2_lPKT1_lilS4_lilS1_lPT3_lil.uses_flat_scratch, 0
	.set _ZL22rocblas_gemvtsm_kernelILb1ELi256E16rocblas_bfloat16ffEviiT2_lPKT1_lilS4_lilS1_lPT3_lil.has_dyn_sized_stack, 0
	.set _ZL22rocblas_gemvtsm_kernelILb1ELi256E16rocblas_bfloat16ffEviiT2_lPKT1_lilS4_lilS1_lPT3_lil.has_recursion, 0
	.set _ZL22rocblas_gemvtsm_kernelILb1ELi256E16rocblas_bfloat16ffEviiT2_lPKT1_lilS4_lilS1_lPT3_lil.has_indirect_call, 0
	.section	.AMDGPU.csdata,"",@progbits
; Kernel info:
; codeLenInByte = 2204
; TotalNumSgprs: 28
; NumVgprs: 16
; ScratchSize: 0
; MemoryBound: 0
; FloatMode: 240
; IeeeMode: 1
; LDSByteSize: 256 bytes/workgroup (compile time only)
; SGPRBlocks: 0
; VGPRBlocks: 1
; NumSGPRsForWavesPerEU: 28
; NumVGPRsForWavesPerEU: 16
; Occupancy: 16
; WaveLimiterHint : 1
; COMPUTE_PGM_RSRC2:SCRATCH_EN: 0
; COMPUTE_PGM_RSRC2:USER_SGPR: 2
; COMPUTE_PGM_RSRC2:TRAP_HANDLER: 0
; COMPUTE_PGM_RSRC2:TGID_X_EN: 1
; COMPUTE_PGM_RSRC2:TGID_Y_EN: 0
; COMPUTE_PGM_RSRC2:TGID_Z_EN: 0
; COMPUTE_PGM_RSRC2:TIDIG_COMP_CNT: 0
	.section	.text._ZL20rocblas_gemvt_kernelILb1ELi256E16rocblas_bfloat16PKffEviiT2_lPKT1_lilS6_lilS3_lPT3_lili,"axG",@progbits,_ZL20rocblas_gemvt_kernelILb1ELi256E16rocblas_bfloat16PKffEviiT2_lPKT1_lilS6_lilS3_lPT3_lili,comdat
	.globl	_ZL20rocblas_gemvt_kernelILb1ELi256E16rocblas_bfloat16PKffEviiT2_lPKT1_lilS6_lilS3_lPT3_lili ; -- Begin function _ZL20rocblas_gemvt_kernelILb1ELi256E16rocblas_bfloat16PKffEviiT2_lPKT1_lilS6_lilS3_lPT3_lili
	.p2align	8
	.type	_ZL20rocblas_gemvt_kernelILb1ELi256E16rocblas_bfloat16PKffEviiT2_lPKT1_lilS6_lilS3_lPT3_lili,@function
_ZL20rocblas_gemvt_kernelILb1ELi256E16rocblas_bfloat16PKffEviiT2_lPKT1_lilS6_lilS3_lPT3_lili: ; @_ZL20rocblas_gemvt_kernelILb1ELi256E16rocblas_bfloat16PKffEviiT2_lPKT1_lilS6_lilS3_lPT3_lili
; %bb.0:
	s_load_b32 s33, s[0:1], 0x88
	s_lshr_b32 s10, ttmp7, 16
	s_wait_kmcnt 0x0
	s_cmp_ge_u32 s10, s33
	s_cbranch_scc1 .LBB656_49
; %bb.1:
	s_clause 0x7
	s_load_b32 s8, s[0:1], 0x28
	s_load_b96 s[4:6], s[0:1], 0x40
	s_load_b96 s[36:38], s[0:1], 0x70
	s_load_b256 s[12:19], s[0:1], 0x8
	s_load_b32 s7, s[0:1], 0x0
	s_load_b128 s[28:31], s[0:1], 0x30
	s_load_b256 s[20:27], s[0:1], 0x50
	s_load_b64 s[34:35], s[0:1], 0x80
	s_mov_b32 s2, ttmp9
	s_ashr_i32 s3, ttmp9, 31
	v_lshlrev_b32_e32 v13, 2, v0
	s_mov_b32 s11, 0
	v_mov_b32_e32 v10, 0
	s_wait_kmcnt 0x0
	s_ashr_i32 s9, s8, 31
	s_lshl_b64 s[0:1], s[4:5], 1
	s_lshl_b64 s[4:5], s[36:37], 2
	;; [unrolled: 1-line block ×3, first 2 shown]
	v_cmp_gt_i32_e32 vcc_lo, s7, v0
	s_ashr_i32 s39, s38, 31
	s_add_nc_u64 s[26:27], s[26:27], s[4:5]
	s_add_nc_u64 s[4:5], s[16:17], s[42:43]
	s_mul_u64 s[44:45], s[38:39], s[2:3]
	v_cndmask_b32_e32 v1, 0, v0, vcc_lo
	s_mul_u64 s[2:3], s[8:9], s[2:3]
	s_add_nc_u64 s[18:19], s[30:31], s[0:1]
	s_ashr_i32 s1, s7, 31
	s_lshl_b64 s[38:39], s[2:3], 1
	v_lshlrev_b32_e32 v3, 1, v1
	s_lshr_b32 s1, s1, 24
	s_add_nc_u64 s[42:43], s[38:39], s[42:43]
	s_add_co_i32 s1, s7, s1
	s_ashr_i32 s41, s6, 31
	v_add_co_u32 v1, s4, s4, v3
	s_wait_alu 0xf1ff
	v_add_co_ci_u32_e64 v2, null, s5, 0, s4
	s_and_b32 s30, s1, 0xffffff00
	v_add_co_u32 v11, vcc_lo, v1, s38
	s_wait_alu 0xfffd
	v_add_co_ci_u32_e64 v12, null, s39, v2, vcc_lo
	v_mad_co_i64_i32 v[1:2], null, s6, v0, 0
	v_or_b32_e32 v4, s30, v0
	s_mov_b32 s40, s6
	v_cmp_eq_u32_e64 s0, 0, v0
	s_cmp_gt_i32 s7, 0xff
	v_cmp_gt_u32_e64 s2, 0x80, v0
	v_cmp_gt_i32_e64 s1, s7, v4
	v_lshlrev_b64_e32 v[1:2], 1, v[1:2]
	v_mad_co_i64_i32 v[4:5], null, s6, v4, 0
	v_cmp_gt_u32_e64 s3, 64, v0
	v_cmp_gt_u32_e64 s4, 32, v0
	;; [unrolled: 1-line block ×6, first 2 shown]
	v_add_co_u32 v0, vcc_lo, s18, v1
	s_add_nc_u64 s[16:17], s[16:17], s[42:43]
	s_wait_alu 0xfffd
	v_add_co_ci_u32_e64 v1, null, s19, v2, vcc_lo
	v_add_co_u32 v2, s9, s16, v3
	v_lshlrev_b64_e32 v[4:5], 1, v[4:5]
	v_add_co_ci_u32_e64 v3, null, s17, 0, s9
	s_cselect_b32 s46, -1, 0
	s_ashr_i32 s31, s30, 31
	s_lshl_b64 s[36:37], s[20:21], 1
	s_lshl_b64 s[38:39], s[40:41], 9
	;; [unrolled: 1-line block ×4, first 2 shown]
	s_wait_alu 0xfffe
	s_lshl_b64 s[42:43], s[30:31], 1
	s_branch .LBB656_4
.LBB656_2:                              ;   in Loop: Header=BB656_4 Depth=1
	s_wait_alu 0xfffe
	s_or_b32 exec_lo, exec_lo, s31
.LBB656_3:                              ;   in Loop: Header=BB656_4 Depth=1
	s_add_co_i32 s10, s10, 0x10000
	s_wait_alu 0xfffe
	s_cmp_lt_u32 s10, s33
	s_cbranch_scc0 .LBB656_49
.LBB656_4:                              ; =>This Loop Header: Depth=1
                                        ;     Child Loop BB656_16 Depth 2
	s_mul_u64 s[44:45], s[14:15], s[10:11]
	s_mul_u64 s[48:49], s[24:25], s[10:11]
	s_lshl_b64 s[44:45], s[44:45], 2
	s_wait_alu 0xfffe
	s_lshl_b64 s[48:49], s[48:49], 2
	s_add_nc_u64 s[44:45], s[12:13], s[44:45]
	s_wait_alu 0xfffe
	s_add_nc_u64 s[48:49], s[22:23], s[48:49]
	s_clause 0x1
	global_load_b32 v15, v10, s[44:45]
	global_load_b32 v14, v10, s[48:49]
	s_wait_loadcnt 0x1
	v_cmp_eq_f32_e32 vcc_lo, 0, v15
	s_wait_loadcnt 0x0
	v_cmp_eq_f32_e64 s9, 1.0, v14
	s_and_b32 s9, vcc_lo, s9
	s_wait_alu 0xfffe
	s_and_b32 vcc_lo, exec_lo, s9
	s_wait_alu 0xfffe
	s_cbranch_vccnz .LBB656_3
; %bb.5:                                ;   in Loop: Header=BB656_4 Depth=1
	v_cmp_neq_f32_e32 vcc_lo, 0, v15
	s_mul_u64 s[44:45], s[34:35], s[10:11]
	s_delay_alu instid0(SALU_CYCLE_1) | instskip(NEXT) | instid1(SALU_CYCLE_1)
	s_lshl_b64 s[44:45], s[44:45], 2
	s_add_nc_u64 s[44:45], s[26:27], s[44:45]
	s_cbranch_vccnz .LBB656_9
; %bb.6:                                ;   in Loop: Header=BB656_4 Depth=1
	s_mov_b32 s31, 0
	s_mov_b32 s9, 0
                                        ; implicit-def: $vgpr6
	s_and_saveexec_b32 s47, s0
	s_cbranch_execz .LBB656_10
; %bb.7:                                ;   in Loop: Header=BB656_4 Depth=1
	v_cmp_eq_f32_e32 vcc_lo, 0, v14
	s_cbranch_vccnz .LBB656_11
; %bb.8:                                ;   in Loop: Header=BB656_4 Depth=1
	s_add_nc_u64 s[48:49], s[44:45], s[40:41]
	global_load_b32 v6, v10, s[48:49]
	s_wait_loadcnt 0x0
	v_mul_f32_e32 v6, v14, v6
	s_branch .LBB656_12
.LBB656_9:                              ;   in Loop: Header=BB656_4 Depth=1
	s_mov_b32 s9, 0
                                        ; implicit-def: $vgpr6
	s_cbranch_execnz .LBB656_13
	s_branch .LBB656_47
.LBB656_10:                             ;   in Loop: Header=BB656_4 Depth=1
	s_or_b32 exec_lo, exec_lo, s47
	s_wait_alu 0xfffe
	s_and_b32 vcc_lo, exec_lo, s31
	s_wait_alu 0xfffe
	s_cbranch_vccnz .LBB656_13
	s_branch .LBB656_47
.LBB656_11:                             ;   in Loop: Header=BB656_4 Depth=1
	v_mov_b32_e32 v6, 0
.LBB656_12:                             ;   in Loop: Header=BB656_4 Depth=1
	s_mov_b32 s9, exec_lo
	s_or_b32 exec_lo, exec_lo, s47
	s_wait_alu 0xfffe
	s_and_b32 vcc_lo, exec_lo, s31
	s_wait_alu 0xfffe
	s_cbranch_vccz .LBB656_47
.LBB656_13:                             ;   in Loop: Header=BB656_4 Depth=1
	v_mov_b32_e32 v16, 0
	s_and_not1_b32 vcc_lo, exec_lo, s46
	s_wait_alu 0xfffe
	s_cbranch_vccnz .LBB656_20
; %bb.14:                               ;   in Loop: Header=BB656_4 Depth=1
	v_mad_co_u64_u32 v[6:7], null, s36, s10, v[0:1]
	v_mad_co_u64_u32 v[8:9], null, s16, s10, v[2:3]
	s_mov_b32 s31, 0
	v_mad_co_u64_u32 v[16:17], null, s37, s10, v[7:8]
	v_mad_co_u64_u32 v[17:18], null, s17, s10, v[9:10]
	s_delay_alu instid0(VALU_DEP_2) | instskip(NEXT) | instid1(VALU_DEP_2)
	v_dual_mov_b32 v7, v16 :: v_dual_mov_b32 v16, 0
	v_mov_b32_e32 v9, v17
	s_branch .LBB656_16
.LBB656_15:                             ;   in Loop: Header=BB656_16 Depth=2
	s_or_b32 exec_lo, exec_lo, s47
	s_delay_alu instid0(VALU_DEP_1)
	v_and_b32_e32 v17, 0xffff0000, v18
	v_add_co_u32 v6, vcc_lo, v6, s38
	s_wait_alu 0xfffd
	v_add_co_ci_u32_e64 v7, null, s39, v7, vcc_lo
	v_add_co_u32 v8, vcc_lo, 0x200, v8
	v_add_f32_e32 v16, v16, v17
	s_wait_alu 0xfffd
	v_add_co_ci_u32_e64 v9, null, 0, v9, vcc_lo
	s_wait_alu 0xfffe
	s_addk_co_i32 s31, 0x100
	s_wait_alu 0xfffe
	s_cmp_ge_i32 s31, s30
	s_cbranch_scc1 .LBB656_20
.LBB656_16:                             ;   Parent Loop BB656_4 Depth=1
                                        ; =>  This Inner Loop Header: Depth=2
	global_load_u16 v17, v[6:7], off
	global_load_u16 v18, v[8:9], off
	s_wait_loadcnt 0x1
	v_lshlrev_b32_e32 v17, 16, v17
	s_wait_loadcnt 0x0
	v_lshlrev_b32_e32 v18, 16, v18
	s_delay_alu instid0(VALU_DEP_1) | instskip(NEXT) | instid1(VALU_DEP_1)
	v_mul_f32_e32 v17, v18, v17
	v_and_b32_e32 v18, 0x7f800000, v17
	s_delay_alu instid0(VALU_DEP_1) | instskip(SKIP_1) | instid1(SALU_CYCLE_1)
	v_cmp_ne_u32_e32 vcc_lo, 0x7f800000, v18
                                        ; implicit-def: $vgpr18
	s_and_saveexec_b32 s47, vcc_lo
	s_xor_b32 s47, exec_lo, s47
; %bb.17:                               ;   in Loop: Header=BB656_16 Depth=2
	v_bfe_u32 v18, v17, 16, 1
	s_delay_alu instid0(VALU_DEP_1)
	v_add3_u32 v18, v17, v18, 0x7fff
                                        ; implicit-def: $vgpr17
; %bb.18:                               ;   in Loop: Header=BB656_16 Depth=2
	s_and_not1_saveexec_b32 s47, s47
	s_cbranch_execz .LBB656_15
; %bb.19:                               ;   in Loop: Header=BB656_16 Depth=2
	v_and_b32_e32 v18, 0xffff, v17
	v_or_b32_e32 v19, 0x10000, v17
	s_delay_alu instid0(VALU_DEP_2) | instskip(SKIP_1) | instid1(VALU_DEP_2)
	v_cmp_eq_u32_e32 vcc_lo, 0, v18
	s_wait_alu 0xfffd
	v_cndmask_b32_e32 v18, v19, v17, vcc_lo
	s_branch .LBB656_15
.LBB656_20:                             ;   in Loop: Header=BB656_4 Depth=1
	s_and_saveexec_b32 s31, s1
	s_cbranch_execz .LBB656_26
; %bb.21:                               ;   in Loop: Header=BB656_4 Depth=1
	s_mul_u64 s[48:49], s[28:29], s[10:11]
	s_mul_u64 s[50:51], s[20:21], s[10:11]
	s_wait_alu 0xfffe
	s_lshl_b64 s[48:49], s[48:49], 1
	s_lshl_b64 s[50:51], s[50:51], 1
	s_wait_alu 0xfffe
	v_add_co_u32 v8, vcc_lo, v11, s48
	s_wait_alu 0xfffd
	v_add_co_ci_u32_e64 v9, null, s49, v12, vcc_lo
	s_add_nc_u64 s[48:49], s[18:19], s[50:51]
	s_wait_alu 0xfffe
	v_add_co_u32 v6, vcc_lo, s48, v4
	s_wait_alu 0xfffd
	v_add_co_ci_u32_e64 v7, null, s49, v5, vcc_lo
	v_add_co_u32 v8, vcc_lo, v8, s42
	s_wait_alu 0xfffd
	v_add_co_ci_u32_e64 v9, null, s43, v9, vcc_lo
	global_load_u16 v6, v[6:7], off
	global_load_u16 v7, v[8:9], off
	s_wait_loadcnt 0x1
	v_lshlrev_b32_e32 v6, 16, v6
	s_wait_loadcnt 0x0
	v_lshlrev_b32_e32 v7, 16, v7
	s_delay_alu instid0(VALU_DEP_1) | instskip(NEXT) | instid1(VALU_DEP_1)
	v_mul_f32_e32 v6, v7, v6
	v_and_b32_e32 v7, 0x7f800000, v6
	s_delay_alu instid0(VALU_DEP_1) | instskip(SKIP_1) | instid1(SALU_CYCLE_1)
	v_cmp_ne_u32_e32 vcc_lo, 0x7f800000, v7
                                        ; implicit-def: $vgpr7
	s_and_saveexec_b32 s47, vcc_lo
	s_xor_b32 s47, exec_lo, s47
; %bb.22:                               ;   in Loop: Header=BB656_4 Depth=1
	v_bfe_u32 v7, v6, 16, 1
	s_delay_alu instid0(VALU_DEP_1)
	v_add3_u32 v7, v6, v7, 0x7fff
                                        ; implicit-def: $vgpr6
; %bb.23:                               ;   in Loop: Header=BB656_4 Depth=1
	s_and_not1_saveexec_b32 s47, s47
; %bb.24:                               ;   in Loop: Header=BB656_4 Depth=1
	v_and_b32_e32 v7, 0xffff, v6
	v_or_b32_e32 v8, 0x10000, v6
	s_delay_alu instid0(VALU_DEP_2) | instskip(SKIP_1) | instid1(VALU_DEP_2)
	v_cmp_eq_u32_e32 vcc_lo, 0, v7
	s_wait_alu 0xfffd
	v_cndmask_b32_e32 v7, v8, v6, vcc_lo
; %bb.25:                               ;   in Loop: Header=BB656_4 Depth=1
	s_or_b32 exec_lo, exec_lo, s47
	s_delay_alu instid0(VALU_DEP_1) | instskip(NEXT) | instid1(VALU_DEP_1)
	v_and_b32_e32 v6, 0xffff0000, v7
	v_add_f32_e32 v16, v16, v6
.LBB656_26:                             ;   in Loop: Header=BB656_4 Depth=1
	s_wait_alu 0xfffe
	s_or_b32 exec_lo, exec_lo, s31
	ds_store_b32 v13, v16
	s_wait_dscnt 0x0
	s_barrier_signal -1
	s_barrier_wait -1
	global_inv scope:SCOPE_SE
	s_and_saveexec_b32 s31, s2
	s_cbranch_execz .LBB656_28
; %bb.27:                               ;   in Loop: Header=BB656_4 Depth=1
	ds_load_2addr_stride64_b32 v[6:7], v13 offset1:2
	s_wait_dscnt 0x0
	v_add_f32_e32 v6, v7, v6
	ds_store_b32 v13, v6
.LBB656_28:                             ;   in Loop: Header=BB656_4 Depth=1
	s_wait_alu 0xfffe
	s_or_b32 exec_lo, exec_lo, s31
	s_wait_loadcnt_dscnt 0x0
	s_barrier_signal -1
	s_barrier_wait -1
	global_inv scope:SCOPE_SE
	s_and_saveexec_b32 s31, s3
	s_cbranch_execz .LBB656_30
; %bb.29:                               ;   in Loop: Header=BB656_4 Depth=1
	ds_load_2addr_stride64_b32 v[6:7], v13 offset1:1
	s_wait_dscnt 0x0
	v_add_f32_e32 v6, v7, v6
	ds_store_b32 v13, v6
.LBB656_30:                             ;   in Loop: Header=BB656_4 Depth=1
	s_wait_alu 0xfffe
	s_or_b32 exec_lo, exec_lo, s31
	s_wait_loadcnt_dscnt 0x0
	s_barrier_signal -1
	s_barrier_wait -1
	global_inv scope:SCOPE_SE
	s_and_saveexec_b32 s31, s4
	s_cbranch_execz .LBB656_32
; %bb.31:                               ;   in Loop: Header=BB656_4 Depth=1
	ds_load_2addr_b32 v[6:7], v13 offset1:32
	s_wait_dscnt 0x0
	v_add_f32_e32 v6, v7, v6
	ds_store_b32 v13, v6
.LBB656_32:                             ;   in Loop: Header=BB656_4 Depth=1
	s_wait_alu 0xfffe
	s_or_b32 exec_lo, exec_lo, s31
	s_wait_loadcnt_dscnt 0x0
	s_barrier_signal -1
	s_barrier_wait -1
	global_inv scope:SCOPE_SE
	s_and_saveexec_b32 s31, s5
	s_cbranch_execz .LBB656_34
; %bb.33:                               ;   in Loop: Header=BB656_4 Depth=1
	ds_load_2addr_b32 v[6:7], v13 offset1:16
	s_wait_dscnt 0x0
	v_add_f32_e32 v6, v7, v6
	ds_store_b32 v13, v6
.LBB656_34:                             ;   in Loop: Header=BB656_4 Depth=1
	;; [unrolled: 14-line block ×5, first 2 shown]
	s_wait_alu 0xfffe
	s_or_b32 exec_lo, exec_lo, s31
	s_wait_loadcnt_dscnt 0x0
	s_barrier_signal -1
	s_barrier_wait -1
	global_inv scope:SCOPE_SE
	s_and_saveexec_b32 s31, s0
	s_cbranch_execz .LBB656_42
; %bb.41:                               ;   in Loop: Header=BB656_4 Depth=1
	ds_load_b64 v[6:7], v10
	s_wait_dscnt 0x0
	v_add_f32_e32 v6, v7, v6
	ds_store_b32 v10, v6
.LBB656_42:                             ;   in Loop: Header=BB656_4 Depth=1
	s_wait_alu 0xfffe
	s_or_b32 exec_lo, exec_lo, s31
	s_wait_loadcnt_dscnt 0x0
	s_barrier_signal -1
	s_barrier_wait -1
	global_inv scope:SCOPE_SE
                                        ; implicit-def: $vgpr6
	s_and_saveexec_b32 s31, s0
	s_cbranch_execz .LBB656_46
; %bb.43:                               ;   in Loop: Header=BB656_4 Depth=1
	ds_load_b32 v6, v10
	v_cmp_eq_f32_e32 vcc_lo, 0, v14
	s_wait_dscnt 0x0
	v_mul_f32_e32 v6, v15, v6
	s_cbranch_vccnz .LBB656_45
; %bb.44:                               ;   in Loop: Header=BB656_4 Depth=1
	s_add_nc_u64 s[48:49], s[44:45], s[40:41]
	global_load_b32 v7, v10, s[48:49]
	s_wait_loadcnt 0x0
	v_fmac_f32_e32 v6, v14, v7
.LBB656_45:                             ;   in Loop: Header=BB656_4 Depth=1
	s_or_b32 s9, s9, exec_lo
.LBB656_46:                             ;   in Loop: Header=BB656_4 Depth=1
	s_wait_alu 0xfffe
	s_or_b32 exec_lo, exec_lo, s31
.LBB656_47:                             ;   in Loop: Header=BB656_4 Depth=1
	s_wait_alu 0xfffe
	s_and_saveexec_b32 s31, s9
	s_cbranch_execz .LBB656_2
; %bb.48:                               ;   in Loop: Header=BB656_4 Depth=1
	s_add_nc_u64 s[44:45], s[44:45], s[40:41]
	global_store_b32 v10, v6, s[44:45]
	s_branch .LBB656_2
.LBB656_49:
	s_endpgm
	.section	.rodata,"a",@progbits
	.p2align	6, 0x0
	.amdhsa_kernel _ZL20rocblas_gemvt_kernelILb1ELi256E16rocblas_bfloat16PKffEviiT2_lPKT1_lilS6_lilS3_lPT3_lili
		.amdhsa_group_segment_fixed_size 1024
		.amdhsa_private_segment_fixed_size 0
		.amdhsa_kernarg_size 140
		.amdhsa_user_sgpr_count 2
		.amdhsa_user_sgpr_dispatch_ptr 0
		.amdhsa_user_sgpr_queue_ptr 0
		.amdhsa_user_sgpr_kernarg_segment_ptr 1
		.amdhsa_user_sgpr_dispatch_id 0
		.amdhsa_user_sgpr_private_segment_size 0
		.amdhsa_wavefront_size32 1
		.amdhsa_uses_dynamic_stack 0
		.amdhsa_enable_private_segment 0
		.amdhsa_system_sgpr_workgroup_id_x 1
		.amdhsa_system_sgpr_workgroup_id_y 0
		.amdhsa_system_sgpr_workgroup_id_z 1
		.amdhsa_system_sgpr_workgroup_info 0
		.amdhsa_system_vgpr_workitem_id 0
		.amdhsa_next_free_vgpr 20
		.amdhsa_next_free_sgpr 52
		.amdhsa_reserve_vcc 1
		.amdhsa_float_round_mode_32 0
		.amdhsa_float_round_mode_16_64 0
		.amdhsa_float_denorm_mode_32 3
		.amdhsa_float_denorm_mode_16_64 3
		.amdhsa_fp16_overflow 0
		.amdhsa_workgroup_processor_mode 1
		.amdhsa_memory_ordered 1
		.amdhsa_forward_progress 1
		.amdhsa_inst_pref_size 15
		.amdhsa_round_robin_scheduling 0
		.amdhsa_exception_fp_ieee_invalid_op 0
		.amdhsa_exception_fp_denorm_src 0
		.amdhsa_exception_fp_ieee_div_zero 0
		.amdhsa_exception_fp_ieee_overflow 0
		.amdhsa_exception_fp_ieee_underflow 0
		.amdhsa_exception_fp_ieee_inexact 0
		.amdhsa_exception_int_div_zero 0
	.end_amdhsa_kernel
	.section	.text._ZL20rocblas_gemvt_kernelILb1ELi256E16rocblas_bfloat16PKffEviiT2_lPKT1_lilS6_lilS3_lPT3_lili,"axG",@progbits,_ZL20rocblas_gemvt_kernelILb1ELi256E16rocblas_bfloat16PKffEviiT2_lPKT1_lilS6_lilS3_lPT3_lili,comdat
.Lfunc_end656:
	.size	_ZL20rocblas_gemvt_kernelILb1ELi256E16rocblas_bfloat16PKffEviiT2_lPKT1_lilS6_lilS3_lPT3_lili, .Lfunc_end656-_ZL20rocblas_gemvt_kernelILb1ELi256E16rocblas_bfloat16PKffEviiT2_lPKT1_lilS6_lilS3_lPT3_lili
                                        ; -- End function
	.set _ZL20rocblas_gemvt_kernelILb1ELi256E16rocblas_bfloat16PKffEviiT2_lPKT1_lilS6_lilS3_lPT3_lili.num_vgpr, 20
	.set _ZL20rocblas_gemvt_kernelILb1ELi256E16rocblas_bfloat16PKffEviiT2_lPKT1_lilS6_lilS3_lPT3_lili.num_agpr, 0
	.set _ZL20rocblas_gemvt_kernelILb1ELi256E16rocblas_bfloat16PKffEviiT2_lPKT1_lilS6_lilS3_lPT3_lili.numbered_sgpr, 52
	.set _ZL20rocblas_gemvt_kernelILb1ELi256E16rocblas_bfloat16PKffEviiT2_lPKT1_lilS6_lilS3_lPT3_lili.num_named_barrier, 0
	.set _ZL20rocblas_gemvt_kernelILb1ELi256E16rocblas_bfloat16PKffEviiT2_lPKT1_lilS6_lilS3_lPT3_lili.private_seg_size, 0
	.set _ZL20rocblas_gemvt_kernelILb1ELi256E16rocblas_bfloat16PKffEviiT2_lPKT1_lilS6_lilS3_lPT3_lili.uses_vcc, 1
	.set _ZL20rocblas_gemvt_kernelILb1ELi256E16rocblas_bfloat16PKffEviiT2_lPKT1_lilS6_lilS3_lPT3_lili.uses_flat_scratch, 0
	.set _ZL20rocblas_gemvt_kernelILb1ELi256E16rocblas_bfloat16PKffEviiT2_lPKT1_lilS6_lilS3_lPT3_lili.has_dyn_sized_stack, 0
	.set _ZL20rocblas_gemvt_kernelILb1ELi256E16rocblas_bfloat16PKffEviiT2_lPKT1_lilS6_lilS3_lPT3_lili.has_recursion, 0
	.set _ZL20rocblas_gemvt_kernelILb1ELi256E16rocblas_bfloat16PKffEviiT2_lPKT1_lilS6_lilS3_lPT3_lili.has_indirect_call, 0
	.section	.AMDGPU.csdata,"",@progbits
; Kernel info:
; codeLenInByte = 1912
; TotalNumSgprs: 54
; NumVgprs: 20
; ScratchSize: 0
; MemoryBound: 0
; FloatMode: 240
; IeeeMode: 1
; LDSByteSize: 1024 bytes/workgroup (compile time only)
; SGPRBlocks: 0
; VGPRBlocks: 2
; NumSGPRsForWavesPerEU: 54
; NumVGPRsForWavesPerEU: 20
; Occupancy: 16
; WaveLimiterHint : 0
; COMPUTE_PGM_RSRC2:SCRATCH_EN: 0
; COMPUTE_PGM_RSRC2:USER_SGPR: 2
; COMPUTE_PGM_RSRC2:TRAP_HANDLER: 0
; COMPUTE_PGM_RSRC2:TGID_X_EN: 1
; COMPUTE_PGM_RSRC2:TGID_Y_EN: 0
; COMPUTE_PGM_RSRC2:TGID_Z_EN: 1
; COMPUTE_PGM_RSRC2:TIDIG_COMP_CNT: 0
	.section	.text._ZL20rocblas_gemvt_kernelILb1ELi256E16rocblas_bfloat16ffEviiT2_lPKT1_lilS4_lilS1_lPT3_lili,"axG",@progbits,_ZL20rocblas_gemvt_kernelILb1ELi256E16rocblas_bfloat16ffEviiT2_lPKT1_lilS4_lilS1_lPT3_lili,comdat
	.globl	_ZL20rocblas_gemvt_kernelILb1ELi256E16rocblas_bfloat16ffEviiT2_lPKT1_lilS4_lilS1_lPT3_lili ; -- Begin function _ZL20rocblas_gemvt_kernelILb1ELi256E16rocblas_bfloat16ffEviiT2_lPKT1_lilS4_lilS1_lPT3_lili
	.p2align	8
	.type	_ZL20rocblas_gemvt_kernelILb1ELi256E16rocblas_bfloat16ffEviiT2_lPKT1_lilS4_lilS1_lPT3_lili,@function
_ZL20rocblas_gemvt_kernelILb1ELi256E16rocblas_bfloat16ffEviiT2_lPKT1_lilS4_lilS1_lPT3_lili: ; @_ZL20rocblas_gemvt_kernelILb1ELi256E16rocblas_bfloat16ffEviiT2_lPKT1_lilS4_lilS1_lPT3_lili
; %bb.0:
	s_load_b32 s9, s[0:1], 0x88
	s_lshr_b32 s10, ttmp7, 16
	s_wait_kmcnt 0x0
	s_cmp_ge_u32 s10, s9
	s_cbranch_scc1 .LBB657_49
; %bb.1:
	s_clause 0x9
	s_load_b32 s26, s[0:1], 0x28
	s_load_b96 s[4:6], s[0:1], 0x40
	s_load_b32 s34, s[0:1], 0x78
	s_load_b128 s[28:31], s[0:1], 0x68
	s_load_b128 s[16:19], s[0:1], 0x18
	s_load_b32 s23, s[0:1], 0x8
	s_load_b96 s[20:22], s[0:1], 0x50
	s_load_b32 s7, s[0:1], 0x0
	s_load_b128 s[12:15], s[0:1], 0x30
	s_load_b64 s[24:25], s[0:1], 0x80
	s_mov_b32 s2, ttmp9
	v_cmp_eq_u32_e64 s0, 0, v0
	v_lshlrev_b32_e32 v13, 2, v0
	v_cmp_gt_u32_e64 s8, 2, v0
	s_mov_b32 s11, 0
	s_wait_kmcnt 0x0
	s_ashr_i32 s27, s26, 31
	s_ashr_i32 s37, s6, 31
	;; [unrolled: 1-line block ×3, first 2 shown]
	s_lshl_b64 s[4:5], s[4:5], 1
	s_lshl_b64 s[30:31], s[30:31], 2
	;; [unrolled: 1-line block ×3, first 2 shown]
	s_cmp_eq_f32 s23, 0
	v_cmp_gt_i32_e32 vcc_lo, s7, v0
	v_mov_b32_e32 v10, 0
	s_add_nc_u64 s[14:15], s[14:15], s[4:5]
	s_cselect_b32 s33, -1, 0
	s_cmp_neq_f32 s23, 0
	v_cndmask_b32_e32 v1, 0, v0, vcc_lo
	s_add_nc_u64 s[4:5], s[16:17], s[38:39]
	s_add_nc_u64 s[18:19], s[28:29], s[30:31]
	s_cselect_b32 s1, -1, 0
	s_cmp_neq_f32 s22, 1.0
	v_lshlrev_b32_e32 v3, 1, v1
	s_mov_b32 s36, s6
	s_cselect_b32 s3, -1, 0
	s_delay_alu instid0(SALU_CYCLE_1)
	s_or_b32 s40, s1, s3
	s_cmp_neq_f32 s22, 0
	v_add_co_u32 v1, s4, s4, v3
	s_wait_alu 0xf1ff
	v_add_co_ci_u32_e64 v2, null, s5, 0, s4
	s_cselect_b32 s41, -1, 0
	s_ashr_i32 s3, ttmp9, 31
	s_ashr_i32 s1, s7, 31
	s_mul_u64 s[28:29], s[26:27], s[2:3]
	s_lshr_b32 s1, s1, 24
	s_lshl_b64 s[30:31], s[28:29], 1
	s_add_co_i32 s1, s7, s1
	v_add_co_u32 v11, vcc_lo, v1, s30
	s_wait_alu 0xfffd
	v_add_co_ci_u32_e64 v12, null, s31, v2, vcc_lo
	v_mad_co_i64_i32 v[1:2], null, s6, v0, 0
	s_and_b32 s26, s1, 0xffffff00
	s_add_nc_u64 s[38:39], s[30:31], s[38:39]
	v_or_b32_e32 v4, s26, v0
	s_mul_u64 s[34:35], s[34:35], s[2:3]
	s_cmp_gt_i32 s7, 0xff
	v_cmp_gt_u32_e64 s2, 0x80, v0
	v_lshlrev_b64_e32 v[1:2], 1, v[1:2]
	v_cmp_gt_i32_e64 s1, s7, v4
	v_mad_co_i64_i32 v[4:5], null, s6, v4, 0
	v_cmp_gt_u32_e64 s3, 64, v0
	v_cmp_gt_u32_e64 s4, 32, v0
	;; [unrolled: 1-line block ×5, first 2 shown]
	v_add_co_u32 v0, vcc_lo, s14, v1
	s_add_nc_u64 s[16:17], s[16:17], s[38:39]
	s_wait_alu 0xfffd
	v_add_co_ci_u32_e64 v1, null, s15, v2, vcc_lo
	v_add_co_u32 v2, s16, s16, v3
	v_lshlrev_b64_e32 v[4:5], 1, v[4:5]
	s_wait_alu 0xf1ff
	v_add_co_ci_u32_e64 v3, null, s17, 0, s16
	s_cselect_b32 s42, -1, 0
	s_ashr_i32 s27, s26, 31
	s_lshl_b64 s[28:29], s[20:21], 1
	s_lshl_b64 s[30:31], s[36:37], 9
	;; [unrolled: 1-line block ×4, first 2 shown]
	s_wait_alu 0xfffe
	s_lshl_b64 s[36:37], s[26:27], 1
	s_branch .LBB657_4
.LBB657_2:                              ;   in Loop: Header=BB657_4 Depth=1
	s_or_b32 exec_lo, exec_lo, s43
.LBB657_3:                              ;   in Loop: Header=BB657_4 Depth=1
	s_add_co_i32 s10, s10, 0x10000
	s_wait_alu 0xfffe
	s_cmp_lt_u32 s10, s9
	s_cbranch_scc0 .LBB657_49
.LBB657_4:                              ; =>This Loop Header: Depth=1
                                        ;     Child Loop BB657_16 Depth 2
	s_and_not1_b32 vcc_lo, exec_lo, s40
	s_wait_alu 0xfffe
	s_cbranch_vccnz .LBB657_3
; %bb.5:                                ;   in Loop: Header=BB657_4 Depth=1
	s_mul_u64 s[38:39], s[24:25], s[10:11]
	s_and_not1_b32 vcc_lo, exec_lo, s33
	s_lshl_b64 s[38:39], s[38:39], 2
	s_delay_alu instid0(SALU_CYCLE_1)
	s_add_nc_u64 s[38:39], s[18:19], s[38:39]
	s_wait_alu 0xfffe
	s_cbranch_vccnz .LBB657_9
; %bb.6:                                ;   in Loop: Header=BB657_4 Depth=1
	s_mov_b32 s43, 0
	s_mov_b32 s27, 0
                                        ; implicit-def: $vgpr6
	s_and_saveexec_b32 s44, s0
	s_cbranch_execz .LBB657_10
; %bb.7:                                ;   in Loop: Header=BB657_4 Depth=1
	s_and_not1_b32 vcc_lo, exec_lo, s41
	s_wait_alu 0xfffe
	s_cbranch_vccnz .LBB657_11
; %bb.8:                                ;   in Loop: Header=BB657_4 Depth=1
	s_add_nc_u64 s[46:47], s[38:39], s[34:35]
	global_load_b32 v6, v10, s[46:47]
	s_wait_loadcnt 0x0
	v_mul_f32_e32 v6, s22, v6
	s_branch .LBB657_12
.LBB657_9:                              ;   in Loop: Header=BB657_4 Depth=1
	s_mov_b32 s27, 0
                                        ; implicit-def: $vgpr6
	s_cbranch_execnz .LBB657_13
	s_branch .LBB657_47
.LBB657_10:                             ;   in Loop: Header=BB657_4 Depth=1
	s_wait_alu 0xfffe
	s_or_b32 exec_lo, exec_lo, s44
	s_delay_alu instid0(SALU_CYCLE_1)
	s_and_b32 vcc_lo, exec_lo, s43
	s_wait_alu 0xfffe
	s_cbranch_vccnz .LBB657_13
	s_branch .LBB657_47
.LBB657_11:                             ;   in Loop: Header=BB657_4 Depth=1
	v_mov_b32_e32 v6, 0
.LBB657_12:                             ;   in Loop: Header=BB657_4 Depth=1
	s_mov_b32 s27, exec_lo
	s_or_b32 exec_lo, exec_lo, s44
	s_delay_alu instid0(SALU_CYCLE_1)
	s_and_b32 vcc_lo, exec_lo, s43
	s_wait_alu 0xfffe
	s_cbranch_vccz .LBB657_47
.LBB657_13:                             ;   in Loop: Header=BB657_4 Depth=1
	v_mov_b32_e32 v14, 0
	s_and_not1_b32 vcc_lo, exec_lo, s42
	s_wait_alu 0xfffe
	s_cbranch_vccnz .LBB657_20
; %bb.14:                               ;   in Loop: Header=BB657_4 Depth=1
	v_mad_co_u64_u32 v[6:7], null, s28, s10, v[0:1]
	v_mad_co_u64_u32 v[8:9], null, s16, s10, v[2:3]
	s_mov_b32 s43, 0
	v_mad_co_u64_u32 v[14:15], null, s29, s10, v[7:8]
	v_mad_co_u64_u32 v[15:16], null, s17, s10, v[9:10]
	s_delay_alu instid0(VALU_DEP_2) | instskip(NEXT) | instid1(VALU_DEP_2)
	v_dual_mov_b32 v7, v14 :: v_dual_mov_b32 v14, 0
	v_mov_b32_e32 v9, v15
	s_branch .LBB657_16
.LBB657_15:                             ;   in Loop: Header=BB657_16 Depth=2
	s_wait_alu 0xfffe
	s_or_b32 exec_lo, exec_lo, s44
	s_delay_alu instid0(VALU_DEP_1)
	v_and_b32_e32 v15, 0xffff0000, v16
	v_add_co_u32 v6, vcc_lo, v6, s30
	s_wait_alu 0xfffd
	v_add_co_ci_u32_e64 v7, null, s31, v7, vcc_lo
	v_add_co_u32 v8, vcc_lo, 0x200, v8
	v_add_f32_e32 v14, v14, v15
	s_wait_alu 0xfffd
	v_add_co_ci_u32_e64 v9, null, 0, v9, vcc_lo
	s_addk_co_i32 s43, 0x100
	s_delay_alu instid0(SALU_CYCLE_1)
	s_cmp_ge_i32 s43, s26
	s_cbranch_scc1 .LBB657_20
.LBB657_16:                             ;   Parent Loop BB657_4 Depth=1
                                        ; =>  This Inner Loop Header: Depth=2
	global_load_u16 v15, v[6:7], off
	global_load_u16 v16, v[8:9], off
	s_wait_loadcnt 0x1
	v_lshlrev_b32_e32 v15, 16, v15
	s_wait_loadcnt 0x0
	v_lshlrev_b32_e32 v16, 16, v16
	s_delay_alu instid0(VALU_DEP_1) | instskip(NEXT) | instid1(VALU_DEP_1)
	v_mul_f32_e32 v15, v16, v15
	v_and_b32_e32 v16, 0x7f800000, v15
	s_delay_alu instid0(VALU_DEP_1)
	v_cmp_ne_u32_e32 vcc_lo, 0x7f800000, v16
                                        ; implicit-def: $vgpr16
	s_and_saveexec_b32 s44, vcc_lo
	s_wait_alu 0xfffe
	s_xor_b32 s44, exec_lo, s44
; %bb.17:                               ;   in Loop: Header=BB657_16 Depth=2
	v_bfe_u32 v16, v15, 16, 1
	s_delay_alu instid0(VALU_DEP_1)
	v_add3_u32 v16, v15, v16, 0x7fff
                                        ; implicit-def: $vgpr15
; %bb.18:                               ;   in Loop: Header=BB657_16 Depth=2
	s_wait_alu 0xfffe
	s_and_not1_saveexec_b32 s44, s44
	s_cbranch_execz .LBB657_15
; %bb.19:                               ;   in Loop: Header=BB657_16 Depth=2
	v_and_b32_e32 v16, 0xffff, v15
	v_or_b32_e32 v17, 0x10000, v15
	s_delay_alu instid0(VALU_DEP_2) | instskip(SKIP_1) | instid1(VALU_DEP_2)
	v_cmp_eq_u32_e32 vcc_lo, 0, v16
	s_wait_alu 0xfffd
	v_cndmask_b32_e32 v16, v17, v15, vcc_lo
	s_branch .LBB657_15
.LBB657_20:                             ;   in Loop: Header=BB657_4 Depth=1
	s_and_saveexec_b32 s43, s1
	s_cbranch_execz .LBB657_26
; %bb.21:                               ;   in Loop: Header=BB657_4 Depth=1
	s_mul_u64 s[44:45], s[12:13], s[10:11]
	s_mul_u64 s[46:47], s[20:21], s[10:11]
	s_wait_alu 0xfffe
	s_lshl_b64 s[44:45], s[44:45], 1
	s_lshl_b64 s[46:47], s[46:47], 1
	s_wait_alu 0xfffe
	v_add_co_u32 v8, vcc_lo, v11, s44
	s_wait_alu 0xfffd
	v_add_co_ci_u32_e64 v9, null, s45, v12, vcc_lo
	s_add_nc_u64 s[44:45], s[14:15], s[46:47]
	s_wait_alu 0xfffe
	v_add_co_u32 v6, vcc_lo, s44, v4
	s_wait_alu 0xfffd
	v_add_co_ci_u32_e64 v7, null, s45, v5, vcc_lo
	v_add_co_u32 v8, vcc_lo, v8, s36
	s_wait_alu 0xfffd
	v_add_co_ci_u32_e64 v9, null, s37, v9, vcc_lo
	global_load_u16 v6, v[6:7], off
	global_load_u16 v7, v[8:9], off
	s_wait_loadcnt 0x1
	v_lshlrev_b32_e32 v6, 16, v6
	s_wait_loadcnt 0x0
	v_lshlrev_b32_e32 v7, 16, v7
	s_delay_alu instid0(VALU_DEP_1) | instskip(NEXT) | instid1(VALU_DEP_1)
	v_mul_f32_e32 v6, v7, v6
	v_and_b32_e32 v7, 0x7f800000, v6
	s_delay_alu instid0(VALU_DEP_1)
	v_cmp_ne_u32_e32 vcc_lo, 0x7f800000, v7
                                        ; implicit-def: $vgpr7
	s_and_saveexec_b32 s44, vcc_lo
	s_wait_alu 0xfffe
	s_xor_b32 s44, exec_lo, s44
; %bb.22:                               ;   in Loop: Header=BB657_4 Depth=1
	v_bfe_u32 v7, v6, 16, 1
	s_delay_alu instid0(VALU_DEP_1)
	v_add3_u32 v7, v6, v7, 0x7fff
                                        ; implicit-def: $vgpr6
; %bb.23:                               ;   in Loop: Header=BB657_4 Depth=1
	s_wait_alu 0xfffe
	s_and_not1_saveexec_b32 s44, s44
; %bb.24:                               ;   in Loop: Header=BB657_4 Depth=1
	v_and_b32_e32 v7, 0xffff, v6
	v_or_b32_e32 v8, 0x10000, v6
	s_delay_alu instid0(VALU_DEP_2) | instskip(SKIP_1) | instid1(VALU_DEP_2)
	v_cmp_eq_u32_e32 vcc_lo, 0, v7
	s_wait_alu 0xfffd
	v_cndmask_b32_e32 v7, v8, v6, vcc_lo
; %bb.25:                               ;   in Loop: Header=BB657_4 Depth=1
	s_wait_alu 0xfffe
	s_or_b32 exec_lo, exec_lo, s44
	s_delay_alu instid0(VALU_DEP_1) | instskip(NEXT) | instid1(VALU_DEP_1)
	v_and_b32_e32 v6, 0xffff0000, v7
	v_add_f32_e32 v14, v14, v6
.LBB657_26:                             ;   in Loop: Header=BB657_4 Depth=1
	s_or_b32 exec_lo, exec_lo, s43
	ds_store_b32 v13, v14
	s_wait_dscnt 0x0
	s_barrier_signal -1
	s_barrier_wait -1
	global_inv scope:SCOPE_SE
	s_and_saveexec_b32 s43, s2
	s_cbranch_execz .LBB657_28
; %bb.27:                               ;   in Loop: Header=BB657_4 Depth=1
	ds_load_2addr_stride64_b32 v[6:7], v13 offset1:2
	s_wait_dscnt 0x0
	v_add_f32_e32 v6, v7, v6
	ds_store_b32 v13, v6
.LBB657_28:                             ;   in Loop: Header=BB657_4 Depth=1
	s_or_b32 exec_lo, exec_lo, s43
	s_wait_loadcnt_dscnt 0x0
	s_barrier_signal -1
	s_barrier_wait -1
	global_inv scope:SCOPE_SE
	s_and_saveexec_b32 s43, s3
	s_cbranch_execz .LBB657_30
; %bb.29:                               ;   in Loop: Header=BB657_4 Depth=1
	ds_load_2addr_stride64_b32 v[6:7], v13 offset1:1
	s_wait_dscnt 0x0
	v_add_f32_e32 v6, v7, v6
	ds_store_b32 v13, v6
.LBB657_30:                             ;   in Loop: Header=BB657_4 Depth=1
	s_or_b32 exec_lo, exec_lo, s43
	s_wait_loadcnt_dscnt 0x0
	s_barrier_signal -1
	s_barrier_wait -1
	global_inv scope:SCOPE_SE
	s_and_saveexec_b32 s43, s4
	s_cbranch_execz .LBB657_32
; %bb.31:                               ;   in Loop: Header=BB657_4 Depth=1
	ds_load_2addr_b32 v[6:7], v13 offset1:32
	s_wait_dscnt 0x0
	v_add_f32_e32 v6, v7, v6
	ds_store_b32 v13, v6
.LBB657_32:                             ;   in Loop: Header=BB657_4 Depth=1
	s_or_b32 exec_lo, exec_lo, s43
	s_wait_loadcnt_dscnt 0x0
	s_barrier_signal -1
	s_barrier_wait -1
	global_inv scope:SCOPE_SE
	s_and_saveexec_b32 s43, s5
	s_cbranch_execz .LBB657_34
; %bb.33:                               ;   in Loop: Header=BB657_4 Depth=1
	ds_load_2addr_b32 v[6:7], v13 offset1:16
	s_wait_dscnt 0x0
	v_add_f32_e32 v6, v7, v6
	ds_store_b32 v13, v6
.LBB657_34:                             ;   in Loop: Header=BB657_4 Depth=1
	;; [unrolled: 13-line block ×5, first 2 shown]
	s_or_b32 exec_lo, exec_lo, s43
	s_wait_loadcnt_dscnt 0x0
	s_barrier_signal -1
	s_barrier_wait -1
	global_inv scope:SCOPE_SE
	s_and_saveexec_b32 s43, s0
	s_cbranch_execz .LBB657_42
; %bb.41:                               ;   in Loop: Header=BB657_4 Depth=1
	ds_load_b64 v[6:7], v10
	s_wait_dscnt 0x0
	v_add_f32_e32 v6, v7, v6
	ds_store_b32 v10, v6
.LBB657_42:                             ;   in Loop: Header=BB657_4 Depth=1
	s_or_b32 exec_lo, exec_lo, s43
	s_wait_loadcnt_dscnt 0x0
	s_barrier_signal -1
	s_barrier_wait -1
	global_inv scope:SCOPE_SE
                                        ; implicit-def: $vgpr6
	s_and_saveexec_b32 s43, s0
	s_cbranch_execz .LBB657_46
; %bb.43:                               ;   in Loop: Header=BB657_4 Depth=1
	ds_load_b32 v6, v10
	s_and_not1_b32 vcc_lo, exec_lo, s41
	s_wait_dscnt 0x0
	v_mul_f32_e32 v6, s23, v6
	s_wait_alu 0xfffe
	s_cbranch_vccnz .LBB657_45
; %bb.44:                               ;   in Loop: Header=BB657_4 Depth=1
	s_add_nc_u64 s[44:45], s[38:39], s[34:35]
	global_load_b32 v7, v10, s[44:45]
	s_wait_loadcnt 0x0
	v_fmac_f32_e32 v6, s22, v7
.LBB657_45:                             ;   in Loop: Header=BB657_4 Depth=1
	s_or_b32 s27, s27, exec_lo
.LBB657_46:                             ;   in Loop: Header=BB657_4 Depth=1
	s_or_b32 exec_lo, exec_lo, s43
.LBB657_47:                             ;   in Loop: Header=BB657_4 Depth=1
	s_wait_alu 0xfffe
	s_and_saveexec_b32 s43, s27
	s_cbranch_execz .LBB657_2
; %bb.48:                               ;   in Loop: Header=BB657_4 Depth=1
	s_add_nc_u64 s[38:39], s[38:39], s[34:35]
	global_store_b32 v10, v6, s[38:39]
	s_branch .LBB657_2
.LBB657_49:
	s_endpgm
	.section	.rodata,"a",@progbits
	.p2align	6, 0x0
	.amdhsa_kernel _ZL20rocblas_gemvt_kernelILb1ELi256E16rocblas_bfloat16ffEviiT2_lPKT1_lilS4_lilS1_lPT3_lili
		.amdhsa_group_segment_fixed_size 1024
		.amdhsa_private_segment_fixed_size 0
		.amdhsa_kernarg_size 140
		.amdhsa_user_sgpr_count 2
		.amdhsa_user_sgpr_dispatch_ptr 0
		.amdhsa_user_sgpr_queue_ptr 0
		.amdhsa_user_sgpr_kernarg_segment_ptr 1
		.amdhsa_user_sgpr_dispatch_id 0
		.amdhsa_user_sgpr_private_segment_size 0
		.amdhsa_wavefront_size32 1
		.amdhsa_uses_dynamic_stack 0
		.amdhsa_enable_private_segment 0
		.amdhsa_system_sgpr_workgroup_id_x 1
		.amdhsa_system_sgpr_workgroup_id_y 0
		.amdhsa_system_sgpr_workgroup_id_z 1
		.amdhsa_system_sgpr_workgroup_info 0
		.amdhsa_system_vgpr_workitem_id 0
		.amdhsa_next_free_vgpr 18
		.amdhsa_next_free_sgpr 48
		.amdhsa_reserve_vcc 1
		.amdhsa_float_round_mode_32 0
		.amdhsa_float_round_mode_16_64 0
		.amdhsa_float_denorm_mode_32 3
		.amdhsa_float_denorm_mode_16_64 3
		.amdhsa_fp16_overflow 0
		.amdhsa_workgroup_processor_mode 1
		.amdhsa_memory_ordered 1
		.amdhsa_forward_progress 1
		.amdhsa_inst_pref_size 15
		.amdhsa_round_robin_scheduling 0
		.amdhsa_exception_fp_ieee_invalid_op 0
		.amdhsa_exception_fp_denorm_src 0
		.amdhsa_exception_fp_ieee_div_zero 0
		.amdhsa_exception_fp_ieee_overflow 0
		.amdhsa_exception_fp_ieee_underflow 0
		.amdhsa_exception_fp_ieee_inexact 0
		.amdhsa_exception_int_div_zero 0
	.end_amdhsa_kernel
	.section	.text._ZL20rocblas_gemvt_kernelILb1ELi256E16rocblas_bfloat16ffEviiT2_lPKT1_lilS4_lilS1_lPT3_lili,"axG",@progbits,_ZL20rocblas_gemvt_kernelILb1ELi256E16rocblas_bfloat16ffEviiT2_lPKT1_lilS4_lilS1_lPT3_lili,comdat
.Lfunc_end657:
	.size	_ZL20rocblas_gemvt_kernelILb1ELi256E16rocblas_bfloat16ffEviiT2_lPKT1_lilS4_lilS1_lPT3_lili, .Lfunc_end657-_ZL20rocblas_gemvt_kernelILb1ELi256E16rocblas_bfloat16ffEviiT2_lPKT1_lilS4_lilS1_lPT3_lili
                                        ; -- End function
	.set _ZL20rocblas_gemvt_kernelILb1ELi256E16rocblas_bfloat16ffEviiT2_lPKT1_lilS4_lilS1_lPT3_lili.num_vgpr, 18
	.set _ZL20rocblas_gemvt_kernelILb1ELi256E16rocblas_bfloat16ffEviiT2_lPKT1_lilS4_lilS1_lPT3_lili.num_agpr, 0
	.set _ZL20rocblas_gemvt_kernelILb1ELi256E16rocblas_bfloat16ffEviiT2_lPKT1_lilS4_lilS1_lPT3_lili.numbered_sgpr, 48
	.set _ZL20rocblas_gemvt_kernelILb1ELi256E16rocblas_bfloat16ffEviiT2_lPKT1_lilS4_lilS1_lPT3_lili.num_named_barrier, 0
	.set _ZL20rocblas_gemvt_kernelILb1ELi256E16rocblas_bfloat16ffEviiT2_lPKT1_lilS4_lilS1_lPT3_lili.private_seg_size, 0
	.set _ZL20rocblas_gemvt_kernelILb1ELi256E16rocblas_bfloat16ffEviiT2_lPKT1_lilS4_lilS1_lPT3_lili.uses_vcc, 1
	.set _ZL20rocblas_gemvt_kernelILb1ELi256E16rocblas_bfloat16ffEviiT2_lPKT1_lilS4_lilS1_lPT3_lili.uses_flat_scratch, 0
	.set _ZL20rocblas_gemvt_kernelILb1ELi256E16rocblas_bfloat16ffEviiT2_lPKT1_lilS4_lilS1_lPT3_lili.has_dyn_sized_stack, 0
	.set _ZL20rocblas_gemvt_kernelILb1ELi256E16rocblas_bfloat16ffEviiT2_lPKT1_lilS4_lilS1_lPT3_lili.has_recursion, 0
	.set _ZL20rocblas_gemvt_kernelILb1ELi256E16rocblas_bfloat16ffEviiT2_lPKT1_lilS4_lilS1_lPT3_lili.has_indirect_call, 0
	.section	.AMDGPU.csdata,"",@progbits
; Kernel info:
; codeLenInByte = 1876
; TotalNumSgprs: 50
; NumVgprs: 18
; ScratchSize: 0
; MemoryBound: 0
; FloatMode: 240
; IeeeMode: 1
; LDSByteSize: 1024 bytes/workgroup (compile time only)
; SGPRBlocks: 0
; VGPRBlocks: 2
; NumSGPRsForWavesPerEU: 50
; NumVGPRsForWavesPerEU: 18
; Occupancy: 16
; WaveLimiterHint : 0
; COMPUTE_PGM_RSRC2:SCRATCH_EN: 0
; COMPUTE_PGM_RSRC2:USER_SGPR: 2
; COMPUTE_PGM_RSRC2:TRAP_HANDLER: 0
; COMPUTE_PGM_RSRC2:TGID_X_EN: 1
; COMPUTE_PGM_RSRC2:TGID_Y_EN: 0
; COMPUTE_PGM_RSRC2:TGID_Z_EN: 1
; COMPUTE_PGM_RSRC2:TIDIG_COMP_CNT: 0
	.section	.text._ZL32rocblas_gemvt_warp_reduce_kernelILb1ELi1024Ei16rocblas_bfloat16PKffEviiT3_lPKT2_lT1_lS6_lS7_lS3_lPT4_lS7_li,"axG",@progbits,_ZL32rocblas_gemvt_warp_reduce_kernelILb1ELi1024Ei16rocblas_bfloat16PKffEviiT3_lPKT2_lT1_lS6_lS7_lS3_lPT4_lS7_li,comdat
	.globl	_ZL32rocblas_gemvt_warp_reduce_kernelILb1ELi1024Ei16rocblas_bfloat16PKffEviiT3_lPKT2_lT1_lS6_lS7_lS3_lPT4_lS7_li ; -- Begin function _ZL32rocblas_gemvt_warp_reduce_kernelILb1ELi1024Ei16rocblas_bfloat16PKffEviiT3_lPKT2_lT1_lS6_lS7_lS3_lPT4_lS7_li
	.p2align	8
	.type	_ZL32rocblas_gemvt_warp_reduce_kernelILb1ELi1024Ei16rocblas_bfloat16PKffEviiT3_lPKT2_lT1_lS6_lS7_lS3_lPT4_lS7_li,@function
_ZL32rocblas_gemvt_warp_reduce_kernelILb1ELi1024Ei16rocblas_bfloat16PKffEviiT3_lPKT2_lT1_lS6_lS7_lS3_lPT4_lS7_li: ; @_ZL32rocblas_gemvt_warp_reduce_kernelILb1ELi1024Ei16rocblas_bfloat16PKffEviiT3_lPKT2_lT1_lS6_lS7_lS3_lPT4_lS7_li
; %bb.0:
	s_load_b32 s33, s[0:1], 0x88
	s_lshr_b32 s28, ttmp7, 16
	s_wait_kmcnt 0x0
	s_cmp_ge_u32 s28, s33
	s_cbranch_scc1 .LBB658_42
; %bb.1:
	s_clause 0x7
	s_load_b96 s[4:6], s[0:1], 0x40
	s_load_b96 s[36:38], s[0:1], 0x70
	s_load_b256 s[8:15], s[0:1], 0x8
	s_load_b32 s7, s[0:1], 0x0
	s_load_b32 s39, s[0:1], 0x28
	s_load_b128 s[24:27], s[0:1], 0x30
	s_load_b256 s[16:23], s[0:1], 0x50
	s_load_b64 s[30:31], s[0:1], 0x80
	v_mov_b32_e32 v9, 0
	v_mbcnt_lo_u32_b32 v15, -1, 0
	v_cmp_eq_u32_e64 s0, 0, v0
	s_mov_b32 s29, 0
	v_lshl_or_b32 v16, v15, 2, 64
	s_wait_kmcnt 0x0
	s_lshl_b64 s[2:3], s[4:5], 1
	s_lshl_b64 s[4:5], s[36:37], 2
	;; [unrolled: 1-line block ×3, first 2 shown]
	v_cmp_gt_i32_e32 vcc_lo, s7, v0
	s_ashr_i32 s1, s7, 31
	s_add_nc_u64 s[14:15], s[26:27], s[2:3]
	s_lshr_b32 s1, s1, 22
	s_add_nc_u64 s[2:3], s[12:13], s[34:35]
	s_add_co_i32 s1, s7, s1
	v_cndmask_b32_e32 v1, 0, v0, vcc_lo
	s_and_b32 s26, s1, 0xfffffc00
	s_mul_i32 s36, s38, ttmp9
	v_or_b32_e32 v2, s26, v0
	s_mul_i32 s38, s39, ttmp9
	v_lshlrev_b32_e32 v1, 1, v1
	s_ashr_i32 s39, s38, 31
	v_mul_lo_u32 v14, v0, s6
	v_mul_lo_u32 v3, s6, v2
	s_lshl_b64 s[38:39], s[38:39], 1
	v_add_co_u32 v4, s1, s2, v1
	s_delay_alu instid0(VALU_DEP_1)
	v_add_co_ci_u32_e64 v5, null, s3, 0, s1
	s_add_nc_u64 s[34:35], s[34:35], s[38:39]
	v_add_co_u32 v10, vcc_lo, v4, s38
	v_ashrrev_i32_e32 v4, 31, v3
	s_wait_alu 0xfffd
	v_add_co_ci_u32_e64 v11, null, s39, v5, vcc_lo
	v_cmp_gt_i32_e64 s2, s7, v2
	v_and_b32_e32 v2, 31, v0
	v_lshrrev_b32_e32 v5, 3, v0
	s_lshl_b32 s40, s6, 10
	s_add_nc_u64 s[6:7], s[12:13], s[34:35]
	s_add_nc_u64 s[22:23], s[22:23], s[4:5]
	s_wait_alu 0xfffe
	v_add_co_u32 v1, s5, s6, v1
	v_lshlrev_b64_e32 v[3:4], 1, v[3:4]
	v_cmp_gt_i32_e64 s1, s26, v0
	v_cmp_gt_u32_e64 s3, 32, v0
	v_lshlrev_b32_e32 v12, 2, v2
	v_cmp_eq_u32_e64 s4, 0, v2
	v_and_b32_e32 v13, 0x7c, v5
	v_add_co_ci_u32_e64 v2, null, s7, 0, s5
	s_ashr_i32 s37, s36, 31
	s_ashr_i32 s27, s26, 31
	s_lshl_b64 s[6:7], s[24:25], 1
	s_lshl_b64 s[12:13], s[36:37], 2
	s_wait_alu 0xfffe
	s_lshl_b64 s[34:35], s[26:27], 1
	s_branch .LBB658_4
.LBB658_2:                              ;   in Loop: Header=BB658_4 Depth=1
	s_wait_alu 0xfffe
	s_or_b32 exec_lo, exec_lo, s5
.LBB658_3:                              ;   in Loop: Header=BB658_4 Depth=1
	s_add_co_i32 s28, s28, 0x10000
	s_wait_alu 0xfffe
	s_cmp_lt_u32 s28, s33
	s_cbranch_scc0 .LBB658_42
.LBB658_4:                              ; =>This Loop Header: Depth=1
                                        ;     Child Loop BB658_24 Depth 2
	s_mul_u64 s[36:37], s[10:11], s[28:29]
	s_mul_u64 s[38:39], s[20:21], s[28:29]
	s_lshl_b64 s[36:37], s[36:37], 2
	s_wait_alu 0xfffe
	s_lshl_b64 s[38:39], s[38:39], 2
	s_add_nc_u64 s[36:37], s[8:9], s[36:37]
	s_wait_alu 0xfffe
	s_add_nc_u64 s[38:39], s[18:19], s[38:39]
	s_clause 0x1
	global_load_b32 v17, v9, s[36:37]
	global_load_b32 v5, v9, s[38:39]
	s_wait_loadcnt 0x1
	v_cmp_eq_f32_e32 vcc_lo, 0, v17
	s_wait_loadcnt 0x0
	v_cmp_eq_f32_e64 s5, 1.0, v5
	v_readfirstlane_b32 s27, v5
	s_and_b32 s5, vcc_lo, s5
	s_wait_alu 0xfffe
	s_and_b32 vcc_lo, exec_lo, s5
	s_wait_alu 0xfffe
	s_cbranch_vccnz .LBB658_3
; %bb.5:                                ;   in Loop: Header=BB658_4 Depth=1
	v_cmp_neq_f32_e32 vcc_lo, 0, v17
	s_mul_u64 s[36:37], s[30:31], s[28:29]
	s_delay_alu instid0(SALU_CYCLE_1) | instskip(NEXT) | instid1(SALU_CYCLE_1)
	s_lshl_b64 s[36:37], s[36:37], 2
	s_add_nc_u64 s[36:37], s[22:23], s[36:37]
	s_cbranch_vccnz .LBB658_9
; %bb.6:                                ;   in Loop: Header=BB658_4 Depth=1
	s_mov_b32 s5, 0
	s_mov_b32 s41, 0
                                        ; implicit-def: $vgpr5
	s_and_saveexec_b32 s38, s0
	s_cbranch_execz .LBB658_10
; %bb.7:                                ;   in Loop: Header=BB658_4 Depth=1
	s_cmp_eq_f32 s27, 0
	s_cbranch_scc1 .LBB658_11
; %bb.8:                                ;   in Loop: Header=BB658_4 Depth=1
	s_add_nc_u64 s[42:43], s[36:37], s[12:13]
	global_load_b32 v5, v9, s[42:43]
	s_wait_loadcnt 0x0
	v_mul_f32_e32 v5, s27, v5
	s_branch .LBB658_12
.LBB658_9:                              ;   in Loop: Header=BB658_4 Depth=1
	s_mov_b32 s41, 0
                                        ; implicit-def: $vgpr5
	s_cbranch_execnz .LBB658_13
	s_branch .LBB658_34
.LBB658_10:                             ;   in Loop: Header=BB658_4 Depth=1
	s_wait_alu 0xfffe
	s_or_b32 exec_lo, exec_lo, s38
	s_delay_alu instid0(SALU_CYCLE_1)
	s_and_b32 vcc_lo, exec_lo, s5
	s_wait_alu 0xfffe
	s_cbranch_vccnz .LBB658_13
	s_branch .LBB658_34
.LBB658_11:                             ;   in Loop: Header=BB658_4 Depth=1
	v_mov_b32_e32 v5, 0
.LBB658_12:                             ;   in Loop: Header=BB658_4 Depth=1
	s_mov_b32 s41, exec_lo
	s_wait_alu 0xfffe
	s_or_b32 exec_lo, exec_lo, s38
	s_delay_alu instid0(SALU_CYCLE_1)
	s_and_b32 vcc_lo, exec_lo, s5
	s_wait_alu 0xfffe
	s_cbranch_vccz .LBB658_34
.LBB658_13:                             ;   in Loop: Header=BB658_4 Depth=1
	s_mul_u64 s[38:39], s[16:17], s[28:29]
	s_wait_dscnt 0x0
	v_mov_b32_e32 v18, 0
	s_wait_alu 0xfffe
	s_lshl_b64 s[38:39], s[38:39], 1
	s_wait_alu 0xfffe
	s_add_nc_u64 s[38:39], s[14:15], s[38:39]
	s_and_saveexec_b32 s42, s1
	s_cbranch_execnz .LBB658_22
; %bb.14:                               ;   in Loop: Header=BB658_4 Depth=1
	s_wait_alu 0xfffe
	s_or_b32 exec_lo, exec_lo, s42
	s_and_saveexec_b32 s5, s2
	s_cbranch_execnz .LBB658_37
.LBB658_15:                             ;   in Loop: Header=BB658_4 Depth=1
	s_wait_alu 0xfffe
	s_or_b32 exec_lo, exec_lo, s5
	s_and_saveexec_b32 s5, s3
.LBB658_16:                             ;   in Loop: Header=BB658_4 Depth=1
	ds_store_b32 v12, v9
.LBB658_17:                             ;   in Loop: Header=BB658_4 Depth=1
	s_wait_alu 0xfffe
	s_or_b32 exec_lo, exec_lo, s5
	ds_bpermute_b32 v6, v16, v18
	v_cmp_gt_u32_e32 vcc_lo, 24, v15
	s_wait_dscnt 0x0
	s_barrier_signal -1
	s_barrier_wait -1
	global_inv scope:SCOPE_SE
	s_wait_alu 0xfffd
	v_cndmask_b32_e64 v5, 0, 8, vcc_lo
	v_cmp_gt_u32_e32 vcc_lo, 28, v15
	s_delay_alu instid0(VALU_DEP_2)
	v_add_lshl_u32 v5, v5, v15, 2
	v_add_f32_e32 v7, v18, v6
	s_wait_alu 0xfffd
	v_cndmask_b32_e64 v6, 0, 4, vcc_lo
	v_cmp_gt_u32_e32 vcc_lo, 30, v15
	ds_bpermute_b32 v8, v5, v7
	v_add_lshl_u32 v6, v6, v15, 2
	s_wait_dscnt 0x0
	v_add_f32_e32 v8, v7, v8
	s_wait_alu 0xfffd
	v_cndmask_b32_e64 v7, 0, 2, vcc_lo
	v_cmp_ne_u32_e32 vcc_lo, 31, v15
	ds_bpermute_b32 v18, v6, v8
	v_add_lshl_u32 v7, v7, v15, 2
	s_wait_alu 0xfffd
	v_add_co_ci_u32_e64 v19, null, 0, v15, vcc_lo
	s_wait_dscnt 0x0
	v_add_f32_e32 v8, v8, v18
	ds_bpermute_b32 v18, v7, v8
	s_wait_dscnt 0x0
	v_add_f32_e32 v18, v8, v18
	v_lshlrev_b32_e32 v8, 2, v19
	ds_bpermute_b32 v19, v8, v18
	s_and_saveexec_b32 s5, s4
	s_cbranch_execz .LBB658_19
; %bb.18:                               ;   in Loop: Header=BB658_4 Depth=1
	s_wait_dscnt 0x0
	v_add_f32_e32 v18, v18, v19
	ds_store_b32 v13, v18
.LBB658_19:                             ;   in Loop: Header=BB658_4 Depth=1
	s_wait_alu 0xfffe
	s_or_b32 exec_lo, exec_lo, s5
	v_mov_b32_e32 v18, 0
	s_wait_loadcnt_dscnt 0x0
	s_barrier_signal -1
	s_barrier_wait -1
	global_inv scope:SCOPE_SE
	s_and_saveexec_b32 s5, s3
	s_cbranch_execnz .LBB658_28
; %bb.20:                               ;   in Loop: Header=BB658_4 Depth=1
	s_wait_alu 0xfffe
	s_or_b32 exec_lo, exec_lo, s5
	s_and_saveexec_b32 s5, s3
	s_cbranch_execnz .LBB658_29
.LBB658_21:                             ;   in Loop: Header=BB658_4 Depth=1
	s_wait_alu 0xfffe
	s_or_b32 exec_lo, exec_lo, s5
                                        ; implicit-def: $vgpr5
	s_and_saveexec_b32 s5, s0
	s_cbranch_execnz .LBB658_30
	s_branch .LBB658_33
.LBB658_22:                             ;   in Loop: Header=BB658_4 Depth=1
	v_mad_co_u64_u32 v[5:6], null, s6, s28, v[1:2]
	v_dual_mov_b32 v18, 0 :: v_dual_mov_b32 v19, v0
	s_mov_b32 s43, 0
	s_delay_alu instid0(VALU_DEP_2)
	v_mad_co_u64_u32 v[6:7], null, s7, s28, v[6:7]
	v_mov_b32_e32 v7, v14
	s_branch .LBB658_24
.LBB658_23:                             ;   in Loop: Header=BB658_24 Depth=2
	s_wait_alu 0xfffe
	s_or_b32 exec_lo, exec_lo, s5
	s_delay_alu instid0(VALU_DEP_1) | instskip(SKIP_2) | instid1(VALU_DEP_3)
	v_and_b32_e32 v8, 0xffff0000, v20
	v_add_nc_u32_e32 v19, 0x400, v19
	v_add_co_u32 v5, s5, 0x800, v5
	v_dual_add_f32 v18, v18, v8 :: v_dual_add_nc_u32 v7, s40, v7
	s_delay_alu instid0(VALU_DEP_3)
	v_cmp_le_i32_e32 vcc_lo, s26, v19
	s_wait_alu 0xf1ff
	v_add_co_ci_u32_e64 v6, null, 0, v6, s5
	s_or_b32 s43, vcc_lo, s43
	s_wait_alu 0xfffe
	s_and_not1_b32 exec_lo, exec_lo, s43
	s_cbranch_execz .LBB658_36
.LBB658_24:                             ;   Parent Loop BB658_4 Depth=1
                                        ; =>  This Inner Loop Header: Depth=2
	s_delay_alu instid0(VALU_DEP_1) | instskip(NEXT) | instid1(VALU_DEP_1)
	v_ashrrev_i32_e32 v8, 31, v7
	v_lshlrev_b64_e32 v[20:21], 1, v[7:8]
	s_wait_alu 0xfffe
	s_delay_alu instid0(VALU_DEP_1) | instskip(SKIP_1) | instid1(VALU_DEP_2)
	v_add_co_u32 v20, vcc_lo, s38, v20
	s_wait_alu 0xfffd
	v_add_co_ci_u32_e64 v21, null, s39, v21, vcc_lo
	global_load_u16 v8, v[5:6], off
	global_load_u16 v20, v[20:21], off
	s_wait_loadcnt 0x1
	v_lshlrev_b32_e32 v8, 16, v8
	s_wait_loadcnt 0x0
	v_lshlrev_b32_e32 v20, 16, v20
	s_delay_alu instid0(VALU_DEP_1) | instskip(NEXT) | instid1(VALU_DEP_1)
	v_mul_f32_e32 v8, v8, v20
	v_and_b32_e32 v20, 0x7f800000, v8
	s_delay_alu instid0(VALU_DEP_1)
	v_cmp_ne_u32_e32 vcc_lo, 0x7f800000, v20
                                        ; implicit-def: $vgpr20
	s_and_saveexec_b32 s5, vcc_lo
	s_wait_alu 0xfffe
	s_xor_b32 s5, exec_lo, s5
; %bb.25:                               ;   in Loop: Header=BB658_24 Depth=2
	v_bfe_u32 v20, v8, 16, 1
	s_delay_alu instid0(VALU_DEP_1)
	v_add3_u32 v20, v8, v20, 0x7fff
                                        ; implicit-def: $vgpr8
; %bb.26:                               ;   in Loop: Header=BB658_24 Depth=2
	s_wait_alu 0xfffe
	s_and_not1_saveexec_b32 s5, s5
	s_cbranch_execz .LBB658_23
; %bb.27:                               ;   in Loop: Header=BB658_24 Depth=2
	v_and_b32_e32 v20, 0xffff, v8
	v_or_b32_e32 v21, 0x10000, v8
	s_delay_alu instid0(VALU_DEP_2) | instskip(SKIP_1) | instid1(VALU_DEP_2)
	v_cmp_eq_u32_e32 vcc_lo, 0, v20
	s_wait_alu 0xfffd
	v_cndmask_b32_e32 v20, v21, v8, vcc_lo
	s_branch .LBB658_23
.LBB658_28:                             ;   in Loop: Header=BB658_4 Depth=1
	ds_load_b32 v18, v12
	s_wait_alu 0xfffe
	s_or_b32 exec_lo, exec_lo, s5
	s_and_saveexec_b32 s5, s3
	s_cbranch_execz .LBB658_21
.LBB658_29:                             ;   in Loop: Header=BB658_4 Depth=1
	s_wait_dscnt 0x0
	ds_bpermute_b32 v19, v16, v18
	s_wait_dscnt 0x0
	v_add_f32_e32 v18, v18, v19
	ds_bpermute_b32 v5, v5, v18
	s_wait_dscnt 0x0
	v_add_f32_e32 v5, v18, v5
	ds_bpermute_b32 v6, v6, v5
	s_wait_dscnt 0x0
	v_add_f32_e32 v5, v5, v6
	ds_bpermute_b32 v6, v7, v5
	s_wait_dscnt 0x0
	v_add_f32_e32 v5, v5, v6
	ds_bpermute_b32 v6, v8, v5
	s_wait_dscnt 0x0
	v_add_f32_e32 v18, v5, v6
	s_wait_alu 0xfffe
	s_or_b32 exec_lo, exec_lo, s5
                                        ; implicit-def: $vgpr5
	s_and_saveexec_b32 s5, s0
	s_cbranch_execz .LBB658_33
.LBB658_30:                             ;   in Loop: Header=BB658_4 Depth=1
	s_wait_dscnt 0x0
	v_mul_f32_e32 v5, v17, v18
	s_cmp_eq_f32 s27, 0
	s_cbranch_scc1 .LBB658_32
; %bb.31:                               ;   in Loop: Header=BB658_4 Depth=1
	s_add_nc_u64 s[38:39], s[36:37], s[12:13]
	global_load_b32 v6, v9, s[38:39]
	s_wait_loadcnt 0x0
	v_fmac_f32_e32 v5, s27, v6
.LBB658_32:                             ;   in Loop: Header=BB658_4 Depth=1
	s_or_b32 s41, s41, exec_lo
.LBB658_33:                             ;   in Loop: Header=BB658_4 Depth=1
	s_wait_alu 0xfffe
	s_or_b32 exec_lo, exec_lo, s5
.LBB658_34:                             ;   in Loop: Header=BB658_4 Depth=1
	s_wait_alu 0xfffe
	s_and_saveexec_b32 s5, s41
	s_cbranch_execz .LBB658_2
; %bb.35:                               ;   in Loop: Header=BB658_4 Depth=1
	s_add_nc_u64 s[36:37], s[36:37], s[12:13]
	global_store_b32 v9, v5, s[36:37]
	s_branch .LBB658_2
.LBB658_36:                             ;   in Loop: Header=BB658_4 Depth=1
	s_or_b32 exec_lo, exec_lo, s43
	s_delay_alu instid0(SALU_CYCLE_1)
	s_or_b32 exec_lo, exec_lo, s42
	s_and_saveexec_b32 s5, s2
	s_cbranch_execz .LBB658_15
.LBB658_37:                             ;   in Loop: Header=BB658_4 Depth=1
	s_mul_u64 s[42:43], s[24:25], s[28:29]
	s_wait_alu 0xfffe
	s_lshl_b64 s[42:43], s[42:43], 1
	s_wait_alu 0xfffe
	v_add_co_u32 v5, vcc_lo, v10, s42
	s_wait_alu 0xfffd
	v_add_co_ci_u32_e64 v6, null, s43, v11, vcc_lo
	s_delay_alu instid0(VALU_DEP_2) | instskip(SKIP_1) | instid1(VALU_DEP_2)
	v_add_co_u32 v5, vcc_lo, v5, s34
	s_wait_alu 0xfffd
	v_add_co_ci_u32_e64 v6, null, s35, v6, vcc_lo
	v_add_co_u32 v7, vcc_lo, s38, v3
	s_wait_alu 0xfffd
	v_add_co_ci_u32_e64 v8, null, s39, v4, vcc_lo
	global_load_u16 v5, v[5:6], off
	global_load_u16 v6, v[7:8], off
	s_wait_loadcnt 0x1
	v_lshlrev_b32_e32 v5, 16, v5
	s_wait_loadcnt 0x0
	v_lshlrev_b32_e32 v6, 16, v6
	s_delay_alu instid0(VALU_DEP_1) | instskip(NEXT) | instid1(VALU_DEP_1)
	v_mul_f32_e32 v5, v5, v6
	v_and_b32_e32 v6, 0x7f800000, v5
	s_delay_alu instid0(VALU_DEP_1)
	v_cmp_ne_u32_e32 vcc_lo, 0x7f800000, v6
                                        ; implicit-def: $vgpr6
	s_and_saveexec_b32 s38, vcc_lo
	s_wait_alu 0xfffe
	s_xor_b32 s38, exec_lo, s38
; %bb.38:                               ;   in Loop: Header=BB658_4 Depth=1
	v_bfe_u32 v6, v5, 16, 1
	s_delay_alu instid0(VALU_DEP_1)
	v_add3_u32 v6, v5, v6, 0x7fff
                                        ; implicit-def: $vgpr5
; %bb.39:                               ;   in Loop: Header=BB658_4 Depth=1
	s_wait_alu 0xfffe
	s_and_not1_saveexec_b32 s38, s38
; %bb.40:                               ;   in Loop: Header=BB658_4 Depth=1
	v_and_b32_e32 v6, 0xffff, v5
	v_or_b32_e32 v7, 0x10000, v5
	s_delay_alu instid0(VALU_DEP_2) | instskip(SKIP_1) | instid1(VALU_DEP_2)
	v_cmp_eq_u32_e32 vcc_lo, 0, v6
	s_wait_alu 0xfffd
	v_cndmask_b32_e32 v6, v7, v5, vcc_lo
; %bb.41:                               ;   in Loop: Header=BB658_4 Depth=1
	s_wait_alu 0xfffe
	s_or_b32 exec_lo, exec_lo, s38
	s_delay_alu instid0(VALU_DEP_1) | instskip(NEXT) | instid1(VALU_DEP_1)
	v_and_b32_e32 v5, 0xffff0000, v6
	v_add_f32_e32 v18, v18, v5
	s_or_b32 exec_lo, exec_lo, s5
	s_and_saveexec_b32 s5, s3
	s_cbranch_execnz .LBB658_16
	s_branch .LBB658_17
.LBB658_42:
	s_endpgm
	.section	.rodata,"a",@progbits
	.p2align	6, 0x0
	.amdhsa_kernel _ZL32rocblas_gemvt_warp_reduce_kernelILb1ELi1024Ei16rocblas_bfloat16PKffEviiT3_lPKT2_lT1_lS6_lS7_lS3_lPT4_lS7_li
		.amdhsa_group_segment_fixed_size 128
		.amdhsa_private_segment_fixed_size 0
		.amdhsa_kernarg_size 140
		.amdhsa_user_sgpr_count 2
		.amdhsa_user_sgpr_dispatch_ptr 0
		.amdhsa_user_sgpr_queue_ptr 0
		.amdhsa_user_sgpr_kernarg_segment_ptr 1
		.amdhsa_user_sgpr_dispatch_id 0
		.amdhsa_user_sgpr_private_segment_size 0
		.amdhsa_wavefront_size32 1
		.amdhsa_uses_dynamic_stack 0
		.amdhsa_enable_private_segment 0
		.amdhsa_system_sgpr_workgroup_id_x 1
		.amdhsa_system_sgpr_workgroup_id_y 0
		.amdhsa_system_sgpr_workgroup_id_z 1
		.amdhsa_system_sgpr_workgroup_info 0
		.amdhsa_system_vgpr_workitem_id 0
		.amdhsa_next_free_vgpr 22
		.amdhsa_next_free_sgpr 44
		.amdhsa_reserve_vcc 1
		.amdhsa_float_round_mode_32 0
		.amdhsa_float_round_mode_16_64 0
		.amdhsa_float_denorm_mode_32 3
		.amdhsa_float_denorm_mode_16_64 3
		.amdhsa_fp16_overflow 0
		.amdhsa_workgroup_processor_mode 1
		.amdhsa_memory_ordered 1
		.amdhsa_forward_progress 1
		.amdhsa_inst_pref_size 15
		.amdhsa_round_robin_scheduling 0
		.amdhsa_exception_fp_ieee_invalid_op 0
		.amdhsa_exception_fp_denorm_src 0
		.amdhsa_exception_fp_ieee_div_zero 0
		.amdhsa_exception_fp_ieee_overflow 0
		.amdhsa_exception_fp_ieee_underflow 0
		.amdhsa_exception_fp_ieee_inexact 0
		.amdhsa_exception_int_div_zero 0
	.end_amdhsa_kernel
	.section	.text._ZL32rocblas_gemvt_warp_reduce_kernelILb1ELi1024Ei16rocblas_bfloat16PKffEviiT3_lPKT2_lT1_lS6_lS7_lS3_lPT4_lS7_li,"axG",@progbits,_ZL32rocblas_gemvt_warp_reduce_kernelILb1ELi1024Ei16rocblas_bfloat16PKffEviiT3_lPKT2_lT1_lS6_lS7_lS3_lPT4_lS7_li,comdat
.Lfunc_end658:
	.size	_ZL32rocblas_gemvt_warp_reduce_kernelILb1ELi1024Ei16rocblas_bfloat16PKffEviiT3_lPKT2_lT1_lS6_lS7_lS3_lPT4_lS7_li, .Lfunc_end658-_ZL32rocblas_gemvt_warp_reduce_kernelILb1ELi1024Ei16rocblas_bfloat16PKffEviiT3_lPKT2_lT1_lS6_lS7_lS3_lPT4_lS7_li
                                        ; -- End function
	.set _ZL32rocblas_gemvt_warp_reduce_kernelILb1ELi1024Ei16rocblas_bfloat16PKffEviiT3_lPKT2_lT1_lS6_lS7_lS3_lPT4_lS7_li.num_vgpr, 22
	.set _ZL32rocblas_gemvt_warp_reduce_kernelILb1ELi1024Ei16rocblas_bfloat16PKffEviiT3_lPKT2_lT1_lS6_lS7_lS3_lPT4_lS7_li.num_agpr, 0
	.set _ZL32rocblas_gemvt_warp_reduce_kernelILb1ELi1024Ei16rocblas_bfloat16PKffEviiT3_lPKT2_lT1_lS6_lS7_lS3_lPT4_lS7_li.numbered_sgpr, 44
	.set _ZL32rocblas_gemvt_warp_reduce_kernelILb1ELi1024Ei16rocblas_bfloat16PKffEviiT3_lPKT2_lT1_lS6_lS7_lS3_lPT4_lS7_li.num_named_barrier, 0
	.set _ZL32rocblas_gemvt_warp_reduce_kernelILb1ELi1024Ei16rocblas_bfloat16PKffEviiT3_lPKT2_lT1_lS6_lS7_lS3_lPT4_lS7_li.private_seg_size, 0
	.set _ZL32rocblas_gemvt_warp_reduce_kernelILb1ELi1024Ei16rocblas_bfloat16PKffEviiT3_lPKT2_lT1_lS6_lS7_lS3_lPT4_lS7_li.uses_vcc, 1
	.set _ZL32rocblas_gemvt_warp_reduce_kernelILb1ELi1024Ei16rocblas_bfloat16PKffEviiT3_lPKT2_lT1_lS6_lS7_lS3_lPT4_lS7_li.uses_flat_scratch, 0
	.set _ZL32rocblas_gemvt_warp_reduce_kernelILb1ELi1024Ei16rocblas_bfloat16PKffEviiT3_lPKT2_lT1_lS6_lS7_lS3_lPT4_lS7_li.has_dyn_sized_stack, 0
	.set _ZL32rocblas_gemvt_warp_reduce_kernelILb1ELi1024Ei16rocblas_bfloat16PKffEviiT3_lPKT2_lT1_lS6_lS7_lS3_lPT4_lS7_li.has_recursion, 0
	.set _ZL32rocblas_gemvt_warp_reduce_kernelILb1ELi1024Ei16rocblas_bfloat16PKffEviiT3_lPKT2_lT1_lS6_lS7_lS3_lPT4_lS7_li.has_indirect_call, 0
	.section	.AMDGPU.csdata,"",@progbits
; Kernel info:
; codeLenInByte = 1844
; TotalNumSgprs: 46
; NumVgprs: 22
; ScratchSize: 0
; MemoryBound: 0
; FloatMode: 240
; IeeeMode: 1
; LDSByteSize: 128 bytes/workgroup (compile time only)
; SGPRBlocks: 0
; VGPRBlocks: 2
; NumSGPRsForWavesPerEU: 46
; NumVGPRsForWavesPerEU: 22
; Occupancy: 16
; WaveLimiterHint : 0
; COMPUTE_PGM_RSRC2:SCRATCH_EN: 0
; COMPUTE_PGM_RSRC2:USER_SGPR: 2
; COMPUTE_PGM_RSRC2:TRAP_HANDLER: 0
; COMPUTE_PGM_RSRC2:TGID_X_EN: 1
; COMPUTE_PGM_RSRC2:TGID_Y_EN: 0
; COMPUTE_PGM_RSRC2:TGID_Z_EN: 1
; COMPUTE_PGM_RSRC2:TIDIG_COMP_CNT: 0
	.section	.text._ZL32rocblas_gemvt_warp_reduce_kernelILb1ELi1024El16rocblas_bfloat16PKffEviiT3_lPKT2_lT1_lS6_lS7_lS3_lPT4_lS7_li,"axG",@progbits,_ZL32rocblas_gemvt_warp_reduce_kernelILb1ELi1024El16rocblas_bfloat16PKffEviiT3_lPKT2_lT1_lS6_lS7_lS3_lPT4_lS7_li,comdat
	.globl	_ZL32rocblas_gemvt_warp_reduce_kernelILb1ELi1024El16rocblas_bfloat16PKffEviiT3_lPKT2_lT1_lS6_lS7_lS3_lPT4_lS7_li ; -- Begin function _ZL32rocblas_gemvt_warp_reduce_kernelILb1ELi1024El16rocblas_bfloat16PKffEviiT3_lPKT2_lT1_lS6_lS7_lS3_lPT4_lS7_li
	.p2align	8
	.type	_ZL32rocblas_gemvt_warp_reduce_kernelILb1ELi1024El16rocblas_bfloat16PKffEviiT3_lPKT2_lT1_lS6_lS7_lS3_lPT4_lS7_li,@function
_ZL32rocblas_gemvt_warp_reduce_kernelILb1ELi1024El16rocblas_bfloat16PKffEviiT3_lPKT2_lT1_lS6_lS7_lS3_lPT4_lS7_li: ; @_ZL32rocblas_gemvt_warp_reduce_kernelILb1ELi1024El16rocblas_bfloat16PKffEviiT3_lPKT2_lT1_lS6_lS7_lS3_lPT4_lS7_li
; %bb.0:
	s_load_b32 s33, s[0:1], 0x88
	s_lshr_b32 s6, ttmp7, 16
	s_wait_kmcnt 0x0
	s_cmp_ge_u32 s6, s33
	s_cbranch_scc1 .LBB659_42
; %bb.1:
	s_clause 0x2
	s_load_b512 s[8:23], s[0:1], 0x8
	s_load_b512 s[36:51], s[0:1], 0x48
	s_load_b32 s28, s[0:1], 0x0
	s_mov_b32 s2, ttmp9
	s_ashr_i32 s3, ttmp9, 31
	v_mbcnt_lo_u32_b32 v16, -1, 0
	v_cmp_eq_u32_e64 s0, 0, v0
	s_mov_b32 s7, 0
	v_lshl_or_b32 v17, v16, 2, 64
	s_wait_kmcnt 0x0
	s_lshl_b64 s[4:5], s[22:23], 1
	s_lshl_b64 s[24:25], s[14:15], 1
	v_cmp_gt_i32_e32 vcc_lo, s28, v0
	s_ashr_i32 s1, s28, 31
	v_mad_co_u64_u32 v[1:2], null, s36, v0, 0
	s_lshr_b32 s1, s1, 22
	v_cndmask_b32_e32 v3, 0, v0, vcc_lo
	s_add_nc_u64 s[14:15], s[20:21], s[4:5]
	s_add_nc_u64 s[4:5], s[12:13], s[24:25]
	s_add_co_i32 s1, s28, s1
	s_lshl_b64 s[22:23], s[46:47], 2
	v_lshlrev_b32_e32 v7, 1, v3
	s_and_b32 s20, s1, 0xfffffc00
	s_mul_u64 s[26:27], s[48:49], s[2:3]
	s_mul_u64 s[2:3], s[16:17], s[2:3]
	v_or_b32_e32 v4, s20, v0
	v_add_co_u32 v3, s1, s4, v7
	s_delay_alu instid0(VALU_DEP_1)
	v_add_co_ci_u32_e64 v5, null, s5, 0, s1
	s_add_nc_u64 s[16:17], s[44:45], s[22:23]
	s_lshl_b64 s[22:23], s[2:3], 1
	v_mul_lo_u32 v8, s37, v4
	v_add_co_u32 v12, vcc_lo, v3, s22
	v_mad_co_u64_u32 v[2:3], null, s37, v0, v[2:3]
	s_wait_alu 0xfffd
	v_add_co_ci_u32_e64 v13, null, s23, v5, vcc_lo
	v_mad_co_u64_u32 v[5:6], null, s36, v4, 0
	v_and_b32_e32 v3, 31, v0
	v_cmp_gt_i32_e64 s2, s28, v4
	v_lshrrev_b32_e32 v4, 3, v0
	s_ashr_i32 s21, s20, 31
	v_dual_mov_b32 v11, 0 :: v_dual_lshlrev_b32 v14, 2, v3
	s_wait_alu 0xfffe
	s_mul_i32 s3, s36, s21
	v_cmp_eq_u32_e64 s4, 0, v3
	v_and_b32_e32 v15, 0x7c, v4
	v_lshlrev_b64_e32 v[3:4], 1, v[1:2]
	v_add3_u32 v6, v6, s3, v8
	s_add_nc_u64 s[22:23], s[22:23], s[24:25]
	v_cmp_gt_i32_e64 s1, s20, v0
	s_wait_alu 0xfffe
	s_add_nc_u64 s[12:13], s[12:13], s[22:23]
	v_cmp_gt_u32_e64 s3, 32, v0
	v_add_co_u32 v1, s5, s12, v7
	v_add_co_u32 v3, vcc_lo, s14, v3
	v_lshlrev_b64_e32 v[5:6], 1, v[5:6]
	s_wait_alu 0xf1ff
	v_add_co_ci_u32_e64 v2, null, s13, 0, s5
	s_wait_alu 0xfffd
	v_add_co_ci_u32_e64 v4, null, s15, v4, vcc_lo
	s_lshl_b64 s[12:13], s[18:19], 1
	s_lshl_b64 s[22:23], s[38:39], 1
	;; [unrolled: 1-line block ×5, first 2 shown]
	s_branch .LBB659_4
.LBB659_2:                              ;   in Loop: Header=BB659_4 Depth=1
	s_wait_alu 0xfffe
	s_or_b32 exec_lo, exec_lo, s5
.LBB659_3:                              ;   in Loop: Header=BB659_4 Depth=1
	s_add_co_i32 s6, s6, 0x10000
	s_wait_alu 0xfffe
	s_cmp_lt_u32 s6, s33
	s_cbranch_scc0 .LBB659_42
.LBB659_4:                              ; =>This Loop Header: Depth=1
                                        ;     Child Loop BB659_24 Depth 2
	s_mul_u64 s[30:31], s[10:11], s[6:7]
	s_mul_u64 s[34:35], s[42:43], s[6:7]
	s_lshl_b64 s[30:31], s[30:31], 2
	s_lshl_b64 s[34:35], s[34:35], 2
	s_add_nc_u64 s[30:31], s[8:9], s[30:31]
	s_add_nc_u64 s[34:35], s[40:41], s[34:35]
	s_clause 0x1
	global_load_b32 v18, v11, s[30:31]
	global_load_b32 v7, v11, s[34:35]
	s_wait_loadcnt 0x1
	v_cmp_eq_f32_e32 vcc_lo, 0, v18
	s_wait_loadcnt 0x0
	v_cmp_eq_f32_e64 s5, 1.0, v7
	v_readfirstlane_b32 s21, v7
	s_and_b32 s5, vcc_lo, s5
	s_wait_alu 0xfffe
	s_and_b32 vcc_lo, exec_lo, s5
	s_wait_alu 0xfffe
	s_cbranch_vccnz .LBB659_3
; %bb.5:                                ;   in Loop: Header=BB659_4 Depth=1
	v_cmp_neq_f32_e32 vcc_lo, 0, v18
	s_mul_u64 s[30:31], s[50:51], s[6:7]
	s_delay_alu instid0(SALU_CYCLE_1) | instskip(NEXT) | instid1(SALU_CYCLE_1)
	s_lshl_b64 s[30:31], s[30:31], 2
	s_add_nc_u64 s[30:31], s[16:17], s[30:31]
	s_cbranch_vccnz .LBB659_9
; %bb.6:                                ;   in Loop: Header=BB659_4 Depth=1
	s_mov_b32 s5, 0
	s_mov_b32 s34, 0
                                        ; implicit-def: $vgpr7
	s_and_saveexec_b32 s35, s0
	s_cbranch_execz .LBB659_10
; %bb.7:                                ;   in Loop: Header=BB659_4 Depth=1
	s_cmp_eq_f32 s21, 0
	s_cbranch_scc1 .LBB659_11
; %bb.8:                                ;   in Loop: Header=BB659_4 Depth=1
	s_add_nc_u64 s[36:37], s[30:31], s[26:27]
	global_load_b32 v7, v11, s[36:37]
	s_wait_loadcnt 0x0
	v_mul_f32_e32 v7, s21, v7
	s_branch .LBB659_12
.LBB659_9:                              ;   in Loop: Header=BB659_4 Depth=1
	s_mov_b32 s34, 0
                                        ; implicit-def: $vgpr7
	s_cbranch_execnz .LBB659_13
	s_branch .LBB659_34
.LBB659_10:                             ;   in Loop: Header=BB659_4 Depth=1
	s_or_b32 exec_lo, exec_lo, s35
	s_wait_alu 0xfffe
	s_and_b32 vcc_lo, exec_lo, s5
	s_wait_alu 0xfffe
	s_cbranch_vccnz .LBB659_13
	s_branch .LBB659_34
.LBB659_11:                             ;   in Loop: Header=BB659_4 Depth=1
	v_mov_b32_e32 v7, 0
.LBB659_12:                             ;   in Loop: Header=BB659_4 Depth=1
	s_mov_b32 s34, exec_lo
	s_or_b32 exec_lo, exec_lo, s35
	s_wait_alu 0xfffe
	s_and_b32 vcc_lo, exec_lo, s5
	s_wait_alu 0xfffe
	s_cbranch_vccz .LBB659_34
.LBB659_13:                             ;   in Loop: Header=BB659_4 Depth=1
	s_wait_dscnt 0x0
	v_mov_b32_e32 v19, 0
	s_and_saveexec_b32 s35, s1
	s_cbranch_execnz .LBB659_22
; %bb.14:                               ;   in Loop: Header=BB659_4 Depth=1
	s_or_b32 exec_lo, exec_lo, s35
	s_and_saveexec_b32 s5, s2
	s_cbranch_execnz .LBB659_37
.LBB659_15:                             ;   in Loop: Header=BB659_4 Depth=1
	s_wait_alu 0xfffe
	s_or_b32 exec_lo, exec_lo, s5
	s_and_saveexec_b32 s5, s3
.LBB659_16:                             ;   in Loop: Header=BB659_4 Depth=1
	ds_store_b32 v14, v11
.LBB659_17:                             ;   in Loop: Header=BB659_4 Depth=1
	s_wait_alu 0xfffe
	s_or_b32 exec_lo, exec_lo, s5
	ds_bpermute_b32 v8, v17, v19
	v_cmp_gt_u32_e32 vcc_lo, 24, v16
	s_wait_dscnt 0x0
	s_barrier_signal -1
	s_barrier_wait -1
	global_inv scope:SCOPE_SE
	s_wait_alu 0xfffd
	v_cndmask_b32_e64 v7, 0, 8, vcc_lo
	v_cmp_gt_u32_e32 vcc_lo, 28, v16
	s_delay_alu instid0(VALU_DEP_2)
	v_add_lshl_u32 v7, v7, v16, 2
	v_add_f32_e32 v9, v19, v8
	s_wait_alu 0xfffd
	v_cndmask_b32_e64 v8, 0, 4, vcc_lo
	v_cmp_gt_u32_e32 vcc_lo, 30, v16
	ds_bpermute_b32 v10, v7, v9
	v_add_lshl_u32 v8, v8, v16, 2
	s_wait_dscnt 0x0
	v_add_f32_e32 v10, v9, v10
	s_wait_alu 0xfffd
	v_cndmask_b32_e64 v9, 0, 2, vcc_lo
	v_cmp_ne_u32_e32 vcc_lo, 31, v16
	ds_bpermute_b32 v19, v8, v10
	v_add_lshl_u32 v9, v9, v16, 2
	s_wait_alu 0xfffd
	v_add_co_ci_u32_e64 v20, null, 0, v16, vcc_lo
	s_wait_dscnt 0x0
	v_add_f32_e32 v10, v10, v19
	ds_bpermute_b32 v19, v9, v10
	s_wait_dscnt 0x0
	v_dual_add_f32 v19, v10, v19 :: v_dual_lshlrev_b32 v10, 2, v20
	ds_bpermute_b32 v20, v10, v19
	s_and_saveexec_b32 s5, s4
	s_cbranch_execz .LBB659_19
; %bb.18:                               ;   in Loop: Header=BB659_4 Depth=1
	s_wait_dscnt 0x0
	v_add_f32_e32 v19, v19, v20
	ds_store_b32 v15, v19
.LBB659_19:                             ;   in Loop: Header=BB659_4 Depth=1
	s_wait_alu 0xfffe
	s_or_b32 exec_lo, exec_lo, s5
	v_mov_b32_e32 v19, 0
	s_wait_loadcnt_dscnt 0x0
	s_barrier_signal -1
	s_barrier_wait -1
	global_inv scope:SCOPE_SE
	s_and_saveexec_b32 s5, s3
	s_cbranch_execnz .LBB659_28
; %bb.20:                               ;   in Loop: Header=BB659_4 Depth=1
	s_wait_alu 0xfffe
	s_or_b32 exec_lo, exec_lo, s5
	s_and_saveexec_b32 s5, s3
	s_cbranch_execnz .LBB659_29
.LBB659_21:                             ;   in Loop: Header=BB659_4 Depth=1
	s_wait_alu 0xfffe
	s_or_b32 exec_lo, exec_lo, s5
                                        ; implicit-def: $vgpr7
	s_and_saveexec_b32 s5, s0
	s_cbranch_execnz .LBB659_30
	s_branch .LBB659_33
.LBB659_22:                             ;   in Loop: Header=BB659_4 Depth=1
	v_mad_co_u64_u32 v[7:8], null, s12, s6, v[1:2]
	v_mad_co_u64_u32 v[9:10], null, s22, s6, v[3:4]
	s_mov_b32 s36, 0
	v_mad_co_u64_u32 v[20:21], null, s13, s6, v[8:9]
	v_mad_co_u64_u32 v[21:22], null, s23, s6, v[10:11]
	s_delay_alu instid0(VALU_DEP_2) | instskip(SKIP_1) | instid1(VALU_DEP_3)
	v_dual_mov_b32 v19, 0 :: v_dual_mov_b32 v8, v20
	v_mov_b32_e32 v20, v0
	v_mov_b32_e32 v10, v21
	s_branch .LBB659_24
.LBB659_23:                             ;   in Loop: Header=BB659_24 Depth=2
	s_wait_alu 0xfffe
	s_or_b32 exec_lo, exec_lo, s5
	s_delay_alu instid0(VALU_DEP_1)
	v_and_b32_e32 v21, 0xffff0000, v22
	v_add_nc_u32_e32 v20, 0x400, v20
	v_add_co_u32 v7, vcc_lo, 0x800, v7
	s_wait_alu 0xfffd
	v_add_co_ci_u32_e64 v8, null, 0, v8, vcc_lo
	v_add_f32_e32 v19, v19, v21
	v_cmp_le_i32_e32 vcc_lo, s20, v20
	v_add_co_u32 v9, s5, v9, s24
	s_wait_alu 0xf1ff
	v_add_co_ci_u32_e64 v10, null, s25, v10, s5
	s_or_b32 s36, vcc_lo, s36
	s_wait_alu 0xfffe
	s_and_not1_b32 exec_lo, exec_lo, s36
	s_cbranch_execz .LBB659_36
.LBB659_24:                             ;   Parent Loop BB659_4 Depth=1
                                        ; =>  This Inner Loop Header: Depth=2
	global_load_u16 v21, v[9:10], off
	global_load_u16 v22, v[7:8], off
	s_wait_loadcnt 0x1
	v_lshlrev_b32_e32 v21, 16, v21
	s_wait_loadcnt 0x0
	v_lshlrev_b32_e32 v22, 16, v22
	s_delay_alu instid0(VALU_DEP_1) | instskip(NEXT) | instid1(VALU_DEP_1)
	v_mul_f32_e32 v21, v22, v21
	v_and_b32_e32 v22, 0x7f800000, v21
	s_delay_alu instid0(VALU_DEP_1)
	v_cmp_ne_u32_e32 vcc_lo, 0x7f800000, v22
                                        ; implicit-def: $vgpr22
	s_and_saveexec_b32 s5, vcc_lo
	s_wait_alu 0xfffe
	s_xor_b32 s5, exec_lo, s5
; %bb.25:                               ;   in Loop: Header=BB659_24 Depth=2
	v_bfe_u32 v22, v21, 16, 1
	s_delay_alu instid0(VALU_DEP_1)
	v_add3_u32 v22, v21, v22, 0x7fff
                                        ; implicit-def: $vgpr21
; %bb.26:                               ;   in Loop: Header=BB659_24 Depth=2
	s_wait_alu 0xfffe
	s_and_not1_saveexec_b32 s5, s5
	s_cbranch_execz .LBB659_23
; %bb.27:                               ;   in Loop: Header=BB659_24 Depth=2
	v_and_b32_e32 v22, 0xffff, v21
	v_or_b32_e32 v23, 0x10000, v21
	s_delay_alu instid0(VALU_DEP_2) | instskip(SKIP_1) | instid1(VALU_DEP_2)
	v_cmp_eq_u32_e32 vcc_lo, 0, v22
	s_wait_alu 0xfffd
	v_cndmask_b32_e32 v22, v23, v21, vcc_lo
	s_branch .LBB659_23
.LBB659_28:                             ;   in Loop: Header=BB659_4 Depth=1
	ds_load_b32 v19, v14
	s_wait_alu 0xfffe
	s_or_b32 exec_lo, exec_lo, s5
	s_and_saveexec_b32 s5, s3
	s_cbranch_execz .LBB659_21
.LBB659_29:                             ;   in Loop: Header=BB659_4 Depth=1
	s_wait_dscnt 0x0
	ds_bpermute_b32 v20, v17, v19
	s_wait_dscnt 0x0
	v_add_f32_e32 v19, v19, v20
	ds_bpermute_b32 v7, v7, v19
	s_wait_dscnt 0x0
	v_add_f32_e32 v7, v19, v7
	;; [unrolled: 3-line block ×5, first 2 shown]
	s_wait_alu 0xfffe
	s_or_b32 exec_lo, exec_lo, s5
                                        ; implicit-def: $vgpr7
	s_and_saveexec_b32 s5, s0
	s_cbranch_execz .LBB659_33
.LBB659_30:                             ;   in Loop: Header=BB659_4 Depth=1
	s_wait_dscnt 0x0
	v_mul_f32_e32 v7, v18, v19
	s_cmp_eq_f32 s21, 0
	s_cbranch_scc1 .LBB659_32
; %bb.31:                               ;   in Loop: Header=BB659_4 Depth=1
	s_add_nc_u64 s[36:37], s[30:31], s[26:27]
	global_load_b32 v8, v11, s[36:37]
	s_wait_loadcnt 0x0
	v_fmac_f32_e32 v7, s21, v8
.LBB659_32:                             ;   in Loop: Header=BB659_4 Depth=1
	s_or_b32 s34, s34, exec_lo
.LBB659_33:                             ;   in Loop: Header=BB659_4 Depth=1
	s_wait_alu 0xfffe
	s_or_b32 exec_lo, exec_lo, s5
.LBB659_34:                             ;   in Loop: Header=BB659_4 Depth=1
	s_and_saveexec_b32 s5, s34
	s_cbranch_execz .LBB659_2
; %bb.35:                               ;   in Loop: Header=BB659_4 Depth=1
	s_add_nc_u64 s[30:31], s[30:31], s[26:27]
	global_store_b32 v11, v7, s[30:31]
	s_branch .LBB659_2
.LBB659_36:                             ;   in Loop: Header=BB659_4 Depth=1
	s_or_b32 exec_lo, exec_lo, s36
	s_delay_alu instid0(SALU_CYCLE_1)
	s_or_b32 exec_lo, exec_lo, s35
	s_and_saveexec_b32 s5, s2
	s_cbranch_execz .LBB659_15
.LBB659_37:                             ;   in Loop: Header=BB659_4 Depth=1
	s_mul_u64 s[36:37], s[18:19], s[6:7]
	s_mul_u64 s[44:45], s[38:39], s[6:7]
	s_wait_alu 0xfffe
	s_lshl_b64 s[36:37], s[36:37], 1
	s_lshl_b64 s[44:45], s[44:45], 1
	s_wait_alu 0xfffe
	v_add_co_u32 v9, vcc_lo, v12, s36
	s_wait_alu 0xfffd
	v_add_co_ci_u32_e64 v10, null, s37, v13, vcc_lo
	s_add_nc_u64 s[36:37], s[14:15], s[44:45]
	s_wait_alu 0xfffe
	v_add_co_u32 v7, vcc_lo, s36, v5
	s_wait_alu 0xfffd
	v_add_co_ci_u32_e64 v8, null, s37, v6, vcc_lo
	v_add_co_u32 v9, vcc_lo, v9, s28
	s_wait_alu 0xfffd
	v_add_co_ci_u32_e64 v10, null, s29, v10, vcc_lo
	global_load_u16 v7, v[7:8], off
	global_load_u16 v8, v[9:10], off
	s_wait_loadcnt 0x1
	v_lshlrev_b32_e32 v7, 16, v7
	s_wait_loadcnt 0x0
	v_lshlrev_b32_e32 v8, 16, v8
	s_delay_alu instid0(VALU_DEP_1) | instskip(NEXT) | instid1(VALU_DEP_1)
	v_mul_f32_e32 v7, v8, v7
	v_and_b32_e32 v8, 0x7f800000, v7
	s_delay_alu instid0(VALU_DEP_1) | instskip(SKIP_1) | instid1(SALU_CYCLE_1)
	v_cmp_ne_u32_e32 vcc_lo, 0x7f800000, v8
                                        ; implicit-def: $vgpr8
	s_and_saveexec_b32 s35, vcc_lo
	s_xor_b32 s35, exec_lo, s35
; %bb.38:                               ;   in Loop: Header=BB659_4 Depth=1
	v_bfe_u32 v8, v7, 16, 1
	s_delay_alu instid0(VALU_DEP_1)
	v_add3_u32 v8, v7, v8, 0x7fff
                                        ; implicit-def: $vgpr7
; %bb.39:                               ;   in Loop: Header=BB659_4 Depth=1
	s_and_not1_saveexec_b32 s35, s35
; %bb.40:                               ;   in Loop: Header=BB659_4 Depth=1
	v_and_b32_e32 v8, 0xffff, v7
	v_or_b32_e32 v9, 0x10000, v7
	s_delay_alu instid0(VALU_DEP_2) | instskip(SKIP_1) | instid1(VALU_DEP_2)
	v_cmp_eq_u32_e32 vcc_lo, 0, v8
	s_wait_alu 0xfffd
	v_cndmask_b32_e32 v8, v9, v7, vcc_lo
; %bb.41:                               ;   in Loop: Header=BB659_4 Depth=1
	s_or_b32 exec_lo, exec_lo, s35
	s_delay_alu instid0(VALU_DEP_1) | instskip(NEXT) | instid1(VALU_DEP_1)
	v_and_b32_e32 v7, 0xffff0000, v8
	v_add_f32_e32 v19, v19, v7
	s_or_b32 exec_lo, exec_lo, s5
	s_and_saveexec_b32 s5, s3
	s_cbranch_execnz .LBB659_16
	s_branch .LBB659_17
.LBB659_42:
	s_endpgm
	.section	.rodata,"a",@progbits
	.p2align	6, 0x0
	.amdhsa_kernel _ZL32rocblas_gemvt_warp_reduce_kernelILb1ELi1024El16rocblas_bfloat16PKffEviiT3_lPKT2_lT1_lS6_lS7_lS3_lPT4_lS7_li
		.amdhsa_group_segment_fixed_size 128
		.amdhsa_private_segment_fixed_size 0
		.amdhsa_kernarg_size 140
		.amdhsa_user_sgpr_count 2
		.amdhsa_user_sgpr_dispatch_ptr 0
		.amdhsa_user_sgpr_queue_ptr 0
		.amdhsa_user_sgpr_kernarg_segment_ptr 1
		.amdhsa_user_sgpr_dispatch_id 0
		.amdhsa_user_sgpr_private_segment_size 0
		.amdhsa_wavefront_size32 1
		.amdhsa_uses_dynamic_stack 0
		.amdhsa_enable_private_segment 0
		.amdhsa_system_sgpr_workgroup_id_x 1
		.amdhsa_system_sgpr_workgroup_id_y 0
		.amdhsa_system_sgpr_workgroup_id_z 1
		.amdhsa_system_sgpr_workgroup_info 0
		.amdhsa_system_vgpr_workitem_id 0
		.amdhsa_next_free_vgpr 24
		.amdhsa_next_free_sgpr 52
		.amdhsa_reserve_vcc 1
		.amdhsa_float_round_mode_32 0
		.amdhsa_float_round_mode_16_64 0
		.amdhsa_float_denorm_mode_32 3
		.amdhsa_float_denorm_mode_16_64 3
		.amdhsa_fp16_overflow 0
		.amdhsa_workgroup_processor_mode 1
		.amdhsa_memory_ordered 1
		.amdhsa_forward_progress 1
		.amdhsa_inst_pref_size 15
		.amdhsa_round_robin_scheduling 0
		.amdhsa_exception_fp_ieee_invalid_op 0
		.amdhsa_exception_fp_denorm_src 0
		.amdhsa_exception_fp_ieee_div_zero 0
		.amdhsa_exception_fp_ieee_overflow 0
		.amdhsa_exception_fp_ieee_underflow 0
		.amdhsa_exception_fp_ieee_inexact 0
		.amdhsa_exception_int_div_zero 0
	.end_amdhsa_kernel
	.section	.text._ZL32rocblas_gemvt_warp_reduce_kernelILb1ELi1024El16rocblas_bfloat16PKffEviiT3_lPKT2_lT1_lS6_lS7_lS3_lPT4_lS7_li,"axG",@progbits,_ZL32rocblas_gemvt_warp_reduce_kernelILb1ELi1024El16rocblas_bfloat16PKffEviiT3_lPKT2_lT1_lS6_lS7_lS3_lPT4_lS7_li,comdat
.Lfunc_end659:
	.size	_ZL32rocblas_gemvt_warp_reduce_kernelILb1ELi1024El16rocblas_bfloat16PKffEviiT3_lPKT2_lT1_lS6_lS7_lS3_lPT4_lS7_li, .Lfunc_end659-_ZL32rocblas_gemvt_warp_reduce_kernelILb1ELi1024El16rocblas_bfloat16PKffEviiT3_lPKT2_lT1_lS6_lS7_lS3_lPT4_lS7_li
                                        ; -- End function
	.set _ZL32rocblas_gemvt_warp_reduce_kernelILb1ELi1024El16rocblas_bfloat16PKffEviiT3_lPKT2_lT1_lS6_lS7_lS3_lPT4_lS7_li.num_vgpr, 24
	.set _ZL32rocblas_gemvt_warp_reduce_kernelILb1ELi1024El16rocblas_bfloat16PKffEviiT3_lPKT2_lT1_lS6_lS7_lS3_lPT4_lS7_li.num_agpr, 0
	.set _ZL32rocblas_gemvt_warp_reduce_kernelILb1ELi1024El16rocblas_bfloat16PKffEviiT3_lPKT2_lT1_lS6_lS7_lS3_lPT4_lS7_li.numbered_sgpr, 52
	.set _ZL32rocblas_gemvt_warp_reduce_kernelILb1ELi1024El16rocblas_bfloat16PKffEviiT3_lPKT2_lT1_lS6_lS7_lS3_lPT4_lS7_li.num_named_barrier, 0
	.set _ZL32rocblas_gemvt_warp_reduce_kernelILb1ELi1024El16rocblas_bfloat16PKffEviiT3_lPKT2_lT1_lS6_lS7_lS3_lPT4_lS7_li.private_seg_size, 0
	.set _ZL32rocblas_gemvt_warp_reduce_kernelILb1ELi1024El16rocblas_bfloat16PKffEviiT3_lPKT2_lT1_lS6_lS7_lS3_lPT4_lS7_li.uses_vcc, 1
	.set _ZL32rocblas_gemvt_warp_reduce_kernelILb1ELi1024El16rocblas_bfloat16PKffEviiT3_lPKT2_lT1_lS6_lS7_lS3_lPT4_lS7_li.uses_flat_scratch, 0
	.set _ZL32rocblas_gemvt_warp_reduce_kernelILb1ELi1024El16rocblas_bfloat16PKffEviiT3_lPKT2_lT1_lS6_lS7_lS3_lPT4_lS7_li.has_dyn_sized_stack, 0
	.set _ZL32rocblas_gemvt_warp_reduce_kernelILb1ELi1024El16rocblas_bfloat16PKffEviiT3_lPKT2_lT1_lS6_lS7_lS3_lPT4_lS7_li.has_recursion, 0
	.set _ZL32rocblas_gemvt_warp_reduce_kernelILb1ELi1024El16rocblas_bfloat16PKffEviiT3_lPKT2_lT1_lS6_lS7_lS3_lPT4_lS7_li.has_indirect_call, 0
	.section	.AMDGPU.csdata,"",@progbits
; Kernel info:
; codeLenInByte = 1808
; TotalNumSgprs: 54
; NumVgprs: 24
; ScratchSize: 0
; MemoryBound: 0
; FloatMode: 240
; IeeeMode: 1
; LDSByteSize: 128 bytes/workgroup (compile time only)
; SGPRBlocks: 0
; VGPRBlocks: 2
; NumSGPRsForWavesPerEU: 54
; NumVGPRsForWavesPerEU: 24
; Occupancy: 16
; WaveLimiterHint : 0
; COMPUTE_PGM_RSRC2:SCRATCH_EN: 0
; COMPUTE_PGM_RSRC2:USER_SGPR: 2
; COMPUTE_PGM_RSRC2:TRAP_HANDLER: 0
; COMPUTE_PGM_RSRC2:TGID_X_EN: 1
; COMPUTE_PGM_RSRC2:TGID_Y_EN: 0
; COMPUTE_PGM_RSRC2:TGID_Z_EN: 1
; COMPUTE_PGM_RSRC2:TIDIG_COMP_CNT: 0
	.section	.text._ZL32rocblas_gemvt_warp_reduce_kernelILb1ELi1024Ei16rocblas_bfloat16ffEviiT3_lPKT2_lT1_lS4_lS5_lS1_lPT4_lS5_li,"axG",@progbits,_ZL32rocblas_gemvt_warp_reduce_kernelILb1ELi1024Ei16rocblas_bfloat16ffEviiT3_lPKT2_lT1_lS4_lS5_lS1_lPT4_lS5_li,comdat
	.globl	_ZL32rocblas_gemvt_warp_reduce_kernelILb1ELi1024Ei16rocblas_bfloat16ffEviiT3_lPKT2_lT1_lS4_lS5_lS1_lPT4_lS5_li ; -- Begin function _ZL32rocblas_gemvt_warp_reduce_kernelILb1ELi1024Ei16rocblas_bfloat16ffEviiT3_lPKT2_lT1_lS4_lS5_lS1_lPT4_lS5_li
	.p2align	8
	.type	_ZL32rocblas_gemvt_warp_reduce_kernelILb1ELi1024Ei16rocblas_bfloat16ffEviiT3_lPKT2_lT1_lS4_lS5_lS1_lPT4_lS5_li,@function
_ZL32rocblas_gemvt_warp_reduce_kernelILb1ELi1024Ei16rocblas_bfloat16ffEviiT3_lPKT2_lT1_lS4_lS5_lS1_lPT4_lS5_li: ; @_ZL32rocblas_gemvt_warp_reduce_kernelILb1ELi1024Ei16rocblas_bfloat16ffEviiT3_lPKT2_lT1_lS4_lS5_lS1_lPT4_lS5_li
; %bb.0:
	s_load_b32 s19, s[0:1], 0x88
	s_lshr_b32 s24, ttmp7, 16
	s_wait_kmcnt 0x0
	s_cmp_ge_u32 s24, s19
	s_cbranch_scc1 .LBB660_42
; %bb.1:
	s_clause 0x9
	s_load_b96 s[20:22], s[0:1], 0x40
	s_load_b128 s[4:7], s[0:1], 0x68
	s_load_b128 s[12:15], s[0:1], 0x18
	s_load_b32 s33, s[0:1], 0x8
	s_load_b96 s[16:18], s[0:1], 0x50
	s_load_b128 s[8:11], s[0:1], 0x30
	s_load_b32 s23, s[0:1], 0x0
	s_load_b32 s3, s[0:1], 0x28
	;; [unrolled: 1-line block ×3, first 2 shown]
	s_load_b64 s[26:27], s[0:1], 0x80
	v_and_b32_e32 v1, 31, v0
	v_lshrrev_b32_e32 v2, 3, v0
	v_mov_b32_e32 v9, 0
	v_mbcnt_lo_u32_b32 v15, -1, 0
	v_cmp_eq_u32_e64 s0, 0, v0
	v_lshlrev_b32_e32 v10, 2, v1
	v_cmp_eq_u32_e64 s2, 0, v1
	v_and_b32_e32 v11, 0x7c, v2
	v_cmp_gt_u32_e64 s1, 32, v0
	v_lshl_or_b32 v16, v15, 2, 64
	s_wait_kmcnt 0x0
	s_lshl_b64 s[20:21], s[20:21], 1
	s_lshl_b64 s[28:29], s[6:7], 2
	;; [unrolled: 1-line block ×3, first 2 shown]
	s_cmp_eq_f32 s33, 0
	v_mul_lo_u32 v12, v0, s22
	s_mov_b32 s25, 0
	v_cmp_gt_i32_e32 vcc_lo, s23, v0
	s_cselect_b32 s34, -1, 0
	s_cmp_neq_f32 s33, 0
	s_mul_i32 s38, s35, ttmp9
	s_mul_i32 s40, s3, ttmp9
	v_cndmask_b32_e32 v1, 0, v0, vcc_lo
	s_cselect_b32 s6, -1, 0
	s_cmp_neq_f32 s18, 1.0
	s_delay_alu instid0(VALU_DEP_1) | instskip(SKIP_1) | instid1(SALU_CYCLE_1)
	v_lshlrev_b32_e32 v1, 1, v1
	s_cselect_b32 s7, -1, 0
	s_or_b32 s35, s6, s7
	s_cmp_neq_f32 s18, 0
	s_add_nc_u64 s[6:7], s[10:11], s[20:21]
	s_add_nc_u64 s[10:11], s[4:5], s[28:29]
	;; [unrolled: 1-line block ×3, first 2 shown]
	s_cselect_b32 s36, -1, 0
	s_ashr_i32 s3, s23, 31
	s_ashr_i32 s41, s40, 31
	s_lshr_b32 s3, s3, 22
	s_ashr_i32 s39, s38, 31
	s_add_co_i32 s3, s23, s3
	s_lshl_b32 s37, s22, 10
	s_and_b32 s14, s3, 0xfffffc00
	v_add_co_u32 v4, s3, s4, v1
	v_or_b32_e32 v2, s14, v0
	v_add_co_ci_u32_e64 v5, null, s5, 0, s3
	s_lshl_b64 s[4:5], s[40:41], 1
	v_cmp_gt_i32_e64 s3, s14, v0
	v_mul_lo_u32 v3, s22, v2
	s_wait_alu 0xfffe
	v_add_co_u32 v13, vcc_lo, v4, s4
	s_add_nc_u64 s[20:21], s[30:31], s[4:5]
	s_wait_alu 0xfffd
	v_add_co_ci_u32_e64 v14, null, s5, v5, vcc_lo
	s_add_nc_u64 s[12:13], s[12:13], s[20:21]
	v_cmp_gt_i32_e64 s4, s23, v2
	v_ashrrev_i32_e32 v4, 31, v3
	v_add_co_u32 v1, s5, s12, v1
	s_wait_alu 0xf1ff
	v_add_co_ci_u32_e64 v2, null, s13, 0, s5
	s_delay_alu instid0(VALU_DEP_3)
	v_lshlrev_b64_e32 v[3:4], 1, v[3:4]
	s_ashr_i32 s15, s14, 31
	s_lshl_b64 s[12:13], s[8:9], 1
	s_lshl_b64 s[20:21], s[38:39], 2
	s_wait_alu 0xfffe
	s_lshl_b64 s[22:23], s[14:15], 1
	s_branch .LBB660_4
.LBB660_2:                              ;   in Loop: Header=BB660_4 Depth=1
	s_wait_alu 0xfffe
	s_or_b32 exec_lo, exec_lo, s5
.LBB660_3:                              ;   in Loop: Header=BB660_4 Depth=1
	s_add_co_i32 s24, s24, 0x10000
	s_wait_alu 0xfffe
	s_cmp_lt_u32 s24, s19
	s_cbranch_scc0 .LBB660_42
.LBB660_4:                              ; =>This Loop Header: Depth=1
                                        ;     Child Loop BB660_24 Depth 2
	s_and_not1_b32 vcc_lo, exec_lo, s35
	s_wait_alu 0xfffe
	s_cbranch_vccnz .LBB660_3
; %bb.5:                                ;   in Loop: Header=BB660_4 Depth=1
	s_mul_u64 s[28:29], s[26:27], s[24:25]
	s_and_not1_b32 vcc_lo, exec_lo, s34
	s_lshl_b64 s[28:29], s[28:29], 2
	s_delay_alu instid0(SALU_CYCLE_1)
	s_add_nc_u64 s[28:29], s[10:11], s[28:29]
	s_wait_alu 0xfffe
	s_cbranch_vccnz .LBB660_9
; %bb.6:                                ;   in Loop: Header=BB660_4 Depth=1
	s_mov_b32 s5, 0
	s_mov_b32 s15, 0
                                        ; implicit-def: $vgpr5
	s_and_saveexec_b32 s30, s0
	s_cbranch_execz .LBB660_10
; %bb.7:                                ;   in Loop: Header=BB660_4 Depth=1
	s_and_not1_b32 vcc_lo, exec_lo, s36
	s_wait_alu 0xfffe
	s_cbranch_vccnz .LBB660_11
; %bb.8:                                ;   in Loop: Header=BB660_4 Depth=1
	s_add_nc_u64 s[38:39], s[28:29], s[20:21]
	global_load_b32 v5, v9, s[38:39]
	s_wait_loadcnt 0x0
	v_mul_f32_e32 v5, s18, v5
	s_branch .LBB660_12
.LBB660_9:                              ;   in Loop: Header=BB660_4 Depth=1
	s_mov_b32 s15, 0
                                        ; implicit-def: $vgpr5
	s_cbranch_execnz .LBB660_13
	s_branch .LBB660_34
.LBB660_10:                             ;   in Loop: Header=BB660_4 Depth=1
	s_wait_alu 0xfffe
	s_or_b32 exec_lo, exec_lo, s30
	s_delay_alu instid0(SALU_CYCLE_1)
	s_and_b32 vcc_lo, exec_lo, s5
	s_wait_alu 0xfffe
	s_cbranch_vccnz .LBB660_13
	s_branch .LBB660_34
.LBB660_11:                             ;   in Loop: Header=BB660_4 Depth=1
	v_mov_b32_e32 v5, 0
.LBB660_12:                             ;   in Loop: Header=BB660_4 Depth=1
	s_mov_b32 s15, exec_lo
	s_or_b32 exec_lo, exec_lo, s30
	s_delay_alu instid0(SALU_CYCLE_1)
	s_and_b32 vcc_lo, exec_lo, s5
	s_wait_alu 0xfffe
	s_cbranch_vccz .LBB660_34
.LBB660_13:                             ;   in Loop: Header=BB660_4 Depth=1
	s_mul_u64 s[30:31], s[16:17], s[24:25]
	s_wait_dscnt 0x0
	v_mov_b32_e32 v17, 0
	s_wait_alu 0xfffe
	s_lshl_b64 s[30:31], s[30:31], 1
	s_wait_alu 0xfffe
	s_add_nc_u64 s[30:31], s[6:7], s[30:31]
	s_and_saveexec_b32 s38, s3
	s_cbranch_execnz .LBB660_22
; %bb.14:                               ;   in Loop: Header=BB660_4 Depth=1
	s_wait_alu 0xfffe
	s_or_b32 exec_lo, exec_lo, s38
	s_and_saveexec_b32 s5, s4
	s_cbranch_execnz .LBB660_37
.LBB660_15:                             ;   in Loop: Header=BB660_4 Depth=1
	s_wait_alu 0xfffe
	s_or_b32 exec_lo, exec_lo, s5
	s_and_saveexec_b32 s5, s1
.LBB660_16:                             ;   in Loop: Header=BB660_4 Depth=1
	ds_store_b32 v10, v9
.LBB660_17:                             ;   in Loop: Header=BB660_4 Depth=1
	s_wait_alu 0xfffe
	s_or_b32 exec_lo, exec_lo, s5
	ds_bpermute_b32 v6, v16, v17
	v_cmp_gt_u32_e32 vcc_lo, 24, v15
	s_wait_dscnt 0x0
	s_barrier_signal -1
	s_barrier_wait -1
	global_inv scope:SCOPE_SE
	s_wait_alu 0xfffd
	v_cndmask_b32_e64 v5, 0, 8, vcc_lo
	v_cmp_gt_u32_e32 vcc_lo, 28, v15
	s_delay_alu instid0(VALU_DEP_2)
	v_add_lshl_u32 v5, v5, v15, 2
	v_add_f32_e32 v7, v17, v6
	s_wait_alu 0xfffd
	v_cndmask_b32_e64 v6, 0, 4, vcc_lo
	v_cmp_gt_u32_e32 vcc_lo, 30, v15
	ds_bpermute_b32 v8, v5, v7
	v_add_lshl_u32 v6, v6, v15, 2
	s_wait_dscnt 0x0
	v_add_f32_e32 v8, v7, v8
	s_wait_alu 0xfffd
	v_cndmask_b32_e64 v7, 0, 2, vcc_lo
	v_cmp_ne_u32_e32 vcc_lo, 31, v15
	ds_bpermute_b32 v17, v6, v8
	v_add_lshl_u32 v7, v7, v15, 2
	s_wait_alu 0xfffd
	v_add_co_ci_u32_e64 v18, null, 0, v15, vcc_lo
	s_wait_dscnt 0x0
	v_add_f32_e32 v8, v8, v17
	ds_bpermute_b32 v17, v7, v8
	s_wait_dscnt 0x0
	v_dual_add_f32 v17, v8, v17 :: v_dual_lshlrev_b32 v8, 2, v18
	ds_bpermute_b32 v18, v8, v17
	s_and_saveexec_b32 s5, s2
	s_cbranch_execz .LBB660_19
; %bb.18:                               ;   in Loop: Header=BB660_4 Depth=1
	s_wait_dscnt 0x0
	v_add_f32_e32 v17, v17, v18
	ds_store_b32 v11, v17
.LBB660_19:                             ;   in Loop: Header=BB660_4 Depth=1
	s_wait_alu 0xfffe
	s_or_b32 exec_lo, exec_lo, s5
	v_mov_b32_e32 v17, 0
	s_wait_loadcnt_dscnt 0x0
	s_barrier_signal -1
	s_barrier_wait -1
	global_inv scope:SCOPE_SE
	s_and_saveexec_b32 s5, s1
	s_cbranch_execnz .LBB660_28
; %bb.20:                               ;   in Loop: Header=BB660_4 Depth=1
	s_wait_alu 0xfffe
	s_or_b32 exec_lo, exec_lo, s5
	s_and_saveexec_b32 s5, s1
	s_cbranch_execnz .LBB660_29
.LBB660_21:                             ;   in Loop: Header=BB660_4 Depth=1
	s_wait_alu 0xfffe
	s_or_b32 exec_lo, exec_lo, s5
                                        ; implicit-def: $vgpr5
	s_and_saveexec_b32 s5, s0
	s_cbranch_execnz .LBB660_30
	s_branch .LBB660_33
.LBB660_22:                             ;   in Loop: Header=BB660_4 Depth=1
	v_mad_co_u64_u32 v[5:6], null, s12, s24, v[1:2]
	v_dual_mov_b32 v17, 0 :: v_dual_mov_b32 v18, v0
	s_mov_b32 s39, 0
	s_delay_alu instid0(VALU_DEP_2)
	v_mad_co_u64_u32 v[6:7], null, s13, s24, v[6:7]
	v_mov_b32_e32 v7, v12
	s_branch .LBB660_24
.LBB660_23:                             ;   in Loop: Header=BB660_24 Depth=2
	s_wait_alu 0xfffe
	s_or_b32 exec_lo, exec_lo, s5
	s_delay_alu instid0(VALU_DEP_1) | instskip(SKIP_3) | instid1(VALU_DEP_4)
	v_and_b32_e32 v8, 0xffff0000, v19
	v_add_nc_u32_e32 v18, 0x400, v18
	v_add_co_u32 v5, s5, 0x800, v5
	v_add_nc_u32_e32 v7, s37, v7
	v_add_f32_e32 v17, v17, v8
	s_delay_alu instid0(VALU_DEP_4)
	v_cmp_le_i32_e32 vcc_lo, s14, v18
	s_wait_alu 0xf1ff
	v_add_co_ci_u32_e64 v6, null, 0, v6, s5
	s_or_b32 s39, vcc_lo, s39
	s_wait_alu 0xfffe
	s_and_not1_b32 exec_lo, exec_lo, s39
	s_cbranch_execz .LBB660_36
.LBB660_24:                             ;   Parent Loop BB660_4 Depth=1
                                        ; =>  This Inner Loop Header: Depth=2
	s_delay_alu instid0(VALU_DEP_1) | instskip(NEXT) | instid1(VALU_DEP_1)
	v_ashrrev_i32_e32 v8, 31, v7
	v_lshlrev_b64_e32 v[19:20], 1, v[7:8]
	s_wait_alu 0xfffe
	s_delay_alu instid0(VALU_DEP_1) | instskip(SKIP_1) | instid1(VALU_DEP_2)
	v_add_co_u32 v19, vcc_lo, s30, v19
	s_wait_alu 0xfffd
	v_add_co_ci_u32_e64 v20, null, s31, v20, vcc_lo
	global_load_u16 v8, v[5:6], off
	global_load_u16 v19, v[19:20], off
	s_wait_loadcnt 0x1
	v_lshlrev_b32_e32 v8, 16, v8
	s_wait_loadcnt 0x0
	v_lshlrev_b32_e32 v19, 16, v19
	s_delay_alu instid0(VALU_DEP_1) | instskip(NEXT) | instid1(VALU_DEP_1)
	v_mul_f32_e32 v8, v8, v19
	v_and_b32_e32 v19, 0x7f800000, v8
	s_delay_alu instid0(VALU_DEP_1)
	v_cmp_ne_u32_e32 vcc_lo, 0x7f800000, v19
                                        ; implicit-def: $vgpr19
	s_and_saveexec_b32 s5, vcc_lo
	s_wait_alu 0xfffe
	s_xor_b32 s5, exec_lo, s5
; %bb.25:                               ;   in Loop: Header=BB660_24 Depth=2
	v_bfe_u32 v19, v8, 16, 1
	s_delay_alu instid0(VALU_DEP_1)
	v_add3_u32 v19, v8, v19, 0x7fff
                                        ; implicit-def: $vgpr8
; %bb.26:                               ;   in Loop: Header=BB660_24 Depth=2
	s_wait_alu 0xfffe
	s_and_not1_saveexec_b32 s5, s5
	s_cbranch_execz .LBB660_23
; %bb.27:                               ;   in Loop: Header=BB660_24 Depth=2
	v_and_b32_e32 v19, 0xffff, v8
	v_or_b32_e32 v20, 0x10000, v8
	s_delay_alu instid0(VALU_DEP_2) | instskip(SKIP_1) | instid1(VALU_DEP_2)
	v_cmp_eq_u32_e32 vcc_lo, 0, v19
	s_wait_alu 0xfffd
	v_cndmask_b32_e32 v19, v20, v8, vcc_lo
	s_branch .LBB660_23
.LBB660_28:                             ;   in Loop: Header=BB660_4 Depth=1
	ds_load_b32 v17, v10
	s_wait_alu 0xfffe
	s_or_b32 exec_lo, exec_lo, s5
	s_and_saveexec_b32 s5, s1
	s_cbranch_execz .LBB660_21
.LBB660_29:                             ;   in Loop: Header=BB660_4 Depth=1
	s_wait_dscnt 0x0
	ds_bpermute_b32 v18, v16, v17
	s_wait_dscnt 0x0
	v_add_f32_e32 v17, v17, v18
	ds_bpermute_b32 v5, v5, v17
	s_wait_dscnt 0x0
	v_add_f32_e32 v5, v17, v5
	;; [unrolled: 3-line block ×5, first 2 shown]
	s_wait_alu 0xfffe
	s_or_b32 exec_lo, exec_lo, s5
                                        ; implicit-def: $vgpr5
	s_and_saveexec_b32 s5, s0
	s_cbranch_execz .LBB660_33
.LBB660_30:                             ;   in Loop: Header=BB660_4 Depth=1
	s_wait_dscnt 0x0
	v_mul_f32_e32 v5, s33, v17
	s_and_not1_b32 vcc_lo, exec_lo, s36
	s_wait_alu 0xfffe
	s_cbranch_vccnz .LBB660_32
; %bb.31:                               ;   in Loop: Header=BB660_4 Depth=1
	s_add_nc_u64 s[30:31], s[28:29], s[20:21]
	global_load_b32 v6, v9, s[30:31]
	s_wait_loadcnt 0x0
	v_fmac_f32_e32 v5, s18, v6
.LBB660_32:                             ;   in Loop: Header=BB660_4 Depth=1
	s_or_b32 s15, s15, exec_lo
.LBB660_33:                             ;   in Loop: Header=BB660_4 Depth=1
	s_wait_alu 0xfffe
	s_or_b32 exec_lo, exec_lo, s5
.LBB660_34:                             ;   in Loop: Header=BB660_4 Depth=1
	s_wait_alu 0xfffe
	s_and_saveexec_b32 s5, s15
	s_cbranch_execz .LBB660_2
; %bb.35:                               ;   in Loop: Header=BB660_4 Depth=1
	s_add_nc_u64 s[28:29], s[28:29], s[20:21]
	global_store_b32 v9, v5, s[28:29]
	s_branch .LBB660_2
.LBB660_36:                             ;   in Loop: Header=BB660_4 Depth=1
	s_or_b32 exec_lo, exec_lo, s39
	s_delay_alu instid0(SALU_CYCLE_1)
	s_or_b32 exec_lo, exec_lo, s38
	s_and_saveexec_b32 s5, s4
	s_cbranch_execz .LBB660_15
.LBB660_37:                             ;   in Loop: Header=BB660_4 Depth=1
	s_mul_u64 s[38:39], s[8:9], s[24:25]
	s_wait_alu 0xfffe
	s_lshl_b64 s[38:39], s[38:39], 1
	s_wait_alu 0xfffe
	v_add_co_u32 v5, vcc_lo, v13, s38
	s_wait_alu 0xfffd
	v_add_co_ci_u32_e64 v6, null, s39, v14, vcc_lo
	s_delay_alu instid0(VALU_DEP_2) | instskip(SKIP_1) | instid1(VALU_DEP_2)
	v_add_co_u32 v5, vcc_lo, v5, s22
	s_wait_alu 0xfffd
	v_add_co_ci_u32_e64 v6, null, s23, v6, vcc_lo
	v_add_co_u32 v7, vcc_lo, s30, v3
	s_wait_alu 0xfffd
	v_add_co_ci_u32_e64 v8, null, s31, v4, vcc_lo
	global_load_u16 v5, v[5:6], off
	global_load_u16 v6, v[7:8], off
	s_wait_loadcnt 0x1
	v_lshlrev_b32_e32 v5, 16, v5
	s_wait_loadcnt 0x0
	v_lshlrev_b32_e32 v6, 16, v6
	s_delay_alu instid0(VALU_DEP_1) | instskip(NEXT) | instid1(VALU_DEP_1)
	v_mul_f32_e32 v5, v5, v6
	v_and_b32_e32 v6, 0x7f800000, v5
	s_delay_alu instid0(VALU_DEP_1)
	v_cmp_ne_u32_e32 vcc_lo, 0x7f800000, v6
                                        ; implicit-def: $vgpr6
	s_and_saveexec_b32 s30, vcc_lo
	s_wait_alu 0xfffe
	s_xor_b32 s30, exec_lo, s30
; %bb.38:                               ;   in Loop: Header=BB660_4 Depth=1
	v_bfe_u32 v6, v5, 16, 1
	s_delay_alu instid0(VALU_DEP_1)
	v_add3_u32 v6, v5, v6, 0x7fff
                                        ; implicit-def: $vgpr5
; %bb.39:                               ;   in Loop: Header=BB660_4 Depth=1
	s_wait_alu 0xfffe
	s_and_not1_saveexec_b32 s30, s30
; %bb.40:                               ;   in Loop: Header=BB660_4 Depth=1
	v_and_b32_e32 v6, 0xffff, v5
	v_or_b32_e32 v7, 0x10000, v5
	s_delay_alu instid0(VALU_DEP_2) | instskip(SKIP_1) | instid1(VALU_DEP_2)
	v_cmp_eq_u32_e32 vcc_lo, 0, v6
	s_wait_alu 0xfffd
	v_cndmask_b32_e32 v6, v7, v5, vcc_lo
; %bb.41:                               ;   in Loop: Header=BB660_4 Depth=1
	s_wait_alu 0xfffe
	s_or_b32 exec_lo, exec_lo, s30
	s_delay_alu instid0(VALU_DEP_1) | instskip(NEXT) | instid1(VALU_DEP_1)
	v_and_b32_e32 v5, 0xffff0000, v6
	v_add_f32_e32 v17, v17, v5
	s_or_b32 exec_lo, exec_lo, s5
	s_and_saveexec_b32 s5, s1
	s_cbranch_execnz .LBB660_16
	s_branch .LBB660_17
.LBB660_42:
	s_endpgm
	.section	.rodata,"a",@progbits
	.p2align	6, 0x0
	.amdhsa_kernel _ZL32rocblas_gemvt_warp_reduce_kernelILb1ELi1024Ei16rocblas_bfloat16ffEviiT3_lPKT2_lT1_lS4_lS5_lS1_lPT4_lS5_li
		.amdhsa_group_segment_fixed_size 128
		.amdhsa_private_segment_fixed_size 0
		.amdhsa_kernarg_size 140
		.amdhsa_user_sgpr_count 2
		.amdhsa_user_sgpr_dispatch_ptr 0
		.amdhsa_user_sgpr_queue_ptr 0
		.amdhsa_user_sgpr_kernarg_segment_ptr 1
		.amdhsa_user_sgpr_dispatch_id 0
		.amdhsa_user_sgpr_private_segment_size 0
		.amdhsa_wavefront_size32 1
		.amdhsa_uses_dynamic_stack 0
		.amdhsa_enable_private_segment 0
		.amdhsa_system_sgpr_workgroup_id_x 1
		.amdhsa_system_sgpr_workgroup_id_y 0
		.amdhsa_system_sgpr_workgroup_id_z 1
		.amdhsa_system_sgpr_workgroup_info 0
		.amdhsa_system_vgpr_workitem_id 0
		.amdhsa_next_free_vgpr 21
		.amdhsa_next_free_sgpr 42
		.amdhsa_reserve_vcc 1
		.amdhsa_float_round_mode_32 0
		.amdhsa_float_round_mode_16_64 0
		.amdhsa_float_denorm_mode_32 3
		.amdhsa_float_denorm_mode_16_64 3
		.amdhsa_fp16_overflow 0
		.amdhsa_workgroup_processor_mode 1
		.amdhsa_memory_ordered 1
		.amdhsa_forward_progress 1
		.amdhsa_inst_pref_size 15
		.amdhsa_round_robin_scheduling 0
		.amdhsa_exception_fp_ieee_invalid_op 0
		.amdhsa_exception_fp_denorm_src 0
		.amdhsa_exception_fp_ieee_div_zero 0
		.amdhsa_exception_fp_ieee_overflow 0
		.amdhsa_exception_fp_ieee_underflow 0
		.amdhsa_exception_fp_ieee_inexact 0
		.amdhsa_exception_int_div_zero 0
	.end_amdhsa_kernel
	.section	.text._ZL32rocblas_gemvt_warp_reduce_kernelILb1ELi1024Ei16rocblas_bfloat16ffEviiT3_lPKT2_lT1_lS4_lS5_lS1_lPT4_lS5_li,"axG",@progbits,_ZL32rocblas_gemvt_warp_reduce_kernelILb1ELi1024Ei16rocblas_bfloat16ffEviiT3_lPKT2_lT1_lS4_lS5_lS1_lPT4_lS5_li,comdat
.Lfunc_end660:
	.size	_ZL32rocblas_gemvt_warp_reduce_kernelILb1ELi1024Ei16rocblas_bfloat16ffEviiT3_lPKT2_lT1_lS4_lS5_lS1_lPT4_lS5_li, .Lfunc_end660-_ZL32rocblas_gemvt_warp_reduce_kernelILb1ELi1024Ei16rocblas_bfloat16ffEviiT3_lPKT2_lT1_lS4_lS5_lS1_lPT4_lS5_li
                                        ; -- End function
	.set _ZL32rocblas_gemvt_warp_reduce_kernelILb1ELi1024Ei16rocblas_bfloat16ffEviiT3_lPKT2_lT1_lS4_lS5_lS1_lPT4_lS5_li.num_vgpr, 21
	.set _ZL32rocblas_gemvt_warp_reduce_kernelILb1ELi1024Ei16rocblas_bfloat16ffEviiT3_lPKT2_lT1_lS4_lS5_lS1_lPT4_lS5_li.num_agpr, 0
	.set _ZL32rocblas_gemvt_warp_reduce_kernelILb1ELi1024Ei16rocblas_bfloat16ffEviiT3_lPKT2_lT1_lS4_lS5_lS1_lPT4_lS5_li.numbered_sgpr, 42
	.set _ZL32rocblas_gemvt_warp_reduce_kernelILb1ELi1024Ei16rocblas_bfloat16ffEviiT3_lPKT2_lT1_lS4_lS5_lS1_lPT4_lS5_li.num_named_barrier, 0
	.set _ZL32rocblas_gemvt_warp_reduce_kernelILb1ELi1024Ei16rocblas_bfloat16ffEviiT3_lPKT2_lT1_lS4_lS5_lS1_lPT4_lS5_li.private_seg_size, 0
	.set _ZL32rocblas_gemvt_warp_reduce_kernelILb1ELi1024Ei16rocblas_bfloat16ffEviiT3_lPKT2_lT1_lS4_lS5_lS1_lPT4_lS5_li.uses_vcc, 1
	.set _ZL32rocblas_gemvt_warp_reduce_kernelILb1ELi1024Ei16rocblas_bfloat16ffEviiT3_lPKT2_lT1_lS4_lS5_lS1_lPT4_lS5_li.uses_flat_scratch, 0
	.set _ZL32rocblas_gemvt_warp_reduce_kernelILb1ELi1024Ei16rocblas_bfloat16ffEviiT3_lPKT2_lT1_lS4_lS5_lS1_lPT4_lS5_li.has_dyn_sized_stack, 0
	.set _ZL32rocblas_gemvt_warp_reduce_kernelILb1ELi1024Ei16rocblas_bfloat16ffEviiT3_lPKT2_lT1_lS4_lS5_lS1_lPT4_lS5_li.has_recursion, 0
	.set _ZL32rocblas_gemvt_warp_reduce_kernelILb1ELi1024Ei16rocblas_bfloat16ffEviiT3_lPKT2_lT1_lS4_lS5_lS1_lPT4_lS5_li.has_indirect_call, 0
	.section	.AMDGPU.csdata,"",@progbits
; Kernel info:
; codeLenInByte = 1820
; TotalNumSgprs: 44
; NumVgprs: 21
; ScratchSize: 0
; MemoryBound: 0
; FloatMode: 240
; IeeeMode: 1
; LDSByteSize: 128 bytes/workgroup (compile time only)
; SGPRBlocks: 0
; VGPRBlocks: 2
; NumSGPRsForWavesPerEU: 44
; NumVGPRsForWavesPerEU: 21
; Occupancy: 16
; WaveLimiterHint : 0
; COMPUTE_PGM_RSRC2:SCRATCH_EN: 0
; COMPUTE_PGM_RSRC2:USER_SGPR: 2
; COMPUTE_PGM_RSRC2:TRAP_HANDLER: 0
; COMPUTE_PGM_RSRC2:TGID_X_EN: 1
; COMPUTE_PGM_RSRC2:TGID_Y_EN: 0
; COMPUTE_PGM_RSRC2:TGID_Z_EN: 1
; COMPUTE_PGM_RSRC2:TIDIG_COMP_CNT: 0
	.section	.text._ZL32rocblas_gemvt_warp_reduce_kernelILb1ELi1024El16rocblas_bfloat16ffEviiT3_lPKT2_lT1_lS4_lS5_lS1_lPT4_lS5_li,"axG",@progbits,_ZL32rocblas_gemvt_warp_reduce_kernelILb1ELi1024El16rocblas_bfloat16ffEviiT3_lPKT2_lT1_lS4_lS5_lS1_lPT4_lS5_li,comdat
	.globl	_ZL32rocblas_gemvt_warp_reduce_kernelILb1ELi1024El16rocblas_bfloat16ffEviiT3_lPKT2_lT1_lS4_lS5_lS1_lPT4_lS5_li ; -- Begin function _ZL32rocblas_gemvt_warp_reduce_kernelILb1ELi1024El16rocblas_bfloat16ffEviiT3_lPKT2_lT1_lS4_lS5_lS1_lPT4_lS5_li
	.p2align	8
	.type	_ZL32rocblas_gemvt_warp_reduce_kernelILb1ELi1024El16rocblas_bfloat16ffEviiT3_lPKT2_lT1_lS4_lS5_lS1_lPT4_lS5_li,@function
_ZL32rocblas_gemvt_warp_reduce_kernelILb1ELi1024El16rocblas_bfloat16ffEviiT3_lPKT2_lT1_lS4_lS5_lS1_lPT4_lS5_li: ; @_ZL32rocblas_gemvt_warp_reduce_kernelILb1ELi1024El16rocblas_bfloat16ffEviiT3_lPKT2_lT1_lS4_lS5_lS1_lPT4_lS5_li
; %bb.0:
	s_load_b32 s33, s[0:1], 0x88
	s_lshr_b32 s6, ttmp7, 16
	s_wait_kmcnt 0x0
	s_cmp_ge_u32 s6, s33
	s_cbranch_scc1 .LBB661_42
; %bb.1:
	s_clause 0x4
	s_load_b512 s[8:23], s[0:1], 0x18
	s_load_b256 s[24:31], s[0:1], 0x68
	s_load_b32 s34, s[0:1], 0x8
	s_load_b32 s35, s[0:1], 0x58
	;; [unrolled: 1-line block ×3, first 2 shown]
	s_mov_b32 s2, ttmp9
	v_dual_mov_b32 v11, 0 :: v_dual_and_b32 v4, 31, v0
	v_lshrrev_b32_e32 v7, 3, v0
	v_mbcnt_lo_u32_b32 v16, -1, 0
	v_cmp_eq_u32_e64 s0, 0, v0
	v_cmp_gt_u32_e64 s1, 32, v0
	v_lshlrev_b32_e32 v12, 2, v4
	s_mov_b32 s7, 0
	v_lshl_or_b32 v17, v16, 2, 64
	s_wait_kmcnt 0x0
	s_lshl_b64 s[4:5], s[18:19], 1
	s_lshl_b64 s[18:19], s[26:27], 2
	;; [unrolled: 1-line block ×3, first 2 shown]
	s_cmp_eq_f32 s34, 0
	v_cmp_gt_i32_e32 vcc_lo, s39, v0
	v_mad_co_u64_u32 v[1:2], null, s20, v0, 0
	s_cselect_b32 s36, -1, 0
	s_cmp_neq_f32 s34, 0
	v_cndmask_b32_e32 v3, 0, v0, vcc_lo
	s_add_nc_u64 s[10:11], s[16:17], s[4:5]
	s_add_nc_u64 s[16:17], s[24:25], s[18:19]
	s_cselect_b32 s3, -1, 0
	s_cmp_neq_f32 s35, 1.0
	v_lshlrev_b32_e32 v8, 1, v3
	s_add_nc_u64 s[4:5], s[8:9], s[26:27]
	v_mad_co_u64_u32 v[2:3], null, s21, v0, v[2:3]
	s_cselect_b32 s37, -1, 0
	v_add_co_u32 v3, s4, s4, v8
	s_or_b32 s37, s3, s37
	s_cmp_neq_f32 s35, 0
	s_wait_alu 0xf1ff
	v_add_co_ci_u32_e64 v9, null, s5, 0, s4
	s_cselect_b32 s38, -1, 0
	s_ashr_i32 s3, s39, 31
	s_delay_alu instid0(SALU_CYCLE_1) | instskip(NEXT) | instid1(SALU_CYCLE_1)
	s_lshr_b32 s3, s3, 22
	s_add_co_i32 s3, s39, s3
	s_delay_alu instid0(SALU_CYCLE_1)
	s_and_b32 s18, s3, 0xfffffc00
	s_ashr_i32 s3, ttmp9, 31
	v_or_b32_e32 v10, s18, v0
	s_mul_u64 s[4:5], s[12:13], s[2:3]
	s_ashr_i32 s19, s18, 31
	s_wait_alu 0xfffe
	s_lshl_b64 s[12:13], s[4:5], 1
	s_mul_i32 s4, s20, s19
	v_mul_lo_u32 v15, s21, v10
	v_mad_co_u64_u32 v[5:6], null, s20, v10, 0
	v_add_co_u32 v13, vcc_lo, v3, s12
	s_wait_alu 0xfffd
	v_add_co_ci_u32_e64 v14, null, s13, v9, vcc_lo
	s_add_nc_u64 s[12:13], s[12:13], s[26:27]
	s_mul_u64 s[24:25], s[28:29], s[2:3]
	s_wait_alu 0xfffe
	v_add3_u32 v6, v6, s4, v15
	v_cmp_eq_u32_e64 s4, 0, v4
	v_lshlrev_b64_e32 v[3:4], 1, v[1:2]
	s_add_nc_u64 s[8:9], s[8:9], s[12:13]
	v_cmp_gt_i32_e64 s2, s18, v0
	v_add_co_u32 v1, s5, s8, v8
	v_lshlrev_b64_e32 v[5:6], 1, v[5:6]
	s_delay_alu instid0(VALU_DEP_4)
	v_add_co_u32 v3, vcc_lo, s10, v3
	v_cmp_gt_i32_e64 s3, s39, v10
	v_and_b32_e32 v15, 0x7c, v7
	s_wait_alu 0xf1ff
	v_add_co_ci_u32_e64 v2, null, s9, 0, s5
	s_wait_alu 0xfffd
	v_add_co_ci_u32_e64 v4, null, s11, v4, vcc_lo
	s_lshl_b64 s[8:9], s[14:15], 1
	s_lshl_b64 s[12:13], s[22:23], 1
	;; [unrolled: 1-line block ×5, first 2 shown]
	s_branch .LBB661_4
.LBB661_2:                              ;   in Loop: Header=BB661_4 Depth=1
	s_wait_alu 0xfffe
	s_or_b32 exec_lo, exec_lo, s5
.LBB661_3:                              ;   in Loop: Header=BB661_4 Depth=1
	s_add_co_i32 s6, s6, 0x10000
	s_wait_alu 0xfffe
	s_cmp_lt_u32 s6, s33
	s_cbranch_scc0 .LBB661_42
.LBB661_4:                              ; =>This Loop Header: Depth=1
                                        ;     Child Loop BB661_24 Depth 2
	s_and_not1_b32 vcc_lo, exec_lo, s37
	s_wait_alu 0xfffe
	s_cbranch_vccnz .LBB661_3
; %bb.5:                                ;   in Loop: Header=BB661_4 Depth=1
	s_mul_u64 s[28:29], s[30:31], s[6:7]
	s_and_not1_b32 vcc_lo, exec_lo, s36
	s_lshl_b64 s[28:29], s[28:29], 2
	s_delay_alu instid0(SALU_CYCLE_1)
	s_add_nc_u64 s[28:29], s[16:17], s[28:29]
	s_wait_alu 0xfffe
	s_cbranch_vccnz .LBB661_9
; %bb.6:                                ;   in Loop: Header=BB661_4 Depth=1
	s_mov_b32 s5, 0
	s_mov_b32 s19, 0
                                        ; implicit-def: $vgpr7
	s_and_saveexec_b32 s39, s0
	s_cbranch_execz .LBB661_10
; %bb.7:                                ;   in Loop: Header=BB661_4 Depth=1
	s_and_not1_b32 vcc_lo, exec_lo, s38
	s_wait_alu 0xfffe
	s_cbranch_vccnz .LBB661_11
; %bb.8:                                ;   in Loop: Header=BB661_4 Depth=1
	s_add_nc_u64 s[40:41], s[28:29], s[24:25]
	global_load_b32 v7, v11, s[40:41]
	s_wait_loadcnt 0x0
	v_mul_f32_e32 v7, s35, v7
	s_branch .LBB661_12
.LBB661_9:                              ;   in Loop: Header=BB661_4 Depth=1
	s_mov_b32 s19, 0
                                        ; implicit-def: $vgpr7
	s_cbranch_execnz .LBB661_13
	s_branch .LBB661_34
.LBB661_10:                             ;   in Loop: Header=BB661_4 Depth=1
	s_wait_alu 0xfffe
	s_or_b32 exec_lo, exec_lo, s39
	s_delay_alu instid0(SALU_CYCLE_1)
	s_and_b32 vcc_lo, exec_lo, s5
	s_wait_alu 0xfffe
	s_cbranch_vccnz .LBB661_13
	s_branch .LBB661_34
.LBB661_11:                             ;   in Loop: Header=BB661_4 Depth=1
	v_mov_b32_e32 v7, 0
.LBB661_12:                             ;   in Loop: Header=BB661_4 Depth=1
	s_mov_b32 s19, exec_lo
	s_or_b32 exec_lo, exec_lo, s39
	s_delay_alu instid0(SALU_CYCLE_1)
	s_and_b32 vcc_lo, exec_lo, s5
	s_wait_alu 0xfffe
	s_cbranch_vccz .LBB661_34
.LBB661_13:                             ;   in Loop: Header=BB661_4 Depth=1
	s_wait_dscnt 0x0
	v_mov_b32_e32 v18, 0
	s_and_saveexec_b32 s39, s2
	s_cbranch_execnz .LBB661_22
; %bb.14:                               ;   in Loop: Header=BB661_4 Depth=1
	s_wait_alu 0xfffe
	s_or_b32 exec_lo, exec_lo, s39
	s_and_saveexec_b32 s5, s3
	s_cbranch_execnz .LBB661_37
.LBB661_15:                             ;   in Loop: Header=BB661_4 Depth=1
	s_wait_alu 0xfffe
	s_or_b32 exec_lo, exec_lo, s5
	s_and_saveexec_b32 s5, s1
.LBB661_16:                             ;   in Loop: Header=BB661_4 Depth=1
	ds_store_b32 v12, v11
.LBB661_17:                             ;   in Loop: Header=BB661_4 Depth=1
	s_wait_alu 0xfffe
	s_or_b32 exec_lo, exec_lo, s5
	ds_bpermute_b32 v8, v17, v18
	v_cmp_gt_u32_e32 vcc_lo, 24, v16
	s_wait_dscnt 0x0
	s_barrier_signal -1
	s_barrier_wait -1
	global_inv scope:SCOPE_SE
	s_wait_alu 0xfffd
	v_cndmask_b32_e64 v7, 0, 8, vcc_lo
	v_cmp_gt_u32_e32 vcc_lo, 28, v16
	s_delay_alu instid0(VALU_DEP_2)
	v_add_lshl_u32 v7, v7, v16, 2
	v_add_f32_e32 v9, v18, v8
	s_wait_alu 0xfffd
	v_cndmask_b32_e64 v8, 0, 4, vcc_lo
	v_cmp_gt_u32_e32 vcc_lo, 30, v16
	ds_bpermute_b32 v10, v7, v9
	v_add_lshl_u32 v8, v8, v16, 2
	s_wait_dscnt 0x0
	v_add_f32_e32 v10, v9, v10
	s_wait_alu 0xfffd
	v_cndmask_b32_e64 v9, 0, 2, vcc_lo
	v_cmp_ne_u32_e32 vcc_lo, 31, v16
	ds_bpermute_b32 v18, v8, v10
	v_add_lshl_u32 v9, v9, v16, 2
	s_wait_alu 0xfffd
	v_add_co_ci_u32_e64 v19, null, 0, v16, vcc_lo
	s_wait_dscnt 0x0
	v_add_f32_e32 v10, v10, v18
	ds_bpermute_b32 v18, v9, v10
	s_wait_dscnt 0x0
	v_add_f32_e32 v18, v10, v18
	v_lshlrev_b32_e32 v10, 2, v19
	ds_bpermute_b32 v19, v10, v18
	s_and_saveexec_b32 s5, s4
	s_cbranch_execz .LBB661_19
; %bb.18:                               ;   in Loop: Header=BB661_4 Depth=1
	s_wait_dscnt 0x0
	v_add_f32_e32 v18, v18, v19
	ds_store_b32 v15, v18
.LBB661_19:                             ;   in Loop: Header=BB661_4 Depth=1
	s_wait_alu 0xfffe
	s_or_b32 exec_lo, exec_lo, s5
	v_mov_b32_e32 v18, 0
	s_wait_loadcnt_dscnt 0x0
	s_barrier_signal -1
	s_barrier_wait -1
	global_inv scope:SCOPE_SE
	s_and_saveexec_b32 s5, s1
	s_cbranch_execnz .LBB661_28
; %bb.20:                               ;   in Loop: Header=BB661_4 Depth=1
	s_wait_alu 0xfffe
	s_or_b32 exec_lo, exec_lo, s5
	s_and_saveexec_b32 s5, s1
	s_cbranch_execnz .LBB661_29
.LBB661_21:                             ;   in Loop: Header=BB661_4 Depth=1
	s_wait_alu 0xfffe
	s_or_b32 exec_lo, exec_lo, s5
                                        ; implicit-def: $vgpr7
	s_and_saveexec_b32 s5, s0
	s_cbranch_execnz .LBB661_30
	s_branch .LBB661_33
.LBB661_22:                             ;   in Loop: Header=BB661_4 Depth=1
	v_mad_co_u64_u32 v[7:8], null, s8, s6, v[1:2]
	v_mad_co_u64_u32 v[9:10], null, s12, s6, v[3:4]
	v_mov_b32_e32 v18, 0
	s_mov_b32 s40, 0
	s_delay_alu instid0(VALU_DEP_2) | instskip(NEXT) | instid1(VALU_DEP_3)
	v_mad_co_u64_u32 v[19:20], null, s9, s6, v[8:9]
	v_mad_co_u64_u32 v[20:21], null, s13, s6, v[10:11]
	s_delay_alu instid0(VALU_DEP_2) | instskip(NEXT) | instid1(VALU_DEP_2)
	v_dual_mov_b32 v8, v19 :: v_dual_mov_b32 v19, v0
	v_mov_b32_e32 v10, v20
	s_branch .LBB661_24
.LBB661_23:                             ;   in Loop: Header=BB661_24 Depth=2
	s_wait_alu 0xfffe
	s_or_b32 exec_lo, exec_lo, s5
	s_delay_alu instid0(VALU_DEP_1)
	v_and_b32_e32 v20, 0xffff0000, v21
	v_add_nc_u32_e32 v19, 0x400, v19
	v_add_co_u32 v7, vcc_lo, 0x800, v7
	s_wait_alu 0xfffd
	v_add_co_ci_u32_e64 v8, null, 0, v8, vcc_lo
	v_add_f32_e32 v18, v18, v20
	v_cmp_le_i32_e32 vcc_lo, s18, v19
	v_add_co_u32 v9, s5, v9, s20
	s_wait_alu 0xf1ff
	v_add_co_ci_u32_e64 v10, null, s21, v10, s5
	s_or_b32 s40, vcc_lo, s40
	s_wait_alu 0xfffe
	s_and_not1_b32 exec_lo, exec_lo, s40
	s_cbranch_execz .LBB661_36
.LBB661_24:                             ;   Parent Loop BB661_4 Depth=1
                                        ; =>  This Inner Loop Header: Depth=2
	global_load_u16 v20, v[9:10], off
	global_load_u16 v21, v[7:8], off
	s_wait_loadcnt 0x1
	v_lshlrev_b32_e32 v20, 16, v20
	s_wait_loadcnt 0x0
	v_lshlrev_b32_e32 v21, 16, v21
	s_delay_alu instid0(VALU_DEP_1) | instskip(NEXT) | instid1(VALU_DEP_1)
	v_mul_f32_e32 v20, v21, v20
	v_and_b32_e32 v21, 0x7f800000, v20
	s_delay_alu instid0(VALU_DEP_1)
	v_cmp_ne_u32_e32 vcc_lo, 0x7f800000, v21
                                        ; implicit-def: $vgpr21
	s_and_saveexec_b32 s5, vcc_lo
	s_wait_alu 0xfffe
	s_xor_b32 s5, exec_lo, s5
; %bb.25:                               ;   in Loop: Header=BB661_24 Depth=2
	v_bfe_u32 v21, v20, 16, 1
	s_delay_alu instid0(VALU_DEP_1)
	v_add3_u32 v21, v20, v21, 0x7fff
                                        ; implicit-def: $vgpr20
; %bb.26:                               ;   in Loop: Header=BB661_24 Depth=2
	s_wait_alu 0xfffe
	s_and_not1_saveexec_b32 s5, s5
	s_cbranch_execz .LBB661_23
; %bb.27:                               ;   in Loop: Header=BB661_24 Depth=2
	v_and_b32_e32 v21, 0xffff, v20
	v_or_b32_e32 v22, 0x10000, v20
	s_delay_alu instid0(VALU_DEP_2) | instskip(SKIP_1) | instid1(VALU_DEP_2)
	v_cmp_eq_u32_e32 vcc_lo, 0, v21
	s_wait_alu 0xfffd
	v_cndmask_b32_e32 v21, v22, v20, vcc_lo
	s_branch .LBB661_23
.LBB661_28:                             ;   in Loop: Header=BB661_4 Depth=1
	ds_load_b32 v18, v12
	s_wait_alu 0xfffe
	s_or_b32 exec_lo, exec_lo, s5
	s_and_saveexec_b32 s5, s1
	s_cbranch_execz .LBB661_21
.LBB661_29:                             ;   in Loop: Header=BB661_4 Depth=1
	s_wait_dscnt 0x0
	ds_bpermute_b32 v19, v17, v18
	s_wait_dscnt 0x0
	v_add_f32_e32 v18, v18, v19
	ds_bpermute_b32 v7, v7, v18
	s_wait_dscnt 0x0
	v_add_f32_e32 v7, v18, v7
	;; [unrolled: 3-line block ×5, first 2 shown]
	s_wait_alu 0xfffe
	s_or_b32 exec_lo, exec_lo, s5
                                        ; implicit-def: $vgpr7
	s_and_saveexec_b32 s5, s0
	s_cbranch_execz .LBB661_33
.LBB661_30:                             ;   in Loop: Header=BB661_4 Depth=1
	s_wait_dscnt 0x0
	v_mul_f32_e32 v7, s34, v18
	s_and_not1_b32 vcc_lo, exec_lo, s38
	s_wait_alu 0xfffe
	s_cbranch_vccnz .LBB661_32
; %bb.31:                               ;   in Loop: Header=BB661_4 Depth=1
	s_add_nc_u64 s[40:41], s[28:29], s[24:25]
	global_load_b32 v8, v11, s[40:41]
	s_wait_loadcnt 0x0
	v_fmac_f32_e32 v7, s35, v8
.LBB661_32:                             ;   in Loop: Header=BB661_4 Depth=1
	s_or_b32 s19, s19, exec_lo
.LBB661_33:                             ;   in Loop: Header=BB661_4 Depth=1
	s_wait_alu 0xfffe
	s_or_b32 exec_lo, exec_lo, s5
.LBB661_34:                             ;   in Loop: Header=BB661_4 Depth=1
	s_wait_alu 0xfffe
	s_and_saveexec_b32 s5, s19
	s_cbranch_execz .LBB661_2
; %bb.35:                               ;   in Loop: Header=BB661_4 Depth=1
	s_add_nc_u64 s[28:29], s[28:29], s[24:25]
	global_store_b32 v11, v7, s[28:29]
	s_branch .LBB661_2
.LBB661_36:                             ;   in Loop: Header=BB661_4 Depth=1
	s_or_b32 exec_lo, exec_lo, s40
	s_delay_alu instid0(SALU_CYCLE_1)
	s_or_b32 exec_lo, exec_lo, s39
	s_and_saveexec_b32 s5, s3
	s_cbranch_execz .LBB661_15
.LBB661_37:                             ;   in Loop: Header=BB661_4 Depth=1
	s_mul_u64 s[40:41], s[14:15], s[6:7]
	s_mul_u64 s[42:43], s[22:23], s[6:7]
	s_wait_alu 0xfffe
	s_lshl_b64 s[40:41], s[40:41], 1
	s_lshl_b64 s[42:43], s[42:43], 1
	s_wait_alu 0xfffe
	v_add_co_u32 v9, vcc_lo, v13, s40
	s_wait_alu 0xfffd
	v_add_co_ci_u32_e64 v10, null, s41, v14, vcc_lo
	s_add_nc_u64 s[40:41], s[10:11], s[42:43]
	s_wait_alu 0xfffe
	v_add_co_u32 v7, vcc_lo, s40, v5
	s_wait_alu 0xfffd
	v_add_co_ci_u32_e64 v8, null, s41, v6, vcc_lo
	v_add_co_u32 v9, vcc_lo, v9, s26
	s_wait_alu 0xfffd
	v_add_co_ci_u32_e64 v10, null, s27, v10, vcc_lo
	global_load_u16 v7, v[7:8], off
	global_load_u16 v8, v[9:10], off
	s_wait_loadcnt 0x1
	v_lshlrev_b32_e32 v7, 16, v7
	s_wait_loadcnt 0x0
	v_lshlrev_b32_e32 v8, 16, v8
	s_delay_alu instid0(VALU_DEP_1) | instskip(NEXT) | instid1(VALU_DEP_1)
	v_mul_f32_e32 v7, v8, v7
	v_and_b32_e32 v8, 0x7f800000, v7
	s_delay_alu instid0(VALU_DEP_1)
	v_cmp_ne_u32_e32 vcc_lo, 0x7f800000, v8
                                        ; implicit-def: $vgpr8
	s_and_saveexec_b32 s39, vcc_lo
	s_wait_alu 0xfffe
	s_xor_b32 s39, exec_lo, s39
; %bb.38:                               ;   in Loop: Header=BB661_4 Depth=1
	v_bfe_u32 v8, v7, 16, 1
	s_delay_alu instid0(VALU_DEP_1)
	v_add3_u32 v8, v7, v8, 0x7fff
                                        ; implicit-def: $vgpr7
; %bb.39:                               ;   in Loop: Header=BB661_4 Depth=1
	s_wait_alu 0xfffe
	s_and_not1_saveexec_b32 s39, s39
; %bb.40:                               ;   in Loop: Header=BB661_4 Depth=1
	v_and_b32_e32 v8, 0xffff, v7
	v_or_b32_e32 v9, 0x10000, v7
	s_delay_alu instid0(VALU_DEP_2) | instskip(SKIP_1) | instid1(VALU_DEP_2)
	v_cmp_eq_u32_e32 vcc_lo, 0, v8
	s_wait_alu 0xfffd
	v_cndmask_b32_e32 v8, v9, v7, vcc_lo
; %bb.41:                               ;   in Loop: Header=BB661_4 Depth=1
	s_wait_alu 0xfffe
	s_or_b32 exec_lo, exec_lo, s39
	s_delay_alu instid0(VALU_DEP_1) | instskip(NEXT) | instid1(VALU_DEP_1)
	v_and_b32_e32 v7, 0xffff0000, v8
	v_add_f32_e32 v18, v18, v7
	s_or_b32 exec_lo, exec_lo, s5
	s_and_saveexec_b32 s5, s1
	s_cbranch_execnz .LBB661_16
	s_branch .LBB661_17
.LBB661_42:
	s_endpgm
	.section	.rodata,"a",@progbits
	.p2align	6, 0x0
	.amdhsa_kernel _ZL32rocblas_gemvt_warp_reduce_kernelILb1ELi1024El16rocblas_bfloat16ffEviiT3_lPKT2_lT1_lS4_lS5_lS1_lPT4_lS5_li
		.amdhsa_group_segment_fixed_size 128
		.amdhsa_private_segment_fixed_size 0
		.amdhsa_kernarg_size 140
		.amdhsa_user_sgpr_count 2
		.amdhsa_user_sgpr_dispatch_ptr 0
		.amdhsa_user_sgpr_queue_ptr 0
		.amdhsa_user_sgpr_kernarg_segment_ptr 1
		.amdhsa_user_sgpr_dispatch_id 0
		.amdhsa_user_sgpr_private_segment_size 0
		.amdhsa_wavefront_size32 1
		.amdhsa_uses_dynamic_stack 0
		.amdhsa_enable_private_segment 0
		.amdhsa_system_sgpr_workgroup_id_x 1
		.amdhsa_system_sgpr_workgroup_id_y 0
		.amdhsa_system_sgpr_workgroup_id_z 1
		.amdhsa_system_sgpr_workgroup_info 0
		.amdhsa_system_vgpr_workitem_id 0
		.amdhsa_next_free_vgpr 23
		.amdhsa_next_free_sgpr 44
		.amdhsa_reserve_vcc 1
		.amdhsa_float_round_mode_32 0
		.amdhsa_float_round_mode_16_64 0
		.amdhsa_float_denorm_mode_32 3
		.amdhsa_float_denorm_mode_16_64 3
		.amdhsa_fp16_overflow 0
		.amdhsa_workgroup_processor_mode 1
		.amdhsa_memory_ordered 1
		.amdhsa_forward_progress 1
		.amdhsa_inst_pref_size 15
		.amdhsa_round_robin_scheduling 0
		.amdhsa_exception_fp_ieee_invalid_op 0
		.amdhsa_exception_fp_denorm_src 0
		.amdhsa_exception_fp_ieee_div_zero 0
		.amdhsa_exception_fp_ieee_overflow 0
		.amdhsa_exception_fp_ieee_underflow 0
		.amdhsa_exception_fp_ieee_inexact 0
		.amdhsa_exception_int_div_zero 0
	.end_amdhsa_kernel
	.section	.text._ZL32rocblas_gemvt_warp_reduce_kernelILb1ELi1024El16rocblas_bfloat16ffEviiT3_lPKT2_lT1_lS4_lS5_lS1_lPT4_lS5_li,"axG",@progbits,_ZL32rocblas_gemvt_warp_reduce_kernelILb1ELi1024El16rocblas_bfloat16ffEviiT3_lPKT2_lT1_lS4_lS5_lS1_lPT4_lS5_li,comdat
.Lfunc_end661:
	.size	_ZL32rocblas_gemvt_warp_reduce_kernelILb1ELi1024El16rocblas_bfloat16ffEviiT3_lPKT2_lT1_lS4_lS5_lS1_lPT4_lS5_li, .Lfunc_end661-_ZL32rocblas_gemvt_warp_reduce_kernelILb1ELi1024El16rocblas_bfloat16ffEviiT3_lPKT2_lT1_lS4_lS5_lS1_lPT4_lS5_li
                                        ; -- End function
	.set _ZL32rocblas_gemvt_warp_reduce_kernelILb1ELi1024El16rocblas_bfloat16ffEviiT3_lPKT2_lT1_lS4_lS5_lS1_lPT4_lS5_li.num_vgpr, 23
	.set _ZL32rocblas_gemvt_warp_reduce_kernelILb1ELi1024El16rocblas_bfloat16ffEviiT3_lPKT2_lT1_lS4_lS5_lS1_lPT4_lS5_li.num_agpr, 0
	.set _ZL32rocblas_gemvt_warp_reduce_kernelILb1ELi1024El16rocblas_bfloat16ffEviiT3_lPKT2_lT1_lS4_lS5_lS1_lPT4_lS5_li.numbered_sgpr, 44
	.set _ZL32rocblas_gemvt_warp_reduce_kernelILb1ELi1024El16rocblas_bfloat16ffEviiT3_lPKT2_lT1_lS4_lS5_lS1_lPT4_lS5_li.num_named_barrier, 0
	.set _ZL32rocblas_gemvt_warp_reduce_kernelILb1ELi1024El16rocblas_bfloat16ffEviiT3_lPKT2_lT1_lS4_lS5_lS1_lPT4_lS5_li.private_seg_size, 0
	.set _ZL32rocblas_gemvt_warp_reduce_kernelILb1ELi1024El16rocblas_bfloat16ffEviiT3_lPKT2_lT1_lS4_lS5_lS1_lPT4_lS5_li.uses_vcc, 1
	.set _ZL32rocblas_gemvt_warp_reduce_kernelILb1ELi1024El16rocblas_bfloat16ffEviiT3_lPKT2_lT1_lS4_lS5_lS1_lPT4_lS5_li.uses_flat_scratch, 0
	.set _ZL32rocblas_gemvt_warp_reduce_kernelILb1ELi1024El16rocblas_bfloat16ffEviiT3_lPKT2_lT1_lS4_lS5_lS1_lPT4_lS5_li.has_dyn_sized_stack, 0
	.set _ZL32rocblas_gemvt_warp_reduce_kernelILb1ELi1024El16rocblas_bfloat16ffEviiT3_lPKT2_lT1_lS4_lS5_lS1_lPT4_lS5_li.has_recursion, 0
	.set _ZL32rocblas_gemvt_warp_reduce_kernelILb1ELi1024El16rocblas_bfloat16ffEviiT3_lPKT2_lT1_lS4_lS5_lS1_lPT4_lS5_li.has_indirect_call, 0
	.section	.AMDGPU.csdata,"",@progbits
; Kernel info:
; codeLenInByte = 1828
; TotalNumSgprs: 46
; NumVgprs: 23
; ScratchSize: 0
; MemoryBound: 0
; FloatMode: 240
; IeeeMode: 1
; LDSByteSize: 128 bytes/workgroup (compile time only)
; SGPRBlocks: 0
; VGPRBlocks: 2
; NumSGPRsForWavesPerEU: 46
; NumVGPRsForWavesPerEU: 23
; Occupancy: 16
; WaveLimiterHint : 0
; COMPUTE_PGM_RSRC2:SCRATCH_EN: 0
; COMPUTE_PGM_RSRC2:USER_SGPR: 2
; COMPUTE_PGM_RSRC2:TRAP_HANDLER: 0
; COMPUTE_PGM_RSRC2:TGID_X_EN: 1
; COMPUTE_PGM_RSRC2:TGID_Y_EN: 0
; COMPUTE_PGM_RSRC2:TGID_Z_EN: 1
; COMPUTE_PGM_RSRC2:TIDIG_COMP_CNT: 0
	.section	.text._ZL34rocblas_gemvn_sm_mn_batched_kernelILi32ELi24EPK16rocblas_bfloat16PKfKPfEviiT2_lPKT1_lilSA_lilS7_lPT3_lili,"axG",@progbits,_ZL34rocblas_gemvn_sm_mn_batched_kernelILi32ELi24EPK16rocblas_bfloat16PKfKPfEviiT2_lPKT1_lilSA_lilS7_lPT3_lili,comdat
	.globl	_ZL34rocblas_gemvn_sm_mn_batched_kernelILi32ELi24EPK16rocblas_bfloat16PKfKPfEviiT2_lPKT1_lilSA_lilS7_lPT3_lili ; -- Begin function _ZL34rocblas_gemvn_sm_mn_batched_kernelILi32ELi24EPK16rocblas_bfloat16PKfKPfEviiT2_lPKT1_lilSA_lilS7_lPT3_lili
	.p2align	8
	.type	_ZL34rocblas_gemvn_sm_mn_batched_kernelILi32ELi24EPK16rocblas_bfloat16PKfKPfEviiT2_lPKT1_lilSA_lilS7_lPT3_lili,@function
_ZL34rocblas_gemvn_sm_mn_batched_kernelILi32ELi24EPK16rocblas_bfloat16PKfKPfEviiT2_lPKT1_lilSA_lilS7_lPT3_lili: ; @_ZL34rocblas_gemvn_sm_mn_batched_kernelILi32ELi24EPK16rocblas_bfloat16PKfKPfEviiT2_lPKT1_lilSA_lilS7_lPT3_lili
; %bb.0:
	s_endpgm
	.section	.rodata,"a",@progbits
	.p2align	6, 0x0
	.amdhsa_kernel _ZL34rocblas_gemvn_sm_mn_batched_kernelILi32ELi24EPK16rocblas_bfloat16PKfKPfEviiT2_lPKT1_lilSA_lilS7_lPT3_lili
		.amdhsa_group_segment_fixed_size 0
		.amdhsa_private_segment_fixed_size 0
		.amdhsa_kernarg_size 140
		.amdhsa_user_sgpr_count 2
		.amdhsa_user_sgpr_dispatch_ptr 0
		.amdhsa_user_sgpr_queue_ptr 0
		.amdhsa_user_sgpr_kernarg_segment_ptr 1
		.amdhsa_user_sgpr_dispatch_id 0
		.amdhsa_user_sgpr_private_segment_size 0
		.amdhsa_wavefront_size32 1
		.amdhsa_uses_dynamic_stack 0
		.amdhsa_enable_private_segment 0
		.amdhsa_system_sgpr_workgroup_id_x 1
		.amdhsa_system_sgpr_workgroup_id_y 0
		.amdhsa_system_sgpr_workgroup_id_z 0
		.amdhsa_system_sgpr_workgroup_info 0
		.amdhsa_system_vgpr_workitem_id 0
		.amdhsa_next_free_vgpr 1
		.amdhsa_next_free_sgpr 1
		.amdhsa_reserve_vcc 0
		.amdhsa_float_round_mode_32 0
		.amdhsa_float_round_mode_16_64 0
		.amdhsa_float_denorm_mode_32 3
		.amdhsa_float_denorm_mode_16_64 3
		.amdhsa_fp16_overflow 0
		.amdhsa_workgroup_processor_mode 1
		.amdhsa_memory_ordered 1
		.amdhsa_forward_progress 1
		.amdhsa_inst_pref_size 1
		.amdhsa_round_robin_scheduling 0
		.amdhsa_exception_fp_ieee_invalid_op 0
		.amdhsa_exception_fp_denorm_src 0
		.amdhsa_exception_fp_ieee_div_zero 0
		.amdhsa_exception_fp_ieee_overflow 0
		.amdhsa_exception_fp_ieee_underflow 0
		.amdhsa_exception_fp_ieee_inexact 0
		.amdhsa_exception_int_div_zero 0
	.end_amdhsa_kernel
	.section	.text._ZL34rocblas_gemvn_sm_mn_batched_kernelILi32ELi24EPK16rocblas_bfloat16PKfKPfEviiT2_lPKT1_lilSA_lilS7_lPT3_lili,"axG",@progbits,_ZL34rocblas_gemvn_sm_mn_batched_kernelILi32ELi24EPK16rocblas_bfloat16PKfKPfEviiT2_lPKT1_lilSA_lilS7_lPT3_lili,comdat
.Lfunc_end662:
	.size	_ZL34rocblas_gemvn_sm_mn_batched_kernelILi32ELi24EPK16rocblas_bfloat16PKfKPfEviiT2_lPKT1_lilSA_lilS7_lPT3_lili, .Lfunc_end662-_ZL34rocblas_gemvn_sm_mn_batched_kernelILi32ELi24EPK16rocblas_bfloat16PKfKPfEviiT2_lPKT1_lilSA_lilS7_lPT3_lili
                                        ; -- End function
	.set _ZL34rocblas_gemvn_sm_mn_batched_kernelILi32ELi24EPK16rocblas_bfloat16PKfKPfEviiT2_lPKT1_lilSA_lilS7_lPT3_lili.num_vgpr, 0
	.set _ZL34rocblas_gemvn_sm_mn_batched_kernelILi32ELi24EPK16rocblas_bfloat16PKfKPfEviiT2_lPKT1_lilSA_lilS7_lPT3_lili.num_agpr, 0
	.set _ZL34rocblas_gemvn_sm_mn_batched_kernelILi32ELi24EPK16rocblas_bfloat16PKfKPfEviiT2_lPKT1_lilSA_lilS7_lPT3_lili.numbered_sgpr, 0
	.set _ZL34rocblas_gemvn_sm_mn_batched_kernelILi32ELi24EPK16rocblas_bfloat16PKfKPfEviiT2_lPKT1_lilSA_lilS7_lPT3_lili.num_named_barrier, 0
	.set _ZL34rocblas_gemvn_sm_mn_batched_kernelILi32ELi24EPK16rocblas_bfloat16PKfKPfEviiT2_lPKT1_lilSA_lilS7_lPT3_lili.private_seg_size, 0
	.set _ZL34rocblas_gemvn_sm_mn_batched_kernelILi32ELi24EPK16rocblas_bfloat16PKfKPfEviiT2_lPKT1_lilSA_lilS7_lPT3_lili.uses_vcc, 0
	.set _ZL34rocblas_gemvn_sm_mn_batched_kernelILi32ELi24EPK16rocblas_bfloat16PKfKPfEviiT2_lPKT1_lilSA_lilS7_lPT3_lili.uses_flat_scratch, 0
	.set _ZL34rocblas_gemvn_sm_mn_batched_kernelILi32ELi24EPK16rocblas_bfloat16PKfKPfEviiT2_lPKT1_lilSA_lilS7_lPT3_lili.has_dyn_sized_stack, 0
	.set _ZL34rocblas_gemvn_sm_mn_batched_kernelILi32ELi24EPK16rocblas_bfloat16PKfKPfEviiT2_lPKT1_lilSA_lilS7_lPT3_lili.has_recursion, 0
	.set _ZL34rocblas_gemvn_sm_mn_batched_kernelILi32ELi24EPK16rocblas_bfloat16PKfKPfEviiT2_lPKT1_lilSA_lilS7_lPT3_lili.has_indirect_call, 0
	.section	.AMDGPU.csdata,"",@progbits
; Kernel info:
; codeLenInByte = 4
; TotalNumSgprs: 0
; NumVgprs: 0
; ScratchSize: 0
; MemoryBound: 0
; FloatMode: 240
; IeeeMode: 1
; LDSByteSize: 0 bytes/workgroup (compile time only)
; SGPRBlocks: 0
; VGPRBlocks: 0
; NumSGPRsForWavesPerEU: 1
; NumVGPRsForWavesPerEU: 1
; Occupancy: 16
; WaveLimiterHint : 0
; COMPUTE_PGM_RSRC2:SCRATCH_EN: 0
; COMPUTE_PGM_RSRC2:USER_SGPR: 2
; COMPUTE_PGM_RSRC2:TRAP_HANDLER: 0
; COMPUTE_PGM_RSRC2:TGID_X_EN: 1
; COMPUTE_PGM_RSRC2:TGID_Y_EN: 0
; COMPUTE_PGM_RSRC2:TGID_Z_EN: 0
; COMPUTE_PGM_RSRC2:TIDIG_COMP_CNT: 0
	.section	.text._ZL34rocblas_gemvn_sm_mn_batched_kernelILi32ELi24EPK16rocblas_bfloat16fKPfEviiT2_lPKT1_lilS8_lilS5_lPT3_lili,"axG",@progbits,_ZL34rocblas_gemvn_sm_mn_batched_kernelILi32ELi24EPK16rocblas_bfloat16fKPfEviiT2_lPKT1_lilS8_lilS5_lPT3_lili,comdat
	.globl	_ZL34rocblas_gemvn_sm_mn_batched_kernelILi32ELi24EPK16rocblas_bfloat16fKPfEviiT2_lPKT1_lilS8_lilS5_lPT3_lili ; -- Begin function _ZL34rocblas_gemvn_sm_mn_batched_kernelILi32ELi24EPK16rocblas_bfloat16fKPfEviiT2_lPKT1_lilS8_lilS5_lPT3_lili
	.p2align	8
	.type	_ZL34rocblas_gemvn_sm_mn_batched_kernelILi32ELi24EPK16rocblas_bfloat16fKPfEviiT2_lPKT1_lilS8_lilS5_lPT3_lili,@function
_ZL34rocblas_gemvn_sm_mn_batched_kernelILi32ELi24EPK16rocblas_bfloat16fKPfEviiT2_lPKT1_lilS8_lilS5_lPT3_lili: ; @_ZL34rocblas_gemvn_sm_mn_batched_kernelILi32ELi24EPK16rocblas_bfloat16fKPfEviiT2_lPKT1_lilS8_lilS5_lPT3_lili
; %bb.0:
	s_endpgm
	.section	.rodata,"a",@progbits
	.p2align	6, 0x0
	.amdhsa_kernel _ZL34rocblas_gemvn_sm_mn_batched_kernelILi32ELi24EPK16rocblas_bfloat16fKPfEviiT2_lPKT1_lilS8_lilS5_lPT3_lili
		.amdhsa_group_segment_fixed_size 0
		.amdhsa_private_segment_fixed_size 0
		.amdhsa_kernarg_size 140
		.amdhsa_user_sgpr_count 2
		.amdhsa_user_sgpr_dispatch_ptr 0
		.amdhsa_user_sgpr_queue_ptr 0
		.amdhsa_user_sgpr_kernarg_segment_ptr 1
		.amdhsa_user_sgpr_dispatch_id 0
		.amdhsa_user_sgpr_private_segment_size 0
		.amdhsa_wavefront_size32 1
		.amdhsa_uses_dynamic_stack 0
		.amdhsa_enable_private_segment 0
		.amdhsa_system_sgpr_workgroup_id_x 1
		.amdhsa_system_sgpr_workgroup_id_y 0
		.amdhsa_system_sgpr_workgroup_id_z 0
		.amdhsa_system_sgpr_workgroup_info 0
		.amdhsa_system_vgpr_workitem_id 0
		.amdhsa_next_free_vgpr 1
		.amdhsa_next_free_sgpr 1
		.amdhsa_reserve_vcc 0
		.amdhsa_float_round_mode_32 0
		.amdhsa_float_round_mode_16_64 0
		.amdhsa_float_denorm_mode_32 3
		.amdhsa_float_denorm_mode_16_64 3
		.amdhsa_fp16_overflow 0
		.amdhsa_workgroup_processor_mode 1
		.amdhsa_memory_ordered 1
		.amdhsa_forward_progress 1
		.amdhsa_inst_pref_size 1
		.amdhsa_round_robin_scheduling 0
		.amdhsa_exception_fp_ieee_invalid_op 0
		.amdhsa_exception_fp_denorm_src 0
		.amdhsa_exception_fp_ieee_div_zero 0
		.amdhsa_exception_fp_ieee_overflow 0
		.amdhsa_exception_fp_ieee_underflow 0
		.amdhsa_exception_fp_ieee_inexact 0
		.amdhsa_exception_int_div_zero 0
	.end_amdhsa_kernel
	.section	.text._ZL34rocblas_gemvn_sm_mn_batched_kernelILi32ELi24EPK16rocblas_bfloat16fKPfEviiT2_lPKT1_lilS8_lilS5_lPT3_lili,"axG",@progbits,_ZL34rocblas_gemvn_sm_mn_batched_kernelILi32ELi24EPK16rocblas_bfloat16fKPfEviiT2_lPKT1_lilS8_lilS5_lPT3_lili,comdat
.Lfunc_end663:
	.size	_ZL34rocblas_gemvn_sm_mn_batched_kernelILi32ELi24EPK16rocblas_bfloat16fKPfEviiT2_lPKT1_lilS8_lilS5_lPT3_lili, .Lfunc_end663-_ZL34rocblas_gemvn_sm_mn_batched_kernelILi32ELi24EPK16rocblas_bfloat16fKPfEviiT2_lPKT1_lilS8_lilS5_lPT3_lili
                                        ; -- End function
	.set _ZL34rocblas_gemvn_sm_mn_batched_kernelILi32ELi24EPK16rocblas_bfloat16fKPfEviiT2_lPKT1_lilS8_lilS5_lPT3_lili.num_vgpr, 0
	.set _ZL34rocblas_gemvn_sm_mn_batched_kernelILi32ELi24EPK16rocblas_bfloat16fKPfEviiT2_lPKT1_lilS8_lilS5_lPT3_lili.num_agpr, 0
	.set _ZL34rocblas_gemvn_sm_mn_batched_kernelILi32ELi24EPK16rocblas_bfloat16fKPfEviiT2_lPKT1_lilS8_lilS5_lPT3_lili.numbered_sgpr, 0
	.set _ZL34rocblas_gemvn_sm_mn_batched_kernelILi32ELi24EPK16rocblas_bfloat16fKPfEviiT2_lPKT1_lilS8_lilS5_lPT3_lili.num_named_barrier, 0
	.set _ZL34rocblas_gemvn_sm_mn_batched_kernelILi32ELi24EPK16rocblas_bfloat16fKPfEviiT2_lPKT1_lilS8_lilS5_lPT3_lili.private_seg_size, 0
	.set _ZL34rocblas_gemvn_sm_mn_batched_kernelILi32ELi24EPK16rocblas_bfloat16fKPfEviiT2_lPKT1_lilS8_lilS5_lPT3_lili.uses_vcc, 0
	.set _ZL34rocblas_gemvn_sm_mn_batched_kernelILi32ELi24EPK16rocblas_bfloat16fKPfEviiT2_lPKT1_lilS8_lilS5_lPT3_lili.uses_flat_scratch, 0
	.set _ZL34rocblas_gemvn_sm_mn_batched_kernelILi32ELi24EPK16rocblas_bfloat16fKPfEviiT2_lPKT1_lilS8_lilS5_lPT3_lili.has_dyn_sized_stack, 0
	.set _ZL34rocblas_gemvn_sm_mn_batched_kernelILi32ELi24EPK16rocblas_bfloat16fKPfEviiT2_lPKT1_lilS8_lilS5_lPT3_lili.has_recursion, 0
	.set _ZL34rocblas_gemvn_sm_mn_batched_kernelILi32ELi24EPK16rocblas_bfloat16fKPfEviiT2_lPKT1_lilS8_lilS5_lPT3_lili.has_indirect_call, 0
	.section	.AMDGPU.csdata,"",@progbits
; Kernel info:
; codeLenInByte = 4
; TotalNumSgprs: 0
; NumVgprs: 0
; ScratchSize: 0
; MemoryBound: 0
; FloatMode: 240
; IeeeMode: 1
; LDSByteSize: 0 bytes/workgroup (compile time only)
; SGPRBlocks: 0
; VGPRBlocks: 0
; NumSGPRsForWavesPerEU: 1
; NumVGPRsForWavesPerEU: 1
; Occupancy: 16
; WaveLimiterHint : 0
; COMPUTE_PGM_RSRC2:SCRATCH_EN: 0
; COMPUTE_PGM_RSRC2:USER_SGPR: 2
; COMPUTE_PGM_RSRC2:TRAP_HANDLER: 0
; COMPUTE_PGM_RSRC2:TGID_X_EN: 1
; COMPUTE_PGM_RSRC2:TGID_Y_EN: 0
; COMPUTE_PGM_RSRC2:TGID_Z_EN: 0
; COMPUTE_PGM_RSRC2:TIDIG_COMP_CNT: 0
	.section	.text._ZL20rocblas_gemvn_kernelILi64ELi4EiPK16rocblas_bfloat16PKfKPfEviiT3_lPKT2_lT1_lSA_lSB_lS7_lPT4_lSB_li,"axG",@progbits,_ZL20rocblas_gemvn_kernelILi64ELi4EiPK16rocblas_bfloat16PKfKPfEviiT3_lPKT2_lT1_lSA_lSB_lS7_lPT4_lSB_li,comdat
	.globl	_ZL20rocblas_gemvn_kernelILi64ELi4EiPK16rocblas_bfloat16PKfKPfEviiT3_lPKT2_lT1_lSA_lSB_lS7_lPT4_lSB_li ; -- Begin function _ZL20rocblas_gemvn_kernelILi64ELi4EiPK16rocblas_bfloat16PKfKPfEviiT3_lPKT2_lT1_lSA_lSB_lS7_lPT4_lSB_li
	.p2align	8
	.type	_ZL20rocblas_gemvn_kernelILi64ELi4EiPK16rocblas_bfloat16PKfKPfEviiT3_lPKT2_lT1_lSA_lSB_lS7_lPT4_lSB_li,@function
_ZL20rocblas_gemvn_kernelILi64ELi4EiPK16rocblas_bfloat16PKfKPfEviiT3_lPKT2_lT1_lSA_lSB_lS7_lPT4_lSB_li: ; @_ZL20rocblas_gemvn_kernelILi64ELi4EiPK16rocblas_bfloat16PKfKPfEviiT3_lPKT2_lT1_lSA_lSB_lS7_lPT4_lSB_li
; %bb.0:
	s_clause 0x1
	s_load_b64 s[2:3], s[0:1], 0x9c
	s_load_b32 s33, s[0:1], 0x88
	s_lshr_b32 s10, ttmp7, 16
	s_wait_kmcnt 0x0
	s_lshr_b32 s4, s2, 16
	s_and_b32 s2, s2, 0xffff
	s_and_b32 s3, s3, 0xffff
	s_mul_i32 s2, s4, s2
	s_delay_alu instid0(SALU_CYCLE_1) | instskip(NEXT) | instid1(SALU_CYCLE_1)
	s_mul_i32 s2, s2, s3
	s_cmp_lg_u32 s2, 0x100
	s_cselect_b32 s2, -1, 0
	s_cmp_ge_u32 s10, s33
	s_cselect_b32 s3, -1, 0
	s_delay_alu instid0(SALU_CYCLE_1) | instskip(NEXT) | instid1(SALU_CYCLE_1)
	s_or_b32 s2, s2, s3
	s_and_b32 vcc_lo, exec_lo, s2
	s_cbranch_vccnz .LBB664_56
; %bb.1:
	s_clause 0x2
	s_load_b32 s6, s[0:1], 0x78
	s_load_b64 s[8:9], s[0:1], 0x0
	s_load_b256 s[12:19], s[0:1], 0x8
	v_and_b32_e32 v9, 0x3ff, v0
	v_bfe_u32 v8, v0, 10, 10
	s_clause 0x3
	s_load_b32 s35, s[0:1], 0x28
	s_load_b128 s[28:31], s[0:1], 0x38
	s_load_b32 s34, s[0:1], 0x48
	s_load_b256 s[20:27], s[0:1], 0x58
	s_lshl_b32 s36, ttmp9, 8
	v_mov_b32_e32 v1, 0
	v_or_b32_e32 v23, s36, v9
	v_lshl_add_u32 v5, v8, 6, v9
	v_lshlrev_b32_e32 v24, 2, v8
	v_lshlrev_b32_e32 v6, 2, v9
	s_mov_b32 s11, 0
	v_add_nc_u32_e32 v7, 0x80, v23
	v_add_nc_u32_e32 v0, s36, v5
	v_add_nc_u32_e32 v4, 64, v23
	v_or_b32_e32 v11, s36, v5
	v_add_nc_u32_e32 v10, 0xc0, v23
	v_or_b32_e32 v12, 3, v24
	v_lshl_add_u32 v25, v8, 8, v6
	s_wait_kmcnt 0x0
	v_mad_co_u64_u32 v[2:3], null, s6, v0, 0
	s_ashr_i32 s3, s6, 31
	v_cmp_gt_i32_e64 s2, s8, v7
	v_mul_lo_u32 v7, s35, v24
	s_ashr_i32 s7, s9, 31
	v_cmp_gt_i32_e64 s1, s8, v4
	s_wait_alu 0xfffe
	s_lshr_b32 s7, s7, 28
	v_mad_co_u64_u32 v[3:4], null, s3, v0, v[3:4]
	v_mul_lo_u32 v4, s6, v11
	v_cmp_gt_i32_e64 s6, s8, v11
	v_mul_lo_u32 v11, v8, s35
	v_cmp_gt_i32_e64 s3, s8, v10
	v_or_b32_e32 v10, 2, v24
	s_wait_alu 0xfffe
	s_add_co_i32 s7, s9, s7
	v_mul_lo_u32 v13, v8, s34
	s_ashr_i32 s5, s8, 31
	s_mov_b32 s4, s8
	s_wait_alu 0xfffe
	s_and_b32 s37, s7, -16
	v_cmp_gt_i64_e32 vcc_lo, s[4:5], v[0:1]
	v_lshl_add_u32 v0, v8, 10, v6
	v_add3_u32 v26, v7, s35, v9
	v_mad_co_u64_u32 v[6:7], null, s35, v10, v[9:10]
	s_wait_alu 0xfffe
	s_sub_co_i32 s5, s9, s37
	v_mad_co_u64_u32 v[7:8], null, s35, v12, v[9:10]
	v_lshl_add_u32 v27, v11, 2, v9
	v_mad_co_u64_u32 v[8:9], null, s34, v24, s[34:35]
	v_mul_lo_u32 v28, s34, v10
	v_mul_lo_u32 v29, s34, v12
	s_wait_alu 0xfffe
	s_cmp_gt_i32 s5, 0
	v_cmp_gt_u32_e64 s5, 0x100, v5
	v_lshlrev_b64_e32 v[9:10], 2, v[2:3]
	v_cmp_gt_i32_e64 s0, s8, v23
	v_cmp_gt_i32_e64 s4, s37, v24
	v_ashrrev_i32_e32 v5, 31, v4
	v_lshlrev_b32_e32 v30, 2, v13
	s_cselect_b32 s38, -1, 0
	s_and_b32 s39, s5, vcc_lo
	s_lshl_b32 s40, s35, 4
	s_lshl_b32 s41, s34, 4
	s_lshl_b64 s[18:19], s[18:19], 1
	s_lshl_b64 s[30:31], s[30:31], 1
	;; [unrolled: 1-line block ×3, first 2 shown]
	s_branch .LBB664_4
.LBB664_2:                              ;   in Loop: Header=BB664_4 Depth=1
	s_wait_alu 0xfffe
	s_or_b32 exec_lo, exec_lo, s7
.LBB664_3:                              ;   in Loop: Header=BB664_4 Depth=1
	s_add_co_i32 s10, s10, 0x10000
	s_delay_alu instid0(SALU_CYCLE_1)
	s_cmp_lt_u32 s10, s33
	s_cbranch_scc0 .LBB664_56
.LBB664_4:                              ; =>This Loop Header: Depth=1
                                        ;     Child Loop BB664_24 Depth 2
	s_mul_u64 s[42:43], s[14:15], s[10:11]
	s_mul_u64 s[44:45], s[22:23], s[10:11]
	s_wait_alu 0xfffe
	s_lshl_b64 s[42:43], s[42:43], 2
	s_lshl_b64 s[44:45], s[44:45], 2
	s_wait_alu 0xfffe
	s_add_nc_u64 s[42:43], s[12:13], s[42:43]
	s_add_nc_u64 s[44:45], s[20:21], s[44:45]
	s_clause 0x1
	global_load_b32 v31, v1, s[42:43]
	global_load_b32 v11, v1, s[44:45]
	s_wait_loadcnt 0x1
	v_cmp_eq_f32_e64 s7, 0, v31
	s_wait_loadcnt 0x0
	v_cmp_eq_f32_e32 vcc_lo, 1.0, v11
	v_readfirstlane_b32 s42, v11
	s_and_b32 s8, s7, vcc_lo
	s_wait_alu 0xfffe
	s_and_b32 vcc_lo, exec_lo, s8
	s_wait_alu 0xfffe
	s_cbranch_vccnz .LBB664_3
; %bb.5:                                ;   in Loop: Header=BB664_4 Depth=1
	v_mov_b32_e32 v13, 0
	v_dual_mov_b32 v14, 0 :: v_dual_mov_b32 v11, 0
	v_cmp_neq_f32_e64 s8, 0, v31
	v_mov_b32_e32 v12, 0
	s_and_b32 vcc_lo, exec_lo, s7
	s_wait_alu 0xfffe
	s_cbranch_vccnz .LBB664_7
; %bb.6:                                ;   in Loop: Header=BB664_4 Depth=1
	s_lshl_b64 s[44:45], s[10:11], 3
	s_wait_alu 0xfffe
	s_add_nc_u64 s[44:45], s[16:17], s[44:45]
	global_load_b64 v[11:12], v1, s[44:45]
	s_wait_loadcnt 0x0
	v_add_co_u32 v11, vcc_lo, v11, s18
	s_wait_alu 0xfffd
	v_add_co_ci_u32_e64 v12, null, s19, v12, vcc_lo
.LBB664_7:                              ;   in Loop: Header=BB664_4 Depth=1
	s_and_not1_b32 vcc_lo, exec_lo, s8
	s_wait_alu 0xfffe
	s_cbranch_vccnz .LBB664_9
; %bb.8:                                ;   in Loop: Header=BB664_4 Depth=1
	s_lshl_b64 s[44:45], s[10:11], 3
	s_wait_alu 0xfffe
	s_add_nc_u64 s[44:45], s[28:29], s[44:45]
	global_load_b64 v[13:14], v1, s[44:45]
	s_wait_loadcnt 0x0
	v_add_co_u32 v13, vcc_lo, v13, s30
	s_wait_alu 0xfffd
	v_add_co_ci_u32_e64 v14, null, s31, v14, vcc_lo
.LBB664_9:                              ;   in Loop: Header=BB664_4 Depth=1
	s_lshl_b64 s[44:45], s[10:11], 3
	s_wait_alu 0xfffe
	s_add_nc_u64 s[44:45], s[24:25], s[44:45]
	global_load_b64 v[15:16], v1, s[44:45]
	s_wait_loadcnt 0x0
	v_add_co_u32 v32, vcc_lo, v15, s26
	s_wait_alu 0xfffd
	v_add_co_ci_u32_e64 v33, null, s27, v16, vcc_lo
	s_and_not1_b32 vcc_lo, exec_lo, s7
	s_wait_alu 0xfffe
	s_cbranch_vccnz .LBB664_13
; %bb.10:                               ;   in Loop: Header=BB664_4 Depth=1
	s_mov_b32 s7, 0
	s_mov_b32 s8, 0
                                        ; implicit-def: $vgpr15
	s_and_saveexec_b32 s43, s39
	s_cbranch_execz .LBB664_14
; %bb.11:                               ;   in Loop: Header=BB664_4 Depth=1
	s_cmp_eq_f32 s42, 0
	s_cbranch_scc1 .LBB664_16
; %bb.12:                               ;   in Loop: Header=BB664_4 Depth=1
	v_add_co_u32 v15, vcc_lo, v32, v9
	s_wait_alu 0xfffd
	v_add_co_ci_u32_e64 v16, null, v33, v10, vcc_lo
	flat_load_b32 v15, v[15:16]
	s_wait_loadcnt_dscnt 0x0
	v_mul_f32_e32 v15, s42, v15
	s_branch .LBB664_17
.LBB664_13:                             ;   in Loop: Header=BB664_4 Depth=1
	s_mov_b32 s8, 0
                                        ; implicit-def: $vgpr15
	s_cbranch_execz .LBB664_15
	s_branch .LBB664_18
.LBB664_14:                             ;   in Loop: Header=BB664_4 Depth=1
	s_wait_alu 0xfffe
	s_or_b32 exec_lo, exec_lo, s43
	s_delay_alu instid0(SALU_CYCLE_1)
	s_and_b32 vcc_lo, exec_lo, s7
	s_wait_alu 0xfffe
	s_cbranch_vccnz .LBB664_18
.LBB664_15:                             ;   in Loop: Header=BB664_4 Depth=1
	v_dual_mov_b32 v12, v3 :: v_dual_mov_b32 v11, v2
	s_wait_alu 0xfffe
	s_and_saveexec_b32 s7, s8
	s_cbranch_execz .LBB664_2
	s_branch .LBB664_55
.LBB664_16:                             ;   in Loop: Header=BB664_4 Depth=1
	v_mov_b32_e32 v15, 0
.LBB664_17:                             ;   in Loop: Header=BB664_4 Depth=1
	s_mov_b32 s8, exec_lo
	s_wait_alu 0xfffe
	s_or_b32 exec_lo, exec_lo, s43
	s_delay_alu instid0(SALU_CYCLE_1)
	s_and_b32 vcc_lo, exec_lo, s7
	s_wait_alu 0xfffe
	s_cbranch_vccz .LBB664_15
.LBB664_18:                             ;   in Loop: Header=BB664_4 Depth=1
	v_dual_mov_b32 v34, 0 :: v_dual_mov_b32 v35, 0
	v_dual_mov_b32 v38, v24 :: v_dual_mov_b32 v37, 0
	v_mov_b32_e32 v36, 0
	s_and_saveexec_b32 s7, s4
	s_cbranch_execz .LBB664_30
; %bb.19:                               ;   in Loop: Header=BB664_4 Depth=1
	v_dual_mov_b32 v34, 0 :: v_dual_mov_b32 v39, v27
	v_dual_mov_b32 v40, v7 :: v_dual_mov_b32 v41, v6
	v_dual_mov_b32 v42, v26 :: v_dual_mov_b32 v35, 0
	v_dual_mov_b32 v38, v24 :: v_dual_mov_b32 v37, 0
	v_mov_b32_e32 v36, 0
	s_mov_b32 s43, 0
	s_mov_b32 s44, 0
	s_branch .LBB664_24
.LBB664_20:                             ;   in Loop: Header=BB664_24 Depth=2
	s_or_b32 exec_lo, exec_lo, s48
	s_wait_loadcnt_dscnt 0x202
	v_lshlrev_b32_e32 v16, 16, v57
	v_lshlrev_b32_e32 v15, 16, v58
	s_wait_loadcnt_dscnt 0x101
	s_delay_alu instid0(VALU_DEP_1) | instskip(NEXT) | instid1(VALU_DEP_1)
	v_dual_fmac_f32 v36, v50, v15 :: v_dual_lshlrev_b32 v15, 16, v56
	v_fmac_f32_e32 v36, v46, v16
	s_delay_alu instid0(VALU_DEP_1) | instskip(SKIP_2) | instid1(VALU_DEP_1)
	v_fmac_f32_e32 v36, v48, v15
	s_wait_loadcnt_dscnt 0x0
	v_lshlrev_b32_e32 v15, 16, v55
	v_fmac_f32_e32 v36, v44, v15
.LBB664_21:                             ;   in Loop: Header=BB664_24 Depth=2
	s_or_b32 exec_lo, exec_lo, s47
	s_wait_loadcnt_dscnt 0x303
	v_lshlrev_b32_e32 v15, 16, v54
	s_wait_loadcnt_dscnt 0x202
	s_delay_alu instid0(VALU_DEP_1) | instskip(SKIP_2) | instid1(VALU_DEP_2)
	v_dual_fmac_f32 v35, v50, v15 :: v_dual_lshlrev_b32 v16, 16, v53
	s_wait_loadcnt_dscnt 0x101
	v_lshlrev_b32_e32 v15, 16, v52
	v_fmac_f32_e32 v35, v46, v16
	s_delay_alu instid0(VALU_DEP_1) | instskip(SKIP_2) | instid1(VALU_DEP_1)
	v_fmac_f32_e32 v35, v48, v15
	s_wait_loadcnt_dscnt 0x0
	v_lshlrev_b32_e32 v15, 16, v51
	v_fmac_f32_e32 v35, v44, v15
.LBB664_22:                             ;   in Loop: Header=BB664_24 Depth=2
	s_or_b32 exec_lo, exec_lo, s46
	s_wait_loadcnt_dscnt 0x202
	v_lshlrev_b32_e32 v16, 16, v47
	v_lshlrev_b32_e32 v15, 16, v49
	s_wait_loadcnt_dscnt 0x101
	s_delay_alu instid0(VALU_DEP_1) | instskip(NEXT) | instid1(VALU_DEP_1)
	v_dual_fmac_f32 v34, v50, v15 :: v_dual_lshlrev_b32 v15, 16, v45
	v_fmac_f32_e32 v34, v46, v16
	s_delay_alu instid0(VALU_DEP_1) | instskip(SKIP_2) | instid1(VALU_DEP_1)
	v_fmac_f32_e32 v34, v48, v15
	s_wait_loadcnt_dscnt 0x0
	v_lshlrev_b32_e32 v15, 16, v43
	v_fmac_f32_e32 v34, v44, v15
.LBB664_23:                             ;   in Loop: Header=BB664_24 Depth=2
	s_wait_alu 0xfffe
	s_or_b32 exec_lo, exec_lo, s45
	v_add_nc_u32_e32 v38, 16, v38
	v_add_nc_u32_e32 v42, s40, v42
	;; [unrolled: 1-line block ×5, first 2 shown]
	v_cmp_le_i32_e32 vcc_lo, s37, v38
	s_add_co_i32 s44, s44, s41
	s_or_b32 s43, vcc_lo, s43
	s_wait_alu 0xfffe
	s_and_not1_b32 exec_lo, exec_lo, s43
	s_cbranch_execz .LBB664_29
.LBB664_24:                             ;   Parent Loop BB664_4 Depth=1
                                        ; =>  This Inner Loop Header: Depth=2
	s_and_saveexec_b32 s45, s0
	s_cbranch_execz .LBB664_23
; %bb.25:                               ;   in Loop: Header=BB664_24 Depth=2
	s_wait_alu 0xfffe
	v_add_nc_u32_e32 v15, s44, v30
	v_add_nc_u32_e32 v17, s44, v8
	;; [unrolled: 1-line block ×5, first 2 shown]
	v_ashrrev_i32_e32 v16, 31, v15
	v_ashrrev_i32_e32 v18, 31, v17
	;; [unrolled: 1-line block ×5, first 2 shown]
	v_lshlrev_b64_e32 v[15:16], 1, v[15:16]
	v_lshlrev_b64_e32 v[17:18], 1, v[17:18]
	v_lshlrev_b64_e32 v[19:20], 1, v[19:20]
	v_lshlrev_b64_e32 v[21:22], 1, v[21:22]
	v_add_nc_u32_e32 v45, s36, v42
	v_add_nc_u32_e32 v47, s36, v41
	v_add_co_u32 v15, vcc_lo, v13, v15
	s_wait_alu 0xfffd
	v_add_co_ci_u32_e64 v16, null, v14, v16, vcc_lo
	v_add_co_u32 v17, vcc_lo, v13, v17
	s_wait_alu 0xfffd
	v_add_co_ci_u32_e64 v18, null, v14, v18, vcc_lo
	;; [unrolled: 3-line block ×4, first 2 shown]
	v_lshlrev_b64_e32 v[43:44], 1, v[43:44]
	s_clause 0x3
	flat_load_u16 v50, v[15:16]
	flat_load_u16 v51, v[17:18]
	;; [unrolled: 1-line block ×4, first 2 shown]
	v_add_nc_u32_e32 v19, s36, v40
	v_ashrrev_i32_e32 v46, 31, v45
	v_ashrrev_i32_e32 v48, 31, v47
	v_add_co_u32 v15, vcc_lo, v11, v43
	s_delay_alu instid0(VALU_DEP_4) | instskip(NEXT) | instid1(VALU_DEP_4)
	v_ashrrev_i32_e32 v20, 31, v19
	v_lshlrev_b64_e32 v[17:18], 1, v[45:46]
	s_wait_alu 0xfffd
	v_add_co_ci_u32_e64 v16, null, v12, v44, vcc_lo
	v_lshlrev_b64_e32 v[43:44], 1, v[47:48]
	v_lshlrev_b64_e32 v[19:20], 1, v[19:20]
	s_delay_alu instid0(VALU_DEP_4) | instskip(SKIP_2) | instid1(VALU_DEP_4)
	v_add_co_u32 v21, vcc_lo, v11, v17
	s_wait_alu 0xfffd
	v_add_co_ci_u32_e64 v22, null, v12, v18, vcc_lo
	v_add_co_u32 v17, vcc_lo, v11, v43
	s_wait_alu 0xfffd
	v_add_co_ci_u32_e64 v18, null, v12, v44, vcc_lo
	v_add_co_u32 v19, vcc_lo, v11, v19
	s_wait_alu 0xfffd
	v_add_co_ci_u32_e64 v20, null, v12, v20, vcc_lo
	s_clause 0x3
	flat_load_u16 v49, v[15:16]
	flat_load_u16 v47, v[21:22]
	;; [unrolled: 1-line block ×4, first 2 shown]
	s_wait_loadcnt_dscnt 0x707
	v_lshlrev_b32_e32 v50, 16, v50
	s_wait_loadcnt_dscnt 0x606
	v_lshlrev_b32_e32 v46, 16, v51
	;; [unrolled: 2-line block ×4, first 2 shown]
	s_and_saveexec_b32 s46, s1
	s_cbranch_execz .LBB664_22
; %bb.26:                               ;   in Loop: Header=BB664_24 Depth=2
	s_clause 0x3
	flat_load_u16 v54, v[15:16] offset:128
	flat_load_u16 v53, v[21:22] offset:128
	flat_load_u16 v52, v[17:18] offset:128
	flat_load_u16 v51, v[19:20] offset:128
	s_and_saveexec_b32 s47, s2
	s_cbranch_execz .LBB664_21
; %bb.27:                               ;   in Loop: Header=BB664_24 Depth=2
	s_clause 0x3
	flat_load_u16 v58, v[15:16] offset:256
	flat_load_u16 v57, v[21:22] offset:256
	flat_load_u16 v56, v[17:18] offset:256
	flat_load_u16 v55, v[19:20] offset:256
	;; [unrolled: 8-line block ×3, first 2 shown]
	s_wait_loadcnt_dscnt 0x303
	v_lshlrev_b32_e32 v15, 16, v15
	s_wait_loadcnt_dscnt 0x202
	s_delay_alu instid0(VALU_DEP_1) | instskip(SKIP_3) | instid1(VALU_DEP_2)
	v_dual_fmac_f32 v37, v50, v15 :: v_dual_lshlrev_b32 v16, 16, v16
	s_wait_loadcnt_dscnt 0x101
	v_lshlrev_b32_e32 v15, 16, v17
	s_wait_loadcnt_dscnt 0x0
	v_dual_fmac_f32 v37, v46, v16 :: v_dual_lshlrev_b32 v16, 16, v18
	s_delay_alu instid0(VALU_DEP_1) | instskip(NEXT) | instid1(VALU_DEP_1)
	v_fmac_f32_e32 v37, v48, v15
	v_fmac_f32_e32 v37, v44, v16
	s_branch .LBB664_20
.LBB664_29:                             ;   in Loop: Header=BB664_4 Depth=1
	s_or_b32 exec_lo, exec_lo, s43
.LBB664_30:                             ;   in Loop: Header=BB664_4 Depth=1
	s_wait_alu 0xfffe
	s_or_b32 exec_lo, exec_lo, s7
	s_delay_alu instid0(SALU_CYCLE_1)
	s_and_not1_b32 vcc_lo, exec_lo, s38
	s_wait_alu 0xfffe
	s_cbranch_vccnz .LBB664_48
; %bb.31:                               ;   in Loop: Header=BB664_4 Depth=1
	v_cmp_gt_i32_e32 vcc_lo, s9, v38
	v_dual_mov_b32 v20, 0 :: v_dual_mov_b32 v19, 0
	v_or_b32_e32 v15, 1, v38
	v_dual_mov_b32 v22, 0 :: v_dual_mov_b32 v21, 0
	s_and_saveexec_b32 s43, vcc_lo
	s_cbranch_execz .LBB664_39
; %bb.32:                               ;   in Loop: Header=BB664_4 Depth=1
	v_mul_lo_u32 v16, v38, s34
	v_dual_mov_b32 v21, 0 :: v_dual_mov_b32 v20, 0
	v_mov_b32_e32 v19, 0
	s_mov_b32 s44, exec_lo
	s_delay_alu instid0(VALU_DEP_3) | instskip(NEXT) | instid1(VALU_DEP_1)
	v_ashrrev_i32_e32 v17, 31, v16
	v_lshlrev_b64_e32 v[16:17], 1, v[16:17]
	s_delay_alu instid0(VALU_DEP_1) | instskip(SKIP_1) | instid1(VALU_DEP_2)
	v_add_co_u32 v16, s7, v13, v16
	s_wait_alu 0xf1ff
	v_add_co_ci_u32_e64 v17, null, v14, v17, s7
	flat_load_u16 v16, v[16:17]
	v_cmpx_gt_i32_e64 s9, v15
	s_cbranch_execz .LBB664_38
; %bb.33:                               ;   in Loop: Header=BB664_4 Depth=1
	v_mul_lo_u32 v17, v15, s34
	v_dual_mov_b32 v19, 0 :: v_dual_mov_b32 v20, 0
	s_mov_b32 s45, exec_lo
	s_delay_alu instid0(VALU_DEP_2) | instskip(NEXT) | instid1(VALU_DEP_1)
	v_ashrrev_i32_e32 v18, 31, v17
	v_lshlrev_b64_e32 v[17:18], 1, v[17:18]
	s_delay_alu instid0(VALU_DEP_1) | instskip(SKIP_1) | instid1(VALU_DEP_2)
	v_add_co_u32 v17, s7, v13, v17
	s_wait_alu 0xf1ff
	v_add_co_ci_u32_e64 v18, null, v14, v18, s7
	flat_load_u16 v17, v[17:18]
	v_or_b32_e32 v18, 2, v38
	s_delay_alu instid0(VALU_DEP_1)
	v_cmpx_gt_i32_e64 s9, v18
	s_cbranch_execz .LBB664_37
; %bb.34:                               ;   in Loop: Header=BB664_4 Depth=1
	v_mul_lo_u32 v18, v18, s34
	v_or_b32_e32 v20, 3, v38
	s_mov_b32 s46, exec_lo
	s_delay_alu instid0(VALU_DEP_2) | instskip(NEXT) | instid1(VALU_DEP_1)
	v_ashrrev_i32_e32 v19, 31, v18
	v_lshlrev_b64_e32 v[18:19], 1, v[18:19]
	s_delay_alu instid0(VALU_DEP_1) | instskip(SKIP_1) | instid1(VALU_DEP_2)
	v_add_co_u32 v18, s7, v13, v18
	s_wait_alu 0xf1ff
	v_add_co_ci_u32_e64 v19, null, v14, v19, s7
	flat_load_u16 v18, v[18:19]
	v_mov_b32_e32 v19, 0
	v_cmpx_gt_i32_e64 s9, v20
	s_cbranch_execz .LBB664_36
; %bb.35:                               ;   in Loop: Header=BB664_4 Depth=1
	v_mul_lo_u32 v19, v20, s34
	s_delay_alu instid0(VALU_DEP_1) | instskip(NEXT) | instid1(VALU_DEP_1)
	v_ashrrev_i32_e32 v20, 31, v19
	v_lshlrev_b64_e32 v[19:20], 1, v[19:20]
	s_delay_alu instid0(VALU_DEP_1) | instskip(SKIP_1) | instid1(VALU_DEP_2)
	v_add_co_u32 v13, s7, v13, v19
	s_wait_alu 0xf1ff
	v_add_co_ci_u32_e64 v14, null, v14, v20, s7
	flat_load_u16 v13, v[13:14]
	s_wait_loadcnt_dscnt 0x0
	v_lshlrev_b32_e32 v19, 16, v13
.LBB664_36:                             ;   in Loop: Header=BB664_4 Depth=1
	s_or_b32 exec_lo, exec_lo, s46
	s_wait_loadcnt_dscnt 0x0
	v_lshlrev_b32_e32 v20, 16, v18
.LBB664_37:                             ;   in Loop: Header=BB664_4 Depth=1
	s_wait_alu 0xfffe
	s_or_b32 exec_lo, exec_lo, s45
	s_wait_loadcnt_dscnt 0x0
	v_lshlrev_b32_e32 v21, 16, v17
.LBB664_38:                             ;   in Loop: Header=BB664_4 Depth=1
	s_wait_alu 0xfffe
	s_or_b32 exec_lo, exec_lo, s44
	s_wait_loadcnt_dscnt 0x0
	v_lshlrev_b32_e32 v22, 16, v16
.LBB664_39:                             ;   in Loop: Header=BB664_4 Depth=1
	s_wait_alu 0xfffe
	s_or_b32 exec_lo, exec_lo, s43
	s_and_saveexec_b32 s7, s0
	s_cbranch_execz .LBB664_47
; %bb.40:                               ;   in Loop: Header=BB664_4 Depth=1
	v_mul_lo_u32 v14, v38, s35
	v_or_b32_e32 v13, 2, v38
	v_mul_lo_u32 v17, v15, s35
	v_or_b32_e32 v16, 3, v38
	s_delay_alu instid0(VALU_DEP_3) | instskip(NEXT) | instid1(VALU_DEP_2)
	v_mul_lo_u32 v18, v13, s35
	v_mul_lo_u32 v38, v16, s35
	v_cndmask_b32_e32 v14, 0, v14, vcc_lo
	v_cmp_gt_i32_e32 vcc_lo, s9, v15
	s_wait_alu 0xfffd
	v_cndmask_b32_e32 v15, 0, v17, vcc_lo
	v_cmp_gt_i32_e32 vcc_lo, s9, v13
	v_add_nc_u32_e32 v13, v14, v23
	s_delay_alu instid0(VALU_DEP_3)
	v_add_nc_u32_e32 v15, v15, v23
	s_wait_alu 0xfffd
	v_cndmask_b32_e32 v17, 0, v18, vcc_lo
	v_cmp_gt_i32_e32 vcc_lo, s9, v16
	v_ashrrev_i32_e32 v14, 31, v13
	s_wait_alu 0xfffd
	v_cndmask_b32_e32 v16, 0, v38, vcc_lo
	s_delay_alu instid0(VALU_DEP_2) | instskip(NEXT) | instid1(VALU_DEP_2)
	v_lshlrev_b64_e32 v[13:14], 1, v[13:14]
	v_add_nc_u32_e32 v38, v16, v23
	v_add_nc_u32_e32 v17, v17, v23
	v_ashrrev_i32_e32 v16, 31, v15
	s_delay_alu instid0(VALU_DEP_3) | instskip(NEXT) | instid1(VALU_DEP_3)
	v_ashrrev_i32_e32 v39, 31, v38
	v_ashrrev_i32_e32 v18, 31, v17
	s_delay_alu instid0(VALU_DEP_3) | instskip(SKIP_1) | instid1(VALU_DEP_4)
	v_lshlrev_b64_e32 v[40:41], 1, v[15:16]
	v_add_co_u32 v15, vcc_lo, v11, v13
	v_lshlrev_b64_e32 v[38:39], 1, v[38:39]
	s_delay_alu instid0(VALU_DEP_4)
	v_lshlrev_b64_e32 v[42:43], 1, v[17:18]
	s_wait_alu 0xfffd
	v_add_co_ci_u32_e64 v16, null, v12, v14, vcc_lo
	v_add_co_u32 v17, vcc_lo, v11, v40
	s_wait_alu 0xfffd
	v_add_co_ci_u32_e64 v18, null, v12, v41, vcc_lo
	v_add_co_u32 v13, vcc_lo, v11, v42
	s_wait_alu 0xfffd
	v_add_co_ci_u32_e64 v14, null, v12, v43, vcc_lo
	v_add_co_u32 v11, vcc_lo, v11, v38
	s_wait_alu 0xfffd
	v_add_co_ci_u32_e64 v12, null, v12, v39, vcc_lo
	s_clause 0x3
	flat_load_u16 v41, v[15:16]
	flat_load_u16 v40, v[17:18]
	;; [unrolled: 1-line block ×4, first 2 shown]
	s_and_saveexec_b32 s43, s1
	s_cbranch_execz .LBB664_46
; %bb.41:                               ;   in Loop: Header=BB664_4 Depth=1
	s_clause 0x3
	flat_load_u16 v45, v[15:16] offset:128
	flat_load_u16 v44, v[17:18] offset:128
	flat_load_u16 v43, v[13:14] offset:128
	flat_load_u16 v42, v[11:12] offset:128
	s_and_saveexec_b32 s44, s2
	s_cbranch_execz .LBB664_45
; %bb.42:                               ;   in Loop: Header=BB664_4 Depth=1
	s_clause 0x3
	flat_load_u16 v49, v[15:16] offset:256
	flat_load_u16 v48, v[17:18] offset:256
	flat_load_u16 v47, v[13:14] offset:256
	flat_load_u16 v46, v[11:12] offset:256
	s_and_saveexec_b32 s45, s3
	s_cbranch_execz .LBB664_44
; %bb.43:                               ;   in Loop: Header=BB664_4 Depth=1
	s_clause 0x3
	flat_load_u16 v15, v[15:16] offset:384
	flat_load_u16 v16, v[17:18] offset:384
	flat_load_u16 v13, v[13:14] offset:384
	flat_load_u16 v11, v[11:12] offset:384
	s_wait_loadcnt_dscnt 0x0
	v_lshlrev_b32_e32 v11, 16, v11
	v_lshlrev_b32_e32 v14, 16, v16
	;; [unrolled: 1-line block ×3, first 2 shown]
	s_delay_alu instid0(VALU_DEP_1) | instskip(NEXT) | instid1(VALU_DEP_1)
	v_dual_fmac_f32 v37, v22, v12 :: v_dual_lshlrev_b32 v12, 16, v13
	v_fmac_f32_e32 v37, v21, v14
	s_delay_alu instid0(VALU_DEP_1) | instskip(NEXT) | instid1(VALU_DEP_1)
	v_fmac_f32_e32 v37, v20, v12
	v_fmac_f32_e32 v37, v19, v11
.LBB664_44:                             ;   in Loop: Header=BB664_4 Depth=1
	s_wait_alu 0xfffe
	s_or_b32 exec_lo, exec_lo, s45
	s_wait_loadcnt_dscnt 0x202
	v_lshlrev_b32_e32 v12, 16, v48
	v_lshlrev_b32_e32 v11, 16, v49
	s_delay_alu instid0(VALU_DEP_1) | instskip(SKIP_1) | instid1(VALU_DEP_1)
	v_fmac_f32_e32 v36, v22, v11
	s_wait_loadcnt_dscnt 0x101
	v_dual_fmac_f32 v36, v21, v12 :: v_dual_lshlrev_b32 v11, 16, v47
	s_wait_loadcnt_dscnt 0x0
	s_delay_alu instid0(VALU_DEP_1) | instskip(NEXT) | instid1(VALU_DEP_1)
	v_dual_fmac_f32 v36, v20, v11 :: v_dual_lshlrev_b32 v11, 16, v46
	v_fmac_f32_e32 v36, v19, v11
.LBB664_45:                             ;   in Loop: Header=BB664_4 Depth=1
	s_wait_alu 0xfffe
	s_or_b32 exec_lo, exec_lo, s44
	s_wait_loadcnt_dscnt 0x303
	v_lshlrev_b32_e32 v11, 16, v45
	s_wait_loadcnt_dscnt 0x202
	s_delay_alu instid0(VALU_DEP_1) | instskip(SKIP_2) | instid1(VALU_DEP_2)
	v_dual_fmac_f32 v35, v22, v11 :: v_dual_lshlrev_b32 v12, 16, v44
	s_wait_loadcnt_dscnt 0x101
	v_lshlrev_b32_e32 v11, 16, v43
	v_fmac_f32_e32 v35, v21, v12
	s_delay_alu instid0(VALU_DEP_1) | instskip(SKIP_2) | instid1(VALU_DEP_1)
	v_fmac_f32_e32 v35, v20, v11
	s_wait_loadcnt_dscnt 0x0
	v_lshlrev_b32_e32 v11, 16, v42
	v_fmac_f32_e32 v35, v19, v11
.LBB664_46:                             ;   in Loop: Header=BB664_4 Depth=1
	s_wait_alu 0xfffe
	s_or_b32 exec_lo, exec_lo, s43
	s_wait_loadcnt_dscnt 0x202
	v_lshlrev_b32_e32 v12, 16, v40
	v_lshlrev_b32_e32 v11, 16, v41
	s_delay_alu instid0(VALU_DEP_1) | instskip(SKIP_1) | instid1(VALU_DEP_1)
	v_fmac_f32_e32 v34, v22, v11
	s_wait_loadcnt_dscnt 0x101
	v_dual_fmac_f32 v34, v21, v12 :: v_dual_lshlrev_b32 v11, 16, v39
	s_wait_loadcnt_dscnt 0x0
	s_delay_alu instid0(VALU_DEP_1) | instskip(NEXT) | instid1(VALU_DEP_1)
	v_dual_fmac_f32 v34, v20, v11 :: v_dual_lshlrev_b32 v11, 16, v38
	v_fmac_f32_e32 v34, v19, v11
.LBB664_47:                             ;   in Loop: Header=BB664_4 Depth=1
	s_wait_alu 0xfffe
	s_or_b32 exec_lo, exec_lo, s7
.LBB664_48:                             ;   in Loop: Header=BB664_4 Depth=1
	ds_store_2addr_stride64_b32 v0, v34, v35 offset1:1
	ds_store_2addr_stride64_b32 v0, v36, v37 offset0:2 offset1:3
	s_wait_dscnt 0x0
	s_barrier_signal -1
	s_barrier_wait -1
	global_inv scope:SCOPE_SE
                                        ; implicit-def: $vgpr15
	s_and_saveexec_b32 s7, s5
	s_cbranch_execz .LBB664_54
; %bb.49:                               ;   in Loop: Header=BB664_4 Depth=1
	ds_load_2addr_stride64_b32 v[11:12], v25 offset1:4
	ds_load_2addr_stride64_b32 v[13:14], v25 offset0:8 offset1:12
	s_mov_b32 s44, s8
                                        ; implicit-def: $vgpr15
	s_wait_dscnt 0x1
	v_add_f32_e32 v11, v11, v12
	s_wait_dscnt 0x0
	s_delay_alu instid0(VALU_DEP_1) | instskip(NEXT) | instid1(VALU_DEP_1)
	v_add_f32_e32 v11, v13, v11
	v_add_f32_e32 v11, v14, v11
	ds_store_b32 v25, v11
	s_and_saveexec_b32 s43, s6
	s_cbranch_execz .LBB664_53
; %bb.50:                               ;   in Loop: Header=BB664_4 Depth=1
	v_mul_f32_e32 v15, v31, v11
	s_cmp_eq_f32 s42, 0
	s_cbranch_scc1 .LBB664_52
; %bb.51:                               ;   in Loop: Header=BB664_4 Depth=1
	v_lshlrev_b64_e32 v[11:12], 2, v[4:5]
	s_delay_alu instid0(VALU_DEP_1) | instskip(SKIP_1) | instid1(VALU_DEP_2)
	v_add_co_u32 v11, vcc_lo, v32, v11
	s_wait_alu 0xfffd
	v_add_co_ci_u32_e64 v12, null, v33, v12, vcc_lo
	flat_load_b32 v11, v[11:12]
	s_wait_loadcnt_dscnt 0x0
	v_fmac_f32_e32 v15, s42, v11
.LBB664_52:                             ;   in Loop: Header=BB664_4 Depth=1
	s_or_b32 s44, s8, exec_lo
.LBB664_53:                             ;   in Loop: Header=BB664_4 Depth=1
	s_wait_alu 0xfffe
	s_or_b32 exec_lo, exec_lo, s43
	s_delay_alu instid0(SALU_CYCLE_1)
	s_and_not1_b32 s8, s8, exec_lo
	s_and_b32 s42, s44, exec_lo
	s_wait_alu 0xfffe
	s_or_b32 s8, s8, s42
.LBB664_54:                             ;   in Loop: Header=BB664_4 Depth=1
	s_wait_alu 0xfffe
	s_or_b32 exec_lo, exec_lo, s7
	v_dual_mov_b32 v12, v5 :: v_dual_mov_b32 v11, v4
	s_and_saveexec_b32 s7, s8
	s_cbranch_execz .LBB664_2
.LBB664_55:                             ;   in Loop: Header=BB664_4 Depth=1
	s_delay_alu instid0(VALU_DEP_1) | instskip(NEXT) | instid1(VALU_DEP_1)
	v_lshlrev_b64_e32 v[11:12], 2, v[11:12]
	v_add_co_u32 v11, vcc_lo, v32, v11
	s_wait_alu 0xfffd
	s_delay_alu instid0(VALU_DEP_2)
	v_add_co_ci_u32_e64 v12, null, v33, v12, vcc_lo
	flat_store_b32 v[11:12], v15
	s_branch .LBB664_2
.LBB664_56:
	s_endpgm
	.section	.rodata,"a",@progbits
	.p2align	6, 0x0
	.amdhsa_kernel _ZL20rocblas_gemvn_kernelILi64ELi4EiPK16rocblas_bfloat16PKfKPfEviiT3_lPKT2_lT1_lSA_lSB_lS7_lPT4_lSB_li
		.amdhsa_group_segment_fixed_size 4096
		.amdhsa_private_segment_fixed_size 0
		.amdhsa_kernarg_size 400
		.amdhsa_user_sgpr_count 2
		.amdhsa_user_sgpr_dispatch_ptr 0
		.amdhsa_user_sgpr_queue_ptr 0
		.amdhsa_user_sgpr_kernarg_segment_ptr 1
		.amdhsa_user_sgpr_dispatch_id 0
		.amdhsa_user_sgpr_private_segment_size 0
		.amdhsa_wavefront_size32 1
		.amdhsa_uses_dynamic_stack 0
		.amdhsa_enable_private_segment 0
		.amdhsa_system_sgpr_workgroup_id_x 1
		.amdhsa_system_sgpr_workgroup_id_y 0
		.amdhsa_system_sgpr_workgroup_id_z 1
		.amdhsa_system_sgpr_workgroup_info 0
		.amdhsa_system_vgpr_workitem_id 1
		.amdhsa_next_free_vgpr 59
		.amdhsa_next_free_sgpr 49
		.amdhsa_reserve_vcc 1
		.amdhsa_float_round_mode_32 0
		.amdhsa_float_round_mode_16_64 0
		.amdhsa_float_denorm_mode_32 3
		.amdhsa_float_denorm_mode_16_64 3
		.amdhsa_fp16_overflow 0
		.amdhsa_workgroup_processor_mode 1
		.amdhsa_memory_ordered 1
		.amdhsa_forward_progress 1
		.amdhsa_inst_pref_size 27
		.amdhsa_round_robin_scheduling 0
		.amdhsa_exception_fp_ieee_invalid_op 0
		.amdhsa_exception_fp_denorm_src 0
		.amdhsa_exception_fp_ieee_div_zero 0
		.amdhsa_exception_fp_ieee_overflow 0
		.amdhsa_exception_fp_ieee_underflow 0
		.amdhsa_exception_fp_ieee_inexact 0
		.amdhsa_exception_int_div_zero 0
	.end_amdhsa_kernel
	.section	.text._ZL20rocblas_gemvn_kernelILi64ELi4EiPK16rocblas_bfloat16PKfKPfEviiT3_lPKT2_lT1_lSA_lSB_lS7_lPT4_lSB_li,"axG",@progbits,_ZL20rocblas_gemvn_kernelILi64ELi4EiPK16rocblas_bfloat16PKfKPfEviiT3_lPKT2_lT1_lSA_lSB_lS7_lPT4_lSB_li,comdat
.Lfunc_end664:
	.size	_ZL20rocblas_gemvn_kernelILi64ELi4EiPK16rocblas_bfloat16PKfKPfEviiT3_lPKT2_lT1_lSA_lSB_lS7_lPT4_lSB_li, .Lfunc_end664-_ZL20rocblas_gemvn_kernelILi64ELi4EiPK16rocblas_bfloat16PKfKPfEviiT3_lPKT2_lT1_lSA_lSB_lS7_lPT4_lSB_li
                                        ; -- End function
	.set _ZL20rocblas_gemvn_kernelILi64ELi4EiPK16rocblas_bfloat16PKfKPfEviiT3_lPKT2_lT1_lSA_lSB_lS7_lPT4_lSB_li.num_vgpr, 59
	.set _ZL20rocblas_gemvn_kernelILi64ELi4EiPK16rocblas_bfloat16PKfKPfEviiT3_lPKT2_lT1_lSA_lSB_lS7_lPT4_lSB_li.num_agpr, 0
	.set _ZL20rocblas_gemvn_kernelILi64ELi4EiPK16rocblas_bfloat16PKfKPfEviiT3_lPKT2_lT1_lSA_lSB_lS7_lPT4_lSB_li.numbered_sgpr, 49
	.set _ZL20rocblas_gemvn_kernelILi64ELi4EiPK16rocblas_bfloat16PKfKPfEviiT3_lPKT2_lT1_lSA_lSB_lS7_lPT4_lSB_li.num_named_barrier, 0
	.set _ZL20rocblas_gemvn_kernelILi64ELi4EiPK16rocblas_bfloat16PKfKPfEviiT3_lPKT2_lT1_lSA_lSB_lS7_lPT4_lSB_li.private_seg_size, 0
	.set _ZL20rocblas_gemvn_kernelILi64ELi4EiPK16rocblas_bfloat16PKfKPfEviiT3_lPKT2_lT1_lSA_lSB_lS7_lPT4_lSB_li.uses_vcc, 1
	.set _ZL20rocblas_gemvn_kernelILi64ELi4EiPK16rocblas_bfloat16PKfKPfEviiT3_lPKT2_lT1_lSA_lSB_lS7_lPT4_lSB_li.uses_flat_scratch, 1
	.set _ZL20rocblas_gemvn_kernelILi64ELi4EiPK16rocblas_bfloat16PKfKPfEviiT3_lPKT2_lT1_lSA_lSB_lS7_lPT4_lSB_li.has_dyn_sized_stack, 0
	.set _ZL20rocblas_gemvn_kernelILi64ELi4EiPK16rocblas_bfloat16PKfKPfEviiT3_lPKT2_lT1_lSA_lSB_lS7_lPT4_lSB_li.has_recursion, 0
	.set _ZL20rocblas_gemvn_kernelILi64ELi4EiPK16rocblas_bfloat16PKfKPfEviiT3_lPKT2_lT1_lSA_lSB_lS7_lPT4_lSB_li.has_indirect_call, 0
	.section	.AMDGPU.csdata,"",@progbits
; Kernel info:
; codeLenInByte = 3392
; TotalNumSgprs: 51
; NumVgprs: 59
; ScratchSize: 0
; MemoryBound: 0
; FloatMode: 240
; IeeeMode: 1
; LDSByteSize: 4096 bytes/workgroup (compile time only)
; SGPRBlocks: 0
; VGPRBlocks: 7
; NumSGPRsForWavesPerEU: 51
; NumVGPRsForWavesPerEU: 59
; Occupancy: 16
; WaveLimiterHint : 1
; COMPUTE_PGM_RSRC2:SCRATCH_EN: 0
; COMPUTE_PGM_RSRC2:USER_SGPR: 2
; COMPUTE_PGM_RSRC2:TRAP_HANDLER: 0
; COMPUTE_PGM_RSRC2:TGID_X_EN: 1
; COMPUTE_PGM_RSRC2:TGID_Y_EN: 0
; COMPUTE_PGM_RSRC2:TGID_Z_EN: 1
; COMPUTE_PGM_RSRC2:TIDIG_COMP_CNT: 1
	.section	.text._ZL20rocblas_gemvn_kernelILi64ELi4ElPK16rocblas_bfloat16PKfKPfEviiT3_lPKT2_lT1_lSA_lSB_lS7_lPT4_lSB_li,"axG",@progbits,_ZL20rocblas_gemvn_kernelILi64ELi4ElPK16rocblas_bfloat16PKfKPfEviiT3_lPKT2_lT1_lSA_lSB_lS7_lPT4_lSB_li,comdat
	.globl	_ZL20rocblas_gemvn_kernelILi64ELi4ElPK16rocblas_bfloat16PKfKPfEviiT3_lPKT2_lT1_lSA_lSB_lS7_lPT4_lSB_li ; -- Begin function _ZL20rocblas_gemvn_kernelILi64ELi4ElPK16rocblas_bfloat16PKfKPfEviiT3_lPKT2_lT1_lSA_lSB_lS7_lPT4_lSB_li
	.p2align	8
	.type	_ZL20rocblas_gemvn_kernelILi64ELi4ElPK16rocblas_bfloat16PKfKPfEviiT3_lPKT2_lT1_lSA_lSB_lS7_lPT4_lSB_li,@function
_ZL20rocblas_gemvn_kernelILi64ELi4ElPK16rocblas_bfloat16PKfKPfEviiT3_lPKT2_lT1_lSA_lSB_lS7_lPT4_lSB_li: ; @_ZL20rocblas_gemvn_kernelILi64ELi4ElPK16rocblas_bfloat16PKfKPfEviiT3_lPKT2_lT1_lSA_lSB_lS7_lPT4_lSB_li
; %bb.0:
	s_clause 0x1
	s_load_b64 s[2:3], s[0:1], 0x9c
	s_load_b32 s33, s[0:1], 0x88
	s_lshr_b32 s10, ttmp7, 16
	s_wait_kmcnt 0x0
	s_lshr_b32 s4, s2, 16
	s_and_b32 s2, s2, 0xffff
	s_and_b32 s3, s3, 0xffff
	s_mul_i32 s2, s4, s2
	s_delay_alu instid0(SALU_CYCLE_1) | instskip(NEXT) | instid1(SALU_CYCLE_1)
	s_mul_i32 s2, s2, s3
	s_cmp_lg_u32 s2, 0x100
	s_cselect_b32 s2, -1, 0
	s_cmp_ge_u32 s10, s33
	s_cselect_b32 s3, -1, 0
	s_delay_alu instid0(SALU_CYCLE_1) | instskip(NEXT) | instid1(SALU_CYCLE_1)
	s_or_b32 s2, s2, s3
	s_and_b32 vcc_lo, exec_lo, s2
	s_cbranch_vccnz .LBB665_56
; %bb.1:
	s_clause 0x6
	s_load_b64 s[38:39], s[0:1], 0x78
	s_load_b64 s[8:9], s[0:1], 0x0
	s_load_b256 s[12:19], s[0:1], 0x8
	s_load_b64 s[34:35], s[0:1], 0x28
	s_load_b128 s[28:31], s[0:1], 0x38
	s_load_b64 s[36:37], s[0:1], 0x48
	s_load_b256 s[20:27], s[0:1], 0x58
	v_dual_mov_b32 v1, 0 :: v_dual_and_b32 v2, 0x3ff, v0
	s_lshl_b32 s6, ttmp9, 8
	v_bfe_u32 v26, v0, 10, 10
	s_mov_b32 s11, 0
	s_delay_alu instid0(VALU_DEP_2) | instskip(SKIP_1) | instid1(VALU_DEP_3)
	v_or_b32_e32 v8, s6, v2
	v_lshlrev_b32_e32 v16, 2, v2
	v_lshl_add_u32 v5, v26, 6, v2
	s_delay_alu instid0(VALU_DEP_3) | instskip(SKIP_2) | instid1(VALU_DEP_4)
	v_add_nc_u32_e32 v6, 0x80, v8
	v_add_nc_u32_e32 v7, 0xc0, v8
	;; [unrolled: 1-line block ×3, first 2 shown]
	v_or_b32_e32 v17, s6, v5
	v_lshl_add_u32 v41, v26, 8, v16
	v_ashrrev_i32_e32 v9, 31, v8
	s_wait_kmcnt 0x0
	s_ashr_i32 s3, s9, 31
	v_cmp_gt_i32_e64 s2, s8, v6
	s_lshr_b32 s3, s3, 28
	s_ashr_i32 s5, s8, 31
	s_add_co_i32 s7, s9, s3
	v_cmp_gt_i32_e64 s3, s8, v7
	v_mad_co_u64_u32 v[6:7], null, s36, v26, 0
	s_mov_b32 s4, s8
	s_wait_alu 0xfffe
	s_and_b32 s42, s7, -16
	v_cmp_gt_i32_e64 s1, s8, v4
	v_mul_lo_u32 v18, s39, v17
	v_cmp_gt_i32_e64 s0, s8, v8
	v_mad_co_u64_u32 v[14:15], null, s37, v26, v[7:8]
	v_lshlrev_b32_e32 v40, 2, v26
	v_lshlrev_b64_e32 v[8:9], 1, v[8:9]
	s_delay_alu instid0(VALU_DEP_3) | instskip(NEXT) | instid1(VALU_DEP_3)
	v_mov_b32_e32 v7, v14
	v_or_b32_e32 v19, 3, v40
	v_or_b32_e32 v29, 2, v40
	v_mad_co_u64_u32 v[22:23], null, s36, v40, s[36:37]
	v_mad_co_u64_u32 v[24:25], null, s34, v40, s[34:35]
	s_delay_alu instid0(VALU_DEP_4) | instskip(SKIP_3) | instid1(VALU_DEP_3)
	v_mad_co_u64_u32 v[10:11], null, s34, v19, 0
	v_mad_co_u64_u32 v[12:13], null, s36, v19, 0
	;; [unrolled: 1-line block ×3, first 2 shown]
	v_lshlrev_b64_e32 v[6:7], 3, v[6:7]
	v_mad_co_u64_u32 v[14:15], null, s35, v19, v[11:12]
	s_delay_alu instid0(VALU_DEP_1) | instskip(NEXT) | instid1(VALU_DEP_1)
	v_dual_mov_b32 v11, v14 :: v_dual_add_nc_u32 v0, s6, v5
	v_mad_co_u64_u32 v[2:3], null, s38, v0, 0
	v_cmp_gt_i64_e32 vcc_lo, s[4:5], v[0:1]
	s_sub_co_i32 s5, s9, s42
	s_delay_alu instid0(VALU_DEP_3)
	v_lshlrev_b64_e32 v[10:11], 1, v[10:11]
	s_wait_alu 0xfffe
	s_cmp_gt_i32 s5, 0
	v_cmp_gt_u32_e64 s5, 0x100, v5
	s_cselect_b32 s43, -1, 0
	v_mad_co_u64_u32 v[3:4], null, s39, v0, v[3:4]
	v_mad_co_u64_u32 v[4:5], null, s38, v17, 0
	s_ashr_i32 s7, s6, 31
	v_lshl_add_u32 v0, v26, 10, v16
	s_wait_alu 0xfffe
	s_mul_i32 s7, s38, s7
	v_mad_co_u64_u32 v[15:16], null, s37, v19, v[13:14]
	v_cmp_gt_i32_e64 s6, s8, v17
	s_wait_alu 0xfffe
	v_add3_u32 v5, v5, s7, v18
	v_mad_co_u64_u32 v[16:17], null, s34, v26, 0
	v_mad_co_u64_u32 v[18:19], null, s34, v29, 0
	v_mov_b32_e32 v13, v15
	v_cmp_gt_i32_e64 s4, s42, v40
	s_and_b32 s44, s5, vcc_lo
	s_lshl_b64 s[38:39], s[36:37], 5
	v_dual_mov_b32 v14, v17 :: v_dual_mov_b32 v17, v25
	v_mov_b32_e32 v15, v19
	v_lshlrev_b64_e32 v[12:13], 1, v[12:13]
	s_lshl_b64 s[40:41], s[34:35], 5
	s_lshl_b64 s[18:19], s[18:19], 1
	;; [unrolled: 1-line block ×3, first 2 shown]
	v_mad_co_u64_u32 v[26:27], null, s35, v26, v[14:15]
	v_mov_b32_e32 v14, v21
	v_mad_co_u64_u32 v[27:28], null, s35, v29, v[15:16]
	v_mov_b32_e32 v15, v23
	s_lshl_b64 s[26:27], s[26:27], 2
	s_delay_alu instid0(VALU_DEP_1)
	v_mad_co_u64_u32 v[28:29], null, s37, v29, v[14:15]
	v_mad_co_u64_u32 v[14:15], null, s37, v40, v[15:16]
	;; [unrolled: 1-line block ×3, first 2 shown]
	v_mov_b32_e32 v17, v26
	v_mov_b32_e32 v19, v27
	;; [unrolled: 1-line block ×4, first 2 shown]
	s_delay_alu instid0(VALU_DEP_4) | instskip(SKIP_4) | instid1(VALU_DEP_4)
	v_lshlrev_b64_e32 v[14:15], 3, v[16:17]
	v_mov_b32_e32 v25, v29
	v_lshlrev_b64_e32 v[16:17], 1, v[18:19]
	v_lshlrev_b64_e32 v[18:19], 1, v[20:21]
	;; [unrolled: 1-line block ×5, first 2 shown]
	s_branch .LBB665_4
.LBB665_2:                              ;   in Loop: Header=BB665_4 Depth=1
	s_wait_alu 0xfffe
	s_or_b32 exec_lo, exec_lo, s7
.LBB665_3:                              ;   in Loop: Header=BB665_4 Depth=1
	s_add_co_i32 s10, s10, 0x10000
	s_delay_alu instid0(SALU_CYCLE_1)
	s_cmp_lt_u32 s10, s33
	s_cbranch_scc0 .LBB665_56
.LBB665_4:                              ; =>This Loop Header: Depth=1
                                        ;     Child Loop BB665_24 Depth 2
	s_mul_u64 s[46:47], s[14:15], s[10:11]
	s_mul_u64 s[48:49], s[22:23], s[10:11]
	s_lshl_b64 s[46:47], s[46:47], 2
	s_lshl_b64 s[48:49], s[48:49], 2
	s_add_nc_u64 s[46:47], s[12:13], s[46:47]
	s_add_nc_u64 s[48:49], s[20:21], s[48:49]
	s_clause 0x1
	global_load_b32 v42, v1, s[46:47]
	global_load_b32 v26, v1, s[48:49]
	s_wait_loadcnt 0x1
	v_cmp_eq_f32_e64 s7, 0, v42
	s_wait_loadcnt 0x0
	v_cmp_eq_f32_e32 vcc_lo, 1.0, v26
	v_readfirstlane_b32 s45, v26
	s_and_b32 s8, s7, vcc_lo
	s_wait_alu 0xfffe
	s_and_b32 vcc_lo, exec_lo, s8
	s_wait_alu 0xfffe
	s_cbranch_vccnz .LBB665_3
; %bb.5:                                ;   in Loop: Header=BB665_4 Depth=1
	v_mov_b32_e32 v28, 0
	v_dual_mov_b32 v29, 0 :: v_dual_mov_b32 v26, 0
	v_cmp_neq_f32_e64 s8, 0, v42
	v_mov_b32_e32 v27, 0
	s_and_b32 vcc_lo, exec_lo, s7
	s_wait_alu 0xfffe
	s_cbranch_vccnz .LBB665_7
; %bb.6:                                ;   in Loop: Header=BB665_4 Depth=1
	s_lshl_b64 s[46:47], s[10:11], 3
	s_delay_alu instid0(SALU_CYCLE_1)
	s_add_nc_u64 s[46:47], s[16:17], s[46:47]
	global_load_b64 v[26:27], v1, s[46:47]
	s_wait_loadcnt 0x0
	v_add_co_u32 v26, vcc_lo, v26, s18
	s_wait_alu 0xfffd
	v_add_co_ci_u32_e64 v27, null, s19, v27, vcc_lo
.LBB665_7:                              ;   in Loop: Header=BB665_4 Depth=1
	s_and_not1_b32 vcc_lo, exec_lo, s8
	s_wait_alu 0xfffe
	s_cbranch_vccnz .LBB665_9
; %bb.8:                                ;   in Loop: Header=BB665_4 Depth=1
	s_lshl_b64 s[46:47], s[10:11], 3
	s_delay_alu instid0(SALU_CYCLE_1)
	s_add_nc_u64 s[46:47], s[28:29], s[46:47]
	global_load_b64 v[28:29], v1, s[46:47]
	s_wait_loadcnt 0x0
	v_add_co_u32 v28, vcc_lo, v28, s30
	s_wait_alu 0xfffd
	v_add_co_ci_u32_e64 v29, null, s31, v29, vcc_lo
.LBB665_9:                              ;   in Loop: Header=BB665_4 Depth=1
	s_lshl_b64 s[46:47], s[10:11], 3
	s_delay_alu instid0(SALU_CYCLE_1)
	s_add_nc_u64 s[46:47], s[24:25], s[46:47]
	global_load_b64 v[30:31], v1, s[46:47]
	s_wait_loadcnt 0x0
	v_add_co_u32 v43, vcc_lo, v30, s26
	s_wait_alu 0xfffd
	v_add_co_ci_u32_e64 v44, null, s27, v31, vcc_lo
	s_and_not1_b32 vcc_lo, exec_lo, s7
	s_wait_alu 0xfffe
	s_cbranch_vccnz .LBB665_13
; %bb.10:                               ;   in Loop: Header=BB665_4 Depth=1
	s_mov_b32 s7, 0
	s_mov_b32 s8, 0
                                        ; implicit-def: $vgpr30
	s_and_saveexec_b32 s46, s44
	s_cbranch_execz .LBB665_14
; %bb.11:                               ;   in Loop: Header=BB665_4 Depth=1
	s_cmp_eq_f32 s45, 0
	s_cbranch_scc1 .LBB665_16
; %bb.12:                               ;   in Loop: Header=BB665_4 Depth=1
	v_add_co_u32 v30, vcc_lo, v43, v24
	s_wait_alu 0xfffd
	v_add_co_ci_u32_e64 v31, null, v44, v25, vcc_lo
	flat_load_b32 v30, v[30:31]
	s_wait_loadcnt_dscnt 0x0
	v_mul_f32_e32 v30, s45, v30
	s_branch .LBB665_17
.LBB665_13:                             ;   in Loop: Header=BB665_4 Depth=1
	s_mov_b32 s8, 0
                                        ; implicit-def: $vgpr30
	s_cbranch_execz .LBB665_15
	s_branch .LBB665_18
.LBB665_14:                             ;   in Loop: Header=BB665_4 Depth=1
	s_or_b32 exec_lo, exec_lo, s46
	s_wait_alu 0xfffe
	s_and_b32 vcc_lo, exec_lo, s7
	s_wait_alu 0xfffe
	s_cbranch_vccnz .LBB665_18
.LBB665_15:                             ;   in Loop: Header=BB665_4 Depth=1
	v_dual_mov_b32 v27, v3 :: v_dual_mov_b32 v26, v2
	s_wait_alu 0xfffe
	s_and_saveexec_b32 s7, s8
	s_cbranch_execz .LBB665_2
	s_branch .LBB665_55
.LBB665_16:                             ;   in Loop: Header=BB665_4 Depth=1
	v_mov_b32_e32 v30, 0
.LBB665_17:                             ;   in Loop: Header=BB665_4 Depth=1
	s_mov_b32 s8, exec_lo
	s_or_b32 exec_lo, exec_lo, s46
	s_wait_alu 0xfffe
	s_and_b32 vcc_lo, exec_lo, s7
	s_wait_alu 0xfffe
	s_cbranch_vccz .LBB665_15
.LBB665_18:                             ;   in Loop: Header=BB665_4 Depth=1
	v_dual_mov_b32 v45, 0 :: v_dual_mov_b32 v46, 0
	v_dual_mov_b32 v49, v40 :: v_dual_mov_b32 v48, 0
	v_mov_b32_e32 v47, 0
	s_and_saveexec_b32 s46, s4
	s_cbranch_execz .LBB665_30
; %bb.19:                               ;   in Loop: Header=BB665_4 Depth=1
	v_add_co_u32 v50, vcc_lo, v26, v10
	s_wait_alu 0xfffd
	v_add_co_ci_u32_e64 v51, null, v27, v11, vcc_lo
	v_add_co_u32 v52, vcc_lo, v26, v14
	s_wait_alu 0xfffd
	v_add_co_ci_u32_e64 v53, null, v27, v15, vcc_lo
	;; [unrolled: 3-line block ×3, first 2 shown]
	v_add_co_u32 v56, vcc_lo, v26, v22
	v_dual_mov_b32 v31, v29 :: v_dual_mov_b32 v46, 0
	s_wait_alu 0xfffd
	v_add_co_ci_u32_e64 v57, null, v27, v23, vcc_lo
	v_dual_mov_b32 v45, 0 :: v_dual_mov_b32 v30, v28
	v_dual_mov_b32 v49, v40 :: v_dual_mov_b32 v48, 0
	v_mov_b32_e32 v47, 0
	s_mov_b32 s47, 0
	s_branch .LBB665_24
.LBB665_20:                             ;   in Loop: Header=BB665_24 Depth=2
	s_or_b32 exec_lo, exec_lo, s50
	s_wait_loadcnt_dscnt 0x303
	v_lshlrev_b32_e32 v32, 16, v73
	s_wait_loadcnt_dscnt 0x202
	v_lshlrev_b32_e32 v33, 16, v72
	s_wait_loadcnt_dscnt 0x101
	s_delay_alu instid0(VALU_DEP_2) | instskip(NEXT) | instid1(VALU_DEP_1)
	v_dual_fmac_f32 v47, v65, v32 :: v_dual_lshlrev_b32 v32, 16, v71
	v_fmac_f32_e32 v47, v61, v33
	s_wait_loadcnt_dscnt 0x0
	s_delay_alu instid0(VALU_DEP_1) | instskip(NEXT) | instid1(VALU_DEP_1)
	v_dual_fmac_f32 v47, v63, v32 :: v_dual_lshlrev_b32 v32, 16, v70
	v_fmac_f32_e32 v47, v59, v32
.LBB665_21:                             ;   in Loop: Header=BB665_24 Depth=2
	s_or_b32 exec_lo, exec_lo, s49
	s_wait_loadcnt_dscnt 0x303
	v_lshlrev_b32_e32 v32, 16, v69
	s_wait_loadcnt_dscnt 0x202
	v_lshlrev_b32_e32 v33, 16, v68
	s_delay_alu instid0(VALU_DEP_2) | instskip(SKIP_2) | instid1(VALU_DEP_2)
	v_fmac_f32_e32 v46, v65, v32
	s_wait_loadcnt_dscnt 0x101
	v_lshlrev_b32_e32 v32, 16, v67
	v_fmac_f32_e32 v46, v61, v33
	s_delay_alu instid0(VALU_DEP_1) | instskip(SKIP_2) | instid1(VALU_DEP_1)
	v_fmac_f32_e32 v46, v63, v32
	s_wait_loadcnt_dscnt 0x0
	v_lshlrev_b32_e32 v32, 16, v66
	v_fmac_f32_e32 v46, v59, v32
.LBB665_22:                             ;   in Loop: Header=BB665_24 Depth=2
	s_or_b32 exec_lo, exec_lo, s48
	s_wait_loadcnt_dscnt 0x202
	v_lshlrev_b32_e32 v33, 16, v62
	v_lshlrev_b32_e32 v32, 16, v64
	s_delay_alu instid0(VALU_DEP_1) | instskip(SKIP_1) | instid1(VALU_DEP_1)
	v_fmac_f32_e32 v45, v65, v32
	s_wait_loadcnt_dscnt 0x101
	v_dual_fmac_f32 v45, v61, v33 :: v_dual_lshlrev_b32 v32, 16, v60
	s_wait_loadcnt_dscnt 0x0
	s_delay_alu instid0(VALU_DEP_1) | instskip(NEXT) | instid1(VALU_DEP_1)
	v_dual_fmac_f32 v45, v63, v32 :: v_dual_lshlrev_b32 v32, 16, v58
	v_fmac_f32_e32 v45, v59, v32
.LBB665_23:                             ;   in Loop: Header=BB665_24 Depth=2
	s_wait_alu 0xfffe
	s_or_b32 exec_lo, exec_lo, s7
	v_add_co_u32 v30, vcc_lo, v30, s38
	s_wait_alu 0xfffd
	v_add_co_ci_u32_e64 v31, null, s39, v31, vcc_lo
	v_add_co_u32 v50, vcc_lo, v50, s40
	v_add_nc_u32_e32 v49, 16, v49
	s_wait_alu 0xfffd
	v_add_co_ci_u32_e64 v51, null, s41, v51, vcc_lo
	v_add_co_u32 v52, vcc_lo, v52, s40
	s_wait_alu 0xfffd
	v_add_co_ci_u32_e64 v53, null, s41, v53, vcc_lo
	v_add_co_u32 v54, vcc_lo, v54, s40
	s_wait_alu 0xfffd
	v_add_co_ci_u32_e64 v55, null, s41, v55, vcc_lo
	v_cmp_le_i32_e32 vcc_lo, s42, v49
	v_add_co_u32 v56, s7, v56, s40
	s_wait_alu 0xf1ff
	v_add_co_ci_u32_e64 v57, null, s41, v57, s7
	s_or_b32 s47, vcc_lo, s47
	s_delay_alu instid0(SALU_CYCLE_1)
	s_and_not1_b32 exec_lo, exec_lo, s47
	s_cbranch_execz .LBB665_29
.LBB665_24:                             ;   Parent Loop BB665_4 Depth=1
                                        ; =>  This Inner Loop Header: Depth=2
	s_and_saveexec_b32 s7, s0
	s_cbranch_execz .LBB665_23
; %bb.25:                               ;   in Loop: Header=BB665_24 Depth=2
	v_add_co_u32 v32, vcc_lo, v30, v6
	s_wait_alu 0xfffd
	v_add_co_ci_u32_e64 v33, null, v31, v7, vcc_lo
	v_add_co_u32 v34, vcc_lo, v30, v20
	s_wait_alu 0xfffd
	v_add_co_ci_u32_e64 v35, null, v31, v21, vcc_lo
	;; [unrolled: 3-line block ×4, first 2 shown]
	s_clause 0x3
	flat_load_u16 v59, v[32:33]
	flat_load_u16 v61, v[34:35]
	flat_load_u16 v63, v[36:37]
	flat_load_u16 v66, v[38:39]
	v_add_co_u32 v32, vcc_lo, v52, v8
	s_wait_alu 0xfffd
	v_add_co_ci_u32_e64 v33, null, v53, v9, vcc_lo
	v_add_co_u32 v36, vcc_lo, v56, v8
	s_wait_alu 0xfffd
	v_add_co_ci_u32_e64 v37, null, v57, v9, vcc_lo
	v_add_co_u32 v34, vcc_lo, v54, v8
	s_wait_alu 0xfffd
	v_add_co_ci_u32_e64 v35, null, v55, v9, vcc_lo
	v_add_co_u32 v38, vcc_lo, v50, v8
	s_wait_alu 0xfffd
	v_add_co_ci_u32_e64 v39, null, v51, v9, vcc_lo
	flat_load_u16 v64, v[32:33]
	flat_load_u16 v62, v[36:37]
	;; [unrolled: 1-line block ×4, first 2 shown]
	s_wait_loadcnt_dscnt 0x707
	v_lshlrev_b32_e32 v65, 16, v59
	s_wait_loadcnt_dscnt 0x606
	v_lshlrev_b32_e32 v61, 16, v61
	;; [unrolled: 2-line block ×4, first 2 shown]
	s_and_saveexec_b32 s48, s1
	s_cbranch_execz .LBB665_22
; %bb.26:                               ;   in Loop: Header=BB665_24 Depth=2
	flat_load_u16 v69, v[32:33] offset:128
	flat_load_u16 v68, v[36:37] offset:128
	flat_load_u16 v67, v[34:35] offset:128
	flat_load_u16 v66, v[38:39] offset:128
	s_and_saveexec_b32 s49, s2
	s_cbranch_execz .LBB665_21
; %bb.27:                               ;   in Loop: Header=BB665_24 Depth=2
	flat_load_u16 v73, v[32:33] offset:256
	flat_load_u16 v72, v[36:37] offset:256
	flat_load_u16 v71, v[34:35] offset:256
	flat_load_u16 v70, v[38:39] offset:256
	;; [unrolled: 7-line block ×3, first 2 shown]
	s_wait_loadcnt_dscnt 0x303
	v_lshlrev_b32_e32 v32, 16, v32
	s_wait_loadcnt_dscnt 0x202
	s_delay_alu instid0(VALU_DEP_1) | instskip(SKIP_3) | instid1(VALU_DEP_2)
	v_dual_fmac_f32 v48, v65, v32 :: v_dual_lshlrev_b32 v33, 16, v33
	s_wait_loadcnt_dscnt 0x101
	v_lshlrev_b32_e32 v32, 16, v34
	s_wait_loadcnt_dscnt 0x0
	v_dual_fmac_f32 v48, v61, v33 :: v_dual_lshlrev_b32 v33, 16, v35
	s_delay_alu instid0(VALU_DEP_1) | instskip(NEXT) | instid1(VALU_DEP_1)
	v_fmac_f32_e32 v48, v63, v32
	v_fmac_f32_e32 v48, v59, v33
	s_branch .LBB665_20
.LBB665_29:                             ;   in Loop: Header=BB665_4 Depth=1
	s_or_b32 exec_lo, exec_lo, s47
.LBB665_30:                             ;   in Loop: Header=BB665_4 Depth=1
	s_delay_alu instid0(SALU_CYCLE_1) | instskip(NEXT) | instid1(SALU_CYCLE_1)
	s_or_b32 exec_lo, exec_lo, s46
	s_and_not1_b32 vcc_lo, exec_lo, s43
	s_wait_alu 0xfffe
	s_cbranch_vccnz .LBB665_48
; %bb.31:                               ;   in Loop: Header=BB665_4 Depth=1
	v_cmp_gt_i32_e32 vcc_lo, s9, v49
	v_dual_mov_b32 v35, 0 :: v_dual_mov_b32 v34, 0
	v_or_b32_e32 v30, 1, v49
	v_dual_mov_b32 v37, 0 :: v_dual_mov_b32 v36, 0
	s_and_saveexec_b32 s46, vcc_lo
	s_cbranch_execz .LBB665_39
; %bb.32:                               ;   in Loop: Header=BB665_4 Depth=1
	v_mad_co_u64_u32 v[31:32], null, s36, v49, 0
	v_dual_mov_b32 v36, 0 :: v_dual_mov_b32 v35, 0
	v_mov_b32_e32 v34, 0
	s_mov_b32 s47, exec_lo
	s_delay_alu instid0(VALU_DEP_3) | instskip(NEXT) | instid1(VALU_DEP_1)
	v_mad_co_u64_u32 v[32:33], null, s37, v49, v[32:33]
	v_lshlrev_b64_e32 v[31:32], 1, v[31:32]
	s_delay_alu instid0(VALU_DEP_1) | instskip(SKIP_1) | instid1(VALU_DEP_2)
	v_add_co_u32 v31, s7, v28, v31
	s_wait_alu 0xf1ff
	v_add_co_ci_u32_e64 v32, null, v29, v32, s7
	flat_load_u16 v31, v[31:32]
	v_cmpx_gt_i32_e64 s9, v30
	s_cbranch_execz .LBB665_38
; %bb.33:                               ;   in Loop: Header=BB665_4 Depth=1
	v_mad_co_u64_u32 v[32:33], null, s36, v30, 0
	s_mov_b32 s48, exec_lo
	v_mov_b32_e32 v35, 0
	v_mad_co_u64_u32 v[33:34], null, s37, v30, v[33:34]
	v_mov_b32_e32 v34, 0
	s_delay_alu instid0(VALU_DEP_2) | instskip(NEXT) | instid1(VALU_DEP_1)
	v_lshlrev_b64_e32 v[32:33], 1, v[32:33]
	v_add_co_u32 v32, s7, v28, v32
	s_wait_alu 0xf1ff
	s_delay_alu instid0(VALU_DEP_2) | instskip(SKIP_2) | instid1(VALU_DEP_1)
	v_add_co_ci_u32_e64 v33, null, v29, v33, s7
	flat_load_u16 v32, v[32:33]
	v_or_b32_e32 v33, 2, v49
	v_cmpx_gt_i32_e64 s9, v33
	s_cbranch_execz .LBB665_37
; %bb.34:                               ;   in Loop: Header=BB665_4 Depth=1
	v_mad_co_u64_u32 v[34:35], null, s36, v33, 0
	s_mov_b32 s49, exec_lo
	v_mad_co_u64_u32 v[35:36], null, s37, v33, v[35:36]
	s_delay_alu instid0(VALU_DEP_1) | instskip(SKIP_1) | instid1(VALU_DEP_2)
	v_lshlrev_b64_e32 v[33:34], 1, v[34:35]
	v_or_b32_e32 v35, 3, v49
	v_add_co_u32 v33, s7, v28, v33
	s_wait_alu 0xf1ff
	s_delay_alu instid0(VALU_DEP_3)
	v_add_co_ci_u32_e64 v34, null, v29, v34, s7
	flat_load_u16 v33, v[33:34]
	v_mov_b32_e32 v34, 0
	v_cmpx_gt_i32_e64 s9, v35
	s_cbranch_execz .LBB665_36
; %bb.35:                               ;   in Loop: Header=BB665_4 Depth=1
	v_mad_co_u64_u32 v[36:37], null, s36, v35, 0
	s_delay_alu instid0(VALU_DEP_1) | instskip(NEXT) | instid1(VALU_DEP_1)
	v_mov_b32_e32 v34, v37
	v_mad_co_u64_u32 v[34:35], null, s37, v35, v[34:35]
	s_delay_alu instid0(VALU_DEP_1) | instskip(NEXT) | instid1(VALU_DEP_1)
	v_mov_b32_e32 v37, v34
	v_lshlrev_b64_e32 v[34:35], 1, v[36:37]
	s_delay_alu instid0(VALU_DEP_1) | instskip(SKIP_1) | instid1(VALU_DEP_2)
	v_add_co_u32 v28, s7, v28, v34
	s_wait_alu 0xf1ff
	v_add_co_ci_u32_e64 v29, null, v29, v35, s7
	flat_load_u16 v28, v[28:29]
	s_wait_loadcnt_dscnt 0x0
	v_lshlrev_b32_e32 v34, 16, v28
.LBB665_36:                             ;   in Loop: Header=BB665_4 Depth=1
	s_or_b32 exec_lo, exec_lo, s49
	s_wait_loadcnt_dscnt 0x0
	v_lshlrev_b32_e32 v35, 16, v33
.LBB665_37:                             ;   in Loop: Header=BB665_4 Depth=1
	s_or_b32 exec_lo, exec_lo, s48
	s_wait_loadcnt_dscnt 0x0
	v_lshlrev_b32_e32 v36, 16, v32
.LBB665_38:                             ;   in Loop: Header=BB665_4 Depth=1
	s_or_b32 exec_lo, exec_lo, s47
	s_wait_loadcnt_dscnt 0x0
	v_lshlrev_b32_e32 v37, 16, v31
.LBB665_39:                             ;   in Loop: Header=BB665_4 Depth=1
	s_or_b32 exec_lo, exec_lo, s46
	s_and_saveexec_b32 s46, s0
	s_cbranch_execz .LBB665_47
; %bb.40:                               ;   in Loop: Header=BB665_4 Depth=1
	v_mad_co_u64_u32 v[28:29], null, s34, v49, 0
	v_or_b32_e32 v52, 2, v49
	v_mad_co_u64_u32 v[31:32], null, s34, v30, 0
	v_or_b32_e32 v53, 3, v49
	v_cmp_gt_i32_e64 s7, s9, v30
	s_delay_alu instid0(VALU_DEP_4) | instskip(SKIP_3) | instid1(VALU_DEP_4)
	v_mad_co_u64_u32 v[38:39], null, s34, v52, 0
	v_mad_co_u64_u32 v[49:50], null, s35, v49, v[29:30]
	;; [unrolled: 1-line block ×4, first 2 shown]
	v_mov_b32_e32 v30, v39
	s_delay_alu instid0(VALU_DEP_4)
	v_dual_cndmask_b32 v50, 0, v28 :: v_dual_cndmask_b32 v51, 0, v49
	s_wait_alu 0xf1ff
	v_cndmask_b32_e64 v28, 0, v31, s7
	v_cndmask_b32_e64 v29, 0, v29, s7
	v_mad_co_u64_u32 v[30:31], null, s35, v52, v[30:31]
	v_mov_b32_e32 v31, v33
	v_lshlrev_b64_e32 v[49:50], 1, v[50:51]
	v_cmp_gt_i32_e32 vcc_lo, s9, v52
	v_lshlrev_b64_e32 v[51:52], 1, v[28:29]
	s_wait_alu 0xfffd
	v_cndmask_b32_e32 v39, 0, v30, vcc_lo
	s_delay_alu instid0(VALU_DEP_4)
	v_add_co_u32 v28, s7, v26, v49
	s_wait_alu 0xf1ff
	v_add_co_ci_u32_e64 v29, null, v27, v50, s7
	v_mad_co_u64_u32 v[30:31], null, s35, v53, v[31:32]
	v_cndmask_b32_e32 v38, 0, v38, vcc_lo
	v_add_co_u32 v28, vcc_lo, v28, v8
	s_wait_alu 0xfffd
	v_add_co_ci_u32_e64 v29, null, v29, v9, vcc_lo
	v_cmp_gt_i32_e32 vcc_lo, s9, v53
	v_add_co_u32 v31, s7, v26, v51
	s_wait_alu 0xf1ff
	v_add_co_ci_u32_e64 v49, null, v27, v52, s7
	s_wait_alu 0xfffd
	v_dual_cndmask_b32 v32, 0, v32 :: v_dual_cndmask_b32 v33, 0, v30
	v_lshlrev_b64_e32 v[38:39], 1, v[38:39]
	v_add_co_u32 v30, vcc_lo, v31, v8
	s_wait_alu 0xfffd
	v_add_co_ci_u32_e64 v31, null, v49, v9, vcc_lo
	v_lshlrev_b64_e32 v[32:33], 1, v[32:33]
	s_delay_alu instid0(VALU_DEP_4) | instskip(SKIP_2) | instid1(VALU_DEP_3)
	v_add_co_u32 v38, vcc_lo, v26, v38
	s_wait_alu 0xfffd
	v_add_co_ci_u32_e64 v39, null, v27, v39, vcc_lo
	v_add_co_u32 v32, vcc_lo, v26, v32
	s_wait_alu 0xfffd
	v_add_co_ci_u32_e64 v33, null, v27, v33, vcc_lo
	v_add_co_u32 v26, vcc_lo, v38, v8
	s_wait_alu 0xfffd
	v_add_co_ci_u32_e64 v27, null, v39, v9, vcc_lo
	v_add_co_u32 v32, vcc_lo, v32, v8
	s_wait_alu 0xfffd
	v_add_co_ci_u32_e64 v33, null, v33, v9, vcc_lo
	s_clause 0x3
	flat_load_u16 v50, v[28:29]
	flat_load_u16 v49, v[30:31]
	;; [unrolled: 1-line block ×4, first 2 shown]
	s_and_saveexec_b32 s7, s1
	s_cbranch_execz .LBB665_46
; %bb.41:                               ;   in Loop: Header=BB665_4 Depth=1
	s_clause 0x3
	flat_load_u16 v54, v[28:29] offset:128
	flat_load_u16 v53, v[30:31] offset:128
	flat_load_u16 v52, v[26:27] offset:128
	flat_load_u16 v51, v[32:33] offset:128
	s_and_saveexec_b32 s47, s2
	s_cbranch_execz .LBB665_45
; %bb.42:                               ;   in Loop: Header=BB665_4 Depth=1
	s_clause 0x3
	flat_load_u16 v58, v[28:29] offset:256
	flat_load_u16 v57, v[30:31] offset:256
	flat_load_u16 v56, v[26:27] offset:256
	flat_load_u16 v55, v[32:33] offset:256
	;; [unrolled: 8-line block ×3, first 2 shown]
	s_wait_loadcnt_dscnt 0x303
	v_lshlrev_b32_e32 v28, 16, v28
	s_wait_loadcnt_dscnt 0x202
	v_lshlrev_b32_e32 v29, 16, v29
	;; [unrolled: 2-line block ×3, first 2 shown]
	s_wait_loadcnt_dscnt 0x0
	v_dual_fmac_f32 v48, v37, v28 :: v_dual_lshlrev_b32 v27, 16, v27
	s_delay_alu instid0(VALU_DEP_1) | instskip(NEXT) | instid1(VALU_DEP_1)
	v_fmac_f32_e32 v48, v36, v29
	v_fmac_f32_e32 v48, v35, v26
	s_delay_alu instid0(VALU_DEP_1)
	v_fmac_f32_e32 v48, v34, v27
.LBB665_44:                             ;   in Loop: Header=BB665_4 Depth=1
	s_or_b32 exec_lo, exec_lo, s48
	s_wait_loadcnt_dscnt 0x202
	v_lshlrev_b32_e32 v27, 16, v57
	v_lshlrev_b32_e32 v26, 16, v58
	s_wait_loadcnt_dscnt 0x101
	s_delay_alu instid0(VALU_DEP_1) | instskip(NEXT) | instid1(VALU_DEP_1)
	v_dual_fmac_f32 v47, v37, v26 :: v_dual_lshlrev_b32 v26, 16, v56
	v_fmac_f32_e32 v47, v36, v27
	s_wait_loadcnt_dscnt 0x0
	s_delay_alu instid0(VALU_DEP_1) | instskip(NEXT) | instid1(VALU_DEP_1)
	v_dual_fmac_f32 v47, v35, v26 :: v_dual_lshlrev_b32 v26, 16, v55
	v_fmac_f32_e32 v47, v34, v26
.LBB665_45:                             ;   in Loop: Header=BB665_4 Depth=1
	s_or_b32 exec_lo, exec_lo, s47
	s_wait_loadcnt_dscnt 0x303
	v_lshlrev_b32_e32 v26, 16, v54
	s_wait_loadcnt_dscnt 0x202
	s_delay_alu instid0(VALU_DEP_1) | instskip(SKIP_2) | instid1(VALU_DEP_2)
	v_dual_fmac_f32 v46, v37, v26 :: v_dual_lshlrev_b32 v27, 16, v53
	s_wait_loadcnt_dscnt 0x101
	v_lshlrev_b32_e32 v26, 16, v52
	v_fmac_f32_e32 v46, v36, v27
	s_delay_alu instid0(VALU_DEP_1) | instskip(SKIP_2) | instid1(VALU_DEP_1)
	v_fmac_f32_e32 v46, v35, v26
	s_wait_loadcnt_dscnt 0x0
	v_lshlrev_b32_e32 v26, 16, v51
	v_fmac_f32_e32 v46, v34, v26
.LBB665_46:                             ;   in Loop: Header=BB665_4 Depth=1
	s_wait_alu 0xfffe
	s_or_b32 exec_lo, exec_lo, s7
	s_wait_loadcnt_dscnt 0x202
	v_lshlrev_b32_e32 v27, 16, v49
	v_lshlrev_b32_e32 v26, 16, v50
	s_wait_loadcnt_dscnt 0x101
	s_delay_alu instid0(VALU_DEP_1) | instskip(NEXT) | instid1(VALU_DEP_1)
	v_dual_fmac_f32 v45, v37, v26 :: v_dual_lshlrev_b32 v26, 16, v39
	v_fmac_f32_e32 v45, v36, v27
	s_delay_alu instid0(VALU_DEP_1) | instskip(SKIP_2) | instid1(VALU_DEP_1)
	v_fmac_f32_e32 v45, v35, v26
	s_wait_loadcnt_dscnt 0x0
	v_lshlrev_b32_e32 v26, 16, v38
	v_fmac_f32_e32 v45, v34, v26
.LBB665_47:                             ;   in Loop: Header=BB665_4 Depth=1
	s_or_b32 exec_lo, exec_lo, s46
.LBB665_48:                             ;   in Loop: Header=BB665_4 Depth=1
	ds_store_2addr_stride64_b32 v0, v45, v46 offset1:1
	ds_store_2addr_stride64_b32 v0, v47, v48 offset0:2 offset1:3
	s_wait_dscnt 0x0
	s_barrier_signal -1
	s_barrier_wait -1
	global_inv scope:SCOPE_SE
                                        ; implicit-def: $vgpr30
	s_and_saveexec_b32 s7, s5
	s_cbranch_execz .LBB665_54
; %bb.49:                               ;   in Loop: Header=BB665_4 Depth=1
	ds_load_2addr_stride64_b32 v[26:27], v41 offset1:4
	ds_load_2addr_stride64_b32 v[28:29], v41 offset0:8 offset1:12
	s_mov_b32 s47, s8
                                        ; implicit-def: $vgpr30
	s_wait_dscnt 0x1
	v_add_f32_e32 v26, v26, v27
	s_wait_dscnt 0x0
	s_delay_alu instid0(VALU_DEP_1) | instskip(NEXT) | instid1(VALU_DEP_1)
	v_add_f32_e32 v26, v28, v26
	v_add_f32_e32 v26, v29, v26
	ds_store_b32 v41, v26
	s_and_saveexec_b32 s46, s6
	s_cbranch_execz .LBB665_53
; %bb.50:                               ;   in Loop: Header=BB665_4 Depth=1
	v_mul_f32_e32 v30, v42, v26
	s_cmp_eq_f32 s45, 0
	s_cbranch_scc1 .LBB665_52
; %bb.51:                               ;   in Loop: Header=BB665_4 Depth=1
	v_lshlrev_b64_e32 v[26:27], 2, v[4:5]
	s_delay_alu instid0(VALU_DEP_1) | instskip(SKIP_1) | instid1(VALU_DEP_2)
	v_add_co_u32 v26, vcc_lo, v43, v26
	s_wait_alu 0xfffd
	v_add_co_ci_u32_e64 v27, null, v44, v27, vcc_lo
	flat_load_b32 v26, v[26:27]
	s_wait_loadcnt_dscnt 0x0
	v_fmac_f32_e32 v30, s45, v26
.LBB665_52:                             ;   in Loop: Header=BB665_4 Depth=1
	s_or_b32 s47, s8, exec_lo
.LBB665_53:                             ;   in Loop: Header=BB665_4 Depth=1
	s_or_b32 exec_lo, exec_lo, s46
	s_delay_alu instid0(SALU_CYCLE_1)
	s_and_not1_b32 s8, s8, exec_lo
	s_and_b32 s45, s47, exec_lo
	s_wait_alu 0xfffe
	s_or_b32 s8, s8, s45
.LBB665_54:                             ;   in Loop: Header=BB665_4 Depth=1
	s_wait_alu 0xfffe
	s_or_b32 exec_lo, exec_lo, s7
	v_dual_mov_b32 v27, v5 :: v_dual_mov_b32 v26, v4
	s_and_saveexec_b32 s7, s8
	s_cbranch_execz .LBB665_2
.LBB665_55:                             ;   in Loop: Header=BB665_4 Depth=1
	s_delay_alu instid0(VALU_DEP_1) | instskip(NEXT) | instid1(VALU_DEP_1)
	v_lshlrev_b64_e32 v[26:27], 2, v[26:27]
	v_add_co_u32 v26, vcc_lo, v43, v26
	s_wait_alu 0xfffd
	s_delay_alu instid0(VALU_DEP_2)
	v_add_co_ci_u32_e64 v27, null, v44, v27, vcc_lo
	flat_store_b32 v[26:27], v30
	s_branch .LBB665_2
.LBB665_56:
	s_endpgm
	.section	.rodata,"a",@progbits
	.p2align	6, 0x0
	.amdhsa_kernel _ZL20rocblas_gemvn_kernelILi64ELi4ElPK16rocblas_bfloat16PKfKPfEviiT3_lPKT2_lT1_lSA_lSB_lS7_lPT4_lSB_li
		.amdhsa_group_segment_fixed_size 4096
		.amdhsa_private_segment_fixed_size 0
		.amdhsa_kernarg_size 400
		.amdhsa_user_sgpr_count 2
		.amdhsa_user_sgpr_dispatch_ptr 0
		.amdhsa_user_sgpr_queue_ptr 0
		.amdhsa_user_sgpr_kernarg_segment_ptr 1
		.amdhsa_user_sgpr_dispatch_id 0
		.amdhsa_user_sgpr_private_segment_size 0
		.amdhsa_wavefront_size32 1
		.amdhsa_uses_dynamic_stack 0
		.amdhsa_enable_private_segment 0
		.amdhsa_system_sgpr_workgroup_id_x 1
		.amdhsa_system_sgpr_workgroup_id_y 0
		.amdhsa_system_sgpr_workgroup_id_z 1
		.amdhsa_system_sgpr_workgroup_info 0
		.amdhsa_system_vgpr_workitem_id 1
		.amdhsa_next_free_vgpr 74
		.amdhsa_next_free_sgpr 51
		.amdhsa_reserve_vcc 1
		.amdhsa_float_round_mode_32 0
		.amdhsa_float_round_mode_16_64 0
		.amdhsa_float_denorm_mode_32 3
		.amdhsa_float_denorm_mode_16_64 3
		.amdhsa_fp16_overflow 0
		.amdhsa_workgroup_processor_mode 1
		.amdhsa_memory_ordered 1
		.amdhsa_forward_progress 1
		.amdhsa_inst_pref_size 29
		.amdhsa_round_robin_scheduling 0
		.amdhsa_exception_fp_ieee_invalid_op 0
		.amdhsa_exception_fp_denorm_src 0
		.amdhsa_exception_fp_ieee_div_zero 0
		.amdhsa_exception_fp_ieee_overflow 0
		.amdhsa_exception_fp_ieee_underflow 0
		.amdhsa_exception_fp_ieee_inexact 0
		.amdhsa_exception_int_div_zero 0
	.end_amdhsa_kernel
	.section	.text._ZL20rocblas_gemvn_kernelILi64ELi4ElPK16rocblas_bfloat16PKfKPfEviiT3_lPKT2_lT1_lSA_lSB_lS7_lPT4_lSB_li,"axG",@progbits,_ZL20rocblas_gemvn_kernelILi64ELi4ElPK16rocblas_bfloat16PKfKPfEviiT3_lPKT2_lT1_lSA_lSB_lS7_lPT4_lSB_li,comdat
.Lfunc_end665:
	.size	_ZL20rocblas_gemvn_kernelILi64ELi4ElPK16rocblas_bfloat16PKfKPfEviiT3_lPKT2_lT1_lSA_lSB_lS7_lPT4_lSB_li, .Lfunc_end665-_ZL20rocblas_gemvn_kernelILi64ELi4ElPK16rocblas_bfloat16PKfKPfEviiT3_lPKT2_lT1_lSA_lSB_lS7_lPT4_lSB_li
                                        ; -- End function
	.set _ZL20rocblas_gemvn_kernelILi64ELi4ElPK16rocblas_bfloat16PKfKPfEviiT3_lPKT2_lT1_lSA_lSB_lS7_lPT4_lSB_li.num_vgpr, 74
	.set _ZL20rocblas_gemvn_kernelILi64ELi4ElPK16rocblas_bfloat16PKfKPfEviiT3_lPKT2_lT1_lSA_lSB_lS7_lPT4_lSB_li.num_agpr, 0
	.set _ZL20rocblas_gemvn_kernelILi64ELi4ElPK16rocblas_bfloat16PKfKPfEviiT3_lPKT2_lT1_lSA_lSB_lS7_lPT4_lSB_li.numbered_sgpr, 51
	.set _ZL20rocblas_gemvn_kernelILi64ELi4ElPK16rocblas_bfloat16PKfKPfEviiT3_lPKT2_lT1_lSA_lSB_lS7_lPT4_lSB_li.num_named_barrier, 0
	.set _ZL20rocblas_gemvn_kernelILi64ELi4ElPK16rocblas_bfloat16PKfKPfEviiT3_lPKT2_lT1_lSA_lSB_lS7_lPT4_lSB_li.private_seg_size, 0
	.set _ZL20rocblas_gemvn_kernelILi64ELi4ElPK16rocblas_bfloat16PKfKPfEviiT3_lPKT2_lT1_lSA_lSB_lS7_lPT4_lSB_li.uses_vcc, 1
	.set _ZL20rocblas_gemvn_kernelILi64ELi4ElPK16rocblas_bfloat16PKfKPfEviiT3_lPKT2_lT1_lSA_lSB_lS7_lPT4_lSB_li.uses_flat_scratch, 1
	.set _ZL20rocblas_gemvn_kernelILi64ELi4ElPK16rocblas_bfloat16PKfKPfEviiT3_lPKT2_lT1_lSA_lSB_lS7_lPT4_lSB_li.has_dyn_sized_stack, 0
	.set _ZL20rocblas_gemvn_kernelILi64ELi4ElPK16rocblas_bfloat16PKfKPfEviiT3_lPKT2_lT1_lSA_lSB_lS7_lPT4_lSB_li.has_recursion, 0
	.set _ZL20rocblas_gemvn_kernelILi64ELi4ElPK16rocblas_bfloat16PKfKPfEviiT3_lPKT2_lT1_lSA_lSB_lS7_lPT4_lSB_li.has_indirect_call, 0
	.section	.AMDGPU.csdata,"",@progbits
; Kernel info:
; codeLenInByte = 3692
; TotalNumSgprs: 53
; NumVgprs: 74
; ScratchSize: 0
; MemoryBound: 0
; FloatMode: 240
; IeeeMode: 1
; LDSByteSize: 4096 bytes/workgroup (compile time only)
; SGPRBlocks: 0
; VGPRBlocks: 9
; NumSGPRsForWavesPerEU: 53
; NumVGPRsForWavesPerEU: 74
; Occupancy: 16
; WaveLimiterHint : 1
; COMPUTE_PGM_RSRC2:SCRATCH_EN: 0
; COMPUTE_PGM_RSRC2:USER_SGPR: 2
; COMPUTE_PGM_RSRC2:TRAP_HANDLER: 0
; COMPUTE_PGM_RSRC2:TGID_X_EN: 1
; COMPUTE_PGM_RSRC2:TGID_Y_EN: 0
; COMPUTE_PGM_RSRC2:TGID_Z_EN: 1
; COMPUTE_PGM_RSRC2:TIDIG_COMP_CNT: 1
	.section	.text._ZL20rocblas_gemvn_kernelILi64ELi4EiPK16rocblas_bfloat16fKPfEviiT3_lPKT2_lT1_lS8_lS9_lS5_lPT4_lS9_li,"axG",@progbits,_ZL20rocblas_gemvn_kernelILi64ELi4EiPK16rocblas_bfloat16fKPfEviiT3_lPKT2_lT1_lS8_lS9_lS5_lPT4_lS9_li,comdat
	.globl	_ZL20rocblas_gemvn_kernelILi64ELi4EiPK16rocblas_bfloat16fKPfEviiT3_lPKT2_lT1_lS8_lS9_lS5_lPT4_lS9_li ; -- Begin function _ZL20rocblas_gemvn_kernelILi64ELi4EiPK16rocblas_bfloat16fKPfEviiT3_lPKT2_lT1_lS8_lS9_lS5_lPT4_lS9_li
	.p2align	8
	.type	_ZL20rocblas_gemvn_kernelILi64ELi4EiPK16rocblas_bfloat16fKPfEviiT3_lPKT2_lT1_lS8_lS9_lS5_lPT4_lS9_li,@function
_ZL20rocblas_gemvn_kernelILi64ELi4EiPK16rocblas_bfloat16fKPfEviiT3_lPKT2_lT1_lS8_lS9_lS5_lPT4_lS9_li: ; @_ZL20rocblas_gemvn_kernelILi64ELi4EiPK16rocblas_bfloat16fKPfEviiT3_lPKT2_lT1_lS8_lS9_lS5_lPT4_lS9_li
; %bb.0:
	s_clause 0x1
	s_load_b64 s[2:3], s[0:1], 0x9c
	s_load_b32 s23, s[0:1], 0x88
	s_lshr_b32 s24, ttmp7, 16
	s_wait_kmcnt 0x0
	s_lshr_b32 s4, s2, 16
	s_and_b32 s2, s2, 0xffff
	s_and_b32 s3, s3, 0xffff
	s_mul_i32 s2, s4, s2
	s_delay_alu instid0(SALU_CYCLE_1) | instskip(NEXT) | instid1(SALU_CYCLE_1)
	s_mul_i32 s2, s2, s3
	s_cmp_lg_u32 s2, 0x100
	s_cselect_b32 s2, -1, 0
	s_cmp_ge_u32 s24, s23
	s_cselect_b32 s3, -1, 0
	s_delay_alu instid0(SALU_CYCLE_1) | instskip(NEXT) | instid1(SALU_CYCLE_1)
	s_or_b32 s2, s2, s3
	s_and_b32 vcc_lo, exec_lo, s2
	s_cbranch_vccnz .LBB666_59
; %bb.1:
	s_clause 0x7
	s_load_b32 s4, s[0:1], 0x78
	s_load_b96 s[20:22], s[0:1], 0x0
	s_load_b32 s27, s[0:1], 0x58
	s_load_b32 s28, s[0:1], 0x28
	s_load_b128 s[8:11], s[0:1], 0x38
	s_load_b32 s26, s[0:1], 0x48
	s_load_b128 s[12:15], s[0:1], 0x68
	s_load_b128 s[16:19], s[0:1], 0x18
	v_and_b32_e32 v9, 0x3ff, v0
	v_bfe_u32 v8, v0, 10, 10
	v_mov_b32_e32 v1, 0
	s_mov_b32 s25, 0
	s_delay_alu instid0(VALU_DEP_3) | instskip(NEXT) | instid1(VALU_DEP_3)
	v_lshlrev_b32_e32 v0, 2, v9
	v_lshl_add_u32 v2, v8, 6, v9
	v_lshlrev_b32_e32 v23, 2, v8
	s_delay_alu instid0(VALU_DEP_3)
	v_lshl_add_u32 v24, v8, 10, v0
	v_lshl_add_u32 v25, v8, 8, v0
	s_wait_kmcnt 0x0
	s_ashr_i32 s5, s4, 31
	s_cmp_eq_f32 s22, 0
	s_mov_b32 s2, s20
	v_cmp_gt_u32_e64 s0, 0x100, v2
	v_mul_lo_u32 v10, s28, v23
	s_cselect_b32 s29, -1, 0
	s_cmp_neq_f32 s27, 1.0
	v_or_b32_e32 v12, 3, v23
	v_mul_lo_u32 v13, v8, s26
	s_cselect_b32 s1, -1, 0
	s_cmp_neq_f32 s22, 0
	s_delay_alu instid0(VALU_DEP_2)
	v_mul_lo_u32 v30, s26, v12
	s_cselect_b32 s6, -1, 0
	s_lshl_b32 s30, ttmp9, 8
	s_ashr_i32 s3, s20, 31
	v_add_nc_u32_e32 v0, s30, v2
	v_or_b32_e32 v4, s30, v2
	v_or_b32_e32 v27, s30, v9
	s_or_b32 s31, s6, s1
	s_cmp_neq_f32 s27, 0
	v_cmp_gt_i64_e32 vcc_lo, s[2:3], v[0:1]
	v_mad_co_u64_u32 v[2:3], null, s4, v0, 0
	v_cmp_gt_i32_e64 s2, s20, v4
	v_mul_lo_u32 v4, s4, v4
	v_add_nc_u32_e32 v6, 0x80, v27
	v_add_nc_u32_e32 v11, 0xc0, v27
	s_cselect_b32 s33, -1, 0
	s_ashr_i32 s3, s21, 31
	v_cndmask_b32_e64 v26, 0, 1, s6
	v_cmp_gt_i32_e64 s4, s20, v6
	s_wait_alu 0xfffe
	s_lshr_b32 s3, s3, 28
	v_mad_co_u64_u32 v[6:7], null, s5, v0, v[3:4]
	v_cmp_gt_i32_e64 s5, s20, v11
	v_mul_lo_u32 v11, v8, s28
	v_add3_u32 v0, v10, s28, v9
	v_or_b32_e32 v10, 2, v23
	v_add_nc_u32_e32 v5, 64, v27
	s_wait_alu 0xfffe
	s_add_co_i32 s6, s21, s3
	v_mov_b32_e32 v3, v6
	s_wait_alu 0xfffe
	s_and_b32 s34, s6, -16
	v_mad_co_u64_u32 v[6:7], null, s28, v10, v[9:10]
	v_mad_co_u64_u32 v[7:8], null, s28, v12, v[9:10]
	v_lshl_add_u32 v28, v11, 2, v9
	v_mad_co_u64_u32 v[8:9], null, s26, v23, s[26:27]
	v_mul_lo_u32 v29, s26, v10
	s_sub_co_i32 s7, s21, s34
	v_lshlrev_b64_e32 v[9:10], 2, v[2:3]
	v_cmp_gt_i32_e64 s1, s20, v27
	v_cmp_gt_i32_e64 s3, s20, v5
	;; [unrolled: 1-line block ×3, first 2 shown]
	v_ashrrev_i32_e32 v5, 31, v4
	v_lshlrev_b32_e32 v31, 2, v13
	s_wait_alu 0xfffe
	s_cmp_gt_i32 s7, 0
	s_cselect_b32 s20, -1, 0
	s_and_b32 s35, s0, vcc_lo
	s_lshl_b32 s36, s28, 4
	s_lshl_b32 s37, s26, 4
	s_lshl_b64 s[18:19], s[18:19], 1
	s_lshl_b64 s[10:11], s[10:11], 1
	;; [unrolled: 1-line block ×3, first 2 shown]
	s_branch .LBB666_4
.LBB666_2:                              ;   in Loop: Header=BB666_4 Depth=1
	s_wait_alu 0xfffe
	s_or_b32 exec_lo, exec_lo, s7
.LBB666_3:                              ;   in Loop: Header=BB666_4 Depth=1
	s_add_co_i32 s24, s24, 0x10000
	s_delay_alu instid0(SALU_CYCLE_1)
	s_cmp_lt_u32 s24, s23
	s_cbranch_scc0 .LBB666_59
.LBB666_4:                              ; =>This Loop Header: Depth=1
                                        ;     Child Loop BB666_27 Depth 2
	s_and_not1_b32 vcc_lo, exec_lo, s31
	s_wait_alu 0xfffe
	s_cbranch_vccnz .LBB666_3
; %bb.5:                                ;   in Loop: Header=BB666_4 Depth=1
	s_and_not1_b32 vcc_lo, exec_lo, s29
	s_wait_alu 0xfffe
	s_cbranch_vccnz .LBB666_7
; %bb.6:                                ;   in Loop: Header=BB666_4 Depth=1
	s_mov_b32 s7, 0
	s_branch .LBB666_8
.LBB666_7:                              ;   in Loop: Header=BB666_4 Depth=1
	s_mov_b32 s7, -1
.LBB666_8:                              ;   in Loop: Header=BB666_4 Depth=1
	v_mov_b32_e32 v13, 0
	v_dual_mov_b32 v14, 0 :: v_dual_mov_b32 v11, 0
	v_mov_b32_e32 v12, 0
	s_wait_alu 0xfffe
	s_and_not1_b32 vcc_lo, exec_lo, s7
	s_wait_alu 0xfffe
	s_cbranch_vccnz .LBB666_10
; %bb.9:                                ;   in Loop: Header=BB666_4 Depth=1
	s_lshl_b64 s[38:39], s[24:25], 3
	s_delay_alu instid0(SALU_CYCLE_1)
	s_add_nc_u64 s[38:39], s[16:17], s[38:39]
	global_load_b64 v[11:12], v1, s[38:39]
	s_wait_loadcnt 0x0
	v_add_co_u32 v11, vcc_lo, v11, s18
	s_wait_alu 0xfffd
	v_add_co_ci_u32_e64 v12, null, s19, v12, vcc_lo
.LBB666_10:                             ;   in Loop: Header=BB666_4 Depth=1
	v_cmp_ne_u32_e32 vcc_lo, 1, v26
	s_cbranch_vccnz .LBB666_12
; %bb.11:                               ;   in Loop: Header=BB666_4 Depth=1
	s_lshl_b64 s[38:39], s[24:25], 3
	s_delay_alu instid0(SALU_CYCLE_1)
	s_add_nc_u64 s[38:39], s[8:9], s[38:39]
	global_load_b64 v[13:14], v1, s[38:39]
	s_wait_loadcnt 0x0
	v_add_co_u32 v13, vcc_lo, v13, s10
	s_wait_alu 0xfffd
	v_add_co_ci_u32_e64 v14, null, s11, v14, vcc_lo
.LBB666_12:                             ;   in Loop: Header=BB666_4 Depth=1
	s_lshl_b64 s[38:39], s[24:25], 3
	s_delay_alu instid0(SALU_CYCLE_1)
	s_add_nc_u64 s[38:39], s[12:13], s[38:39]
	global_load_b64 v[15:16], v1, s[38:39]
	s_wait_loadcnt 0x0
	v_add_co_u32 v32, vcc_lo, v15, s14
	s_wait_alu 0xfffd
	v_add_co_ci_u32_e64 v33, null, s15, v16, vcc_lo
	s_and_not1_b32 vcc_lo, exec_lo, s29
	s_wait_alu 0xfffe
	s_cbranch_vccnz .LBB666_16
; %bb.13:                               ;   in Loop: Header=BB666_4 Depth=1
	s_mov_b32 s7, 0
	s_mov_b32 s38, 0
                                        ; implicit-def: $vgpr15
	s_and_saveexec_b32 s39, s35
	s_cbranch_execz .LBB666_17
; %bb.14:                               ;   in Loop: Header=BB666_4 Depth=1
	s_and_not1_b32 vcc_lo, exec_lo, s33
	s_wait_alu 0xfffe
	s_cbranch_vccnz .LBB666_19
; %bb.15:                               ;   in Loop: Header=BB666_4 Depth=1
	v_add_co_u32 v15, vcc_lo, v32, v9
	s_wait_alu 0xfffd
	v_add_co_ci_u32_e64 v16, null, v33, v10, vcc_lo
	flat_load_b32 v15, v[15:16]
	s_wait_loadcnt_dscnt 0x0
	v_mul_f32_e32 v15, s27, v15
	s_branch .LBB666_20
.LBB666_16:                             ;   in Loop: Header=BB666_4 Depth=1
	s_mov_b32 s38, 0
                                        ; implicit-def: $vgpr15
	s_cbranch_execz .LBB666_18
	s_branch .LBB666_21
.LBB666_17:                             ;   in Loop: Header=BB666_4 Depth=1
	s_or_b32 exec_lo, exec_lo, s39
	s_wait_alu 0xfffe
	s_and_b32 vcc_lo, exec_lo, s7
	s_wait_alu 0xfffe
	s_cbranch_vccnz .LBB666_21
.LBB666_18:                             ;   in Loop: Header=BB666_4 Depth=1
	v_dual_mov_b32 v12, v3 :: v_dual_mov_b32 v11, v2
	s_and_saveexec_b32 s7, s38
	s_cbranch_execz .LBB666_2
	s_branch .LBB666_58
.LBB666_19:                             ;   in Loop: Header=BB666_4 Depth=1
	v_mov_b32_e32 v15, 0
.LBB666_20:                             ;   in Loop: Header=BB666_4 Depth=1
	s_mov_b32 s38, exec_lo
	s_or_b32 exec_lo, exec_lo, s39
	s_delay_alu instid0(SALU_CYCLE_1)
	s_and_b32 vcc_lo, exec_lo, s7
	s_wait_alu 0xfffe
	s_cbranch_vccz .LBB666_18
.LBB666_21:                             ;   in Loop: Header=BB666_4 Depth=1
	v_dual_mov_b32 v34, 0 :: v_dual_mov_b32 v35, 0
	v_dual_mov_b32 v38, v23 :: v_dual_mov_b32 v37, 0
	v_mov_b32_e32 v36, 0
	s_and_saveexec_b32 s7, s6
	s_cbranch_execz .LBB666_33
; %bb.22:                               ;   in Loop: Header=BB666_4 Depth=1
	v_dual_mov_b32 v34, 0 :: v_dual_mov_b32 v39, v28
	v_dual_mov_b32 v40, v7 :: v_dual_mov_b32 v41, v6
	;; [unrolled: 1-line block ×4, first 2 shown]
	v_mov_b32_e32 v36, 0
	s_mov_b32 s39, 0
	s_mov_b32 s40, 0
	s_branch .LBB666_27
.LBB666_23:                             ;   in Loop: Header=BB666_27 Depth=2
	s_or_b32 exec_lo, exec_lo, s44
	s_wait_loadcnt_dscnt 0x202
	v_lshlrev_b32_e32 v16, 16, v57
	v_lshlrev_b32_e32 v15, 16, v58
	s_wait_loadcnt_dscnt 0x101
	s_delay_alu instid0(VALU_DEP_1) | instskip(NEXT) | instid1(VALU_DEP_1)
	v_dual_fmac_f32 v36, v50, v15 :: v_dual_lshlrev_b32 v15, 16, v56
	v_fmac_f32_e32 v36, v46, v16
	s_delay_alu instid0(VALU_DEP_1) | instskip(SKIP_2) | instid1(VALU_DEP_1)
	v_fmac_f32_e32 v36, v48, v15
	s_wait_loadcnt_dscnt 0x0
	v_lshlrev_b32_e32 v15, 16, v55
	v_fmac_f32_e32 v36, v44, v15
.LBB666_24:                             ;   in Loop: Header=BB666_27 Depth=2
	s_or_b32 exec_lo, exec_lo, s43
	s_wait_loadcnt_dscnt 0x303
	v_lshlrev_b32_e32 v15, 16, v54
	s_wait_loadcnt_dscnt 0x202
	s_delay_alu instid0(VALU_DEP_1) | instskip(SKIP_2) | instid1(VALU_DEP_2)
	v_dual_fmac_f32 v35, v50, v15 :: v_dual_lshlrev_b32 v16, 16, v53
	s_wait_loadcnt_dscnt 0x101
	v_lshlrev_b32_e32 v15, 16, v52
	v_fmac_f32_e32 v35, v46, v16
	s_delay_alu instid0(VALU_DEP_1) | instskip(SKIP_2) | instid1(VALU_DEP_1)
	v_fmac_f32_e32 v35, v48, v15
	s_wait_loadcnt_dscnt 0x0
	v_lshlrev_b32_e32 v15, 16, v51
	v_fmac_f32_e32 v35, v44, v15
.LBB666_25:                             ;   in Loop: Header=BB666_27 Depth=2
	s_or_b32 exec_lo, exec_lo, s42
	s_wait_loadcnt_dscnt 0x202
	v_lshlrev_b32_e32 v16, 16, v47
	v_lshlrev_b32_e32 v15, 16, v49
	s_wait_loadcnt_dscnt 0x101
	s_delay_alu instid0(VALU_DEP_1) | instskip(NEXT) | instid1(VALU_DEP_1)
	v_dual_fmac_f32 v34, v50, v15 :: v_dual_lshlrev_b32 v15, 16, v45
	v_fmac_f32_e32 v34, v46, v16
	s_delay_alu instid0(VALU_DEP_1) | instskip(SKIP_2) | instid1(VALU_DEP_1)
	v_fmac_f32_e32 v34, v48, v15
	s_wait_loadcnt_dscnt 0x0
	v_lshlrev_b32_e32 v15, 16, v43
	v_fmac_f32_e32 v34, v44, v15
.LBB666_26:                             ;   in Loop: Header=BB666_27 Depth=2
	s_wait_alu 0xfffe
	s_or_b32 exec_lo, exec_lo, s41
	v_add_nc_u32_e32 v38, 16, v38
	v_add_nc_u32_e32 v42, s36, v42
	;; [unrolled: 1-line block ×5, first 2 shown]
	v_cmp_le_i32_e32 vcc_lo, s34, v38
	s_add_co_i32 s40, s40, s37
	s_or_b32 s39, vcc_lo, s39
	s_delay_alu instid0(SALU_CYCLE_1)
	s_and_not1_b32 exec_lo, exec_lo, s39
	s_cbranch_execz .LBB666_32
.LBB666_27:                             ;   Parent Loop BB666_4 Depth=1
                                        ; =>  This Inner Loop Header: Depth=2
	s_and_saveexec_b32 s41, s1
	s_cbranch_execz .LBB666_26
; %bb.28:                               ;   in Loop: Header=BB666_27 Depth=2
	s_wait_alu 0xfffe
	v_add_nc_u32_e32 v15, s40, v31
	v_add_nc_u32_e32 v17, s40, v8
	;; [unrolled: 1-line block ×5, first 2 shown]
	v_ashrrev_i32_e32 v16, 31, v15
	v_ashrrev_i32_e32 v18, 31, v17
	;; [unrolled: 1-line block ×5, first 2 shown]
	v_lshlrev_b64_e32 v[15:16], 1, v[15:16]
	v_lshlrev_b64_e32 v[17:18], 1, v[17:18]
	;; [unrolled: 1-line block ×4, first 2 shown]
	v_add_nc_u32_e32 v45, s30, v42
	v_add_nc_u32_e32 v47, s30, v41
	v_add_co_u32 v15, vcc_lo, v13, v15
	s_wait_alu 0xfffd
	v_add_co_ci_u32_e64 v16, null, v14, v16, vcc_lo
	v_add_co_u32 v17, vcc_lo, v13, v17
	s_wait_alu 0xfffd
	v_add_co_ci_u32_e64 v18, null, v14, v18, vcc_lo
	;; [unrolled: 3-line block ×4, first 2 shown]
	v_lshlrev_b64_e32 v[43:44], 1, v[43:44]
	s_clause 0x3
	flat_load_u16 v50, v[15:16]
	flat_load_u16 v51, v[17:18]
	;; [unrolled: 1-line block ×4, first 2 shown]
	v_add_nc_u32_e32 v19, s30, v40
	v_ashrrev_i32_e32 v46, 31, v45
	v_ashrrev_i32_e32 v48, 31, v47
	v_add_co_u32 v15, vcc_lo, v11, v43
	s_delay_alu instid0(VALU_DEP_4) | instskip(NEXT) | instid1(VALU_DEP_4)
	v_ashrrev_i32_e32 v20, 31, v19
	v_lshlrev_b64_e32 v[17:18], 1, v[45:46]
	s_wait_alu 0xfffd
	v_add_co_ci_u32_e64 v16, null, v12, v44, vcc_lo
	v_lshlrev_b64_e32 v[43:44], 1, v[47:48]
	v_lshlrev_b64_e32 v[19:20], 1, v[19:20]
	s_delay_alu instid0(VALU_DEP_4) | instskip(SKIP_2) | instid1(VALU_DEP_4)
	v_add_co_u32 v21, vcc_lo, v11, v17
	s_wait_alu 0xfffd
	v_add_co_ci_u32_e64 v22, null, v12, v18, vcc_lo
	v_add_co_u32 v17, vcc_lo, v11, v43
	s_wait_alu 0xfffd
	v_add_co_ci_u32_e64 v18, null, v12, v44, vcc_lo
	;; [unrolled: 3-line block ×3, first 2 shown]
	s_clause 0x3
	flat_load_u16 v49, v[15:16]
	flat_load_u16 v47, v[21:22]
	;; [unrolled: 1-line block ×4, first 2 shown]
	s_wait_loadcnt_dscnt 0x707
	v_lshlrev_b32_e32 v50, 16, v50
	s_wait_loadcnt_dscnt 0x606
	v_lshlrev_b32_e32 v46, 16, v51
	;; [unrolled: 2-line block ×4, first 2 shown]
	s_and_saveexec_b32 s42, s3
	s_cbranch_execz .LBB666_25
; %bb.29:                               ;   in Loop: Header=BB666_27 Depth=2
	s_clause 0x3
	flat_load_u16 v54, v[15:16] offset:128
	flat_load_u16 v53, v[21:22] offset:128
	flat_load_u16 v52, v[17:18] offset:128
	flat_load_u16 v51, v[19:20] offset:128
	s_and_saveexec_b32 s43, s4
	s_cbranch_execz .LBB666_24
; %bb.30:                               ;   in Loop: Header=BB666_27 Depth=2
	s_clause 0x3
	flat_load_u16 v58, v[15:16] offset:256
	flat_load_u16 v57, v[21:22] offset:256
	flat_load_u16 v56, v[17:18] offset:256
	flat_load_u16 v55, v[19:20] offset:256
	;; [unrolled: 8-line block ×3, first 2 shown]
	s_wait_loadcnt_dscnt 0x303
	v_lshlrev_b32_e32 v15, 16, v15
	s_wait_loadcnt_dscnt 0x202
	s_delay_alu instid0(VALU_DEP_1) | instskip(SKIP_3) | instid1(VALU_DEP_2)
	v_dual_fmac_f32 v37, v50, v15 :: v_dual_lshlrev_b32 v16, 16, v16
	s_wait_loadcnt_dscnt 0x101
	v_lshlrev_b32_e32 v15, 16, v17
	s_wait_loadcnt_dscnt 0x0
	v_dual_fmac_f32 v37, v46, v16 :: v_dual_lshlrev_b32 v16, 16, v18
	s_delay_alu instid0(VALU_DEP_1) | instskip(NEXT) | instid1(VALU_DEP_1)
	v_fmac_f32_e32 v37, v48, v15
	v_fmac_f32_e32 v37, v44, v16
	s_branch .LBB666_23
.LBB666_32:                             ;   in Loop: Header=BB666_4 Depth=1
	s_or_b32 exec_lo, exec_lo, s39
.LBB666_33:                             ;   in Loop: Header=BB666_4 Depth=1
	s_wait_alu 0xfffe
	s_or_b32 exec_lo, exec_lo, s7
	s_delay_alu instid0(SALU_CYCLE_1)
	s_and_not1_b32 vcc_lo, exec_lo, s20
	s_wait_alu 0xfffe
	s_cbranch_vccnz .LBB666_51
; %bb.34:                               ;   in Loop: Header=BB666_4 Depth=1
	v_cmp_gt_i32_e32 vcc_lo, s21, v38
	v_dual_mov_b32 v20, 0 :: v_dual_mov_b32 v19, 0
	v_or_b32_e32 v15, 1, v38
	v_dual_mov_b32 v22, 0 :: v_dual_mov_b32 v21, 0
	s_and_saveexec_b32 s39, vcc_lo
	s_cbranch_execz .LBB666_42
; %bb.35:                               ;   in Loop: Header=BB666_4 Depth=1
	v_mul_lo_u32 v16, v38, s26
	v_dual_mov_b32 v21, 0 :: v_dual_mov_b32 v20, 0
	v_mov_b32_e32 v19, 0
	s_mov_b32 s40, exec_lo
	s_delay_alu instid0(VALU_DEP_3) | instskip(NEXT) | instid1(VALU_DEP_1)
	v_ashrrev_i32_e32 v17, 31, v16
	v_lshlrev_b64_e32 v[16:17], 1, v[16:17]
	s_delay_alu instid0(VALU_DEP_1) | instskip(SKIP_1) | instid1(VALU_DEP_2)
	v_add_co_u32 v16, s7, v13, v16
	s_wait_alu 0xf1ff
	v_add_co_ci_u32_e64 v17, null, v14, v17, s7
	flat_load_u16 v16, v[16:17]
	v_cmpx_gt_i32_e64 s21, v15
	s_cbranch_execz .LBB666_41
; %bb.36:                               ;   in Loop: Header=BB666_4 Depth=1
	v_mul_lo_u32 v17, v15, s26
	v_dual_mov_b32 v19, 0 :: v_dual_mov_b32 v20, 0
	s_mov_b32 s41, exec_lo
	s_delay_alu instid0(VALU_DEP_2) | instskip(NEXT) | instid1(VALU_DEP_1)
	v_ashrrev_i32_e32 v18, 31, v17
	v_lshlrev_b64_e32 v[17:18], 1, v[17:18]
	s_delay_alu instid0(VALU_DEP_1) | instskip(SKIP_1) | instid1(VALU_DEP_2)
	v_add_co_u32 v17, s7, v13, v17
	s_wait_alu 0xf1ff
	v_add_co_ci_u32_e64 v18, null, v14, v18, s7
	flat_load_u16 v17, v[17:18]
	v_or_b32_e32 v18, 2, v38
	s_delay_alu instid0(VALU_DEP_1)
	v_cmpx_gt_i32_e64 s21, v18
	s_cbranch_execz .LBB666_40
; %bb.37:                               ;   in Loop: Header=BB666_4 Depth=1
	v_mul_lo_u32 v18, v18, s26
	v_or_b32_e32 v20, 3, v38
	s_mov_b32 s42, exec_lo
	s_delay_alu instid0(VALU_DEP_2) | instskip(NEXT) | instid1(VALU_DEP_1)
	v_ashrrev_i32_e32 v19, 31, v18
	v_lshlrev_b64_e32 v[18:19], 1, v[18:19]
	s_delay_alu instid0(VALU_DEP_1) | instskip(SKIP_1) | instid1(VALU_DEP_2)
	v_add_co_u32 v18, s7, v13, v18
	s_wait_alu 0xf1ff
	v_add_co_ci_u32_e64 v19, null, v14, v19, s7
	flat_load_u16 v18, v[18:19]
	v_mov_b32_e32 v19, 0
	v_cmpx_gt_i32_e64 s21, v20
	s_cbranch_execz .LBB666_39
; %bb.38:                               ;   in Loop: Header=BB666_4 Depth=1
	v_mul_lo_u32 v19, v20, s26
	s_delay_alu instid0(VALU_DEP_1) | instskip(NEXT) | instid1(VALU_DEP_1)
	v_ashrrev_i32_e32 v20, 31, v19
	v_lshlrev_b64_e32 v[19:20], 1, v[19:20]
	s_delay_alu instid0(VALU_DEP_1) | instskip(SKIP_1) | instid1(VALU_DEP_2)
	v_add_co_u32 v13, s7, v13, v19
	s_wait_alu 0xf1ff
	v_add_co_ci_u32_e64 v14, null, v14, v20, s7
	flat_load_u16 v13, v[13:14]
	s_wait_loadcnt_dscnt 0x0
	v_lshlrev_b32_e32 v19, 16, v13
.LBB666_39:                             ;   in Loop: Header=BB666_4 Depth=1
	s_or_b32 exec_lo, exec_lo, s42
	s_wait_loadcnt_dscnt 0x0
	v_lshlrev_b32_e32 v20, 16, v18
.LBB666_40:                             ;   in Loop: Header=BB666_4 Depth=1
	s_wait_alu 0xfffe
	s_or_b32 exec_lo, exec_lo, s41
	s_wait_loadcnt_dscnt 0x0
	v_lshlrev_b32_e32 v21, 16, v17
.LBB666_41:                             ;   in Loop: Header=BB666_4 Depth=1
	s_wait_alu 0xfffe
	s_or_b32 exec_lo, exec_lo, s40
	s_wait_loadcnt_dscnt 0x0
	v_lshlrev_b32_e32 v22, 16, v16
.LBB666_42:                             ;   in Loop: Header=BB666_4 Depth=1
	s_or_b32 exec_lo, exec_lo, s39
	s_and_saveexec_b32 s7, s1
	s_cbranch_execz .LBB666_50
; %bb.43:                               ;   in Loop: Header=BB666_4 Depth=1
	v_mul_lo_u32 v14, v38, s28
	v_or_b32_e32 v13, 2, v38
	v_mul_lo_u32 v17, v15, s28
	v_or_b32_e32 v16, 3, v38
	s_delay_alu instid0(VALU_DEP_3) | instskip(NEXT) | instid1(VALU_DEP_2)
	v_mul_lo_u32 v18, v13, s28
	v_mul_lo_u32 v38, v16, s28
	v_cndmask_b32_e32 v14, 0, v14, vcc_lo
	v_cmp_gt_i32_e32 vcc_lo, s21, v15
	s_wait_alu 0xfffd
	v_cndmask_b32_e32 v15, 0, v17, vcc_lo
	v_cmp_gt_i32_e32 vcc_lo, s21, v13
	v_add_nc_u32_e32 v13, v14, v27
	s_delay_alu instid0(VALU_DEP_3)
	v_add_nc_u32_e32 v15, v15, v27
	s_wait_alu 0xfffd
	v_cndmask_b32_e32 v17, 0, v18, vcc_lo
	v_cmp_gt_i32_e32 vcc_lo, s21, v16
	v_ashrrev_i32_e32 v14, 31, v13
	s_wait_alu 0xfffd
	v_cndmask_b32_e32 v16, 0, v38, vcc_lo
	s_delay_alu instid0(VALU_DEP_2) | instskip(NEXT) | instid1(VALU_DEP_2)
	v_lshlrev_b64_e32 v[13:14], 1, v[13:14]
	v_add_nc_u32_e32 v38, v16, v27
	v_add_nc_u32_e32 v17, v17, v27
	v_ashrrev_i32_e32 v16, 31, v15
	s_delay_alu instid0(VALU_DEP_3) | instskip(NEXT) | instid1(VALU_DEP_3)
	v_ashrrev_i32_e32 v39, 31, v38
	v_ashrrev_i32_e32 v18, 31, v17
	s_delay_alu instid0(VALU_DEP_3) | instskip(SKIP_1) | instid1(VALU_DEP_4)
	v_lshlrev_b64_e32 v[40:41], 1, v[15:16]
	v_add_co_u32 v15, vcc_lo, v11, v13
	v_lshlrev_b64_e32 v[38:39], 1, v[38:39]
	s_delay_alu instid0(VALU_DEP_4)
	v_lshlrev_b64_e32 v[42:43], 1, v[17:18]
	s_wait_alu 0xfffd
	v_add_co_ci_u32_e64 v16, null, v12, v14, vcc_lo
	v_add_co_u32 v17, vcc_lo, v11, v40
	s_wait_alu 0xfffd
	v_add_co_ci_u32_e64 v18, null, v12, v41, vcc_lo
	v_add_co_u32 v13, vcc_lo, v11, v42
	;; [unrolled: 3-line block ×3, first 2 shown]
	s_wait_alu 0xfffd
	v_add_co_ci_u32_e64 v12, null, v12, v39, vcc_lo
	s_clause 0x3
	flat_load_u16 v41, v[15:16]
	flat_load_u16 v40, v[17:18]
	;; [unrolled: 1-line block ×4, first 2 shown]
	s_and_saveexec_b32 s39, s3
	s_cbranch_execz .LBB666_49
; %bb.44:                               ;   in Loop: Header=BB666_4 Depth=1
	s_clause 0x3
	flat_load_u16 v45, v[15:16] offset:128
	flat_load_u16 v44, v[17:18] offset:128
	flat_load_u16 v43, v[13:14] offset:128
	flat_load_u16 v42, v[11:12] offset:128
	s_and_saveexec_b32 s40, s4
	s_cbranch_execz .LBB666_48
; %bb.45:                               ;   in Loop: Header=BB666_4 Depth=1
	s_clause 0x3
	flat_load_u16 v49, v[15:16] offset:256
	flat_load_u16 v48, v[17:18] offset:256
	flat_load_u16 v47, v[13:14] offset:256
	flat_load_u16 v46, v[11:12] offset:256
	;; [unrolled: 8-line block ×3, first 2 shown]
	s_wait_loadcnt_dscnt 0x0
	v_lshlrev_b32_e32 v11, 16, v11
	v_lshlrev_b32_e32 v14, 16, v16
	;; [unrolled: 1-line block ×3, first 2 shown]
	s_delay_alu instid0(VALU_DEP_1) | instskip(NEXT) | instid1(VALU_DEP_1)
	v_dual_fmac_f32 v37, v22, v12 :: v_dual_lshlrev_b32 v12, 16, v13
	v_fmac_f32_e32 v37, v21, v14
	s_delay_alu instid0(VALU_DEP_1) | instskip(NEXT) | instid1(VALU_DEP_1)
	v_fmac_f32_e32 v37, v20, v12
	v_fmac_f32_e32 v37, v19, v11
.LBB666_47:                             ;   in Loop: Header=BB666_4 Depth=1
	s_wait_alu 0xfffe
	s_or_b32 exec_lo, exec_lo, s41
	s_wait_loadcnt_dscnt 0x202
	v_lshlrev_b32_e32 v12, 16, v48
	v_lshlrev_b32_e32 v11, 16, v49
	s_delay_alu instid0(VALU_DEP_1) | instskip(SKIP_1) | instid1(VALU_DEP_1)
	v_fmac_f32_e32 v36, v22, v11
	s_wait_loadcnt_dscnt 0x101
	v_dual_fmac_f32 v36, v21, v12 :: v_dual_lshlrev_b32 v11, 16, v47
	s_wait_loadcnt_dscnt 0x0
	s_delay_alu instid0(VALU_DEP_1) | instskip(NEXT) | instid1(VALU_DEP_1)
	v_dual_fmac_f32 v36, v20, v11 :: v_dual_lshlrev_b32 v11, 16, v46
	v_fmac_f32_e32 v36, v19, v11
.LBB666_48:                             ;   in Loop: Header=BB666_4 Depth=1
	s_wait_alu 0xfffe
	s_or_b32 exec_lo, exec_lo, s40
	s_wait_loadcnt_dscnt 0x303
	v_lshlrev_b32_e32 v11, 16, v45
	s_wait_loadcnt_dscnt 0x202
	s_delay_alu instid0(VALU_DEP_1) | instskip(SKIP_2) | instid1(VALU_DEP_2)
	v_dual_fmac_f32 v35, v22, v11 :: v_dual_lshlrev_b32 v12, 16, v44
	s_wait_loadcnt_dscnt 0x101
	v_lshlrev_b32_e32 v11, 16, v43
	v_fmac_f32_e32 v35, v21, v12
	s_delay_alu instid0(VALU_DEP_1) | instskip(SKIP_2) | instid1(VALU_DEP_1)
	v_fmac_f32_e32 v35, v20, v11
	s_wait_loadcnt_dscnt 0x0
	v_lshlrev_b32_e32 v11, 16, v42
	v_fmac_f32_e32 v35, v19, v11
.LBB666_49:                             ;   in Loop: Header=BB666_4 Depth=1
	s_or_b32 exec_lo, exec_lo, s39
	s_wait_loadcnt_dscnt 0x202
	v_lshlrev_b32_e32 v12, 16, v40
	v_lshlrev_b32_e32 v11, 16, v41
	s_delay_alu instid0(VALU_DEP_1) | instskip(SKIP_1) | instid1(VALU_DEP_1)
	v_fmac_f32_e32 v34, v22, v11
	s_wait_loadcnt_dscnt 0x101
	v_dual_fmac_f32 v34, v21, v12 :: v_dual_lshlrev_b32 v11, 16, v39
	s_wait_loadcnt_dscnt 0x0
	s_delay_alu instid0(VALU_DEP_1) | instskip(NEXT) | instid1(VALU_DEP_1)
	v_dual_fmac_f32 v34, v20, v11 :: v_dual_lshlrev_b32 v11, 16, v38
	v_fmac_f32_e32 v34, v19, v11
.LBB666_50:                             ;   in Loop: Header=BB666_4 Depth=1
	s_wait_alu 0xfffe
	s_or_b32 exec_lo, exec_lo, s7
.LBB666_51:                             ;   in Loop: Header=BB666_4 Depth=1
	ds_store_2addr_stride64_b32 v24, v34, v35 offset1:1
	ds_store_2addr_stride64_b32 v24, v36, v37 offset0:2 offset1:3
	s_wait_dscnt 0x0
	s_barrier_signal -1
	s_barrier_wait -1
	global_inv scope:SCOPE_SE
                                        ; implicit-def: $vgpr15
	s_and_saveexec_b32 s7, s0
	s_cbranch_execz .LBB666_57
; %bb.52:                               ;   in Loop: Header=BB666_4 Depth=1
	ds_load_2addr_stride64_b32 v[11:12], v25 offset1:4
	ds_load_2addr_stride64_b32 v[13:14], v25 offset0:8 offset1:12
	s_mov_b32 s40, s38
                                        ; implicit-def: $vgpr15
	s_wait_dscnt 0x1
	v_add_f32_e32 v11, v11, v12
	s_wait_dscnt 0x0
	s_delay_alu instid0(VALU_DEP_1) | instskip(NEXT) | instid1(VALU_DEP_1)
	v_add_f32_e32 v11, v13, v11
	v_add_f32_e32 v11, v14, v11
	ds_store_b32 v25, v11
	s_and_saveexec_b32 s39, s2
	s_cbranch_execz .LBB666_56
; %bb.53:                               ;   in Loop: Header=BB666_4 Depth=1
	v_mul_f32_e32 v15, s22, v11
	s_and_not1_b32 vcc_lo, exec_lo, s33
	s_wait_alu 0xfffe
	s_cbranch_vccnz .LBB666_55
; %bb.54:                               ;   in Loop: Header=BB666_4 Depth=1
	v_lshlrev_b64_e32 v[11:12], 2, v[4:5]
	s_delay_alu instid0(VALU_DEP_1) | instskip(SKIP_1) | instid1(VALU_DEP_2)
	v_add_co_u32 v11, vcc_lo, v32, v11
	s_wait_alu 0xfffd
	v_add_co_ci_u32_e64 v12, null, v33, v12, vcc_lo
	flat_load_b32 v11, v[11:12]
	s_wait_loadcnt_dscnt 0x0
	v_fmac_f32_e32 v15, s27, v11
.LBB666_55:                             ;   in Loop: Header=BB666_4 Depth=1
	s_or_b32 s40, s38, exec_lo
.LBB666_56:                             ;   in Loop: Header=BB666_4 Depth=1
	s_or_b32 exec_lo, exec_lo, s39
	s_delay_alu instid0(SALU_CYCLE_1) | instskip(SKIP_2) | instid1(SALU_CYCLE_1)
	s_and_not1_b32 s38, s38, exec_lo
	s_wait_alu 0xfffe
	s_and_b32 s39, s40, exec_lo
	s_or_b32 s38, s38, s39
.LBB666_57:                             ;   in Loop: Header=BB666_4 Depth=1
	s_wait_alu 0xfffe
	s_or_b32 exec_lo, exec_lo, s7
	v_dual_mov_b32 v12, v5 :: v_dual_mov_b32 v11, v4
	s_and_saveexec_b32 s7, s38
	s_cbranch_execz .LBB666_2
.LBB666_58:                             ;   in Loop: Header=BB666_4 Depth=1
	s_delay_alu instid0(VALU_DEP_1) | instskip(NEXT) | instid1(VALU_DEP_1)
	v_lshlrev_b64_e32 v[11:12], 2, v[11:12]
	v_add_co_u32 v11, vcc_lo, v32, v11
	s_wait_alu 0xfffd
	s_delay_alu instid0(VALU_DEP_2)
	v_add_co_ci_u32_e64 v12, null, v33, v12, vcc_lo
	flat_store_b32 v[11:12], v15
	s_branch .LBB666_2
.LBB666_59:
	s_endpgm
	.section	.rodata,"a",@progbits
	.p2align	6, 0x0
	.amdhsa_kernel _ZL20rocblas_gemvn_kernelILi64ELi4EiPK16rocblas_bfloat16fKPfEviiT3_lPKT2_lT1_lS8_lS9_lS5_lPT4_lS9_li
		.amdhsa_group_segment_fixed_size 4096
		.amdhsa_private_segment_fixed_size 0
		.amdhsa_kernarg_size 400
		.amdhsa_user_sgpr_count 2
		.amdhsa_user_sgpr_dispatch_ptr 0
		.amdhsa_user_sgpr_queue_ptr 0
		.amdhsa_user_sgpr_kernarg_segment_ptr 1
		.amdhsa_user_sgpr_dispatch_id 0
		.amdhsa_user_sgpr_private_segment_size 0
		.amdhsa_wavefront_size32 1
		.amdhsa_uses_dynamic_stack 0
		.amdhsa_enable_private_segment 0
		.amdhsa_system_sgpr_workgroup_id_x 1
		.amdhsa_system_sgpr_workgroup_id_y 0
		.amdhsa_system_sgpr_workgroup_id_z 1
		.amdhsa_system_sgpr_workgroup_info 0
		.amdhsa_system_vgpr_workitem_id 1
		.amdhsa_next_free_vgpr 59
		.amdhsa_next_free_sgpr 45
		.amdhsa_reserve_vcc 1
		.amdhsa_float_round_mode_32 0
		.amdhsa_float_round_mode_16_64 0
		.amdhsa_float_denorm_mode_32 3
		.amdhsa_float_denorm_mode_16_64 3
		.amdhsa_fp16_overflow 0
		.amdhsa_workgroup_processor_mode 1
		.amdhsa_memory_ordered 1
		.amdhsa_forward_progress 1
		.amdhsa_inst_pref_size 27
		.amdhsa_round_robin_scheduling 0
		.amdhsa_exception_fp_ieee_invalid_op 0
		.amdhsa_exception_fp_denorm_src 0
		.amdhsa_exception_fp_ieee_div_zero 0
		.amdhsa_exception_fp_ieee_overflow 0
		.amdhsa_exception_fp_ieee_underflow 0
		.amdhsa_exception_fp_ieee_inexact 0
		.amdhsa_exception_int_div_zero 0
	.end_amdhsa_kernel
	.section	.text._ZL20rocblas_gemvn_kernelILi64ELi4EiPK16rocblas_bfloat16fKPfEviiT3_lPKT2_lT1_lS8_lS9_lS5_lPT4_lS9_li,"axG",@progbits,_ZL20rocblas_gemvn_kernelILi64ELi4EiPK16rocblas_bfloat16fKPfEviiT3_lPKT2_lT1_lS8_lS9_lS5_lPT4_lS9_li,comdat
.Lfunc_end666:
	.size	_ZL20rocblas_gemvn_kernelILi64ELi4EiPK16rocblas_bfloat16fKPfEviiT3_lPKT2_lT1_lS8_lS9_lS5_lPT4_lS9_li, .Lfunc_end666-_ZL20rocblas_gemvn_kernelILi64ELi4EiPK16rocblas_bfloat16fKPfEviiT3_lPKT2_lT1_lS8_lS9_lS5_lPT4_lS9_li
                                        ; -- End function
	.set _ZL20rocblas_gemvn_kernelILi64ELi4EiPK16rocblas_bfloat16fKPfEviiT3_lPKT2_lT1_lS8_lS9_lS5_lPT4_lS9_li.num_vgpr, 59
	.set _ZL20rocblas_gemvn_kernelILi64ELi4EiPK16rocblas_bfloat16fKPfEviiT3_lPKT2_lT1_lS8_lS9_lS5_lPT4_lS9_li.num_agpr, 0
	.set _ZL20rocblas_gemvn_kernelILi64ELi4EiPK16rocblas_bfloat16fKPfEviiT3_lPKT2_lT1_lS8_lS9_lS5_lPT4_lS9_li.numbered_sgpr, 45
	.set _ZL20rocblas_gemvn_kernelILi64ELi4EiPK16rocblas_bfloat16fKPfEviiT3_lPKT2_lT1_lS8_lS9_lS5_lPT4_lS9_li.num_named_barrier, 0
	.set _ZL20rocblas_gemvn_kernelILi64ELi4EiPK16rocblas_bfloat16fKPfEviiT3_lPKT2_lT1_lS8_lS9_lS5_lPT4_lS9_li.private_seg_size, 0
	.set _ZL20rocblas_gemvn_kernelILi64ELi4EiPK16rocblas_bfloat16fKPfEviiT3_lPKT2_lT1_lS8_lS9_lS5_lPT4_lS9_li.uses_vcc, 1
	.set _ZL20rocblas_gemvn_kernelILi64ELi4EiPK16rocblas_bfloat16fKPfEviiT3_lPKT2_lT1_lS8_lS9_lS5_lPT4_lS9_li.uses_flat_scratch, 1
	.set _ZL20rocblas_gemvn_kernelILi64ELi4EiPK16rocblas_bfloat16fKPfEviiT3_lPKT2_lT1_lS8_lS9_lS5_lPT4_lS9_li.has_dyn_sized_stack, 0
	.set _ZL20rocblas_gemvn_kernelILi64ELi4EiPK16rocblas_bfloat16fKPfEviiT3_lPKT2_lT1_lS8_lS9_lS5_lPT4_lS9_li.has_recursion, 0
	.set _ZL20rocblas_gemvn_kernelILi64ELi4EiPK16rocblas_bfloat16fKPfEviiT3_lPKT2_lT1_lS8_lS9_lS5_lPT4_lS9_li.has_indirect_call, 0
	.section	.AMDGPU.csdata,"",@progbits
; Kernel info:
; codeLenInByte = 3360
; TotalNumSgprs: 47
; NumVgprs: 59
; ScratchSize: 0
; MemoryBound: 0
; FloatMode: 240
; IeeeMode: 1
; LDSByteSize: 4096 bytes/workgroup (compile time only)
; SGPRBlocks: 0
; VGPRBlocks: 7
; NumSGPRsForWavesPerEU: 47
; NumVGPRsForWavesPerEU: 59
; Occupancy: 16
; WaveLimiterHint : 1
; COMPUTE_PGM_RSRC2:SCRATCH_EN: 0
; COMPUTE_PGM_RSRC2:USER_SGPR: 2
; COMPUTE_PGM_RSRC2:TRAP_HANDLER: 0
; COMPUTE_PGM_RSRC2:TGID_X_EN: 1
; COMPUTE_PGM_RSRC2:TGID_Y_EN: 0
; COMPUTE_PGM_RSRC2:TGID_Z_EN: 1
; COMPUTE_PGM_RSRC2:TIDIG_COMP_CNT: 1
	.section	.text._ZL20rocblas_gemvn_kernelILi64ELi4ElPK16rocblas_bfloat16fKPfEviiT3_lPKT2_lT1_lS8_lS9_lS5_lPT4_lS9_li,"axG",@progbits,_ZL20rocblas_gemvn_kernelILi64ELi4ElPK16rocblas_bfloat16fKPfEviiT3_lPKT2_lT1_lS8_lS9_lS5_lPT4_lS9_li,comdat
	.globl	_ZL20rocblas_gemvn_kernelILi64ELi4ElPK16rocblas_bfloat16fKPfEviiT3_lPKT2_lT1_lS8_lS9_lS5_lPT4_lS9_li ; -- Begin function _ZL20rocblas_gemvn_kernelILi64ELi4ElPK16rocblas_bfloat16fKPfEviiT3_lPKT2_lT1_lS8_lS9_lS5_lPT4_lS9_li
	.p2align	8
	.type	_ZL20rocblas_gemvn_kernelILi64ELi4ElPK16rocblas_bfloat16fKPfEviiT3_lPKT2_lT1_lS8_lS9_lS5_lPT4_lS9_li,@function
_ZL20rocblas_gemvn_kernelILi64ELi4ElPK16rocblas_bfloat16fKPfEviiT3_lPKT2_lT1_lS8_lS9_lS5_lPT4_lS9_li: ; @_ZL20rocblas_gemvn_kernelILi64ELi4ElPK16rocblas_bfloat16fKPfEviiT3_lPKT2_lT1_lS8_lS9_lS5_lPT4_lS9_li
; %bb.0:
	s_clause 0x1
	s_load_b64 s[2:3], s[0:1], 0x9c
	s_load_b32 s23, s[0:1], 0x88
	s_lshr_b32 s24, ttmp7, 16
	s_wait_kmcnt 0x0
	s_lshr_b32 s4, s2, 16
	s_and_b32 s2, s2, 0xffff
	s_and_b32 s3, s3, 0xffff
	s_mul_i32 s2, s4, s2
	s_delay_alu instid0(SALU_CYCLE_1) | instskip(NEXT) | instid1(SALU_CYCLE_1)
	s_mul_i32 s2, s2, s3
	s_cmp_lg_u32 s2, 0x100
	s_cselect_b32 s2, -1, 0
	s_cmp_ge_u32 s24, s23
	s_cselect_b32 s3, -1, 0
	s_delay_alu instid0(SALU_CYCLE_1) | instskip(NEXT) | instid1(SALU_CYCLE_1)
	s_or_b32 s2, s2, s3
	s_and_b32 vcc_lo, exec_lo, s2
	s_cbranch_vccnz .LBB667_59
; %bb.1:
	s_clause 0x7
	s_load_b96 s[20:22], s[0:1], 0x0
	s_load_b32 s33, s[0:1], 0x58
	s_load_b64 s[26:27], s[0:1], 0x48
	s_load_b128 s[8:11], s[0:1], 0x18
	s_load_b64 s[28:29], s[0:1], 0x28
	s_load_b128 s[12:15], s[0:1], 0x38
	;; [unrolled: 2-line block ×3, first 2 shown]
	v_dual_mov_b32 v1, 0 :: v_dual_and_b32 v2, 0x3ff, v0
	v_bfe_u32 v26, v0, 10, 10
	s_mov_b32 s25, 0
	s_delay_alu instid0(VALU_DEP_2) | instskip(NEXT) | instid1(VALU_DEP_2)
	v_lshlrev_b32_e32 v16, 2, v2
	v_lshl_add_u32 v3, v26, 6, v2
	v_lshlrev_b32_e32 v40, 2, v26
	s_delay_alu instid0(VALU_DEP_2)
	v_cmp_gt_u32_e64 s0, 0x100, v3
	s_wait_kmcnt 0x0
	s_cmp_eq_f32 s22, 0
	v_mad_co_u64_u32 v[6:7], null, s26, v26, 0
	s_mov_b32 s2, s20
	s_cselect_b32 s36, -1, 0
	s_cmp_neq_f32 s33, 1.0
	v_or_b32_e32 v17, 3, v40
	s_cselect_b32 s1, -1, 0
	s_cmp_neq_f32 s22, 0
	s_delay_alu instid0(VALU_DEP_1)
	v_mad_co_u64_u32 v[12:13], null, s26, v17, 0
	s_cselect_b32 s4, -1, 0
	s_lshl_b32 s30, ttmp9, 8
	s_ashr_i32 s3, s20, 31
	v_add_nc_u32_e32 v0, s30, v3
	v_or_b32_e32 v8, s30, v2
	s_or_b32 s37, s4, s1
	s_cmp_neq_f32 s33, 0
	v_or_b32_e32 v18, s30, v3
	v_mad_co_u64_u32 v[2:3], null, s6, v0, 0
	v_add_nc_u32_e32 v4, 64, v8
	v_cmp_gt_i64_e32 vcc_lo, s[2:3], v[0:1]
	s_cselect_b32 s38, -1, 0
	s_ashr_i32 s2, s21, 31
	v_add_nc_u32_e32 v5, 0x80, v8
	s_wait_alu 0xfffe
	s_lshr_b32 s2, s2, 28
	v_add_nc_u32_e32 v10, 0xc0, v8
	s_wait_alu 0xfffe
	s_add_co_i32 s3, s21, s2
	v_cmp_gt_i32_e64 s2, s20, v4
	v_mad_co_u64_u32 v[3:4], null, s7, v0, v[3:4]
	v_mov_b32_e32 v0, v7
	v_cndmask_b32_e64 v42, 0, 1, s4
	v_cmp_gt_i32_e64 s4, s20, v10
	v_mad_co_u64_u32 v[10:11], null, s28, v17, 0
	s_delay_alu instid0(VALU_DEP_4)
	v_mad_co_u64_u32 v[14:15], null, s27, v26, v[0:1]
	s_wait_alu 0xfffe
	s_and_b32 s39, s3, -16
	v_mul_lo_u32 v19, s7, v18
	v_cmp_gt_i32_e64 s3, s20, v5
	s_sub_co_i32 s5, s21, s39
	v_mad_co_u64_u32 v[4:5], null, s6, v18, 0
	v_mov_b32_e32 v7, v14
	v_mad_co_u64_u32 v[14:15], null, s29, v17, v[11:12]
	s_wait_alu 0xfffe
	s_cmp_gt_i32 s5, 0
	v_lshl_add_u32 v41, v26, 10, v16
	s_cselect_b32 s40, -1, 0
	s_ashr_i32 s7, s30, 31
	v_lshl_add_u32 v0, v26, 8, v16
	s_wait_alu 0xfffe
	s_mul_i32 s7, s6, s7
	v_mov_b32_e32 v11, v14
	v_or_b32_e32 v29, 2, v40
	v_mad_co_u64_u32 v[15:16], null, s27, v17, v[13:14]
	v_cmp_gt_i32_e64 s6, s20, v18
	s_wait_alu 0xfffe
	v_add3_u32 v5, v5, s7, v19
	v_mad_co_u64_u32 v[16:17], null, s28, v26, 0
	v_mad_co_u64_u32 v[18:19], null, s28, v29, 0
	v_mad_co_u64_u32 v[24:25], null, s28, v40, s[28:29]
	v_mad_co_u64_u32 v[20:21], null, s26, v29, 0
	v_mad_co_u64_u32 v[22:23], null, s26, v40, s[26:27]
	v_dual_mov_b32 v13, v15 :: v_dual_mov_b32 v14, v17
	s_delay_alu instid0(VALU_DEP_4)
	v_mov_b32_e32 v17, v25
	v_mov_b32_e32 v15, v19
	v_ashrrev_i32_e32 v9, 31, v8
	v_cmp_gt_i32_e64 s1, s20, v8
	v_lshlrev_b64_e32 v[6:7], 3, v[6:7]
	v_lshlrev_b64_e32 v[10:11], 1, v[10:11]
	v_mad_co_u64_u32 v[26:27], null, s29, v26, v[14:15]
	v_mov_b32_e32 v14, v21
	v_mad_co_u64_u32 v[27:28], null, s29, v29, v[15:16]
	v_mov_b32_e32 v15, v23
	v_lshlrev_b64_e32 v[8:9], 1, v[8:9]
	v_lshlrev_b64_e32 v[12:13], 1, v[12:13]
	v_cmp_gt_i32_e64 s5, s39, v40
	s_and_b32 s20, s0, vcc_lo
	v_mad_co_u64_u32 v[28:29], null, s27, v29, v[14:15]
	v_mad_co_u64_u32 v[14:15], null, s27, v40, v[15:16]
	v_mad_co_u64_u32 v[29:30], null, s29, v40, v[17:18]
	v_mov_b32_e32 v17, v26
	v_mov_b32_e32 v19, v27
	v_mov_b32_e32 v21, v28
	s_lshl_b64 s[30:31], s[26:27], 5
	v_mov_b32_e32 v23, v14
	v_lshlrev_b64_e32 v[14:15], 3, v[16:17]
	v_mov_b32_e32 v25, v29
	v_lshlrev_b64_e32 v[16:17], 1, v[18:19]
	v_lshlrev_b64_e32 v[18:19], 1, v[20:21]
	;; [unrolled: 1-line block ×3, first 2 shown]
	s_lshl_b64 s[34:35], s[28:29], 5
	v_lshlrev_b64_e32 v[22:23], 1, v[24:25]
	v_lshlrev_b64_e32 v[24:25], 2, v[2:3]
	s_lshl_b64 s[10:11], s[10:11], 1
	s_lshl_b64 s[14:15], s[14:15], 1
	;; [unrolled: 1-line block ×3, first 2 shown]
	s_branch .LBB667_4
.LBB667_2:                              ;   in Loop: Header=BB667_4 Depth=1
	s_wait_alu 0xfffe
	s_or_b32 exec_lo, exec_lo, s7
.LBB667_3:                              ;   in Loop: Header=BB667_4 Depth=1
	s_add_co_i32 s24, s24, 0x10000
	s_delay_alu instid0(SALU_CYCLE_1)
	s_cmp_lt_u32 s24, s23
	s_cbranch_scc0 .LBB667_59
.LBB667_4:                              ; =>This Loop Header: Depth=1
                                        ;     Child Loop BB667_27 Depth 2
	s_and_not1_b32 vcc_lo, exec_lo, s37
	s_wait_alu 0xfffe
	s_cbranch_vccnz .LBB667_3
; %bb.5:                                ;   in Loop: Header=BB667_4 Depth=1
	s_and_not1_b32 vcc_lo, exec_lo, s36
	s_wait_alu 0xfffe
	s_cbranch_vccnz .LBB667_7
; %bb.6:                                ;   in Loop: Header=BB667_4 Depth=1
	s_mov_b32 s7, 0
	s_branch .LBB667_8
.LBB667_7:                              ;   in Loop: Header=BB667_4 Depth=1
	s_mov_b32 s7, -1
.LBB667_8:                              ;   in Loop: Header=BB667_4 Depth=1
	v_mov_b32_e32 v28, 0
	v_dual_mov_b32 v29, 0 :: v_dual_mov_b32 v26, 0
	v_mov_b32_e32 v27, 0
	s_wait_alu 0xfffe
	s_and_not1_b32 vcc_lo, exec_lo, s7
	s_wait_alu 0xfffe
	s_cbranch_vccnz .LBB667_10
; %bb.9:                                ;   in Loop: Header=BB667_4 Depth=1
	s_lshl_b64 s[42:43], s[24:25], 3
	s_delay_alu instid0(SALU_CYCLE_1)
	s_add_nc_u64 s[42:43], s[8:9], s[42:43]
	global_load_b64 v[26:27], v1, s[42:43]
	s_wait_loadcnt 0x0
	v_add_co_u32 v26, vcc_lo, v26, s10
	s_wait_alu 0xfffd
	v_add_co_ci_u32_e64 v27, null, s11, v27, vcc_lo
.LBB667_10:                             ;   in Loop: Header=BB667_4 Depth=1
	v_cmp_ne_u32_e32 vcc_lo, 1, v42
	s_cbranch_vccnz .LBB667_12
; %bb.11:                               ;   in Loop: Header=BB667_4 Depth=1
	s_lshl_b64 s[42:43], s[24:25], 3
	s_delay_alu instid0(SALU_CYCLE_1)
	s_add_nc_u64 s[42:43], s[12:13], s[42:43]
	global_load_b64 v[28:29], v1, s[42:43]
	s_wait_loadcnt 0x0
	v_add_co_u32 v28, vcc_lo, v28, s14
	s_wait_alu 0xfffd
	v_add_co_ci_u32_e64 v29, null, s15, v29, vcc_lo
.LBB667_12:                             ;   in Loop: Header=BB667_4 Depth=1
	s_lshl_b64 s[42:43], s[24:25], 3
	s_delay_alu instid0(SALU_CYCLE_1)
	s_add_nc_u64 s[42:43], s[16:17], s[42:43]
	global_load_b64 v[30:31], v1, s[42:43]
	s_wait_loadcnt 0x0
	v_add_co_u32 v43, vcc_lo, v30, s18
	s_wait_alu 0xfffd
	v_add_co_ci_u32_e64 v44, null, s19, v31, vcc_lo
	s_and_not1_b32 vcc_lo, exec_lo, s36
	s_wait_alu 0xfffe
	s_cbranch_vccnz .LBB667_16
; %bb.13:                               ;   in Loop: Header=BB667_4 Depth=1
	s_mov_b32 s7, 0
	s_mov_b32 s41, 0
                                        ; implicit-def: $vgpr30
	s_and_saveexec_b32 s42, s20
	s_cbranch_execz .LBB667_17
; %bb.14:                               ;   in Loop: Header=BB667_4 Depth=1
	s_and_not1_b32 vcc_lo, exec_lo, s38
	s_wait_alu 0xfffe
	s_cbranch_vccnz .LBB667_19
; %bb.15:                               ;   in Loop: Header=BB667_4 Depth=1
	v_add_co_u32 v30, vcc_lo, v43, v24
	s_wait_alu 0xfffd
	v_add_co_ci_u32_e64 v31, null, v44, v25, vcc_lo
	flat_load_b32 v30, v[30:31]
	s_wait_loadcnt_dscnt 0x0
	v_mul_f32_e32 v30, s33, v30
	s_branch .LBB667_20
.LBB667_16:                             ;   in Loop: Header=BB667_4 Depth=1
	s_mov_b32 s41, 0
                                        ; implicit-def: $vgpr30
	s_cbranch_execz .LBB667_18
	s_branch .LBB667_21
.LBB667_17:                             ;   in Loop: Header=BB667_4 Depth=1
	s_or_b32 exec_lo, exec_lo, s42
	s_wait_alu 0xfffe
	s_and_b32 vcc_lo, exec_lo, s7
	s_wait_alu 0xfffe
	s_cbranch_vccnz .LBB667_21
.LBB667_18:                             ;   in Loop: Header=BB667_4 Depth=1
	v_dual_mov_b32 v27, v3 :: v_dual_mov_b32 v26, v2
	s_and_saveexec_b32 s7, s41
	s_cbranch_execz .LBB667_2
	s_branch .LBB667_58
.LBB667_19:                             ;   in Loop: Header=BB667_4 Depth=1
	v_mov_b32_e32 v30, 0
.LBB667_20:                             ;   in Loop: Header=BB667_4 Depth=1
	s_mov_b32 s41, exec_lo
	s_or_b32 exec_lo, exec_lo, s42
	s_delay_alu instid0(SALU_CYCLE_1)
	s_and_b32 vcc_lo, exec_lo, s7
	s_wait_alu 0xfffe
	s_cbranch_vccz .LBB667_18
.LBB667_21:                             ;   in Loop: Header=BB667_4 Depth=1
	v_dual_mov_b32 v45, 0 :: v_dual_mov_b32 v46, 0
	v_dual_mov_b32 v49, v40 :: v_dual_mov_b32 v48, 0
	v_mov_b32_e32 v47, 0
	s_and_saveexec_b32 s42, s5
	s_cbranch_execz .LBB667_33
; %bb.22:                               ;   in Loop: Header=BB667_4 Depth=1
	v_add_co_u32 v50, vcc_lo, v26, v10
	s_wait_alu 0xfffd
	v_add_co_ci_u32_e64 v51, null, v27, v11, vcc_lo
	v_add_co_u32 v52, vcc_lo, v26, v14
	s_wait_alu 0xfffd
	v_add_co_ci_u32_e64 v53, null, v27, v15, vcc_lo
	;; [unrolled: 3-line block ×3, first 2 shown]
	v_add_co_u32 v56, vcc_lo, v26, v22
	v_dual_mov_b32 v31, v29 :: v_dual_mov_b32 v46, 0
	s_wait_alu 0xfffd
	v_add_co_ci_u32_e64 v57, null, v27, v23, vcc_lo
	v_dual_mov_b32 v45, 0 :: v_dual_mov_b32 v30, v28
	v_dual_mov_b32 v49, v40 :: v_dual_mov_b32 v48, 0
	v_mov_b32_e32 v47, 0
	s_mov_b32 s43, 0
	s_branch .LBB667_27
.LBB667_23:                             ;   in Loop: Header=BB667_27 Depth=2
	s_or_b32 exec_lo, exec_lo, s46
	s_wait_loadcnt_dscnt 0x303
	v_lshlrev_b32_e32 v32, 16, v73
	s_wait_loadcnt_dscnt 0x202
	v_lshlrev_b32_e32 v33, 16, v72
	s_wait_loadcnt_dscnt 0x101
	s_delay_alu instid0(VALU_DEP_2) | instskip(NEXT) | instid1(VALU_DEP_1)
	v_dual_fmac_f32 v47, v65, v32 :: v_dual_lshlrev_b32 v32, 16, v71
	v_fmac_f32_e32 v47, v61, v33
	s_wait_loadcnt_dscnt 0x0
	s_delay_alu instid0(VALU_DEP_1) | instskip(NEXT) | instid1(VALU_DEP_1)
	v_dual_fmac_f32 v47, v63, v32 :: v_dual_lshlrev_b32 v32, 16, v70
	v_fmac_f32_e32 v47, v59, v32
.LBB667_24:                             ;   in Loop: Header=BB667_27 Depth=2
	s_or_b32 exec_lo, exec_lo, s45
	s_wait_loadcnt_dscnt 0x303
	v_lshlrev_b32_e32 v32, 16, v69
	s_wait_loadcnt_dscnt 0x202
	v_lshlrev_b32_e32 v33, 16, v68
	s_delay_alu instid0(VALU_DEP_2) | instskip(SKIP_2) | instid1(VALU_DEP_2)
	v_fmac_f32_e32 v46, v65, v32
	s_wait_loadcnt_dscnt 0x101
	v_lshlrev_b32_e32 v32, 16, v67
	v_fmac_f32_e32 v46, v61, v33
	s_delay_alu instid0(VALU_DEP_1) | instskip(SKIP_2) | instid1(VALU_DEP_1)
	v_fmac_f32_e32 v46, v63, v32
	s_wait_loadcnt_dscnt 0x0
	v_lshlrev_b32_e32 v32, 16, v66
	v_fmac_f32_e32 v46, v59, v32
.LBB667_25:                             ;   in Loop: Header=BB667_27 Depth=2
	s_or_b32 exec_lo, exec_lo, s44
	s_wait_loadcnt_dscnt 0x202
	v_lshlrev_b32_e32 v33, 16, v62
	v_lshlrev_b32_e32 v32, 16, v64
	s_delay_alu instid0(VALU_DEP_1) | instskip(SKIP_1) | instid1(VALU_DEP_1)
	v_fmac_f32_e32 v45, v65, v32
	s_wait_loadcnt_dscnt 0x101
	v_dual_fmac_f32 v45, v61, v33 :: v_dual_lshlrev_b32 v32, 16, v60
	s_wait_loadcnt_dscnt 0x0
	s_delay_alu instid0(VALU_DEP_1) | instskip(NEXT) | instid1(VALU_DEP_1)
	v_dual_fmac_f32 v45, v63, v32 :: v_dual_lshlrev_b32 v32, 16, v58
	v_fmac_f32_e32 v45, v59, v32
.LBB667_26:                             ;   in Loop: Header=BB667_27 Depth=2
	s_wait_alu 0xfffe
	s_or_b32 exec_lo, exec_lo, s7
	v_add_co_u32 v30, vcc_lo, v30, s30
	s_wait_alu 0xfffd
	v_add_co_ci_u32_e64 v31, null, s31, v31, vcc_lo
	v_add_co_u32 v50, vcc_lo, v50, s34
	v_add_nc_u32_e32 v49, 16, v49
	s_wait_alu 0xfffd
	v_add_co_ci_u32_e64 v51, null, s35, v51, vcc_lo
	v_add_co_u32 v52, vcc_lo, v52, s34
	s_wait_alu 0xfffd
	v_add_co_ci_u32_e64 v53, null, s35, v53, vcc_lo
	v_add_co_u32 v54, vcc_lo, v54, s34
	s_wait_alu 0xfffd
	v_add_co_ci_u32_e64 v55, null, s35, v55, vcc_lo
	v_cmp_le_i32_e32 vcc_lo, s39, v49
	v_add_co_u32 v56, s7, v56, s34
	s_wait_alu 0xf1ff
	v_add_co_ci_u32_e64 v57, null, s35, v57, s7
	s_or_b32 s43, vcc_lo, s43
	s_delay_alu instid0(SALU_CYCLE_1)
	s_and_not1_b32 exec_lo, exec_lo, s43
	s_cbranch_execz .LBB667_32
.LBB667_27:                             ;   Parent Loop BB667_4 Depth=1
                                        ; =>  This Inner Loop Header: Depth=2
	s_and_saveexec_b32 s7, s1
	s_cbranch_execz .LBB667_26
; %bb.28:                               ;   in Loop: Header=BB667_27 Depth=2
	v_add_co_u32 v32, vcc_lo, v30, v6
	s_wait_alu 0xfffd
	v_add_co_ci_u32_e64 v33, null, v31, v7, vcc_lo
	v_add_co_u32 v34, vcc_lo, v30, v20
	s_wait_alu 0xfffd
	v_add_co_ci_u32_e64 v35, null, v31, v21, vcc_lo
	;; [unrolled: 3-line block ×4, first 2 shown]
	s_clause 0x3
	flat_load_u16 v59, v[32:33]
	flat_load_u16 v61, v[34:35]
	;; [unrolled: 1-line block ×4, first 2 shown]
	v_add_co_u32 v32, vcc_lo, v52, v8
	s_wait_alu 0xfffd
	v_add_co_ci_u32_e64 v33, null, v53, v9, vcc_lo
	v_add_co_u32 v36, vcc_lo, v56, v8
	s_wait_alu 0xfffd
	v_add_co_ci_u32_e64 v37, null, v57, v9, vcc_lo
	;; [unrolled: 3-line block ×4, first 2 shown]
	flat_load_u16 v64, v[32:33]
	flat_load_u16 v62, v[36:37]
	;; [unrolled: 1-line block ×4, first 2 shown]
	s_wait_loadcnt_dscnt 0x707
	v_lshlrev_b32_e32 v65, 16, v59
	s_wait_loadcnt_dscnt 0x606
	v_lshlrev_b32_e32 v61, 16, v61
	;; [unrolled: 2-line block ×4, first 2 shown]
	s_and_saveexec_b32 s44, s2
	s_cbranch_execz .LBB667_25
; %bb.29:                               ;   in Loop: Header=BB667_27 Depth=2
	flat_load_u16 v69, v[32:33] offset:128
	flat_load_u16 v68, v[36:37] offset:128
	flat_load_u16 v67, v[34:35] offset:128
	flat_load_u16 v66, v[38:39] offset:128
	s_and_saveexec_b32 s45, s3
	s_cbranch_execz .LBB667_24
; %bb.30:                               ;   in Loop: Header=BB667_27 Depth=2
	flat_load_u16 v73, v[32:33] offset:256
	flat_load_u16 v72, v[36:37] offset:256
	flat_load_u16 v71, v[34:35] offset:256
	flat_load_u16 v70, v[38:39] offset:256
	;; [unrolled: 7-line block ×3, first 2 shown]
	s_wait_loadcnt_dscnt 0x303
	v_lshlrev_b32_e32 v32, 16, v32
	s_wait_loadcnt_dscnt 0x202
	s_delay_alu instid0(VALU_DEP_1) | instskip(SKIP_3) | instid1(VALU_DEP_2)
	v_dual_fmac_f32 v48, v65, v32 :: v_dual_lshlrev_b32 v33, 16, v33
	s_wait_loadcnt_dscnt 0x101
	v_lshlrev_b32_e32 v32, 16, v34
	s_wait_loadcnt_dscnt 0x0
	v_dual_fmac_f32 v48, v61, v33 :: v_dual_lshlrev_b32 v33, 16, v35
	s_delay_alu instid0(VALU_DEP_1) | instskip(NEXT) | instid1(VALU_DEP_1)
	v_fmac_f32_e32 v48, v63, v32
	v_fmac_f32_e32 v48, v59, v33
	s_branch .LBB667_23
.LBB667_32:                             ;   in Loop: Header=BB667_4 Depth=1
	s_or_b32 exec_lo, exec_lo, s43
.LBB667_33:                             ;   in Loop: Header=BB667_4 Depth=1
	s_delay_alu instid0(SALU_CYCLE_1) | instskip(NEXT) | instid1(SALU_CYCLE_1)
	s_or_b32 exec_lo, exec_lo, s42
	s_and_not1_b32 vcc_lo, exec_lo, s40
	s_wait_alu 0xfffe
	s_cbranch_vccnz .LBB667_51
; %bb.34:                               ;   in Loop: Header=BB667_4 Depth=1
	v_cmp_gt_i32_e32 vcc_lo, s21, v49
	v_dual_mov_b32 v35, 0 :: v_dual_mov_b32 v34, 0
	v_or_b32_e32 v30, 1, v49
	v_dual_mov_b32 v37, 0 :: v_dual_mov_b32 v36, 0
	s_and_saveexec_b32 s42, vcc_lo
	s_cbranch_execz .LBB667_42
; %bb.35:                               ;   in Loop: Header=BB667_4 Depth=1
	v_mad_co_u64_u32 v[31:32], null, s26, v49, 0
	v_dual_mov_b32 v36, 0 :: v_dual_mov_b32 v35, 0
	v_mov_b32_e32 v34, 0
	s_mov_b32 s43, exec_lo
	s_delay_alu instid0(VALU_DEP_3) | instskip(NEXT) | instid1(VALU_DEP_1)
	v_mad_co_u64_u32 v[32:33], null, s27, v49, v[32:33]
	v_lshlrev_b64_e32 v[31:32], 1, v[31:32]
	s_delay_alu instid0(VALU_DEP_1) | instskip(SKIP_1) | instid1(VALU_DEP_2)
	v_add_co_u32 v31, s7, v28, v31
	s_wait_alu 0xf1ff
	v_add_co_ci_u32_e64 v32, null, v29, v32, s7
	flat_load_u16 v31, v[31:32]
	v_cmpx_gt_i32_e64 s21, v30
	s_cbranch_execz .LBB667_41
; %bb.36:                               ;   in Loop: Header=BB667_4 Depth=1
	v_mad_co_u64_u32 v[32:33], null, s26, v30, 0
	s_mov_b32 s44, exec_lo
	v_mov_b32_e32 v35, 0
	v_mad_co_u64_u32 v[33:34], null, s27, v30, v[33:34]
	v_mov_b32_e32 v34, 0
	s_delay_alu instid0(VALU_DEP_2) | instskip(NEXT) | instid1(VALU_DEP_1)
	v_lshlrev_b64_e32 v[32:33], 1, v[32:33]
	v_add_co_u32 v32, s7, v28, v32
	s_wait_alu 0xf1ff
	s_delay_alu instid0(VALU_DEP_2) | instskip(SKIP_2) | instid1(VALU_DEP_1)
	v_add_co_ci_u32_e64 v33, null, v29, v33, s7
	flat_load_u16 v32, v[32:33]
	v_or_b32_e32 v33, 2, v49
	v_cmpx_gt_i32_e64 s21, v33
	s_cbranch_execz .LBB667_40
; %bb.37:                               ;   in Loop: Header=BB667_4 Depth=1
	v_mad_co_u64_u32 v[34:35], null, s26, v33, 0
	s_mov_b32 s45, exec_lo
	v_mad_co_u64_u32 v[35:36], null, s27, v33, v[35:36]
	s_delay_alu instid0(VALU_DEP_1) | instskip(SKIP_1) | instid1(VALU_DEP_2)
	v_lshlrev_b64_e32 v[33:34], 1, v[34:35]
	v_or_b32_e32 v35, 3, v49
	v_add_co_u32 v33, s7, v28, v33
	s_wait_alu 0xf1ff
	s_delay_alu instid0(VALU_DEP_3)
	v_add_co_ci_u32_e64 v34, null, v29, v34, s7
	flat_load_u16 v33, v[33:34]
	v_mov_b32_e32 v34, 0
	v_cmpx_gt_i32_e64 s21, v35
	s_cbranch_execz .LBB667_39
; %bb.38:                               ;   in Loop: Header=BB667_4 Depth=1
	v_mad_co_u64_u32 v[36:37], null, s26, v35, 0
	s_delay_alu instid0(VALU_DEP_1) | instskip(NEXT) | instid1(VALU_DEP_1)
	v_mov_b32_e32 v34, v37
	v_mad_co_u64_u32 v[34:35], null, s27, v35, v[34:35]
	s_delay_alu instid0(VALU_DEP_1) | instskip(NEXT) | instid1(VALU_DEP_1)
	v_mov_b32_e32 v37, v34
	v_lshlrev_b64_e32 v[34:35], 1, v[36:37]
	s_delay_alu instid0(VALU_DEP_1) | instskip(SKIP_1) | instid1(VALU_DEP_2)
	v_add_co_u32 v28, s7, v28, v34
	s_wait_alu 0xf1ff
	v_add_co_ci_u32_e64 v29, null, v29, v35, s7
	flat_load_u16 v28, v[28:29]
	s_wait_loadcnt_dscnt 0x0
	v_lshlrev_b32_e32 v34, 16, v28
.LBB667_39:                             ;   in Loop: Header=BB667_4 Depth=1
	s_or_b32 exec_lo, exec_lo, s45
	s_wait_loadcnt_dscnt 0x0
	v_lshlrev_b32_e32 v35, 16, v33
.LBB667_40:                             ;   in Loop: Header=BB667_4 Depth=1
	s_or_b32 exec_lo, exec_lo, s44
	s_wait_loadcnt_dscnt 0x0
	v_lshlrev_b32_e32 v36, 16, v32
.LBB667_41:                             ;   in Loop: Header=BB667_4 Depth=1
	s_or_b32 exec_lo, exec_lo, s43
	s_wait_loadcnt_dscnt 0x0
	v_lshlrev_b32_e32 v37, 16, v31
.LBB667_42:                             ;   in Loop: Header=BB667_4 Depth=1
	s_or_b32 exec_lo, exec_lo, s42
	s_and_saveexec_b32 s42, s1
	s_cbranch_execz .LBB667_50
; %bb.43:                               ;   in Loop: Header=BB667_4 Depth=1
	v_mad_co_u64_u32 v[28:29], null, s28, v49, 0
	v_or_b32_e32 v52, 2, v49
	v_mad_co_u64_u32 v[31:32], null, s28, v30, 0
	v_or_b32_e32 v53, 3, v49
	v_cmp_gt_i32_e64 s7, s21, v30
	s_delay_alu instid0(VALU_DEP_4) | instskip(SKIP_3) | instid1(VALU_DEP_4)
	v_mad_co_u64_u32 v[38:39], null, s28, v52, 0
	v_mad_co_u64_u32 v[49:50], null, s29, v49, v[29:30]
	;; [unrolled: 1-line block ×4, first 2 shown]
	v_mov_b32_e32 v30, v39
	s_delay_alu instid0(VALU_DEP_4)
	v_dual_cndmask_b32 v50, 0, v28 :: v_dual_cndmask_b32 v51, 0, v49
	s_wait_alu 0xf1ff
	v_cndmask_b32_e64 v28, 0, v31, s7
	v_cndmask_b32_e64 v29, 0, v29, s7
	v_mad_co_u64_u32 v[30:31], null, s29, v52, v[30:31]
	v_mov_b32_e32 v31, v33
	v_lshlrev_b64_e32 v[49:50], 1, v[50:51]
	v_cmp_gt_i32_e32 vcc_lo, s21, v52
	v_lshlrev_b64_e32 v[51:52], 1, v[28:29]
	s_wait_alu 0xfffd
	v_cndmask_b32_e32 v39, 0, v30, vcc_lo
	s_delay_alu instid0(VALU_DEP_4)
	v_add_co_u32 v28, s7, v26, v49
	s_wait_alu 0xf1ff
	v_add_co_ci_u32_e64 v29, null, v27, v50, s7
	v_mad_co_u64_u32 v[30:31], null, s29, v53, v[31:32]
	v_cndmask_b32_e32 v38, 0, v38, vcc_lo
	v_add_co_u32 v28, vcc_lo, v28, v8
	s_wait_alu 0xfffd
	v_add_co_ci_u32_e64 v29, null, v29, v9, vcc_lo
	v_cmp_gt_i32_e32 vcc_lo, s21, v53
	v_add_co_u32 v31, s7, v26, v51
	s_wait_alu 0xf1ff
	v_add_co_ci_u32_e64 v49, null, v27, v52, s7
	s_wait_alu 0xfffd
	v_dual_cndmask_b32 v32, 0, v32 :: v_dual_cndmask_b32 v33, 0, v30
	v_lshlrev_b64_e32 v[38:39], 1, v[38:39]
	v_add_co_u32 v30, vcc_lo, v31, v8
	s_wait_alu 0xfffd
	v_add_co_ci_u32_e64 v31, null, v49, v9, vcc_lo
	v_lshlrev_b64_e32 v[32:33], 1, v[32:33]
	s_delay_alu instid0(VALU_DEP_4) | instskip(SKIP_2) | instid1(VALU_DEP_3)
	v_add_co_u32 v38, vcc_lo, v26, v38
	s_wait_alu 0xfffd
	v_add_co_ci_u32_e64 v39, null, v27, v39, vcc_lo
	v_add_co_u32 v32, vcc_lo, v26, v32
	s_wait_alu 0xfffd
	v_add_co_ci_u32_e64 v33, null, v27, v33, vcc_lo
	;; [unrolled: 3-line block ×4, first 2 shown]
	s_clause 0x3
	flat_load_u16 v50, v[28:29]
	flat_load_u16 v49, v[30:31]
	flat_load_u16 v39, v[26:27]
	flat_load_u16 v38, v[32:33]
	s_and_saveexec_b32 s7, s2
	s_cbranch_execz .LBB667_49
; %bb.44:                               ;   in Loop: Header=BB667_4 Depth=1
	s_clause 0x3
	flat_load_u16 v54, v[28:29] offset:128
	flat_load_u16 v53, v[30:31] offset:128
	flat_load_u16 v52, v[26:27] offset:128
	flat_load_u16 v51, v[32:33] offset:128
	s_and_saveexec_b32 s43, s3
	s_cbranch_execz .LBB667_48
; %bb.45:                               ;   in Loop: Header=BB667_4 Depth=1
	s_clause 0x3
	flat_load_u16 v58, v[28:29] offset:256
	flat_load_u16 v57, v[30:31] offset:256
	flat_load_u16 v56, v[26:27] offset:256
	flat_load_u16 v55, v[32:33] offset:256
	;; [unrolled: 8-line block ×3, first 2 shown]
	s_wait_loadcnt_dscnt 0x303
	v_lshlrev_b32_e32 v28, 16, v28
	s_wait_loadcnt_dscnt 0x202
	v_lshlrev_b32_e32 v29, 16, v29
	;; [unrolled: 2-line block ×3, first 2 shown]
	s_wait_loadcnt_dscnt 0x0
	v_dual_fmac_f32 v48, v37, v28 :: v_dual_lshlrev_b32 v27, 16, v27
	s_delay_alu instid0(VALU_DEP_1) | instskip(NEXT) | instid1(VALU_DEP_1)
	v_fmac_f32_e32 v48, v36, v29
	v_fmac_f32_e32 v48, v35, v26
	s_delay_alu instid0(VALU_DEP_1)
	v_fmac_f32_e32 v48, v34, v27
.LBB667_47:                             ;   in Loop: Header=BB667_4 Depth=1
	s_or_b32 exec_lo, exec_lo, s44
	s_wait_loadcnt_dscnt 0x202
	v_lshlrev_b32_e32 v27, 16, v57
	v_lshlrev_b32_e32 v26, 16, v58
	s_wait_loadcnt_dscnt 0x101
	s_delay_alu instid0(VALU_DEP_1) | instskip(NEXT) | instid1(VALU_DEP_1)
	v_dual_fmac_f32 v47, v37, v26 :: v_dual_lshlrev_b32 v26, 16, v56
	v_fmac_f32_e32 v47, v36, v27
	s_wait_loadcnt_dscnt 0x0
	s_delay_alu instid0(VALU_DEP_1) | instskip(NEXT) | instid1(VALU_DEP_1)
	v_dual_fmac_f32 v47, v35, v26 :: v_dual_lshlrev_b32 v26, 16, v55
	v_fmac_f32_e32 v47, v34, v26
.LBB667_48:                             ;   in Loop: Header=BB667_4 Depth=1
	s_or_b32 exec_lo, exec_lo, s43
	s_wait_loadcnt_dscnt 0x303
	v_lshlrev_b32_e32 v26, 16, v54
	s_wait_loadcnt_dscnt 0x202
	s_delay_alu instid0(VALU_DEP_1) | instskip(SKIP_2) | instid1(VALU_DEP_2)
	v_dual_fmac_f32 v46, v37, v26 :: v_dual_lshlrev_b32 v27, 16, v53
	s_wait_loadcnt_dscnt 0x101
	v_lshlrev_b32_e32 v26, 16, v52
	v_fmac_f32_e32 v46, v36, v27
	s_delay_alu instid0(VALU_DEP_1) | instskip(SKIP_2) | instid1(VALU_DEP_1)
	v_fmac_f32_e32 v46, v35, v26
	s_wait_loadcnt_dscnt 0x0
	v_lshlrev_b32_e32 v26, 16, v51
	v_fmac_f32_e32 v46, v34, v26
.LBB667_49:                             ;   in Loop: Header=BB667_4 Depth=1
	s_wait_alu 0xfffe
	s_or_b32 exec_lo, exec_lo, s7
	s_wait_loadcnt_dscnt 0x202
	v_lshlrev_b32_e32 v27, 16, v49
	v_lshlrev_b32_e32 v26, 16, v50
	s_wait_loadcnt_dscnt 0x101
	s_delay_alu instid0(VALU_DEP_1) | instskip(NEXT) | instid1(VALU_DEP_1)
	v_dual_fmac_f32 v45, v37, v26 :: v_dual_lshlrev_b32 v26, 16, v39
	v_fmac_f32_e32 v45, v36, v27
	s_delay_alu instid0(VALU_DEP_1) | instskip(SKIP_2) | instid1(VALU_DEP_1)
	v_fmac_f32_e32 v45, v35, v26
	s_wait_loadcnt_dscnt 0x0
	v_lshlrev_b32_e32 v26, 16, v38
	v_fmac_f32_e32 v45, v34, v26
.LBB667_50:                             ;   in Loop: Header=BB667_4 Depth=1
	s_or_b32 exec_lo, exec_lo, s42
.LBB667_51:                             ;   in Loop: Header=BB667_4 Depth=1
	ds_store_2addr_stride64_b32 v41, v45, v46 offset1:1
	ds_store_2addr_stride64_b32 v41, v47, v48 offset0:2 offset1:3
	s_wait_dscnt 0x0
	s_barrier_signal -1
	s_barrier_wait -1
	global_inv scope:SCOPE_SE
                                        ; implicit-def: $vgpr30
	s_and_saveexec_b32 s7, s0
	s_cbranch_execz .LBB667_57
; %bb.52:                               ;   in Loop: Header=BB667_4 Depth=1
	ds_load_2addr_stride64_b32 v[26:27], v0 offset1:4
	ds_load_2addr_stride64_b32 v[28:29], v0 offset0:8 offset1:12
	s_mov_b32 s43, s41
                                        ; implicit-def: $vgpr30
	s_wait_dscnt 0x1
	v_add_f32_e32 v26, v26, v27
	s_wait_dscnt 0x0
	s_delay_alu instid0(VALU_DEP_1) | instskip(NEXT) | instid1(VALU_DEP_1)
	v_add_f32_e32 v26, v28, v26
	v_add_f32_e32 v26, v29, v26
	ds_store_b32 v0, v26
	s_and_saveexec_b32 s42, s6
	s_cbranch_execz .LBB667_56
; %bb.53:                               ;   in Loop: Header=BB667_4 Depth=1
	v_mul_f32_e32 v30, s22, v26
	s_and_not1_b32 vcc_lo, exec_lo, s38
	s_wait_alu 0xfffe
	s_cbranch_vccnz .LBB667_55
; %bb.54:                               ;   in Loop: Header=BB667_4 Depth=1
	v_lshlrev_b64_e32 v[26:27], 2, v[4:5]
	s_delay_alu instid0(VALU_DEP_1) | instskip(SKIP_1) | instid1(VALU_DEP_2)
	v_add_co_u32 v26, vcc_lo, v43, v26
	s_wait_alu 0xfffd
	v_add_co_ci_u32_e64 v27, null, v44, v27, vcc_lo
	flat_load_b32 v26, v[26:27]
	s_wait_loadcnt_dscnt 0x0
	v_fmac_f32_e32 v30, s33, v26
.LBB667_55:                             ;   in Loop: Header=BB667_4 Depth=1
	s_or_b32 s43, s41, exec_lo
.LBB667_56:                             ;   in Loop: Header=BB667_4 Depth=1
	s_or_b32 exec_lo, exec_lo, s42
	s_delay_alu instid0(SALU_CYCLE_1) | instskip(SKIP_1) | instid1(SALU_CYCLE_1)
	s_and_not1_b32 s41, s41, exec_lo
	s_and_b32 s42, s43, exec_lo
	s_or_b32 s41, s41, s42
.LBB667_57:                             ;   in Loop: Header=BB667_4 Depth=1
	s_wait_alu 0xfffe
	s_or_b32 exec_lo, exec_lo, s7
	v_dual_mov_b32 v27, v5 :: v_dual_mov_b32 v26, v4
	s_and_saveexec_b32 s7, s41
	s_cbranch_execz .LBB667_2
.LBB667_58:                             ;   in Loop: Header=BB667_4 Depth=1
	s_delay_alu instid0(VALU_DEP_1) | instskip(NEXT) | instid1(VALU_DEP_1)
	v_lshlrev_b64_e32 v[26:27], 2, v[26:27]
	v_add_co_u32 v26, vcc_lo, v43, v26
	s_wait_alu 0xfffd
	s_delay_alu instid0(VALU_DEP_2)
	v_add_co_ci_u32_e64 v27, null, v44, v27, vcc_lo
	flat_store_b32 v[26:27], v30
	s_branch .LBB667_2
.LBB667_59:
	s_endpgm
	.section	.rodata,"a",@progbits
	.p2align	6, 0x0
	.amdhsa_kernel _ZL20rocblas_gemvn_kernelILi64ELi4ElPK16rocblas_bfloat16fKPfEviiT3_lPKT2_lT1_lS8_lS9_lS5_lPT4_lS9_li
		.amdhsa_group_segment_fixed_size 4096
		.amdhsa_private_segment_fixed_size 0
		.amdhsa_kernarg_size 400
		.amdhsa_user_sgpr_count 2
		.amdhsa_user_sgpr_dispatch_ptr 0
		.amdhsa_user_sgpr_queue_ptr 0
		.amdhsa_user_sgpr_kernarg_segment_ptr 1
		.amdhsa_user_sgpr_dispatch_id 0
		.amdhsa_user_sgpr_private_segment_size 0
		.amdhsa_wavefront_size32 1
		.amdhsa_uses_dynamic_stack 0
		.amdhsa_enable_private_segment 0
		.amdhsa_system_sgpr_workgroup_id_x 1
		.amdhsa_system_sgpr_workgroup_id_y 0
		.amdhsa_system_sgpr_workgroup_id_z 1
		.amdhsa_system_sgpr_workgroup_info 0
		.amdhsa_system_vgpr_workitem_id 1
		.amdhsa_next_free_vgpr 74
		.amdhsa_next_free_sgpr 47
		.amdhsa_reserve_vcc 1
		.amdhsa_float_round_mode_32 0
		.amdhsa_float_round_mode_16_64 0
		.amdhsa_float_denorm_mode_32 3
		.amdhsa_float_denorm_mode_16_64 3
		.amdhsa_fp16_overflow 0
		.amdhsa_workgroup_processor_mode 1
		.amdhsa_memory_ordered 1
		.amdhsa_forward_progress 1
		.amdhsa_inst_pref_size 29
		.amdhsa_round_robin_scheduling 0
		.amdhsa_exception_fp_ieee_invalid_op 0
		.amdhsa_exception_fp_denorm_src 0
		.amdhsa_exception_fp_ieee_div_zero 0
		.amdhsa_exception_fp_ieee_overflow 0
		.amdhsa_exception_fp_ieee_underflow 0
		.amdhsa_exception_fp_ieee_inexact 0
		.amdhsa_exception_int_div_zero 0
	.end_amdhsa_kernel
	.section	.text._ZL20rocblas_gemvn_kernelILi64ELi4ElPK16rocblas_bfloat16fKPfEviiT3_lPKT2_lT1_lS8_lS9_lS5_lPT4_lS9_li,"axG",@progbits,_ZL20rocblas_gemvn_kernelILi64ELi4ElPK16rocblas_bfloat16fKPfEviiT3_lPKT2_lT1_lS8_lS9_lS5_lPT4_lS9_li,comdat
.Lfunc_end667:
	.size	_ZL20rocblas_gemvn_kernelILi64ELi4ElPK16rocblas_bfloat16fKPfEviiT3_lPKT2_lT1_lS8_lS9_lS5_lPT4_lS9_li, .Lfunc_end667-_ZL20rocblas_gemvn_kernelILi64ELi4ElPK16rocblas_bfloat16fKPfEviiT3_lPKT2_lT1_lS8_lS9_lS5_lPT4_lS9_li
                                        ; -- End function
	.set _ZL20rocblas_gemvn_kernelILi64ELi4ElPK16rocblas_bfloat16fKPfEviiT3_lPKT2_lT1_lS8_lS9_lS5_lPT4_lS9_li.num_vgpr, 74
	.set _ZL20rocblas_gemvn_kernelILi64ELi4ElPK16rocblas_bfloat16fKPfEviiT3_lPKT2_lT1_lS8_lS9_lS5_lPT4_lS9_li.num_agpr, 0
	.set _ZL20rocblas_gemvn_kernelILi64ELi4ElPK16rocblas_bfloat16fKPfEviiT3_lPKT2_lT1_lS8_lS9_lS5_lPT4_lS9_li.numbered_sgpr, 47
	.set _ZL20rocblas_gemvn_kernelILi64ELi4ElPK16rocblas_bfloat16fKPfEviiT3_lPKT2_lT1_lS8_lS9_lS5_lPT4_lS9_li.num_named_barrier, 0
	.set _ZL20rocblas_gemvn_kernelILi64ELi4ElPK16rocblas_bfloat16fKPfEviiT3_lPKT2_lT1_lS8_lS9_lS5_lPT4_lS9_li.private_seg_size, 0
	.set _ZL20rocblas_gemvn_kernelILi64ELi4ElPK16rocblas_bfloat16fKPfEviiT3_lPKT2_lT1_lS8_lS9_lS5_lPT4_lS9_li.uses_vcc, 1
	.set _ZL20rocblas_gemvn_kernelILi64ELi4ElPK16rocblas_bfloat16fKPfEviiT3_lPKT2_lT1_lS8_lS9_lS5_lPT4_lS9_li.uses_flat_scratch, 1
	.set _ZL20rocblas_gemvn_kernelILi64ELi4ElPK16rocblas_bfloat16fKPfEviiT3_lPKT2_lT1_lS8_lS9_lS5_lPT4_lS9_li.has_dyn_sized_stack, 0
	.set _ZL20rocblas_gemvn_kernelILi64ELi4ElPK16rocblas_bfloat16fKPfEviiT3_lPKT2_lT1_lS8_lS9_lS5_lPT4_lS9_li.has_recursion, 0
	.set _ZL20rocblas_gemvn_kernelILi64ELi4ElPK16rocblas_bfloat16fKPfEviiT3_lPKT2_lT1_lS8_lS9_lS5_lPT4_lS9_li.has_indirect_call, 0
	.section	.AMDGPU.csdata,"",@progbits
; Kernel info:
; codeLenInByte = 3676
; TotalNumSgprs: 49
; NumVgprs: 74
; ScratchSize: 0
; MemoryBound: 0
; FloatMode: 240
; IeeeMode: 1
; LDSByteSize: 4096 bytes/workgroup (compile time only)
; SGPRBlocks: 0
; VGPRBlocks: 9
; NumSGPRsForWavesPerEU: 49
; NumVGPRsForWavesPerEU: 74
; Occupancy: 16
; WaveLimiterHint : 1
; COMPUTE_PGM_RSRC2:SCRATCH_EN: 0
; COMPUTE_PGM_RSRC2:USER_SGPR: 2
; COMPUTE_PGM_RSRC2:TRAP_HANDLER: 0
; COMPUTE_PGM_RSRC2:TGID_X_EN: 1
; COMPUTE_PGM_RSRC2:TGID_Y_EN: 0
; COMPUTE_PGM_RSRC2:TGID_Z_EN: 1
; COMPUTE_PGM_RSRC2:TIDIG_COMP_CNT: 1
	.section	.text._ZL20rocblas_gemvn_kernelILi32ELi16EiPK16rocblas_bfloat16PKfKPfEviiT3_lPKT2_lT1_lSA_lSB_lS7_lPT4_lSB_li,"axG",@progbits,_ZL20rocblas_gemvn_kernelILi32ELi16EiPK16rocblas_bfloat16PKfKPfEviiT3_lPKT2_lT1_lSA_lSB_lS7_lPT4_lSB_li,comdat
	.globl	_ZL20rocblas_gemvn_kernelILi32ELi16EiPK16rocblas_bfloat16PKfKPfEviiT3_lPKT2_lT1_lSA_lSB_lS7_lPT4_lSB_li ; -- Begin function _ZL20rocblas_gemvn_kernelILi32ELi16EiPK16rocblas_bfloat16PKfKPfEviiT3_lPKT2_lT1_lSA_lSB_lS7_lPT4_lSB_li
	.p2align	8
	.type	_ZL20rocblas_gemvn_kernelILi32ELi16EiPK16rocblas_bfloat16PKfKPfEviiT3_lPKT2_lT1_lSA_lSB_lS7_lPT4_lSB_li,@function
_ZL20rocblas_gemvn_kernelILi32ELi16EiPK16rocblas_bfloat16PKfKPfEviiT3_lPKT2_lT1_lSA_lSB_lS7_lPT4_lSB_li: ; @_ZL20rocblas_gemvn_kernelILi32ELi16EiPK16rocblas_bfloat16PKfKPfEviiT3_lPKT2_lT1_lSA_lSB_lS7_lPT4_lSB_li
; %bb.0:
	s_clause 0x1
	s_load_b64 s[2:3], s[0:1], 0x9c
	s_load_b32 s33, s[0:1], 0x88
	s_lshr_b32 s10, ttmp7, 16
	s_wait_kmcnt 0x0
	s_lshr_b32 s4, s2, 16
	s_and_b32 s2, s2, 0xffff
	s_and_b32 s3, s3, 0xffff
	s_mul_i32 s2, s4, s2
	s_delay_alu instid0(SALU_CYCLE_1) | instskip(NEXT) | instid1(SALU_CYCLE_1)
	s_mul_i32 s2, s2, s3
	s_cmp_lg_u32 s2, 0x200
	s_cselect_b32 s2, -1, 0
	s_cmp_ge_u32 s10, s33
	s_cselect_b32 s3, -1, 0
	s_delay_alu instid0(SALU_CYCLE_1) | instskip(NEXT) | instid1(SALU_CYCLE_1)
	s_or_b32 s2, s2, s3
	s_and_b32 vcc_lo, exec_lo, s2
	s_cbranch_vccnz .LBB668_56
; %bb.1:
	s_clause 0x2
	s_load_b32 s6, s[0:1], 0x78
	s_load_b64 s[8:9], s[0:1], 0x0
	s_load_b256 s[12:19], s[0:1], 0x8
	v_and_b32_e32 v9, 0x3ff, v0
	v_bfe_u32 v8, v0, 10, 10
	s_clause 0x3
	s_load_b32 s35, s[0:1], 0x28
	s_load_b128 s[28:31], s[0:1], 0x38
	s_load_b32 s34, s[0:1], 0x48
	s_load_b256 s[20:27], s[0:1], 0x58
	s_lshl_b32 s36, ttmp9, 7
	v_mov_b32_e32 v1, 0
	v_add_nc_u32_e32 v25, s36, v9
	v_lshl_add_u32 v5, v8, 5, v9
	v_lshlrev_b32_e32 v26, 2, v8
	v_lshlrev_b32_e32 v6, 2, v9
	s_mov_b32 s11, 0
	v_add_nc_u32_e32 v4, 32, v25
	v_add_nc_u32_e32 v0, s36, v5
	v_or_b32_e32 v11, s36, v5
	v_add_nc_u32_e32 v7, 64, v25
	v_add_nc_u32_e32 v10, 0x60, v25
	v_or_b32_e32 v12, 3, v26
	v_lshl_add_u32 v27, v8, 7, v6
	s_wait_kmcnt 0x0
	v_mad_co_u64_u32 v[2:3], null, s6, v0, 0
	s_ashr_i32 s3, s6, 31
	s_ashr_i32 s7, s9, 31
	v_cmp_gt_i32_e64 s1, s8, v4
	s_wait_alu 0xfffe
	s_lshr_b32 s7, s7, 26
	v_cmp_gt_i32_e64 s2, s8, v7
	v_mul_lo_u32 v7, s35, v26
	v_mad_co_u64_u32 v[3:4], null, s3, v0, v[3:4]
	v_mul_lo_u32 v4, s6, v11
	s_wait_alu 0xfffe
	s_add_co_i32 s37, s9, s7
	v_cmp_gt_i32_e64 s6, s8, v11
	v_mul_lo_u32 v11, v8, s35
	s_ashr_i32 s5, s8, 31
	s_mov_b32 s4, s8
	v_cmp_gt_i32_e64 s3, s8, v10
	s_wait_alu 0xfffe
	s_and_not1_b32 s37, s37, 63
	v_or_b32_e32 v10, 2, v26
	v_cmp_gt_i64_e32 vcc_lo, s[4:5], v[0:1]
	s_wait_alu 0xfffe
	s_sub_co_i32 s5, s9, s37
	v_mul_lo_u32 v13, v8, s34
	s_wait_alu 0xfffe
	s_cmp_gt_i32 s5, 0
	v_cmp_gt_u32_e64 s5, 0x80, v5
	v_ashrrev_i32_e32 v5, 31, v4
	v_lshl_add_u32 v0, v8, 9, v6
	v_add3_u32 v28, v7, s35, v9
	v_mad_co_u64_u32 v[6:7], null, s35, v10, v[9:10]
	v_mad_co_u64_u32 v[7:8], null, s35, v12, v[9:10]
	v_lshl_add_u32 v29, v11, 2, v9
	v_mad_co_u64_u32 v[8:9], null, s34, v26, s[34:35]
	v_mul_lo_u32 v30, s34, v10
	v_mul_lo_u32 v31, s34, v12
	v_lshlrev_b64_e32 v[9:10], 2, v[2:3]
	v_lshlrev_b64_e32 v[11:12], 2, v[4:5]
	v_cmp_gt_i32_e64 s0, s8, v25
	v_cmp_gt_i32_e64 s4, s37, v26
	v_lshlrev_b32_e32 v32, 2, v13
	s_cselect_b32 s38, -1, 0
	s_and_b32 s39, s5, vcc_lo
	s_lshl_b32 s40, s35, 6
	s_lshl_b32 s41, s34, 6
	s_lshl_b64 s[18:19], s[18:19], 1
	s_lshl_b64 s[30:31], s[30:31], 1
	;; [unrolled: 1-line block ×3, first 2 shown]
	s_branch .LBB668_4
.LBB668_2:                              ;   in Loop: Header=BB668_4 Depth=1
	s_wait_alu 0xfffe
	s_or_b32 exec_lo, exec_lo, s7
.LBB668_3:                              ;   in Loop: Header=BB668_4 Depth=1
	s_add_co_i32 s10, s10, 0x10000
	s_delay_alu instid0(SALU_CYCLE_1)
	s_cmp_lt_u32 s10, s33
	s_cbranch_scc0 .LBB668_56
.LBB668_4:                              ; =>This Loop Header: Depth=1
                                        ;     Child Loop BB668_24 Depth 2
	s_mul_u64 s[42:43], s[14:15], s[10:11]
	s_mul_u64 s[44:45], s[22:23], s[10:11]
	s_wait_alu 0xfffe
	s_lshl_b64 s[42:43], s[42:43], 2
	s_lshl_b64 s[44:45], s[44:45], 2
	s_wait_alu 0xfffe
	s_add_nc_u64 s[42:43], s[12:13], s[42:43]
	s_add_nc_u64 s[44:45], s[20:21], s[44:45]
	s_clause 0x1
	global_load_b32 v33, v1, s[42:43]
	global_load_b32 v13, v1, s[44:45]
	s_wait_loadcnt 0x1
	v_cmp_eq_f32_e64 s7, 0, v33
	s_wait_loadcnt 0x0
	v_cmp_eq_f32_e32 vcc_lo, 1.0, v13
	v_readfirstlane_b32 s42, v13
	s_and_b32 s8, s7, vcc_lo
	s_wait_alu 0xfffe
	s_and_b32 vcc_lo, exec_lo, s8
	s_wait_alu 0xfffe
	s_cbranch_vccnz .LBB668_3
; %bb.5:                                ;   in Loop: Header=BB668_4 Depth=1
	v_mov_b32_e32 v15, 0
	v_dual_mov_b32 v16, 0 :: v_dual_mov_b32 v13, 0
	v_cmp_neq_f32_e64 s8, 0, v33
	v_mov_b32_e32 v14, 0
	s_and_b32 vcc_lo, exec_lo, s7
	s_wait_alu 0xfffe
	s_cbranch_vccnz .LBB668_7
; %bb.6:                                ;   in Loop: Header=BB668_4 Depth=1
	s_lshl_b64 s[44:45], s[10:11], 3
	s_wait_alu 0xfffe
	s_add_nc_u64 s[44:45], s[16:17], s[44:45]
	global_load_b64 v[13:14], v1, s[44:45]
	s_wait_loadcnt 0x0
	v_add_co_u32 v13, vcc_lo, v13, s18
	s_wait_alu 0xfffd
	v_add_co_ci_u32_e64 v14, null, s19, v14, vcc_lo
.LBB668_7:                              ;   in Loop: Header=BB668_4 Depth=1
	s_and_not1_b32 vcc_lo, exec_lo, s8
	s_wait_alu 0xfffe
	s_cbranch_vccnz .LBB668_9
; %bb.8:                                ;   in Loop: Header=BB668_4 Depth=1
	s_lshl_b64 s[44:45], s[10:11], 3
	s_wait_alu 0xfffe
	s_add_nc_u64 s[44:45], s[28:29], s[44:45]
	global_load_b64 v[15:16], v1, s[44:45]
	s_wait_loadcnt 0x0
	v_add_co_u32 v15, vcc_lo, v15, s30
	s_wait_alu 0xfffd
	v_add_co_ci_u32_e64 v16, null, s31, v16, vcc_lo
.LBB668_9:                              ;   in Loop: Header=BB668_4 Depth=1
	s_lshl_b64 s[44:45], s[10:11], 3
	s_wait_alu 0xfffe
	s_add_nc_u64 s[44:45], s[24:25], s[44:45]
	global_load_b64 v[17:18], v1, s[44:45]
	s_wait_loadcnt 0x0
	v_add_co_u32 v34, vcc_lo, v17, s26
	s_wait_alu 0xfffd
	v_add_co_ci_u32_e64 v35, null, s27, v18, vcc_lo
	s_and_not1_b32 vcc_lo, exec_lo, s7
	s_wait_alu 0xfffe
	s_cbranch_vccnz .LBB668_13
; %bb.10:                               ;   in Loop: Header=BB668_4 Depth=1
	s_mov_b32 s7, 0
	s_mov_b32 s8, 0
                                        ; implicit-def: $vgpr17
	s_and_saveexec_b32 s43, s39
	s_cbranch_execz .LBB668_14
; %bb.11:                               ;   in Loop: Header=BB668_4 Depth=1
	s_cmp_eq_f32 s42, 0
	s_cbranch_scc1 .LBB668_16
; %bb.12:                               ;   in Loop: Header=BB668_4 Depth=1
	v_add_co_u32 v17, vcc_lo, v34, v9
	s_wait_alu 0xfffd
	v_add_co_ci_u32_e64 v18, null, v35, v10, vcc_lo
	flat_load_b32 v17, v[17:18]
	s_wait_loadcnt_dscnt 0x0
	v_mul_f32_e32 v17, s42, v17
	s_branch .LBB668_17
.LBB668_13:                             ;   in Loop: Header=BB668_4 Depth=1
	s_mov_b32 s8, 0
                                        ; implicit-def: $vgpr17
	s_cbranch_execz .LBB668_15
	s_branch .LBB668_18
.LBB668_14:                             ;   in Loop: Header=BB668_4 Depth=1
	s_wait_alu 0xfffe
	s_or_b32 exec_lo, exec_lo, s43
	s_delay_alu instid0(SALU_CYCLE_1)
	s_and_b32 vcc_lo, exec_lo, s7
	s_wait_alu 0xfffe
	s_cbranch_vccnz .LBB668_18
.LBB668_15:                             ;   in Loop: Header=BB668_4 Depth=1
	v_dual_mov_b32 v14, v3 :: v_dual_mov_b32 v13, v2
	s_wait_alu 0xfffe
	s_and_saveexec_b32 s7, s8
	s_cbranch_execz .LBB668_2
	s_branch .LBB668_55
.LBB668_16:                             ;   in Loop: Header=BB668_4 Depth=1
	v_mov_b32_e32 v17, 0
.LBB668_17:                             ;   in Loop: Header=BB668_4 Depth=1
	s_mov_b32 s8, exec_lo
	s_wait_alu 0xfffe
	s_or_b32 exec_lo, exec_lo, s43
	s_delay_alu instid0(SALU_CYCLE_1)
	s_and_b32 vcc_lo, exec_lo, s7
	s_wait_alu 0xfffe
	s_cbranch_vccz .LBB668_15
.LBB668_18:                             ;   in Loop: Header=BB668_4 Depth=1
	v_dual_mov_b32 v36, 0 :: v_dual_mov_b32 v37, 0
	v_dual_mov_b32 v40, v26 :: v_dual_mov_b32 v39, 0
	v_mov_b32_e32 v38, 0
	s_and_saveexec_b32 s7, s4
	s_cbranch_execz .LBB668_30
; %bb.19:                               ;   in Loop: Header=BB668_4 Depth=1
	v_dual_mov_b32 v36, 0 :: v_dual_mov_b32 v41, v29
	v_dual_mov_b32 v42, v7 :: v_dual_mov_b32 v43, v6
	;; [unrolled: 1-line block ×4, first 2 shown]
	v_mov_b32_e32 v38, 0
	s_mov_b32 s43, 0
	s_mov_b32 s44, 0
	s_branch .LBB668_24
.LBB668_20:                             ;   in Loop: Header=BB668_24 Depth=2
	s_or_b32 exec_lo, exec_lo, s48
	s_wait_loadcnt_dscnt 0x202
	v_lshlrev_b32_e32 v18, 16, v59
	v_lshlrev_b32_e32 v17, 16, v60
	s_wait_loadcnt_dscnt 0x101
	s_delay_alu instid0(VALU_DEP_1) | instskip(NEXT) | instid1(VALU_DEP_1)
	v_dual_fmac_f32 v38, v52, v17 :: v_dual_lshlrev_b32 v17, 16, v58
	v_fmac_f32_e32 v38, v48, v18
	s_delay_alu instid0(VALU_DEP_1) | instskip(SKIP_2) | instid1(VALU_DEP_1)
	v_fmac_f32_e32 v38, v50, v17
	s_wait_loadcnt_dscnt 0x0
	v_lshlrev_b32_e32 v17, 16, v57
	v_fmac_f32_e32 v38, v46, v17
.LBB668_21:                             ;   in Loop: Header=BB668_24 Depth=2
	s_or_b32 exec_lo, exec_lo, s47
	s_wait_loadcnt_dscnt 0x303
	v_lshlrev_b32_e32 v17, 16, v56
	s_wait_loadcnt_dscnt 0x202
	s_delay_alu instid0(VALU_DEP_1) | instskip(SKIP_2) | instid1(VALU_DEP_2)
	v_dual_fmac_f32 v37, v52, v17 :: v_dual_lshlrev_b32 v18, 16, v55
	s_wait_loadcnt_dscnt 0x101
	v_lshlrev_b32_e32 v17, 16, v54
	v_fmac_f32_e32 v37, v48, v18
	s_delay_alu instid0(VALU_DEP_1) | instskip(SKIP_2) | instid1(VALU_DEP_1)
	v_fmac_f32_e32 v37, v50, v17
	s_wait_loadcnt_dscnt 0x0
	v_lshlrev_b32_e32 v17, 16, v53
	v_fmac_f32_e32 v37, v46, v17
.LBB668_22:                             ;   in Loop: Header=BB668_24 Depth=2
	s_or_b32 exec_lo, exec_lo, s46
	s_wait_loadcnt_dscnt 0x202
	v_lshlrev_b32_e32 v18, 16, v49
	v_lshlrev_b32_e32 v17, 16, v51
	s_wait_loadcnt_dscnt 0x101
	s_delay_alu instid0(VALU_DEP_1) | instskip(NEXT) | instid1(VALU_DEP_1)
	v_dual_fmac_f32 v36, v52, v17 :: v_dual_lshlrev_b32 v17, 16, v47
	v_fmac_f32_e32 v36, v48, v18
	s_delay_alu instid0(VALU_DEP_1) | instskip(SKIP_2) | instid1(VALU_DEP_1)
	v_fmac_f32_e32 v36, v50, v17
	s_wait_loadcnt_dscnt 0x0
	v_lshlrev_b32_e32 v17, 16, v45
	v_fmac_f32_e32 v36, v46, v17
.LBB668_23:                             ;   in Loop: Header=BB668_24 Depth=2
	s_wait_alu 0xfffe
	s_or_b32 exec_lo, exec_lo, s45
	v_add_nc_u32_e32 v40, 64, v40
	v_add_nc_u32_e32 v44, s40, v44
	;; [unrolled: 1-line block ×5, first 2 shown]
	v_cmp_le_i32_e32 vcc_lo, s37, v40
	s_add_co_i32 s44, s44, s41
	s_or_b32 s43, vcc_lo, s43
	s_wait_alu 0xfffe
	s_and_not1_b32 exec_lo, exec_lo, s43
	s_cbranch_execz .LBB668_29
.LBB668_24:                             ;   Parent Loop BB668_4 Depth=1
                                        ; =>  This Inner Loop Header: Depth=2
	s_and_saveexec_b32 s45, s0
	s_cbranch_execz .LBB668_23
; %bb.25:                               ;   in Loop: Header=BB668_24 Depth=2
	s_wait_alu 0xfffe
	v_add_nc_u32_e32 v17, s44, v32
	v_add_nc_u32_e32 v19, s44, v8
	;; [unrolled: 1-line block ×5, first 2 shown]
	v_ashrrev_i32_e32 v18, 31, v17
	v_ashrrev_i32_e32 v20, 31, v19
	;; [unrolled: 1-line block ×5, first 2 shown]
	v_lshlrev_b64_e32 v[17:18], 1, v[17:18]
	v_lshlrev_b64_e32 v[19:20], 1, v[19:20]
	;; [unrolled: 1-line block ×4, first 2 shown]
	v_add_nc_u32_e32 v47, s36, v44
	v_add_nc_u32_e32 v49, s36, v43
	v_add_co_u32 v17, vcc_lo, v15, v17
	s_wait_alu 0xfffd
	v_add_co_ci_u32_e64 v18, null, v16, v18, vcc_lo
	v_add_co_u32 v19, vcc_lo, v15, v19
	s_wait_alu 0xfffd
	v_add_co_ci_u32_e64 v20, null, v16, v20, vcc_lo
	;; [unrolled: 3-line block ×4, first 2 shown]
	v_lshlrev_b64_e32 v[45:46], 1, v[45:46]
	s_clause 0x3
	flat_load_u16 v52, v[17:18]
	flat_load_u16 v53, v[19:20]
	;; [unrolled: 1-line block ×4, first 2 shown]
	v_add_nc_u32_e32 v21, s36, v42
	v_ashrrev_i32_e32 v48, 31, v47
	v_ashrrev_i32_e32 v50, 31, v49
	v_add_co_u32 v17, vcc_lo, v13, v45
	s_delay_alu instid0(VALU_DEP_4) | instskip(NEXT) | instid1(VALU_DEP_4)
	v_ashrrev_i32_e32 v22, 31, v21
	v_lshlrev_b64_e32 v[19:20], 1, v[47:48]
	s_wait_alu 0xfffd
	v_add_co_ci_u32_e64 v18, null, v14, v46, vcc_lo
	v_lshlrev_b64_e32 v[45:46], 1, v[49:50]
	v_lshlrev_b64_e32 v[21:22], 1, v[21:22]
	s_delay_alu instid0(VALU_DEP_4) | instskip(SKIP_2) | instid1(VALU_DEP_4)
	v_add_co_u32 v23, vcc_lo, v13, v19
	s_wait_alu 0xfffd
	v_add_co_ci_u32_e64 v24, null, v14, v20, vcc_lo
	v_add_co_u32 v19, vcc_lo, v13, v45
	s_wait_alu 0xfffd
	v_add_co_ci_u32_e64 v20, null, v14, v46, vcc_lo
	;; [unrolled: 3-line block ×3, first 2 shown]
	s_clause 0x3
	flat_load_u16 v51, v[17:18]
	flat_load_u16 v49, v[23:24]
	;; [unrolled: 1-line block ×4, first 2 shown]
	s_wait_loadcnt_dscnt 0x707
	v_lshlrev_b32_e32 v52, 16, v52
	s_wait_loadcnt_dscnt 0x606
	v_lshlrev_b32_e32 v48, 16, v53
	;; [unrolled: 2-line block ×4, first 2 shown]
	s_and_saveexec_b32 s46, s1
	s_cbranch_execz .LBB668_22
; %bb.26:                               ;   in Loop: Header=BB668_24 Depth=2
	s_clause 0x3
	flat_load_u16 v56, v[17:18] offset:64
	flat_load_u16 v55, v[23:24] offset:64
	flat_load_u16 v54, v[19:20] offset:64
	flat_load_u16 v53, v[21:22] offset:64
	s_and_saveexec_b32 s47, s2
	s_cbranch_execz .LBB668_21
; %bb.27:                               ;   in Loop: Header=BB668_24 Depth=2
	s_clause 0x3
	flat_load_u16 v60, v[17:18] offset:128
	flat_load_u16 v59, v[23:24] offset:128
	flat_load_u16 v58, v[19:20] offset:128
	flat_load_u16 v57, v[21:22] offset:128
	;; [unrolled: 8-line block ×3, first 2 shown]
	s_wait_loadcnt_dscnt 0x303
	v_lshlrev_b32_e32 v17, 16, v17
	s_wait_loadcnt_dscnt 0x202
	s_delay_alu instid0(VALU_DEP_1) | instskip(SKIP_3) | instid1(VALU_DEP_2)
	v_dual_fmac_f32 v39, v52, v17 :: v_dual_lshlrev_b32 v18, 16, v18
	s_wait_loadcnt_dscnt 0x101
	v_lshlrev_b32_e32 v17, 16, v19
	s_wait_loadcnt_dscnt 0x0
	v_dual_fmac_f32 v39, v48, v18 :: v_dual_lshlrev_b32 v18, 16, v20
	s_delay_alu instid0(VALU_DEP_1) | instskip(NEXT) | instid1(VALU_DEP_1)
	v_fmac_f32_e32 v39, v50, v17
	v_fmac_f32_e32 v39, v46, v18
	s_branch .LBB668_20
.LBB668_29:                             ;   in Loop: Header=BB668_4 Depth=1
	s_or_b32 exec_lo, exec_lo, s43
.LBB668_30:                             ;   in Loop: Header=BB668_4 Depth=1
	s_wait_alu 0xfffe
	s_or_b32 exec_lo, exec_lo, s7
	s_delay_alu instid0(SALU_CYCLE_1)
	s_and_not1_b32 vcc_lo, exec_lo, s38
	s_wait_alu 0xfffe
	s_cbranch_vccnz .LBB668_48
; %bb.31:                               ;   in Loop: Header=BB668_4 Depth=1
	v_cmp_gt_i32_e32 vcc_lo, s9, v40
	v_dual_mov_b32 v22, 0 :: v_dual_mov_b32 v21, 0
	v_or_b32_e32 v17, 1, v40
	v_dual_mov_b32 v24, 0 :: v_dual_mov_b32 v23, 0
	s_and_saveexec_b32 s43, vcc_lo
	s_cbranch_execz .LBB668_39
; %bb.32:                               ;   in Loop: Header=BB668_4 Depth=1
	v_mul_lo_u32 v18, v40, s34
	v_dual_mov_b32 v23, 0 :: v_dual_mov_b32 v22, 0
	v_mov_b32_e32 v21, 0
	s_mov_b32 s44, exec_lo
	s_delay_alu instid0(VALU_DEP_3) | instskip(NEXT) | instid1(VALU_DEP_1)
	v_ashrrev_i32_e32 v19, 31, v18
	v_lshlrev_b64_e32 v[18:19], 1, v[18:19]
	s_delay_alu instid0(VALU_DEP_1) | instskip(SKIP_1) | instid1(VALU_DEP_2)
	v_add_co_u32 v18, s7, v15, v18
	s_wait_alu 0xf1ff
	v_add_co_ci_u32_e64 v19, null, v16, v19, s7
	flat_load_u16 v18, v[18:19]
	v_cmpx_gt_i32_e64 s9, v17
	s_cbranch_execz .LBB668_38
; %bb.33:                               ;   in Loop: Header=BB668_4 Depth=1
	v_mul_lo_u32 v19, v17, s34
	v_dual_mov_b32 v21, 0 :: v_dual_mov_b32 v22, 0
	s_mov_b32 s45, exec_lo
	s_delay_alu instid0(VALU_DEP_2) | instskip(NEXT) | instid1(VALU_DEP_1)
	v_ashrrev_i32_e32 v20, 31, v19
	v_lshlrev_b64_e32 v[19:20], 1, v[19:20]
	s_delay_alu instid0(VALU_DEP_1) | instskip(SKIP_1) | instid1(VALU_DEP_2)
	v_add_co_u32 v19, s7, v15, v19
	s_wait_alu 0xf1ff
	v_add_co_ci_u32_e64 v20, null, v16, v20, s7
	flat_load_u16 v19, v[19:20]
	v_or_b32_e32 v20, 2, v40
	s_delay_alu instid0(VALU_DEP_1)
	v_cmpx_gt_i32_e64 s9, v20
	s_cbranch_execz .LBB668_37
; %bb.34:                               ;   in Loop: Header=BB668_4 Depth=1
	v_mul_lo_u32 v20, v20, s34
	v_or_b32_e32 v22, 3, v40
	s_mov_b32 s46, exec_lo
	s_delay_alu instid0(VALU_DEP_2) | instskip(NEXT) | instid1(VALU_DEP_1)
	v_ashrrev_i32_e32 v21, 31, v20
	v_lshlrev_b64_e32 v[20:21], 1, v[20:21]
	s_delay_alu instid0(VALU_DEP_1) | instskip(SKIP_1) | instid1(VALU_DEP_2)
	v_add_co_u32 v20, s7, v15, v20
	s_wait_alu 0xf1ff
	v_add_co_ci_u32_e64 v21, null, v16, v21, s7
	flat_load_u16 v20, v[20:21]
	v_mov_b32_e32 v21, 0
	v_cmpx_gt_i32_e64 s9, v22
	s_cbranch_execz .LBB668_36
; %bb.35:                               ;   in Loop: Header=BB668_4 Depth=1
	v_mul_lo_u32 v21, v22, s34
	s_delay_alu instid0(VALU_DEP_1) | instskip(NEXT) | instid1(VALU_DEP_1)
	v_ashrrev_i32_e32 v22, 31, v21
	v_lshlrev_b64_e32 v[21:22], 1, v[21:22]
	s_delay_alu instid0(VALU_DEP_1) | instskip(SKIP_1) | instid1(VALU_DEP_2)
	v_add_co_u32 v15, s7, v15, v21
	s_wait_alu 0xf1ff
	v_add_co_ci_u32_e64 v16, null, v16, v22, s7
	flat_load_u16 v15, v[15:16]
	s_wait_loadcnt_dscnt 0x0
	v_lshlrev_b32_e32 v21, 16, v15
.LBB668_36:                             ;   in Loop: Header=BB668_4 Depth=1
	s_or_b32 exec_lo, exec_lo, s46
	s_wait_loadcnt_dscnt 0x0
	v_lshlrev_b32_e32 v22, 16, v20
.LBB668_37:                             ;   in Loop: Header=BB668_4 Depth=1
	s_wait_alu 0xfffe
	s_or_b32 exec_lo, exec_lo, s45
	s_wait_loadcnt_dscnt 0x0
	v_lshlrev_b32_e32 v23, 16, v19
.LBB668_38:                             ;   in Loop: Header=BB668_4 Depth=1
	s_wait_alu 0xfffe
	s_or_b32 exec_lo, exec_lo, s44
	s_wait_loadcnt_dscnt 0x0
	v_lshlrev_b32_e32 v24, 16, v18
.LBB668_39:                             ;   in Loop: Header=BB668_4 Depth=1
	s_wait_alu 0xfffe
	s_or_b32 exec_lo, exec_lo, s43
	s_and_saveexec_b32 s7, s0
	s_cbranch_execz .LBB668_47
; %bb.40:                               ;   in Loop: Header=BB668_4 Depth=1
	v_mul_lo_u32 v16, v40, s35
	v_or_b32_e32 v15, 2, v40
	v_mul_lo_u32 v19, v17, s35
	v_or_b32_e32 v18, 3, v40
	s_delay_alu instid0(VALU_DEP_3) | instskip(NEXT) | instid1(VALU_DEP_2)
	v_mul_lo_u32 v20, v15, s35
	v_mul_lo_u32 v40, v18, s35
	v_cndmask_b32_e32 v16, 0, v16, vcc_lo
	v_cmp_gt_i32_e32 vcc_lo, s9, v17
	s_wait_alu 0xfffd
	v_cndmask_b32_e32 v17, 0, v19, vcc_lo
	v_cmp_gt_i32_e32 vcc_lo, s9, v15
	v_add_nc_u32_e32 v15, v16, v25
	s_delay_alu instid0(VALU_DEP_3)
	v_add_nc_u32_e32 v17, v17, v25
	s_wait_alu 0xfffd
	v_cndmask_b32_e32 v19, 0, v20, vcc_lo
	v_cmp_gt_i32_e32 vcc_lo, s9, v18
	v_ashrrev_i32_e32 v16, 31, v15
	s_wait_alu 0xfffd
	v_cndmask_b32_e32 v18, 0, v40, vcc_lo
	s_delay_alu instid0(VALU_DEP_2) | instskip(NEXT) | instid1(VALU_DEP_2)
	v_lshlrev_b64_e32 v[15:16], 1, v[15:16]
	v_add_nc_u32_e32 v40, v18, v25
	v_add_nc_u32_e32 v19, v19, v25
	v_ashrrev_i32_e32 v18, 31, v17
	s_delay_alu instid0(VALU_DEP_3) | instskip(NEXT) | instid1(VALU_DEP_3)
	v_ashrrev_i32_e32 v41, 31, v40
	v_ashrrev_i32_e32 v20, 31, v19
	s_delay_alu instid0(VALU_DEP_3) | instskip(SKIP_1) | instid1(VALU_DEP_4)
	v_lshlrev_b64_e32 v[42:43], 1, v[17:18]
	v_add_co_u32 v17, vcc_lo, v13, v15
	v_lshlrev_b64_e32 v[40:41], 1, v[40:41]
	s_delay_alu instid0(VALU_DEP_4)
	v_lshlrev_b64_e32 v[44:45], 1, v[19:20]
	s_wait_alu 0xfffd
	v_add_co_ci_u32_e64 v18, null, v14, v16, vcc_lo
	v_add_co_u32 v19, vcc_lo, v13, v42
	s_wait_alu 0xfffd
	v_add_co_ci_u32_e64 v20, null, v14, v43, vcc_lo
	v_add_co_u32 v15, vcc_lo, v13, v44
	;; [unrolled: 3-line block ×3, first 2 shown]
	s_wait_alu 0xfffd
	v_add_co_ci_u32_e64 v14, null, v14, v41, vcc_lo
	s_clause 0x3
	flat_load_u16 v43, v[17:18]
	flat_load_u16 v42, v[19:20]
	;; [unrolled: 1-line block ×4, first 2 shown]
	s_and_saveexec_b32 s43, s1
	s_cbranch_execz .LBB668_46
; %bb.41:                               ;   in Loop: Header=BB668_4 Depth=1
	s_clause 0x3
	flat_load_u16 v47, v[17:18] offset:64
	flat_load_u16 v46, v[19:20] offset:64
	flat_load_u16 v45, v[15:16] offset:64
	flat_load_u16 v44, v[13:14] offset:64
	s_and_saveexec_b32 s44, s2
	s_cbranch_execz .LBB668_45
; %bb.42:                               ;   in Loop: Header=BB668_4 Depth=1
	s_clause 0x3
	flat_load_u16 v51, v[17:18] offset:128
	flat_load_u16 v50, v[19:20] offset:128
	flat_load_u16 v49, v[15:16] offset:128
	flat_load_u16 v48, v[13:14] offset:128
	;; [unrolled: 8-line block ×3, first 2 shown]
	s_wait_loadcnt_dscnt 0x0
	v_lshlrev_b32_e32 v13, 16, v13
	v_lshlrev_b32_e32 v16, 16, v18
	;; [unrolled: 1-line block ×3, first 2 shown]
	s_delay_alu instid0(VALU_DEP_1) | instskip(NEXT) | instid1(VALU_DEP_1)
	v_dual_fmac_f32 v39, v24, v14 :: v_dual_lshlrev_b32 v14, 16, v15
	v_fmac_f32_e32 v39, v23, v16
	s_delay_alu instid0(VALU_DEP_1) | instskip(NEXT) | instid1(VALU_DEP_1)
	v_fmac_f32_e32 v39, v22, v14
	v_fmac_f32_e32 v39, v21, v13
.LBB668_44:                             ;   in Loop: Header=BB668_4 Depth=1
	s_wait_alu 0xfffe
	s_or_b32 exec_lo, exec_lo, s45
	s_wait_loadcnt_dscnt 0x202
	v_lshlrev_b32_e32 v14, 16, v50
	v_lshlrev_b32_e32 v13, 16, v51
	s_delay_alu instid0(VALU_DEP_1) | instskip(SKIP_1) | instid1(VALU_DEP_1)
	v_fmac_f32_e32 v38, v24, v13
	s_wait_loadcnt_dscnt 0x101
	v_dual_fmac_f32 v38, v23, v14 :: v_dual_lshlrev_b32 v13, 16, v49
	s_wait_loadcnt_dscnt 0x0
	s_delay_alu instid0(VALU_DEP_1) | instskip(NEXT) | instid1(VALU_DEP_1)
	v_dual_fmac_f32 v38, v22, v13 :: v_dual_lshlrev_b32 v13, 16, v48
	v_fmac_f32_e32 v38, v21, v13
.LBB668_45:                             ;   in Loop: Header=BB668_4 Depth=1
	s_wait_alu 0xfffe
	s_or_b32 exec_lo, exec_lo, s44
	s_wait_loadcnt_dscnt 0x303
	v_lshlrev_b32_e32 v13, 16, v47
	s_wait_loadcnt_dscnt 0x202
	s_delay_alu instid0(VALU_DEP_1) | instskip(SKIP_2) | instid1(VALU_DEP_2)
	v_dual_fmac_f32 v37, v24, v13 :: v_dual_lshlrev_b32 v14, 16, v46
	s_wait_loadcnt_dscnt 0x101
	v_lshlrev_b32_e32 v13, 16, v45
	v_fmac_f32_e32 v37, v23, v14
	s_delay_alu instid0(VALU_DEP_1) | instskip(SKIP_2) | instid1(VALU_DEP_1)
	v_fmac_f32_e32 v37, v22, v13
	s_wait_loadcnt_dscnt 0x0
	v_lshlrev_b32_e32 v13, 16, v44
	v_fmac_f32_e32 v37, v21, v13
.LBB668_46:                             ;   in Loop: Header=BB668_4 Depth=1
	s_wait_alu 0xfffe
	s_or_b32 exec_lo, exec_lo, s43
	s_wait_loadcnt_dscnt 0x202
	v_lshlrev_b32_e32 v14, 16, v42
	v_lshlrev_b32_e32 v13, 16, v43
	s_delay_alu instid0(VALU_DEP_1) | instskip(SKIP_1) | instid1(VALU_DEP_1)
	v_fmac_f32_e32 v36, v24, v13
	s_wait_loadcnt_dscnt 0x101
	v_dual_fmac_f32 v36, v23, v14 :: v_dual_lshlrev_b32 v13, 16, v41
	s_wait_loadcnt_dscnt 0x0
	s_delay_alu instid0(VALU_DEP_1) | instskip(NEXT) | instid1(VALU_DEP_1)
	v_dual_fmac_f32 v36, v22, v13 :: v_dual_lshlrev_b32 v13, 16, v40
	v_fmac_f32_e32 v36, v21, v13
.LBB668_47:                             ;   in Loop: Header=BB668_4 Depth=1
	s_wait_alu 0xfffe
	s_or_b32 exec_lo, exec_lo, s7
.LBB668_48:                             ;   in Loop: Header=BB668_4 Depth=1
	ds_store_2addr_b32 v0, v36, v37 offset1:32
	ds_store_2addr_b32 v0, v38, v39 offset0:64 offset1:96
	s_wait_dscnt 0x0
	s_barrier_signal -1
	s_barrier_wait -1
	global_inv scope:SCOPE_SE
                                        ; implicit-def: $vgpr17
	s_and_saveexec_b32 s7, s5
	s_cbranch_execz .LBB668_54
; %bb.49:                               ;   in Loop: Header=BB668_4 Depth=1
	ds_load_2addr_stride64_b32 v[13:14], v27 offset1:2
	ds_load_2addr_stride64_b32 v[15:16], v27 offset0:4 offset1:6
	ds_load_2addr_stride64_b32 v[17:18], v27 offset0:8 offset1:10
	s_mov_b32 s44, s8
	s_wait_dscnt 0x2
	v_add_f32_e32 v19, v13, v14
	ds_load_2addr_stride64_b32 v[13:14], v27 offset0:12 offset1:14
	s_wait_dscnt 0x2
	v_add_f32_e32 v15, v15, v19
	s_delay_alu instid0(VALU_DEP_1) | instskip(SKIP_3) | instid1(VALU_DEP_1)
	v_add_f32_e32 v19, v16, v15
	ds_load_2addr_stride64_b32 v[15:16], v27 offset0:16 offset1:18
	s_wait_dscnt 0x2
	v_add_f32_e32 v17, v17, v19
	v_add_f32_e32 v19, v18, v17
	ds_load_2addr_stride64_b32 v[17:18], v27 offset0:20 offset1:22
	s_wait_dscnt 0x2
	v_add_f32_e32 v13, v13, v19
	s_delay_alu instid0(VALU_DEP_1) | instskip(SKIP_1) | instid1(VALU_DEP_1)
	v_add_f32_e32 v13, v14, v13
	s_wait_dscnt 0x1
	v_add_f32_e32 v15, v15, v13
	ds_load_2addr_stride64_b32 v[13:14], v27 offset0:24 offset1:26
	v_add_f32_e32 v15, v16, v15
	s_wait_dscnt 0x1
	s_delay_alu instid0(VALU_DEP_1) | instskip(SKIP_3) | instid1(VALU_DEP_1)
	v_add_f32_e32 v17, v17, v15
	ds_load_2addr_stride64_b32 v[15:16], v27 offset0:28 offset1:30
	v_add_f32_e32 v17, v18, v17
	s_wait_dscnt 0x1
	v_add_f32_e32 v13, v13, v17
                                        ; implicit-def: $vgpr17
	s_delay_alu instid0(VALU_DEP_1) | instskip(SKIP_1) | instid1(VALU_DEP_1)
	v_add_f32_e32 v13, v14, v13
	s_wait_dscnt 0x0
	v_add_f32_e32 v13, v15, v13
	s_delay_alu instid0(VALU_DEP_1)
	v_add_f32_e32 v13, v16, v13
	ds_store_b32 v27, v13
	s_and_saveexec_b32 s43, s6
	s_cbranch_execz .LBB668_53
; %bb.50:                               ;   in Loop: Header=BB668_4 Depth=1
	v_mul_f32_e32 v17, v33, v13
	s_cmp_eq_f32 s42, 0
	s_cbranch_scc1 .LBB668_52
; %bb.51:                               ;   in Loop: Header=BB668_4 Depth=1
	v_add_co_u32 v13, vcc_lo, v34, v11
	s_wait_alu 0xfffd
	v_add_co_ci_u32_e64 v14, null, v35, v12, vcc_lo
	flat_load_b32 v13, v[13:14]
	s_wait_loadcnt_dscnt 0x0
	v_fmac_f32_e32 v17, s42, v13
.LBB668_52:                             ;   in Loop: Header=BB668_4 Depth=1
	s_or_b32 s44, s8, exec_lo
.LBB668_53:                             ;   in Loop: Header=BB668_4 Depth=1
	s_wait_alu 0xfffe
	s_or_b32 exec_lo, exec_lo, s43
	s_delay_alu instid0(SALU_CYCLE_1)
	s_and_not1_b32 s8, s8, exec_lo
	s_and_b32 s42, s44, exec_lo
	s_wait_alu 0xfffe
	s_or_b32 s8, s8, s42
.LBB668_54:                             ;   in Loop: Header=BB668_4 Depth=1
	s_wait_alu 0xfffe
	s_or_b32 exec_lo, exec_lo, s7
	v_dual_mov_b32 v14, v5 :: v_dual_mov_b32 v13, v4
	s_and_saveexec_b32 s7, s8
	s_cbranch_execz .LBB668_2
.LBB668_55:                             ;   in Loop: Header=BB668_4 Depth=1
	s_delay_alu instid0(VALU_DEP_1) | instskip(NEXT) | instid1(VALU_DEP_1)
	v_lshlrev_b64_e32 v[13:14], 2, v[13:14]
	v_add_co_u32 v13, vcc_lo, v34, v13
	s_wait_alu 0xfffd
	s_delay_alu instid0(VALU_DEP_2)
	v_add_co_ci_u32_e64 v14, null, v35, v14, vcc_lo
	flat_store_b32 v[13:14], v17
	s_branch .LBB668_2
.LBB668_56:
	s_endpgm
	.section	.rodata,"a",@progbits
	.p2align	6, 0x0
	.amdhsa_kernel _ZL20rocblas_gemvn_kernelILi32ELi16EiPK16rocblas_bfloat16PKfKPfEviiT3_lPKT2_lT1_lSA_lSB_lS7_lPT4_lSB_li
		.amdhsa_group_segment_fixed_size 8192
		.amdhsa_private_segment_fixed_size 0
		.amdhsa_kernarg_size 400
		.amdhsa_user_sgpr_count 2
		.amdhsa_user_sgpr_dispatch_ptr 0
		.amdhsa_user_sgpr_queue_ptr 0
		.amdhsa_user_sgpr_kernarg_segment_ptr 1
		.amdhsa_user_sgpr_dispatch_id 0
		.amdhsa_user_sgpr_private_segment_size 0
		.amdhsa_wavefront_size32 1
		.amdhsa_uses_dynamic_stack 0
		.amdhsa_enable_private_segment 0
		.amdhsa_system_sgpr_workgroup_id_x 1
		.amdhsa_system_sgpr_workgroup_id_y 0
		.amdhsa_system_sgpr_workgroup_id_z 1
		.amdhsa_system_sgpr_workgroup_info 0
		.amdhsa_system_vgpr_workitem_id 1
		.amdhsa_next_free_vgpr 61
		.amdhsa_next_free_sgpr 49
		.amdhsa_reserve_vcc 1
		.amdhsa_float_round_mode_32 0
		.amdhsa_float_round_mode_16_64 0
		.amdhsa_float_denorm_mode_32 3
		.amdhsa_float_denorm_mode_16_64 3
		.amdhsa_fp16_overflow 0
		.amdhsa_workgroup_processor_mode 1
		.amdhsa_memory_ordered 1
		.amdhsa_forward_progress 1
		.amdhsa_inst_pref_size 28
		.amdhsa_round_robin_scheduling 0
		.amdhsa_exception_fp_ieee_invalid_op 0
		.amdhsa_exception_fp_denorm_src 0
		.amdhsa_exception_fp_ieee_div_zero 0
		.amdhsa_exception_fp_ieee_overflow 0
		.amdhsa_exception_fp_ieee_underflow 0
		.amdhsa_exception_fp_ieee_inexact 0
		.amdhsa_exception_int_div_zero 0
	.end_amdhsa_kernel
	.section	.text._ZL20rocblas_gemvn_kernelILi32ELi16EiPK16rocblas_bfloat16PKfKPfEviiT3_lPKT2_lT1_lSA_lSB_lS7_lPT4_lSB_li,"axG",@progbits,_ZL20rocblas_gemvn_kernelILi32ELi16EiPK16rocblas_bfloat16PKfKPfEviiT3_lPKT2_lT1_lSA_lSB_lS7_lPT4_lSB_li,comdat
.Lfunc_end668:
	.size	_ZL20rocblas_gemvn_kernelILi32ELi16EiPK16rocblas_bfloat16PKfKPfEviiT3_lPKT2_lT1_lSA_lSB_lS7_lPT4_lSB_li, .Lfunc_end668-_ZL20rocblas_gemvn_kernelILi32ELi16EiPK16rocblas_bfloat16PKfKPfEviiT3_lPKT2_lT1_lSA_lSB_lS7_lPT4_lSB_li
                                        ; -- End function
	.set _ZL20rocblas_gemvn_kernelILi32ELi16EiPK16rocblas_bfloat16PKfKPfEviiT3_lPKT2_lT1_lSA_lSB_lS7_lPT4_lSB_li.num_vgpr, 61
	.set _ZL20rocblas_gemvn_kernelILi32ELi16EiPK16rocblas_bfloat16PKfKPfEviiT3_lPKT2_lT1_lSA_lSB_lS7_lPT4_lSB_li.num_agpr, 0
	.set _ZL20rocblas_gemvn_kernelILi32ELi16EiPK16rocblas_bfloat16PKfKPfEviiT3_lPKT2_lT1_lSA_lSB_lS7_lPT4_lSB_li.numbered_sgpr, 49
	.set _ZL20rocblas_gemvn_kernelILi32ELi16EiPK16rocblas_bfloat16PKfKPfEviiT3_lPKT2_lT1_lSA_lSB_lS7_lPT4_lSB_li.num_named_barrier, 0
	.set _ZL20rocblas_gemvn_kernelILi32ELi16EiPK16rocblas_bfloat16PKfKPfEviiT3_lPKT2_lT1_lSA_lSB_lS7_lPT4_lSB_li.private_seg_size, 0
	.set _ZL20rocblas_gemvn_kernelILi32ELi16EiPK16rocblas_bfloat16PKfKPfEviiT3_lPKT2_lT1_lSA_lSB_lS7_lPT4_lSB_li.uses_vcc, 1
	.set _ZL20rocblas_gemvn_kernelILi32ELi16EiPK16rocblas_bfloat16PKfKPfEviiT3_lPKT2_lT1_lSA_lSB_lS7_lPT4_lSB_li.uses_flat_scratch, 1
	.set _ZL20rocblas_gemvn_kernelILi32ELi16EiPK16rocblas_bfloat16PKfKPfEviiT3_lPKT2_lT1_lSA_lSB_lS7_lPT4_lSB_li.has_dyn_sized_stack, 0
	.set _ZL20rocblas_gemvn_kernelILi32ELi16EiPK16rocblas_bfloat16PKfKPfEviiT3_lPKT2_lT1_lSA_lSB_lS7_lPT4_lSB_li.has_recursion, 0
	.set _ZL20rocblas_gemvn_kernelILi32ELi16EiPK16rocblas_bfloat16PKfKPfEviiT3_lPKT2_lT1_lSA_lSB_lS7_lPT4_lSB_li.has_indirect_call, 0
	.section	.AMDGPU.csdata,"",@progbits
; Kernel info:
; codeLenInByte = 3520
; TotalNumSgprs: 51
; NumVgprs: 61
; ScratchSize: 0
; MemoryBound: 0
; FloatMode: 240
; IeeeMode: 1
; LDSByteSize: 8192 bytes/workgroup (compile time only)
; SGPRBlocks: 0
; VGPRBlocks: 7
; NumSGPRsForWavesPerEU: 51
; NumVGPRsForWavesPerEU: 61
; Occupancy: 16
; WaveLimiterHint : 1
; COMPUTE_PGM_RSRC2:SCRATCH_EN: 0
; COMPUTE_PGM_RSRC2:USER_SGPR: 2
; COMPUTE_PGM_RSRC2:TRAP_HANDLER: 0
; COMPUTE_PGM_RSRC2:TGID_X_EN: 1
; COMPUTE_PGM_RSRC2:TGID_Y_EN: 0
; COMPUTE_PGM_RSRC2:TGID_Z_EN: 1
; COMPUTE_PGM_RSRC2:TIDIG_COMP_CNT: 1
	.section	.text._ZL20rocblas_gemvn_kernelILi32ELi16ElPK16rocblas_bfloat16PKfKPfEviiT3_lPKT2_lT1_lSA_lSB_lS7_lPT4_lSB_li,"axG",@progbits,_ZL20rocblas_gemvn_kernelILi32ELi16ElPK16rocblas_bfloat16PKfKPfEviiT3_lPKT2_lT1_lSA_lSB_lS7_lPT4_lSB_li,comdat
	.globl	_ZL20rocblas_gemvn_kernelILi32ELi16ElPK16rocblas_bfloat16PKfKPfEviiT3_lPKT2_lT1_lSA_lSB_lS7_lPT4_lSB_li ; -- Begin function _ZL20rocblas_gemvn_kernelILi32ELi16ElPK16rocblas_bfloat16PKfKPfEviiT3_lPKT2_lT1_lSA_lSB_lS7_lPT4_lSB_li
	.p2align	8
	.type	_ZL20rocblas_gemvn_kernelILi32ELi16ElPK16rocblas_bfloat16PKfKPfEviiT3_lPKT2_lT1_lSA_lSB_lS7_lPT4_lSB_li,@function
_ZL20rocblas_gemvn_kernelILi32ELi16ElPK16rocblas_bfloat16PKfKPfEviiT3_lPKT2_lT1_lSA_lSB_lS7_lPT4_lSB_li: ; @_ZL20rocblas_gemvn_kernelILi32ELi16ElPK16rocblas_bfloat16PKfKPfEviiT3_lPKT2_lT1_lSA_lSB_lS7_lPT4_lSB_li
; %bb.0:
	s_clause 0x1
	s_load_b64 s[2:3], s[0:1], 0x9c
	s_load_b32 s33, s[0:1], 0x88
	s_lshr_b32 s10, ttmp7, 16
	s_wait_kmcnt 0x0
	s_lshr_b32 s4, s2, 16
	s_and_b32 s2, s2, 0xffff
	s_and_b32 s3, s3, 0xffff
	s_mul_i32 s2, s4, s2
	s_delay_alu instid0(SALU_CYCLE_1) | instskip(NEXT) | instid1(SALU_CYCLE_1)
	s_mul_i32 s2, s2, s3
	s_cmp_lg_u32 s2, 0x200
	s_cselect_b32 s2, -1, 0
	s_cmp_ge_u32 s10, s33
	s_cselect_b32 s3, -1, 0
	s_delay_alu instid0(SALU_CYCLE_1) | instskip(NEXT) | instid1(SALU_CYCLE_1)
	s_or_b32 s2, s2, s3
	s_and_b32 vcc_lo, exec_lo, s2
	s_cbranch_vccnz .LBB669_56
; %bb.1:
	s_clause 0x6
	s_load_b64 s[6:7], s[0:1], 0x78
	s_load_b64 s[8:9], s[0:1], 0x0
	s_load_b256 s[12:19], s[0:1], 0x8
	s_load_b64 s[34:35], s[0:1], 0x28
	s_load_b128 s[28:31], s[0:1], 0x38
	s_load_b64 s[36:37], s[0:1], 0x48
	s_load_b256 s[20:27], s[0:1], 0x58
	v_dual_mov_b32 v1, 0 :: v_dual_and_b32 v2, 0x3ff, v0
	s_lshl_b32 s38, ttmp9, 7
	v_bfe_u32 v26, v0, 10, 10
	s_mov_b32 s11, 0
	s_delay_alu instid0(VALU_DEP_2) | instskip(SKIP_1) | instid1(VALU_DEP_3)
	v_add_nc_u32_e32 v8, s38, v2
	v_lshlrev_b32_e32 v16, 2, v2
	v_lshlrev_b32_e32 v40, 2, v26
	v_lshl_add_u32 v5, v26, 5, v2
	s_delay_alu instid0(VALU_DEP_4)
	v_add_nc_u32_e32 v6, 64, v8
	v_add_nc_u32_e32 v7, 0x60, v8
	v_lshl_add_u32 v41, v26, 7, v16
	v_or_b32_e32 v19, 3, v40
	v_add_nc_u32_e32 v0, s38, v5
	v_or_b32_e32 v17, s38, v5
	s_wait_kmcnt 0x0
	s_ashr_i32 s2, s9, 31
	v_mad_co_u64_u32 v[10:11], null, s34, v19, 0
	s_lshr_b32 s3, s2, 26
	v_cmp_gt_i32_e64 s2, s8, v6
	s_add_co_i32 s42, s9, s3
	v_cmp_gt_i32_e64 s3, s8, v7
	v_mad_co_u64_u32 v[6:7], null, s36, v26, 0
	v_mad_co_u64_u32 v[12:13], null, s36, v19, 0
	;; [unrolled: 1-line block ×3, first 2 shown]
	s_ashr_i32 s5, s8, 31
	s_mov_b32 s4, s8
	v_mad_co_u64_u32 v[14:15], null, s37, v26, v[7:8]
	s_and_not1_b32 s42, s42, 63
	v_cmp_gt_i64_e32 vcc_lo, s[4:5], v[0:1]
	s_sub_co_i32 s39, s9, s42
	v_cmp_gt_u32_e64 s5, 0x80, v5
	v_mul_lo_u32 v18, s7, v17
	s_wait_alu 0xfffe
	s_cmp_gt_i32 s39, 0
	v_mov_b32_e32 v7, v14
	v_mad_co_u64_u32 v[14:15], null, s35, v19, v[11:12]
	s_cselect_b32 s43, -1, 0
	s_ashr_i32 s38, s38, 31
	v_ashrrev_i32_e32 v9, 31, v8
	v_cmp_gt_i32_e64 s0, s8, v8
	v_lshlrev_b64_e32 v[6:7], 3, v[6:7]
	s_and_b32 s44, s5, vcc_lo
	v_mov_b32_e32 v11, v14
	v_mad_co_u64_u32 v[22:23], null, s36, v40, s[36:37]
	v_add_nc_u32_e32 v4, 32, v8
	v_or_b32_e32 v29, 2, v40
	v_mad_co_u64_u32 v[24:25], null, s34, v40, s[34:35]
	v_lshlrev_b64_e32 v[8:9], 1, v[8:9]
	s_delay_alu instid0(VALU_DEP_4)
	v_cmp_gt_i32_e64 s1, s8, v4
	v_mad_co_u64_u32 v[3:4], null, s7, v0, v[3:4]
	v_mad_co_u64_u32 v[4:5], null, s6, v17, 0
	s_wait_alu 0xfffe
	s_mul_i32 s7, s6, s38
	v_lshl_add_u32 v0, v26, 9, v16
	v_mad_co_u64_u32 v[15:16], null, s37, v19, v[13:14]
	v_cmp_gt_i32_e64 s6, s8, v17
	v_mad_co_u64_u32 v[16:17], null, s34, v26, 0
	s_wait_alu 0xfffe
	v_add3_u32 v5, v5, s7, v18
	v_mad_co_u64_u32 v[18:19], null, s34, v29, 0
	v_mad_co_u64_u32 v[20:21], null, s36, v29, 0
	s_delay_alu instid0(VALU_DEP_4) | instskip(SKIP_3) | instid1(VALU_DEP_4)
	v_dual_mov_b32 v13, v15 :: v_dual_mov_b32 v14, v17
	v_mov_b32_e32 v17, v25
	v_lshlrev_b64_e32 v[10:11], 1, v[10:11]
	v_mov_b32_e32 v15, v19
	v_lshlrev_b64_e32 v[12:13], 1, v[12:13]
	v_cmp_gt_i32_e64 s4, s42, v40
	s_lshl_b64 s[38:39], s[36:37], 7
	s_lshl_b64 s[40:41], s[34:35], 7
	v_mad_co_u64_u32 v[26:27], null, s35, v26, v[14:15]
	v_mov_b32_e32 v14, v21
	v_mad_co_u64_u32 v[27:28], null, s35, v29, v[15:16]
	v_mov_b32_e32 v15, v23
	s_lshl_b64 s[18:19], s[18:19], 1
	s_lshl_b64 s[30:31], s[30:31], 1
	;; [unrolled: 1-line block ×3, first 2 shown]
	s_delay_alu instid0(VALU_DEP_1)
	v_mad_co_u64_u32 v[28:29], null, s37, v29, v[14:15]
	v_mad_co_u64_u32 v[14:15], null, s37, v40, v[15:16]
	;; [unrolled: 1-line block ×3, first 2 shown]
	v_mov_b32_e32 v17, v26
	v_mov_b32_e32 v19, v27
	;; [unrolled: 1-line block ×4, first 2 shown]
	s_delay_alu instid0(VALU_DEP_4) | instskip(SKIP_4) | instid1(VALU_DEP_4)
	v_lshlrev_b64_e32 v[14:15], 3, v[16:17]
	v_mov_b32_e32 v25, v29
	v_lshlrev_b64_e32 v[16:17], 1, v[18:19]
	v_lshlrev_b64_e32 v[18:19], 1, v[20:21]
	;; [unrolled: 1-line block ×5, first 2 shown]
	s_branch .LBB669_4
.LBB669_2:                              ;   in Loop: Header=BB669_4 Depth=1
	s_wait_alu 0xfffe
	s_or_b32 exec_lo, exec_lo, s7
.LBB669_3:                              ;   in Loop: Header=BB669_4 Depth=1
	s_add_co_i32 s10, s10, 0x10000
	s_delay_alu instid0(SALU_CYCLE_1)
	s_cmp_lt_u32 s10, s33
	s_cbranch_scc0 .LBB669_56
.LBB669_4:                              ; =>This Loop Header: Depth=1
                                        ;     Child Loop BB669_24 Depth 2
	s_mul_u64 s[46:47], s[14:15], s[10:11]
	s_mul_u64 s[48:49], s[22:23], s[10:11]
	s_lshl_b64 s[46:47], s[46:47], 2
	s_lshl_b64 s[48:49], s[48:49], 2
	s_add_nc_u64 s[46:47], s[12:13], s[46:47]
	s_add_nc_u64 s[48:49], s[20:21], s[48:49]
	s_clause 0x1
	global_load_b32 v42, v1, s[46:47]
	global_load_b32 v26, v1, s[48:49]
	s_wait_loadcnt 0x1
	v_cmp_eq_f32_e64 s7, 0, v42
	s_wait_loadcnt 0x0
	v_cmp_eq_f32_e32 vcc_lo, 1.0, v26
	v_readfirstlane_b32 s45, v26
	s_and_b32 s8, s7, vcc_lo
	s_wait_alu 0xfffe
	s_and_b32 vcc_lo, exec_lo, s8
	s_wait_alu 0xfffe
	s_cbranch_vccnz .LBB669_3
; %bb.5:                                ;   in Loop: Header=BB669_4 Depth=1
	v_mov_b32_e32 v28, 0
	v_dual_mov_b32 v29, 0 :: v_dual_mov_b32 v26, 0
	v_cmp_neq_f32_e64 s8, 0, v42
	v_mov_b32_e32 v27, 0
	s_and_b32 vcc_lo, exec_lo, s7
	s_wait_alu 0xfffe
	s_cbranch_vccnz .LBB669_7
; %bb.6:                                ;   in Loop: Header=BB669_4 Depth=1
	s_lshl_b64 s[46:47], s[10:11], 3
	s_delay_alu instid0(SALU_CYCLE_1)
	s_add_nc_u64 s[46:47], s[16:17], s[46:47]
	global_load_b64 v[26:27], v1, s[46:47]
	s_wait_loadcnt 0x0
	v_add_co_u32 v26, vcc_lo, v26, s18
	s_wait_alu 0xfffd
	v_add_co_ci_u32_e64 v27, null, s19, v27, vcc_lo
.LBB669_7:                              ;   in Loop: Header=BB669_4 Depth=1
	s_and_not1_b32 vcc_lo, exec_lo, s8
	s_wait_alu 0xfffe
	s_cbranch_vccnz .LBB669_9
; %bb.8:                                ;   in Loop: Header=BB669_4 Depth=1
	s_lshl_b64 s[46:47], s[10:11], 3
	s_delay_alu instid0(SALU_CYCLE_1)
	s_add_nc_u64 s[46:47], s[28:29], s[46:47]
	global_load_b64 v[28:29], v1, s[46:47]
	s_wait_loadcnt 0x0
	v_add_co_u32 v28, vcc_lo, v28, s30
	s_wait_alu 0xfffd
	v_add_co_ci_u32_e64 v29, null, s31, v29, vcc_lo
.LBB669_9:                              ;   in Loop: Header=BB669_4 Depth=1
	s_lshl_b64 s[46:47], s[10:11], 3
	s_delay_alu instid0(SALU_CYCLE_1)
	s_add_nc_u64 s[46:47], s[24:25], s[46:47]
	global_load_b64 v[30:31], v1, s[46:47]
	s_wait_loadcnt 0x0
	v_add_co_u32 v43, vcc_lo, v30, s26
	s_wait_alu 0xfffd
	v_add_co_ci_u32_e64 v44, null, s27, v31, vcc_lo
	s_and_not1_b32 vcc_lo, exec_lo, s7
	s_wait_alu 0xfffe
	s_cbranch_vccnz .LBB669_13
; %bb.10:                               ;   in Loop: Header=BB669_4 Depth=1
	s_mov_b32 s7, 0
	s_mov_b32 s8, 0
                                        ; implicit-def: $vgpr30
	s_and_saveexec_b32 s46, s44
	s_cbranch_execz .LBB669_14
; %bb.11:                               ;   in Loop: Header=BB669_4 Depth=1
	s_cmp_eq_f32 s45, 0
	s_cbranch_scc1 .LBB669_16
; %bb.12:                               ;   in Loop: Header=BB669_4 Depth=1
	v_add_co_u32 v30, vcc_lo, v43, v24
	s_wait_alu 0xfffd
	v_add_co_ci_u32_e64 v31, null, v44, v25, vcc_lo
	flat_load_b32 v30, v[30:31]
	s_wait_loadcnt_dscnt 0x0
	v_mul_f32_e32 v30, s45, v30
	s_branch .LBB669_17
.LBB669_13:                             ;   in Loop: Header=BB669_4 Depth=1
	s_mov_b32 s8, 0
                                        ; implicit-def: $vgpr30
	s_cbranch_execz .LBB669_15
	s_branch .LBB669_18
.LBB669_14:                             ;   in Loop: Header=BB669_4 Depth=1
	s_or_b32 exec_lo, exec_lo, s46
	s_wait_alu 0xfffe
	s_and_b32 vcc_lo, exec_lo, s7
	s_wait_alu 0xfffe
	s_cbranch_vccnz .LBB669_18
.LBB669_15:                             ;   in Loop: Header=BB669_4 Depth=1
	v_dual_mov_b32 v27, v3 :: v_dual_mov_b32 v26, v2
	s_wait_alu 0xfffe
	s_and_saveexec_b32 s7, s8
	s_cbranch_execz .LBB669_2
	s_branch .LBB669_55
.LBB669_16:                             ;   in Loop: Header=BB669_4 Depth=1
	v_mov_b32_e32 v30, 0
.LBB669_17:                             ;   in Loop: Header=BB669_4 Depth=1
	s_mov_b32 s8, exec_lo
	s_or_b32 exec_lo, exec_lo, s46
	s_wait_alu 0xfffe
	s_and_b32 vcc_lo, exec_lo, s7
	s_wait_alu 0xfffe
	s_cbranch_vccz .LBB669_15
.LBB669_18:                             ;   in Loop: Header=BB669_4 Depth=1
	v_dual_mov_b32 v45, 0 :: v_dual_mov_b32 v46, 0
	v_dual_mov_b32 v49, v40 :: v_dual_mov_b32 v48, 0
	v_mov_b32_e32 v47, 0
	s_and_saveexec_b32 s46, s4
	s_cbranch_execz .LBB669_30
; %bb.19:                               ;   in Loop: Header=BB669_4 Depth=1
	v_add_co_u32 v50, vcc_lo, v26, v10
	s_wait_alu 0xfffd
	v_add_co_ci_u32_e64 v51, null, v27, v11, vcc_lo
	v_add_co_u32 v52, vcc_lo, v26, v14
	s_wait_alu 0xfffd
	v_add_co_ci_u32_e64 v53, null, v27, v15, vcc_lo
	;; [unrolled: 3-line block ×3, first 2 shown]
	v_add_co_u32 v56, vcc_lo, v26, v22
	v_dual_mov_b32 v31, v29 :: v_dual_mov_b32 v46, 0
	s_wait_alu 0xfffd
	v_add_co_ci_u32_e64 v57, null, v27, v23, vcc_lo
	v_dual_mov_b32 v45, 0 :: v_dual_mov_b32 v30, v28
	v_dual_mov_b32 v49, v40 :: v_dual_mov_b32 v48, 0
	v_mov_b32_e32 v47, 0
	s_mov_b32 s47, 0
	s_branch .LBB669_24
.LBB669_20:                             ;   in Loop: Header=BB669_24 Depth=2
	s_or_b32 exec_lo, exec_lo, s50
	s_wait_loadcnt_dscnt 0x303
	v_lshlrev_b32_e32 v32, 16, v73
	s_wait_loadcnt_dscnt 0x202
	v_lshlrev_b32_e32 v33, 16, v72
	s_wait_loadcnt_dscnt 0x101
	s_delay_alu instid0(VALU_DEP_2) | instskip(NEXT) | instid1(VALU_DEP_1)
	v_dual_fmac_f32 v47, v65, v32 :: v_dual_lshlrev_b32 v32, 16, v71
	v_fmac_f32_e32 v47, v61, v33
	s_wait_loadcnt_dscnt 0x0
	s_delay_alu instid0(VALU_DEP_1) | instskip(NEXT) | instid1(VALU_DEP_1)
	v_dual_fmac_f32 v47, v63, v32 :: v_dual_lshlrev_b32 v32, 16, v70
	v_fmac_f32_e32 v47, v59, v32
.LBB669_21:                             ;   in Loop: Header=BB669_24 Depth=2
	s_or_b32 exec_lo, exec_lo, s49
	s_wait_loadcnt_dscnt 0x303
	v_lshlrev_b32_e32 v32, 16, v69
	s_wait_loadcnt_dscnt 0x202
	v_lshlrev_b32_e32 v33, 16, v68
	s_delay_alu instid0(VALU_DEP_2) | instskip(SKIP_2) | instid1(VALU_DEP_2)
	v_fmac_f32_e32 v46, v65, v32
	s_wait_loadcnt_dscnt 0x101
	v_lshlrev_b32_e32 v32, 16, v67
	v_fmac_f32_e32 v46, v61, v33
	s_delay_alu instid0(VALU_DEP_1) | instskip(SKIP_2) | instid1(VALU_DEP_1)
	v_fmac_f32_e32 v46, v63, v32
	s_wait_loadcnt_dscnt 0x0
	v_lshlrev_b32_e32 v32, 16, v66
	v_fmac_f32_e32 v46, v59, v32
.LBB669_22:                             ;   in Loop: Header=BB669_24 Depth=2
	s_or_b32 exec_lo, exec_lo, s48
	s_wait_loadcnt_dscnt 0x202
	v_lshlrev_b32_e32 v33, 16, v62
	v_lshlrev_b32_e32 v32, 16, v64
	s_delay_alu instid0(VALU_DEP_1) | instskip(SKIP_1) | instid1(VALU_DEP_1)
	v_fmac_f32_e32 v45, v65, v32
	s_wait_loadcnt_dscnt 0x101
	v_dual_fmac_f32 v45, v61, v33 :: v_dual_lshlrev_b32 v32, 16, v60
	s_wait_loadcnt_dscnt 0x0
	s_delay_alu instid0(VALU_DEP_1) | instskip(NEXT) | instid1(VALU_DEP_1)
	v_dual_fmac_f32 v45, v63, v32 :: v_dual_lshlrev_b32 v32, 16, v58
	v_fmac_f32_e32 v45, v59, v32
.LBB669_23:                             ;   in Loop: Header=BB669_24 Depth=2
	s_wait_alu 0xfffe
	s_or_b32 exec_lo, exec_lo, s7
	v_add_co_u32 v30, vcc_lo, v30, s38
	s_wait_alu 0xfffd
	v_add_co_ci_u32_e64 v31, null, s39, v31, vcc_lo
	v_add_co_u32 v50, vcc_lo, v50, s40
	v_add_nc_u32_e32 v49, 64, v49
	s_wait_alu 0xfffd
	v_add_co_ci_u32_e64 v51, null, s41, v51, vcc_lo
	v_add_co_u32 v52, vcc_lo, v52, s40
	s_wait_alu 0xfffd
	v_add_co_ci_u32_e64 v53, null, s41, v53, vcc_lo
	v_add_co_u32 v54, vcc_lo, v54, s40
	s_wait_alu 0xfffd
	v_add_co_ci_u32_e64 v55, null, s41, v55, vcc_lo
	v_cmp_le_i32_e32 vcc_lo, s42, v49
	v_add_co_u32 v56, s7, v56, s40
	s_wait_alu 0xf1ff
	v_add_co_ci_u32_e64 v57, null, s41, v57, s7
	s_or_b32 s47, vcc_lo, s47
	s_delay_alu instid0(SALU_CYCLE_1)
	s_and_not1_b32 exec_lo, exec_lo, s47
	s_cbranch_execz .LBB669_29
.LBB669_24:                             ;   Parent Loop BB669_4 Depth=1
                                        ; =>  This Inner Loop Header: Depth=2
	s_and_saveexec_b32 s7, s0
	s_cbranch_execz .LBB669_23
; %bb.25:                               ;   in Loop: Header=BB669_24 Depth=2
	v_add_co_u32 v32, vcc_lo, v30, v6
	s_wait_alu 0xfffd
	v_add_co_ci_u32_e64 v33, null, v31, v7, vcc_lo
	v_add_co_u32 v34, vcc_lo, v30, v20
	s_wait_alu 0xfffd
	v_add_co_ci_u32_e64 v35, null, v31, v21, vcc_lo
	v_add_co_u32 v36, vcc_lo, v30, v18
	s_wait_alu 0xfffd
	v_add_co_ci_u32_e64 v37, null, v31, v19, vcc_lo
	v_add_co_u32 v38, vcc_lo, v30, v12
	s_wait_alu 0xfffd
	v_add_co_ci_u32_e64 v39, null, v31, v13, vcc_lo
	s_clause 0x3
	flat_load_u16 v59, v[32:33]
	flat_load_u16 v61, v[34:35]
	;; [unrolled: 1-line block ×4, first 2 shown]
	v_add_co_u32 v32, vcc_lo, v52, v8
	s_wait_alu 0xfffd
	v_add_co_ci_u32_e64 v33, null, v53, v9, vcc_lo
	v_add_co_u32 v36, vcc_lo, v56, v8
	s_wait_alu 0xfffd
	v_add_co_ci_u32_e64 v37, null, v57, v9, vcc_lo
	;; [unrolled: 3-line block ×4, first 2 shown]
	flat_load_u16 v64, v[32:33]
	flat_load_u16 v62, v[36:37]
	;; [unrolled: 1-line block ×4, first 2 shown]
	s_wait_loadcnt_dscnt 0x707
	v_lshlrev_b32_e32 v65, 16, v59
	s_wait_loadcnt_dscnt 0x606
	v_lshlrev_b32_e32 v61, 16, v61
	;; [unrolled: 2-line block ×4, first 2 shown]
	s_and_saveexec_b32 s48, s1
	s_cbranch_execz .LBB669_22
; %bb.26:                               ;   in Loop: Header=BB669_24 Depth=2
	flat_load_u16 v69, v[32:33] offset:64
	flat_load_u16 v68, v[36:37] offset:64
	flat_load_u16 v67, v[34:35] offset:64
	flat_load_u16 v66, v[38:39] offset:64
	s_and_saveexec_b32 s49, s2
	s_cbranch_execz .LBB669_21
; %bb.27:                               ;   in Loop: Header=BB669_24 Depth=2
	flat_load_u16 v73, v[32:33] offset:128
	flat_load_u16 v72, v[36:37] offset:128
	flat_load_u16 v71, v[34:35] offset:128
	flat_load_u16 v70, v[38:39] offset:128
	;; [unrolled: 7-line block ×3, first 2 shown]
	s_wait_loadcnt_dscnt 0x303
	v_lshlrev_b32_e32 v32, 16, v32
	s_wait_loadcnt_dscnt 0x202
	s_delay_alu instid0(VALU_DEP_1) | instskip(SKIP_3) | instid1(VALU_DEP_2)
	v_dual_fmac_f32 v48, v65, v32 :: v_dual_lshlrev_b32 v33, 16, v33
	s_wait_loadcnt_dscnt 0x101
	v_lshlrev_b32_e32 v32, 16, v34
	s_wait_loadcnt_dscnt 0x0
	v_dual_fmac_f32 v48, v61, v33 :: v_dual_lshlrev_b32 v33, 16, v35
	s_delay_alu instid0(VALU_DEP_1) | instskip(NEXT) | instid1(VALU_DEP_1)
	v_fmac_f32_e32 v48, v63, v32
	v_fmac_f32_e32 v48, v59, v33
	s_branch .LBB669_20
.LBB669_29:                             ;   in Loop: Header=BB669_4 Depth=1
	s_or_b32 exec_lo, exec_lo, s47
.LBB669_30:                             ;   in Loop: Header=BB669_4 Depth=1
	s_delay_alu instid0(SALU_CYCLE_1) | instskip(NEXT) | instid1(SALU_CYCLE_1)
	s_or_b32 exec_lo, exec_lo, s46
	s_and_not1_b32 vcc_lo, exec_lo, s43
	s_wait_alu 0xfffe
	s_cbranch_vccnz .LBB669_48
; %bb.31:                               ;   in Loop: Header=BB669_4 Depth=1
	v_cmp_gt_i32_e32 vcc_lo, s9, v49
	v_dual_mov_b32 v35, 0 :: v_dual_mov_b32 v34, 0
	v_or_b32_e32 v30, 1, v49
	v_dual_mov_b32 v37, 0 :: v_dual_mov_b32 v36, 0
	s_and_saveexec_b32 s46, vcc_lo
	s_cbranch_execz .LBB669_39
; %bb.32:                               ;   in Loop: Header=BB669_4 Depth=1
	v_mad_co_u64_u32 v[31:32], null, s36, v49, 0
	v_dual_mov_b32 v36, 0 :: v_dual_mov_b32 v35, 0
	v_mov_b32_e32 v34, 0
	s_mov_b32 s47, exec_lo
	s_delay_alu instid0(VALU_DEP_3) | instskip(NEXT) | instid1(VALU_DEP_1)
	v_mad_co_u64_u32 v[32:33], null, s37, v49, v[32:33]
	v_lshlrev_b64_e32 v[31:32], 1, v[31:32]
	s_delay_alu instid0(VALU_DEP_1) | instskip(SKIP_1) | instid1(VALU_DEP_2)
	v_add_co_u32 v31, s7, v28, v31
	s_wait_alu 0xf1ff
	v_add_co_ci_u32_e64 v32, null, v29, v32, s7
	flat_load_u16 v31, v[31:32]
	v_cmpx_gt_i32_e64 s9, v30
	s_cbranch_execz .LBB669_38
; %bb.33:                               ;   in Loop: Header=BB669_4 Depth=1
	v_mad_co_u64_u32 v[32:33], null, s36, v30, 0
	s_mov_b32 s48, exec_lo
	v_mov_b32_e32 v35, 0
	v_mad_co_u64_u32 v[33:34], null, s37, v30, v[33:34]
	v_mov_b32_e32 v34, 0
	s_delay_alu instid0(VALU_DEP_2) | instskip(NEXT) | instid1(VALU_DEP_1)
	v_lshlrev_b64_e32 v[32:33], 1, v[32:33]
	v_add_co_u32 v32, s7, v28, v32
	s_wait_alu 0xf1ff
	s_delay_alu instid0(VALU_DEP_2) | instskip(SKIP_2) | instid1(VALU_DEP_1)
	v_add_co_ci_u32_e64 v33, null, v29, v33, s7
	flat_load_u16 v32, v[32:33]
	v_or_b32_e32 v33, 2, v49
	v_cmpx_gt_i32_e64 s9, v33
	s_cbranch_execz .LBB669_37
; %bb.34:                               ;   in Loop: Header=BB669_4 Depth=1
	v_mad_co_u64_u32 v[34:35], null, s36, v33, 0
	s_mov_b32 s49, exec_lo
	v_mad_co_u64_u32 v[35:36], null, s37, v33, v[35:36]
	s_delay_alu instid0(VALU_DEP_1) | instskip(SKIP_1) | instid1(VALU_DEP_2)
	v_lshlrev_b64_e32 v[33:34], 1, v[34:35]
	v_or_b32_e32 v35, 3, v49
	v_add_co_u32 v33, s7, v28, v33
	s_wait_alu 0xf1ff
	s_delay_alu instid0(VALU_DEP_3)
	v_add_co_ci_u32_e64 v34, null, v29, v34, s7
	flat_load_u16 v33, v[33:34]
	v_mov_b32_e32 v34, 0
	v_cmpx_gt_i32_e64 s9, v35
	s_cbranch_execz .LBB669_36
; %bb.35:                               ;   in Loop: Header=BB669_4 Depth=1
	v_mad_co_u64_u32 v[36:37], null, s36, v35, 0
	s_delay_alu instid0(VALU_DEP_1) | instskip(NEXT) | instid1(VALU_DEP_1)
	v_mov_b32_e32 v34, v37
	v_mad_co_u64_u32 v[34:35], null, s37, v35, v[34:35]
	s_delay_alu instid0(VALU_DEP_1) | instskip(NEXT) | instid1(VALU_DEP_1)
	v_mov_b32_e32 v37, v34
	v_lshlrev_b64_e32 v[34:35], 1, v[36:37]
	s_delay_alu instid0(VALU_DEP_1) | instskip(SKIP_1) | instid1(VALU_DEP_2)
	v_add_co_u32 v28, s7, v28, v34
	s_wait_alu 0xf1ff
	v_add_co_ci_u32_e64 v29, null, v29, v35, s7
	flat_load_u16 v28, v[28:29]
	s_wait_loadcnt_dscnt 0x0
	v_lshlrev_b32_e32 v34, 16, v28
.LBB669_36:                             ;   in Loop: Header=BB669_4 Depth=1
	s_or_b32 exec_lo, exec_lo, s49
	s_wait_loadcnt_dscnt 0x0
	v_lshlrev_b32_e32 v35, 16, v33
.LBB669_37:                             ;   in Loop: Header=BB669_4 Depth=1
	s_or_b32 exec_lo, exec_lo, s48
	s_wait_loadcnt_dscnt 0x0
	v_lshlrev_b32_e32 v36, 16, v32
.LBB669_38:                             ;   in Loop: Header=BB669_4 Depth=1
	s_or_b32 exec_lo, exec_lo, s47
	s_wait_loadcnt_dscnt 0x0
	v_lshlrev_b32_e32 v37, 16, v31
.LBB669_39:                             ;   in Loop: Header=BB669_4 Depth=1
	s_or_b32 exec_lo, exec_lo, s46
	s_and_saveexec_b32 s46, s0
	s_cbranch_execz .LBB669_47
; %bb.40:                               ;   in Loop: Header=BB669_4 Depth=1
	v_mad_co_u64_u32 v[28:29], null, s34, v49, 0
	v_or_b32_e32 v52, 2, v49
	v_mad_co_u64_u32 v[31:32], null, s34, v30, 0
	v_or_b32_e32 v53, 3, v49
	v_cmp_gt_i32_e64 s7, s9, v30
	s_delay_alu instid0(VALU_DEP_4) | instskip(SKIP_3) | instid1(VALU_DEP_4)
	v_mad_co_u64_u32 v[38:39], null, s34, v52, 0
	v_mad_co_u64_u32 v[49:50], null, s35, v49, v[29:30]
	;; [unrolled: 1-line block ×4, first 2 shown]
	v_mov_b32_e32 v30, v39
	s_delay_alu instid0(VALU_DEP_4)
	v_dual_cndmask_b32 v50, 0, v28 :: v_dual_cndmask_b32 v51, 0, v49
	s_wait_alu 0xf1ff
	v_cndmask_b32_e64 v28, 0, v31, s7
	v_cndmask_b32_e64 v29, 0, v29, s7
	v_mad_co_u64_u32 v[30:31], null, s35, v52, v[30:31]
	v_mov_b32_e32 v31, v33
	v_lshlrev_b64_e32 v[49:50], 1, v[50:51]
	v_cmp_gt_i32_e32 vcc_lo, s9, v52
	v_lshlrev_b64_e32 v[51:52], 1, v[28:29]
	s_wait_alu 0xfffd
	v_cndmask_b32_e32 v39, 0, v30, vcc_lo
	s_delay_alu instid0(VALU_DEP_4)
	v_add_co_u32 v28, s7, v26, v49
	s_wait_alu 0xf1ff
	v_add_co_ci_u32_e64 v29, null, v27, v50, s7
	v_mad_co_u64_u32 v[30:31], null, s35, v53, v[31:32]
	v_cndmask_b32_e32 v38, 0, v38, vcc_lo
	v_add_co_u32 v28, vcc_lo, v28, v8
	s_wait_alu 0xfffd
	v_add_co_ci_u32_e64 v29, null, v29, v9, vcc_lo
	v_cmp_gt_i32_e32 vcc_lo, s9, v53
	v_add_co_u32 v31, s7, v26, v51
	s_wait_alu 0xf1ff
	v_add_co_ci_u32_e64 v49, null, v27, v52, s7
	s_wait_alu 0xfffd
	v_dual_cndmask_b32 v32, 0, v32 :: v_dual_cndmask_b32 v33, 0, v30
	v_lshlrev_b64_e32 v[38:39], 1, v[38:39]
	v_add_co_u32 v30, vcc_lo, v31, v8
	s_wait_alu 0xfffd
	v_add_co_ci_u32_e64 v31, null, v49, v9, vcc_lo
	v_lshlrev_b64_e32 v[32:33], 1, v[32:33]
	s_delay_alu instid0(VALU_DEP_4) | instskip(SKIP_2) | instid1(VALU_DEP_3)
	v_add_co_u32 v38, vcc_lo, v26, v38
	s_wait_alu 0xfffd
	v_add_co_ci_u32_e64 v39, null, v27, v39, vcc_lo
	v_add_co_u32 v32, vcc_lo, v26, v32
	s_wait_alu 0xfffd
	v_add_co_ci_u32_e64 v33, null, v27, v33, vcc_lo
	;; [unrolled: 3-line block ×4, first 2 shown]
	s_clause 0x3
	flat_load_u16 v50, v[28:29]
	flat_load_u16 v49, v[30:31]
	;; [unrolled: 1-line block ×4, first 2 shown]
	s_and_saveexec_b32 s7, s1
	s_cbranch_execz .LBB669_46
; %bb.41:                               ;   in Loop: Header=BB669_4 Depth=1
	s_clause 0x3
	flat_load_u16 v54, v[28:29] offset:64
	flat_load_u16 v53, v[30:31] offset:64
	flat_load_u16 v52, v[26:27] offset:64
	flat_load_u16 v51, v[32:33] offset:64
	s_and_saveexec_b32 s47, s2
	s_cbranch_execz .LBB669_45
; %bb.42:                               ;   in Loop: Header=BB669_4 Depth=1
	s_clause 0x3
	flat_load_u16 v58, v[28:29] offset:128
	flat_load_u16 v57, v[30:31] offset:128
	flat_load_u16 v56, v[26:27] offset:128
	flat_load_u16 v55, v[32:33] offset:128
	;; [unrolled: 8-line block ×3, first 2 shown]
	s_wait_loadcnt_dscnt 0x303
	v_lshlrev_b32_e32 v28, 16, v28
	s_wait_loadcnt_dscnt 0x202
	v_lshlrev_b32_e32 v29, 16, v29
	;; [unrolled: 2-line block ×3, first 2 shown]
	s_wait_loadcnt_dscnt 0x0
	v_dual_fmac_f32 v48, v37, v28 :: v_dual_lshlrev_b32 v27, 16, v27
	s_delay_alu instid0(VALU_DEP_1) | instskip(NEXT) | instid1(VALU_DEP_1)
	v_fmac_f32_e32 v48, v36, v29
	v_fmac_f32_e32 v48, v35, v26
	s_delay_alu instid0(VALU_DEP_1)
	v_fmac_f32_e32 v48, v34, v27
.LBB669_44:                             ;   in Loop: Header=BB669_4 Depth=1
	s_or_b32 exec_lo, exec_lo, s48
	s_wait_loadcnt_dscnt 0x202
	v_lshlrev_b32_e32 v27, 16, v57
	v_lshlrev_b32_e32 v26, 16, v58
	s_wait_loadcnt_dscnt 0x101
	s_delay_alu instid0(VALU_DEP_1) | instskip(NEXT) | instid1(VALU_DEP_1)
	v_dual_fmac_f32 v47, v37, v26 :: v_dual_lshlrev_b32 v26, 16, v56
	v_fmac_f32_e32 v47, v36, v27
	s_wait_loadcnt_dscnt 0x0
	s_delay_alu instid0(VALU_DEP_1) | instskip(NEXT) | instid1(VALU_DEP_1)
	v_dual_fmac_f32 v47, v35, v26 :: v_dual_lshlrev_b32 v26, 16, v55
	v_fmac_f32_e32 v47, v34, v26
.LBB669_45:                             ;   in Loop: Header=BB669_4 Depth=1
	s_or_b32 exec_lo, exec_lo, s47
	s_wait_loadcnt_dscnt 0x303
	v_lshlrev_b32_e32 v26, 16, v54
	s_wait_loadcnt_dscnt 0x202
	s_delay_alu instid0(VALU_DEP_1) | instskip(SKIP_2) | instid1(VALU_DEP_2)
	v_dual_fmac_f32 v46, v37, v26 :: v_dual_lshlrev_b32 v27, 16, v53
	s_wait_loadcnt_dscnt 0x101
	v_lshlrev_b32_e32 v26, 16, v52
	v_fmac_f32_e32 v46, v36, v27
	s_delay_alu instid0(VALU_DEP_1) | instskip(SKIP_2) | instid1(VALU_DEP_1)
	v_fmac_f32_e32 v46, v35, v26
	s_wait_loadcnt_dscnt 0x0
	v_lshlrev_b32_e32 v26, 16, v51
	v_fmac_f32_e32 v46, v34, v26
.LBB669_46:                             ;   in Loop: Header=BB669_4 Depth=1
	s_wait_alu 0xfffe
	s_or_b32 exec_lo, exec_lo, s7
	s_wait_loadcnt_dscnt 0x202
	v_lshlrev_b32_e32 v27, 16, v49
	v_lshlrev_b32_e32 v26, 16, v50
	s_wait_loadcnt_dscnt 0x101
	s_delay_alu instid0(VALU_DEP_1) | instskip(NEXT) | instid1(VALU_DEP_1)
	v_dual_fmac_f32 v45, v37, v26 :: v_dual_lshlrev_b32 v26, 16, v39
	v_fmac_f32_e32 v45, v36, v27
	s_delay_alu instid0(VALU_DEP_1) | instskip(SKIP_2) | instid1(VALU_DEP_1)
	v_fmac_f32_e32 v45, v35, v26
	s_wait_loadcnt_dscnt 0x0
	v_lshlrev_b32_e32 v26, 16, v38
	v_fmac_f32_e32 v45, v34, v26
.LBB669_47:                             ;   in Loop: Header=BB669_4 Depth=1
	s_or_b32 exec_lo, exec_lo, s46
.LBB669_48:                             ;   in Loop: Header=BB669_4 Depth=1
	ds_store_2addr_b32 v0, v45, v46 offset1:32
	ds_store_2addr_b32 v0, v47, v48 offset0:64 offset1:96
	s_wait_dscnt 0x0
	s_barrier_signal -1
	s_barrier_wait -1
	global_inv scope:SCOPE_SE
                                        ; implicit-def: $vgpr30
	s_and_saveexec_b32 s7, s5
	s_cbranch_execz .LBB669_54
; %bb.49:                               ;   in Loop: Header=BB669_4 Depth=1
	ds_load_2addr_stride64_b32 v[26:27], v41 offset1:2
	ds_load_2addr_stride64_b32 v[28:29], v41 offset0:4 offset1:6
	ds_load_2addr_stride64_b32 v[30:31], v41 offset0:8 offset1:10
	s_mov_b32 s47, s8
	s_wait_dscnt 0x2
	v_add_f32_e32 v32, v26, v27
	ds_load_2addr_stride64_b32 v[26:27], v41 offset0:12 offset1:14
	s_wait_dscnt 0x2
	v_add_f32_e32 v28, v28, v32
	s_delay_alu instid0(VALU_DEP_1) | instskip(SKIP_3) | instid1(VALU_DEP_1)
	v_add_f32_e32 v32, v29, v28
	ds_load_2addr_stride64_b32 v[28:29], v41 offset0:16 offset1:18
	s_wait_dscnt 0x2
	v_add_f32_e32 v30, v30, v32
	v_add_f32_e32 v32, v31, v30
	ds_load_2addr_stride64_b32 v[30:31], v41 offset0:20 offset1:22
	s_wait_dscnt 0x2
	v_add_f32_e32 v26, v26, v32
	s_delay_alu instid0(VALU_DEP_1) | instskip(SKIP_1) | instid1(VALU_DEP_1)
	v_add_f32_e32 v26, v27, v26
	s_wait_dscnt 0x1
	v_add_f32_e32 v28, v28, v26
	ds_load_2addr_stride64_b32 v[26:27], v41 offset0:24 offset1:26
	v_add_f32_e32 v28, v29, v28
	s_wait_dscnt 0x1
	s_delay_alu instid0(VALU_DEP_1) | instskip(SKIP_3) | instid1(VALU_DEP_1)
	v_add_f32_e32 v30, v30, v28
	ds_load_2addr_stride64_b32 v[28:29], v41 offset0:28 offset1:30
	v_add_f32_e32 v30, v31, v30
	s_wait_dscnt 0x1
	v_add_f32_e32 v26, v26, v30
                                        ; implicit-def: $vgpr30
	s_delay_alu instid0(VALU_DEP_1) | instskip(SKIP_1) | instid1(VALU_DEP_1)
	v_add_f32_e32 v26, v27, v26
	s_wait_dscnt 0x0
	v_add_f32_e32 v26, v28, v26
	s_delay_alu instid0(VALU_DEP_1)
	v_add_f32_e32 v26, v29, v26
	ds_store_b32 v41, v26
	s_and_saveexec_b32 s46, s6
	s_cbranch_execz .LBB669_53
; %bb.50:                               ;   in Loop: Header=BB669_4 Depth=1
	v_mul_f32_e32 v30, v42, v26
	s_cmp_eq_f32 s45, 0
	s_cbranch_scc1 .LBB669_52
; %bb.51:                               ;   in Loop: Header=BB669_4 Depth=1
	v_lshlrev_b64_e32 v[26:27], 2, v[4:5]
	s_delay_alu instid0(VALU_DEP_1) | instskip(SKIP_1) | instid1(VALU_DEP_2)
	v_add_co_u32 v26, vcc_lo, v43, v26
	s_wait_alu 0xfffd
	v_add_co_ci_u32_e64 v27, null, v44, v27, vcc_lo
	flat_load_b32 v26, v[26:27]
	s_wait_loadcnt_dscnt 0x0
	v_fmac_f32_e32 v30, s45, v26
.LBB669_52:                             ;   in Loop: Header=BB669_4 Depth=1
	s_or_b32 s47, s8, exec_lo
.LBB669_53:                             ;   in Loop: Header=BB669_4 Depth=1
	s_or_b32 exec_lo, exec_lo, s46
	s_delay_alu instid0(SALU_CYCLE_1)
	s_and_not1_b32 s8, s8, exec_lo
	s_and_b32 s45, s47, exec_lo
	s_wait_alu 0xfffe
	s_or_b32 s8, s8, s45
.LBB669_54:                             ;   in Loop: Header=BB669_4 Depth=1
	s_wait_alu 0xfffe
	s_or_b32 exec_lo, exec_lo, s7
	v_dual_mov_b32 v27, v5 :: v_dual_mov_b32 v26, v4
	s_and_saveexec_b32 s7, s8
	s_cbranch_execz .LBB669_2
.LBB669_55:                             ;   in Loop: Header=BB669_4 Depth=1
	s_delay_alu instid0(VALU_DEP_1) | instskip(NEXT) | instid1(VALU_DEP_1)
	v_lshlrev_b64_e32 v[26:27], 2, v[26:27]
	v_add_co_u32 v26, vcc_lo, v43, v26
	s_wait_alu 0xfffd
	s_delay_alu instid0(VALU_DEP_2)
	v_add_co_ci_u32_e64 v27, null, v44, v27, vcc_lo
	flat_store_b32 v[26:27], v30
	s_branch .LBB669_2
.LBB669_56:
	s_endpgm
	.section	.rodata,"a",@progbits
	.p2align	6, 0x0
	.amdhsa_kernel _ZL20rocblas_gemvn_kernelILi32ELi16ElPK16rocblas_bfloat16PKfKPfEviiT3_lPKT2_lT1_lSA_lSB_lS7_lPT4_lSB_li
		.amdhsa_group_segment_fixed_size 8192
		.amdhsa_private_segment_fixed_size 0
		.amdhsa_kernarg_size 400
		.amdhsa_user_sgpr_count 2
		.amdhsa_user_sgpr_dispatch_ptr 0
		.amdhsa_user_sgpr_queue_ptr 0
		.amdhsa_user_sgpr_kernarg_segment_ptr 1
		.amdhsa_user_sgpr_dispatch_id 0
		.amdhsa_user_sgpr_private_segment_size 0
		.amdhsa_wavefront_size32 1
		.amdhsa_uses_dynamic_stack 0
		.amdhsa_enable_private_segment 0
		.amdhsa_system_sgpr_workgroup_id_x 1
		.amdhsa_system_sgpr_workgroup_id_y 0
		.amdhsa_system_sgpr_workgroup_id_z 1
		.amdhsa_system_sgpr_workgroup_info 0
		.amdhsa_system_vgpr_workitem_id 1
		.amdhsa_next_free_vgpr 74
		.amdhsa_next_free_sgpr 51
		.amdhsa_reserve_vcc 1
		.amdhsa_float_round_mode_32 0
		.amdhsa_float_round_mode_16_64 0
		.amdhsa_float_denorm_mode_32 3
		.amdhsa_float_denorm_mode_16_64 3
		.amdhsa_fp16_overflow 0
		.amdhsa_workgroup_processor_mode 1
		.amdhsa_memory_ordered 1
		.amdhsa_forward_progress 1
		.amdhsa_inst_pref_size 30
		.amdhsa_round_robin_scheduling 0
		.amdhsa_exception_fp_ieee_invalid_op 0
		.amdhsa_exception_fp_denorm_src 0
		.amdhsa_exception_fp_ieee_div_zero 0
		.amdhsa_exception_fp_ieee_overflow 0
		.amdhsa_exception_fp_ieee_underflow 0
		.amdhsa_exception_fp_ieee_inexact 0
		.amdhsa_exception_int_div_zero 0
	.end_amdhsa_kernel
	.section	.text._ZL20rocblas_gemvn_kernelILi32ELi16ElPK16rocblas_bfloat16PKfKPfEviiT3_lPKT2_lT1_lSA_lSB_lS7_lPT4_lSB_li,"axG",@progbits,_ZL20rocblas_gemvn_kernelILi32ELi16ElPK16rocblas_bfloat16PKfKPfEviiT3_lPKT2_lT1_lSA_lSB_lS7_lPT4_lSB_li,comdat
.Lfunc_end669:
	.size	_ZL20rocblas_gemvn_kernelILi32ELi16ElPK16rocblas_bfloat16PKfKPfEviiT3_lPKT2_lT1_lSA_lSB_lS7_lPT4_lSB_li, .Lfunc_end669-_ZL20rocblas_gemvn_kernelILi32ELi16ElPK16rocblas_bfloat16PKfKPfEviiT3_lPKT2_lT1_lSA_lSB_lS7_lPT4_lSB_li
                                        ; -- End function
	.set _ZL20rocblas_gemvn_kernelILi32ELi16ElPK16rocblas_bfloat16PKfKPfEviiT3_lPKT2_lT1_lSA_lSB_lS7_lPT4_lSB_li.num_vgpr, 74
	.set _ZL20rocblas_gemvn_kernelILi32ELi16ElPK16rocblas_bfloat16PKfKPfEviiT3_lPKT2_lT1_lSA_lSB_lS7_lPT4_lSB_li.num_agpr, 0
	.set _ZL20rocblas_gemvn_kernelILi32ELi16ElPK16rocblas_bfloat16PKfKPfEviiT3_lPKT2_lT1_lSA_lSB_lS7_lPT4_lSB_li.numbered_sgpr, 51
	.set _ZL20rocblas_gemvn_kernelILi32ELi16ElPK16rocblas_bfloat16PKfKPfEviiT3_lPKT2_lT1_lSA_lSB_lS7_lPT4_lSB_li.num_named_barrier, 0
	.set _ZL20rocblas_gemvn_kernelILi32ELi16ElPK16rocblas_bfloat16PKfKPfEviiT3_lPKT2_lT1_lSA_lSB_lS7_lPT4_lSB_li.private_seg_size, 0
	.set _ZL20rocblas_gemvn_kernelILi32ELi16ElPK16rocblas_bfloat16PKfKPfEviiT3_lPKT2_lT1_lSA_lSB_lS7_lPT4_lSB_li.uses_vcc, 1
	.set _ZL20rocblas_gemvn_kernelILi32ELi16ElPK16rocblas_bfloat16PKfKPfEviiT3_lPKT2_lT1_lSA_lSB_lS7_lPT4_lSB_li.uses_flat_scratch, 1
	.set _ZL20rocblas_gemvn_kernelILi32ELi16ElPK16rocblas_bfloat16PKfKPfEviiT3_lPKT2_lT1_lSA_lSB_lS7_lPT4_lSB_li.has_dyn_sized_stack, 0
	.set _ZL20rocblas_gemvn_kernelILi32ELi16ElPK16rocblas_bfloat16PKfKPfEviiT3_lPKT2_lT1_lSA_lSB_lS7_lPT4_lSB_li.has_recursion, 0
	.set _ZL20rocblas_gemvn_kernelILi32ELi16ElPK16rocblas_bfloat16PKfKPfEviiT3_lPKT2_lT1_lSA_lSB_lS7_lPT4_lSB_li.has_indirect_call, 0
	.section	.AMDGPU.csdata,"",@progbits
; Kernel info:
; codeLenInByte = 3812
; TotalNumSgprs: 53
; NumVgprs: 74
; ScratchSize: 0
; MemoryBound: 0
; FloatMode: 240
; IeeeMode: 1
; LDSByteSize: 8192 bytes/workgroup (compile time only)
; SGPRBlocks: 0
; VGPRBlocks: 9
; NumSGPRsForWavesPerEU: 53
; NumVGPRsForWavesPerEU: 74
; Occupancy: 16
; WaveLimiterHint : 1
; COMPUTE_PGM_RSRC2:SCRATCH_EN: 0
; COMPUTE_PGM_RSRC2:USER_SGPR: 2
; COMPUTE_PGM_RSRC2:TRAP_HANDLER: 0
; COMPUTE_PGM_RSRC2:TGID_X_EN: 1
; COMPUTE_PGM_RSRC2:TGID_Y_EN: 0
; COMPUTE_PGM_RSRC2:TGID_Z_EN: 1
; COMPUTE_PGM_RSRC2:TIDIG_COMP_CNT: 1
	.section	.text._ZL20rocblas_gemvn_kernelILi32ELi16EiPK16rocblas_bfloat16fKPfEviiT3_lPKT2_lT1_lS8_lS9_lS5_lPT4_lS9_li,"axG",@progbits,_ZL20rocblas_gemvn_kernelILi32ELi16EiPK16rocblas_bfloat16fKPfEviiT3_lPKT2_lT1_lS8_lS9_lS5_lPT4_lS9_li,comdat
	.globl	_ZL20rocblas_gemvn_kernelILi32ELi16EiPK16rocblas_bfloat16fKPfEviiT3_lPKT2_lT1_lS8_lS9_lS5_lPT4_lS9_li ; -- Begin function _ZL20rocblas_gemvn_kernelILi32ELi16EiPK16rocblas_bfloat16fKPfEviiT3_lPKT2_lT1_lS8_lS9_lS5_lPT4_lS9_li
	.p2align	8
	.type	_ZL20rocblas_gemvn_kernelILi32ELi16EiPK16rocblas_bfloat16fKPfEviiT3_lPKT2_lT1_lS8_lS9_lS5_lPT4_lS9_li,@function
_ZL20rocblas_gemvn_kernelILi32ELi16EiPK16rocblas_bfloat16fKPfEviiT3_lPKT2_lT1_lS8_lS9_lS5_lPT4_lS9_li: ; @_ZL20rocblas_gemvn_kernelILi32ELi16EiPK16rocblas_bfloat16fKPfEviiT3_lPKT2_lT1_lS8_lS9_lS5_lPT4_lS9_li
; %bb.0:
	s_clause 0x1
	s_load_b64 s[2:3], s[0:1], 0x9c
	s_load_b32 s23, s[0:1], 0x88
	s_lshr_b32 s24, ttmp7, 16
	s_wait_kmcnt 0x0
	s_lshr_b32 s4, s2, 16
	s_and_b32 s2, s2, 0xffff
	s_and_b32 s3, s3, 0xffff
	s_mul_i32 s2, s4, s2
	s_delay_alu instid0(SALU_CYCLE_1) | instskip(NEXT) | instid1(SALU_CYCLE_1)
	s_mul_i32 s2, s2, s3
	s_cmp_lg_u32 s2, 0x200
	s_cselect_b32 s2, -1, 0
	s_cmp_ge_u32 s24, s23
	s_cselect_b32 s3, -1, 0
	s_delay_alu instid0(SALU_CYCLE_1) | instskip(NEXT) | instid1(SALU_CYCLE_1)
	s_or_b32 s2, s2, s3
	s_and_b32 vcc_lo, exec_lo, s2
	s_cbranch_vccnz .LBB670_59
; %bb.1:
	s_clause 0x7
	s_load_b32 s4, s[0:1], 0x78
	s_load_b96 s[20:22], s[0:1], 0x0
	s_load_b32 s27, s[0:1], 0x58
	s_load_b32 s28, s[0:1], 0x28
	s_load_b128 s[8:11], s[0:1], 0x38
	s_load_b32 s26, s[0:1], 0x48
	s_load_b128 s[12:15], s[0:1], 0x68
	s_load_b128 s[16:19], s[0:1], 0x18
	v_and_b32_e32 v9, 0x3ff, v0
	v_bfe_u32 v8, v0, 10, 10
	v_mov_b32_e32 v1, 0
	s_mov_b32 s25, 0
	s_delay_alu instid0(VALU_DEP_3) | instskip(NEXT) | instid1(VALU_DEP_3)
	v_lshlrev_b32_e32 v0, 2, v9
	v_lshl_add_u32 v2, v8, 5, v9
	v_lshlrev_b32_e32 v25, 2, v8
	s_delay_alu instid0(VALU_DEP_3)
	v_lshl_add_u32 v26, v8, 9, v0
	v_lshl_add_u32 v27, v8, 7, v0
	s_wait_kmcnt 0x0
	s_ashr_i32 s5, s4, 31
	s_cmp_eq_f32 s22, 0
	s_mov_b32 s2, s20
	v_cmp_gt_u32_e64 s0, 0x80, v2
	v_mul_lo_u32 v10, s28, v25
	s_cselect_b32 s29, -1, 0
	s_cmp_neq_f32 s27, 1.0
	v_or_b32_e32 v12, 3, v25
	v_mul_lo_u32 v13, v8, s26
	s_cselect_b32 s1, -1, 0
	s_cmp_neq_f32 s22, 0
	s_delay_alu instid0(VALU_DEP_2)
	v_mul_lo_u32 v32, s26, v12
	s_cselect_b32 s6, -1, 0
	s_lshl_b32 s30, ttmp9, 7
	s_ashr_i32 s3, s20, 31
	v_add_nc_u32_e32 v0, s30, v2
	v_or_b32_e32 v4, s30, v2
	v_add_nc_u32_e32 v29, s30, v9
	s_or_b32 s31, s6, s1
	s_cmp_neq_f32 s27, 0
	v_cmp_gt_i64_e32 vcc_lo, s[2:3], v[0:1]
	v_mad_co_u64_u32 v[2:3], null, s4, v0, 0
	v_cmp_gt_i32_e64 s2, s20, v4
	v_mul_lo_u32 v4, s4, v4
	v_add_nc_u32_e32 v6, 64, v29
	v_add_nc_u32_e32 v11, 0x60, v29
	;; [unrolled: 1-line block ×3, first 2 shown]
	s_cselect_b32 s33, -1, 0
	s_ashr_i32 s3, s21, 31
	v_cmp_gt_i32_e64 s4, s20, v6
	s_wait_alu 0xfffe
	s_lshr_b32 s3, s3, 26
	v_mad_co_u64_u32 v[6:7], null, s5, v0, v[3:4]
	v_cmp_gt_i32_e64 s5, s20, v11
	v_mul_lo_u32 v11, v8, s28
	v_add3_u32 v0, v10, s28, v9
	v_or_b32_e32 v10, 2, v25
	s_wait_alu 0xfffe
	s_add_co_i32 s34, s21, s3
	v_cmp_gt_i32_e64 s3, s20, v5
	v_ashrrev_i32_e32 v5, 31, v4
	v_mov_b32_e32 v3, v6
	v_mad_co_u64_u32 v[6:7], null, s28, v10, v[9:10]
	v_mad_co_u64_u32 v[7:8], null, s28, v12, v[9:10]
	s_and_not1_b32 s34, s34, 63
	v_lshl_add_u32 v30, v11, 2, v9
	v_mad_co_u64_u32 v[8:9], null, s26, v25, s[26:27]
	v_mul_lo_u32 v31, s26, v10
	s_sub_co_i32 s7, s21, s34
	v_lshlrev_b64_e32 v[9:10], 2, v[2:3]
	v_lshlrev_b64_e32 v[11:12], 2, v[4:5]
	v_cndmask_b32_e64 v28, 0, 1, s6
	v_cmp_gt_i32_e64 s1, s20, v29
	v_cmp_gt_i32_e64 s6, s34, v25
	v_lshlrev_b32_e32 v33, 2, v13
	s_cmp_gt_i32 s7, 0
	s_cselect_b32 s20, -1, 0
	s_and_b32 s35, s0, vcc_lo
	s_lshl_b32 s36, s28, 6
	s_lshl_b32 s37, s26, 6
	s_lshl_b64 s[18:19], s[18:19], 1
	s_lshl_b64 s[10:11], s[10:11], 1
	;; [unrolled: 1-line block ×3, first 2 shown]
	s_branch .LBB670_4
.LBB670_2:                              ;   in Loop: Header=BB670_4 Depth=1
	s_wait_alu 0xfffe
	s_or_b32 exec_lo, exec_lo, s7
.LBB670_3:                              ;   in Loop: Header=BB670_4 Depth=1
	s_add_co_i32 s24, s24, 0x10000
	s_delay_alu instid0(SALU_CYCLE_1)
	s_cmp_lt_u32 s24, s23
	s_cbranch_scc0 .LBB670_59
.LBB670_4:                              ; =>This Loop Header: Depth=1
                                        ;     Child Loop BB670_27 Depth 2
	s_and_not1_b32 vcc_lo, exec_lo, s31
	s_wait_alu 0xfffe
	s_cbranch_vccnz .LBB670_3
; %bb.5:                                ;   in Loop: Header=BB670_4 Depth=1
	s_and_not1_b32 vcc_lo, exec_lo, s29
	s_wait_alu 0xfffe
	s_cbranch_vccnz .LBB670_7
; %bb.6:                                ;   in Loop: Header=BB670_4 Depth=1
	s_mov_b32 s7, 0
	s_branch .LBB670_8
.LBB670_7:                              ;   in Loop: Header=BB670_4 Depth=1
	s_mov_b32 s7, -1
.LBB670_8:                              ;   in Loop: Header=BB670_4 Depth=1
	v_mov_b32_e32 v15, 0
	v_dual_mov_b32 v16, 0 :: v_dual_mov_b32 v13, 0
	v_mov_b32_e32 v14, 0
	s_wait_alu 0xfffe
	s_and_not1_b32 vcc_lo, exec_lo, s7
	s_wait_alu 0xfffe
	s_cbranch_vccnz .LBB670_10
; %bb.9:                                ;   in Loop: Header=BB670_4 Depth=1
	s_lshl_b64 s[38:39], s[24:25], 3
	s_delay_alu instid0(SALU_CYCLE_1)
	s_add_nc_u64 s[38:39], s[16:17], s[38:39]
	global_load_b64 v[13:14], v1, s[38:39]
	s_wait_loadcnt 0x0
	v_add_co_u32 v13, vcc_lo, v13, s18
	s_wait_alu 0xfffd
	v_add_co_ci_u32_e64 v14, null, s19, v14, vcc_lo
.LBB670_10:                             ;   in Loop: Header=BB670_4 Depth=1
	v_cmp_ne_u32_e32 vcc_lo, 1, v28
	s_cbranch_vccnz .LBB670_12
; %bb.11:                               ;   in Loop: Header=BB670_4 Depth=1
	s_lshl_b64 s[38:39], s[24:25], 3
	s_delay_alu instid0(SALU_CYCLE_1)
	s_add_nc_u64 s[38:39], s[8:9], s[38:39]
	global_load_b64 v[15:16], v1, s[38:39]
	s_wait_loadcnt 0x0
	v_add_co_u32 v15, vcc_lo, v15, s10
	s_wait_alu 0xfffd
	v_add_co_ci_u32_e64 v16, null, s11, v16, vcc_lo
.LBB670_12:                             ;   in Loop: Header=BB670_4 Depth=1
	s_lshl_b64 s[38:39], s[24:25], 3
	s_delay_alu instid0(SALU_CYCLE_1)
	s_add_nc_u64 s[38:39], s[12:13], s[38:39]
	global_load_b64 v[17:18], v1, s[38:39]
	s_wait_loadcnt 0x0
	v_add_co_u32 v34, vcc_lo, v17, s14
	s_wait_alu 0xfffd
	v_add_co_ci_u32_e64 v35, null, s15, v18, vcc_lo
	s_and_not1_b32 vcc_lo, exec_lo, s29
	s_wait_alu 0xfffe
	s_cbranch_vccnz .LBB670_16
; %bb.13:                               ;   in Loop: Header=BB670_4 Depth=1
	s_mov_b32 s7, 0
	s_mov_b32 s38, 0
                                        ; implicit-def: $vgpr17
	s_and_saveexec_b32 s39, s35
	s_cbranch_execz .LBB670_17
; %bb.14:                               ;   in Loop: Header=BB670_4 Depth=1
	s_and_not1_b32 vcc_lo, exec_lo, s33
	s_wait_alu 0xfffe
	s_cbranch_vccnz .LBB670_19
; %bb.15:                               ;   in Loop: Header=BB670_4 Depth=1
	v_add_co_u32 v17, vcc_lo, v34, v9
	s_wait_alu 0xfffd
	v_add_co_ci_u32_e64 v18, null, v35, v10, vcc_lo
	flat_load_b32 v17, v[17:18]
	s_wait_loadcnt_dscnt 0x0
	v_mul_f32_e32 v17, s27, v17
	s_branch .LBB670_20
.LBB670_16:                             ;   in Loop: Header=BB670_4 Depth=1
	s_mov_b32 s38, 0
                                        ; implicit-def: $vgpr17
	s_cbranch_execz .LBB670_18
	s_branch .LBB670_21
.LBB670_17:                             ;   in Loop: Header=BB670_4 Depth=1
	s_or_b32 exec_lo, exec_lo, s39
	s_wait_alu 0xfffe
	s_and_b32 vcc_lo, exec_lo, s7
	s_wait_alu 0xfffe
	s_cbranch_vccnz .LBB670_21
.LBB670_18:                             ;   in Loop: Header=BB670_4 Depth=1
	v_dual_mov_b32 v14, v3 :: v_dual_mov_b32 v13, v2
	s_and_saveexec_b32 s7, s38
	s_cbranch_execz .LBB670_2
	s_branch .LBB670_58
.LBB670_19:                             ;   in Loop: Header=BB670_4 Depth=1
	v_mov_b32_e32 v17, 0
.LBB670_20:                             ;   in Loop: Header=BB670_4 Depth=1
	s_mov_b32 s38, exec_lo
	s_or_b32 exec_lo, exec_lo, s39
	s_delay_alu instid0(SALU_CYCLE_1)
	s_and_b32 vcc_lo, exec_lo, s7
	s_wait_alu 0xfffe
	s_cbranch_vccz .LBB670_18
.LBB670_21:                             ;   in Loop: Header=BB670_4 Depth=1
	v_dual_mov_b32 v36, 0 :: v_dual_mov_b32 v37, 0
	v_dual_mov_b32 v40, v25 :: v_dual_mov_b32 v39, 0
	v_mov_b32_e32 v38, 0
	s_and_saveexec_b32 s7, s6
	s_cbranch_execz .LBB670_33
; %bb.22:                               ;   in Loop: Header=BB670_4 Depth=1
	v_dual_mov_b32 v36, 0 :: v_dual_mov_b32 v41, v30
	v_dual_mov_b32 v42, v7 :: v_dual_mov_b32 v43, v6
	;; [unrolled: 1-line block ×4, first 2 shown]
	v_mov_b32_e32 v38, 0
	s_mov_b32 s39, 0
	s_mov_b32 s40, 0
	s_branch .LBB670_27
.LBB670_23:                             ;   in Loop: Header=BB670_27 Depth=2
	s_or_b32 exec_lo, exec_lo, s44
	s_wait_loadcnt_dscnt 0x202
	v_lshlrev_b32_e32 v18, 16, v59
	v_lshlrev_b32_e32 v17, 16, v60
	s_wait_loadcnt_dscnt 0x101
	s_delay_alu instid0(VALU_DEP_1) | instskip(NEXT) | instid1(VALU_DEP_1)
	v_dual_fmac_f32 v38, v52, v17 :: v_dual_lshlrev_b32 v17, 16, v58
	v_fmac_f32_e32 v38, v48, v18
	s_delay_alu instid0(VALU_DEP_1) | instskip(SKIP_2) | instid1(VALU_DEP_1)
	v_fmac_f32_e32 v38, v50, v17
	s_wait_loadcnt_dscnt 0x0
	v_lshlrev_b32_e32 v17, 16, v57
	v_fmac_f32_e32 v38, v46, v17
.LBB670_24:                             ;   in Loop: Header=BB670_27 Depth=2
	s_or_b32 exec_lo, exec_lo, s43
	s_wait_loadcnt_dscnt 0x303
	v_lshlrev_b32_e32 v17, 16, v56
	s_wait_loadcnt_dscnt 0x202
	s_delay_alu instid0(VALU_DEP_1) | instskip(SKIP_2) | instid1(VALU_DEP_2)
	v_dual_fmac_f32 v37, v52, v17 :: v_dual_lshlrev_b32 v18, 16, v55
	s_wait_loadcnt_dscnt 0x101
	v_lshlrev_b32_e32 v17, 16, v54
	v_fmac_f32_e32 v37, v48, v18
	s_delay_alu instid0(VALU_DEP_1) | instskip(SKIP_2) | instid1(VALU_DEP_1)
	v_fmac_f32_e32 v37, v50, v17
	s_wait_loadcnt_dscnt 0x0
	v_lshlrev_b32_e32 v17, 16, v53
	v_fmac_f32_e32 v37, v46, v17
.LBB670_25:                             ;   in Loop: Header=BB670_27 Depth=2
	s_or_b32 exec_lo, exec_lo, s42
	s_wait_loadcnt_dscnt 0x202
	v_lshlrev_b32_e32 v18, 16, v49
	v_lshlrev_b32_e32 v17, 16, v51
	s_wait_loadcnt_dscnt 0x101
	s_delay_alu instid0(VALU_DEP_1) | instskip(NEXT) | instid1(VALU_DEP_1)
	v_dual_fmac_f32 v36, v52, v17 :: v_dual_lshlrev_b32 v17, 16, v47
	v_fmac_f32_e32 v36, v48, v18
	s_delay_alu instid0(VALU_DEP_1) | instskip(SKIP_2) | instid1(VALU_DEP_1)
	v_fmac_f32_e32 v36, v50, v17
	s_wait_loadcnt_dscnt 0x0
	v_lshlrev_b32_e32 v17, 16, v45
	v_fmac_f32_e32 v36, v46, v17
.LBB670_26:                             ;   in Loop: Header=BB670_27 Depth=2
	s_wait_alu 0xfffe
	s_or_b32 exec_lo, exec_lo, s41
	v_add_nc_u32_e32 v40, 64, v40
	v_add_nc_u32_e32 v44, s36, v44
	;; [unrolled: 1-line block ×5, first 2 shown]
	v_cmp_le_i32_e32 vcc_lo, s34, v40
	s_add_co_i32 s40, s40, s37
	s_or_b32 s39, vcc_lo, s39
	s_delay_alu instid0(SALU_CYCLE_1)
	s_and_not1_b32 exec_lo, exec_lo, s39
	s_cbranch_execz .LBB670_32
.LBB670_27:                             ;   Parent Loop BB670_4 Depth=1
                                        ; =>  This Inner Loop Header: Depth=2
	s_and_saveexec_b32 s41, s1
	s_cbranch_execz .LBB670_26
; %bb.28:                               ;   in Loop: Header=BB670_27 Depth=2
	s_wait_alu 0xfffe
	v_add_nc_u32_e32 v17, s40, v33
	v_add_nc_u32_e32 v19, s40, v8
	v_add_nc_u32_e32 v21, s40, v31
	v_add_nc_u32_e32 v23, s40, v32
	v_add_nc_u32_e32 v45, s30, v41
	v_ashrrev_i32_e32 v18, 31, v17
	v_ashrrev_i32_e32 v20, 31, v19
	;; [unrolled: 1-line block ×5, first 2 shown]
	v_lshlrev_b64_e32 v[17:18], 1, v[17:18]
	v_lshlrev_b64_e32 v[19:20], 1, v[19:20]
	;; [unrolled: 1-line block ×4, first 2 shown]
	v_add_nc_u32_e32 v47, s30, v44
	v_add_nc_u32_e32 v49, s30, v43
	v_add_co_u32 v17, vcc_lo, v15, v17
	s_wait_alu 0xfffd
	v_add_co_ci_u32_e64 v18, null, v16, v18, vcc_lo
	v_add_co_u32 v19, vcc_lo, v15, v19
	s_wait_alu 0xfffd
	v_add_co_ci_u32_e64 v20, null, v16, v20, vcc_lo
	;; [unrolled: 3-line block ×4, first 2 shown]
	v_lshlrev_b64_e32 v[45:46], 1, v[45:46]
	s_clause 0x3
	flat_load_u16 v52, v[17:18]
	flat_load_u16 v53, v[19:20]
	;; [unrolled: 1-line block ×4, first 2 shown]
	v_add_nc_u32_e32 v21, s30, v42
	v_ashrrev_i32_e32 v48, 31, v47
	v_ashrrev_i32_e32 v50, 31, v49
	v_add_co_u32 v17, vcc_lo, v13, v45
	s_delay_alu instid0(VALU_DEP_4) | instskip(NEXT) | instid1(VALU_DEP_4)
	v_ashrrev_i32_e32 v22, 31, v21
	v_lshlrev_b64_e32 v[19:20], 1, v[47:48]
	s_wait_alu 0xfffd
	v_add_co_ci_u32_e64 v18, null, v14, v46, vcc_lo
	v_lshlrev_b64_e32 v[45:46], 1, v[49:50]
	v_lshlrev_b64_e32 v[21:22], 1, v[21:22]
	s_delay_alu instid0(VALU_DEP_4) | instskip(SKIP_2) | instid1(VALU_DEP_4)
	v_add_co_u32 v23, vcc_lo, v13, v19
	s_wait_alu 0xfffd
	v_add_co_ci_u32_e64 v24, null, v14, v20, vcc_lo
	v_add_co_u32 v19, vcc_lo, v13, v45
	s_wait_alu 0xfffd
	v_add_co_ci_u32_e64 v20, null, v14, v46, vcc_lo
	;; [unrolled: 3-line block ×3, first 2 shown]
	s_clause 0x3
	flat_load_u16 v51, v[17:18]
	flat_load_u16 v49, v[23:24]
	;; [unrolled: 1-line block ×4, first 2 shown]
	s_wait_loadcnt_dscnt 0x707
	v_lshlrev_b32_e32 v52, 16, v52
	s_wait_loadcnt_dscnt 0x606
	v_lshlrev_b32_e32 v48, 16, v53
	;; [unrolled: 2-line block ×4, first 2 shown]
	s_and_saveexec_b32 s42, s3
	s_cbranch_execz .LBB670_25
; %bb.29:                               ;   in Loop: Header=BB670_27 Depth=2
	s_clause 0x3
	flat_load_u16 v56, v[17:18] offset:64
	flat_load_u16 v55, v[23:24] offset:64
	flat_load_u16 v54, v[19:20] offset:64
	flat_load_u16 v53, v[21:22] offset:64
	s_and_saveexec_b32 s43, s4
	s_cbranch_execz .LBB670_24
; %bb.30:                               ;   in Loop: Header=BB670_27 Depth=2
	s_clause 0x3
	flat_load_u16 v60, v[17:18] offset:128
	flat_load_u16 v59, v[23:24] offset:128
	flat_load_u16 v58, v[19:20] offset:128
	flat_load_u16 v57, v[21:22] offset:128
	;; [unrolled: 8-line block ×3, first 2 shown]
	s_wait_loadcnt_dscnt 0x303
	v_lshlrev_b32_e32 v17, 16, v17
	s_wait_loadcnt_dscnt 0x202
	s_delay_alu instid0(VALU_DEP_1) | instskip(SKIP_3) | instid1(VALU_DEP_2)
	v_dual_fmac_f32 v39, v52, v17 :: v_dual_lshlrev_b32 v18, 16, v18
	s_wait_loadcnt_dscnt 0x101
	v_lshlrev_b32_e32 v17, 16, v19
	s_wait_loadcnt_dscnt 0x0
	v_dual_fmac_f32 v39, v48, v18 :: v_dual_lshlrev_b32 v18, 16, v20
	s_delay_alu instid0(VALU_DEP_1) | instskip(NEXT) | instid1(VALU_DEP_1)
	v_fmac_f32_e32 v39, v50, v17
	v_fmac_f32_e32 v39, v46, v18
	s_branch .LBB670_23
.LBB670_32:                             ;   in Loop: Header=BB670_4 Depth=1
	s_or_b32 exec_lo, exec_lo, s39
.LBB670_33:                             ;   in Loop: Header=BB670_4 Depth=1
	s_wait_alu 0xfffe
	s_or_b32 exec_lo, exec_lo, s7
	s_delay_alu instid0(SALU_CYCLE_1)
	s_and_not1_b32 vcc_lo, exec_lo, s20
	s_wait_alu 0xfffe
	s_cbranch_vccnz .LBB670_51
; %bb.34:                               ;   in Loop: Header=BB670_4 Depth=1
	v_cmp_gt_i32_e32 vcc_lo, s21, v40
	v_dual_mov_b32 v22, 0 :: v_dual_mov_b32 v21, 0
	v_or_b32_e32 v17, 1, v40
	v_dual_mov_b32 v24, 0 :: v_dual_mov_b32 v23, 0
	s_and_saveexec_b32 s39, vcc_lo
	s_cbranch_execz .LBB670_42
; %bb.35:                               ;   in Loop: Header=BB670_4 Depth=1
	v_mul_lo_u32 v18, v40, s26
	v_dual_mov_b32 v23, 0 :: v_dual_mov_b32 v22, 0
	v_mov_b32_e32 v21, 0
	s_mov_b32 s40, exec_lo
	s_delay_alu instid0(VALU_DEP_3) | instskip(NEXT) | instid1(VALU_DEP_1)
	v_ashrrev_i32_e32 v19, 31, v18
	v_lshlrev_b64_e32 v[18:19], 1, v[18:19]
	s_delay_alu instid0(VALU_DEP_1) | instskip(SKIP_1) | instid1(VALU_DEP_2)
	v_add_co_u32 v18, s7, v15, v18
	s_wait_alu 0xf1ff
	v_add_co_ci_u32_e64 v19, null, v16, v19, s7
	flat_load_u16 v18, v[18:19]
	v_cmpx_gt_i32_e64 s21, v17
	s_cbranch_execz .LBB670_41
; %bb.36:                               ;   in Loop: Header=BB670_4 Depth=1
	v_mul_lo_u32 v19, v17, s26
	v_dual_mov_b32 v21, 0 :: v_dual_mov_b32 v22, 0
	s_mov_b32 s41, exec_lo
	s_delay_alu instid0(VALU_DEP_2) | instskip(NEXT) | instid1(VALU_DEP_1)
	v_ashrrev_i32_e32 v20, 31, v19
	v_lshlrev_b64_e32 v[19:20], 1, v[19:20]
	s_delay_alu instid0(VALU_DEP_1) | instskip(SKIP_1) | instid1(VALU_DEP_2)
	v_add_co_u32 v19, s7, v15, v19
	s_wait_alu 0xf1ff
	v_add_co_ci_u32_e64 v20, null, v16, v20, s7
	flat_load_u16 v19, v[19:20]
	v_or_b32_e32 v20, 2, v40
	s_delay_alu instid0(VALU_DEP_1)
	v_cmpx_gt_i32_e64 s21, v20
	s_cbranch_execz .LBB670_40
; %bb.37:                               ;   in Loop: Header=BB670_4 Depth=1
	v_mul_lo_u32 v20, v20, s26
	v_or_b32_e32 v22, 3, v40
	s_mov_b32 s42, exec_lo
	s_delay_alu instid0(VALU_DEP_2) | instskip(NEXT) | instid1(VALU_DEP_1)
	v_ashrrev_i32_e32 v21, 31, v20
	v_lshlrev_b64_e32 v[20:21], 1, v[20:21]
	s_delay_alu instid0(VALU_DEP_1) | instskip(SKIP_1) | instid1(VALU_DEP_2)
	v_add_co_u32 v20, s7, v15, v20
	s_wait_alu 0xf1ff
	v_add_co_ci_u32_e64 v21, null, v16, v21, s7
	flat_load_u16 v20, v[20:21]
	v_mov_b32_e32 v21, 0
	v_cmpx_gt_i32_e64 s21, v22
	s_cbranch_execz .LBB670_39
; %bb.38:                               ;   in Loop: Header=BB670_4 Depth=1
	v_mul_lo_u32 v21, v22, s26
	s_delay_alu instid0(VALU_DEP_1) | instskip(NEXT) | instid1(VALU_DEP_1)
	v_ashrrev_i32_e32 v22, 31, v21
	v_lshlrev_b64_e32 v[21:22], 1, v[21:22]
	s_delay_alu instid0(VALU_DEP_1) | instskip(SKIP_1) | instid1(VALU_DEP_2)
	v_add_co_u32 v15, s7, v15, v21
	s_wait_alu 0xf1ff
	v_add_co_ci_u32_e64 v16, null, v16, v22, s7
	flat_load_u16 v15, v[15:16]
	s_wait_loadcnt_dscnt 0x0
	v_lshlrev_b32_e32 v21, 16, v15
.LBB670_39:                             ;   in Loop: Header=BB670_4 Depth=1
	s_or_b32 exec_lo, exec_lo, s42
	s_wait_loadcnt_dscnt 0x0
	v_lshlrev_b32_e32 v22, 16, v20
.LBB670_40:                             ;   in Loop: Header=BB670_4 Depth=1
	s_wait_alu 0xfffe
	s_or_b32 exec_lo, exec_lo, s41
	s_wait_loadcnt_dscnt 0x0
	v_lshlrev_b32_e32 v23, 16, v19
.LBB670_41:                             ;   in Loop: Header=BB670_4 Depth=1
	s_wait_alu 0xfffe
	s_or_b32 exec_lo, exec_lo, s40
	s_wait_loadcnt_dscnt 0x0
	v_lshlrev_b32_e32 v24, 16, v18
.LBB670_42:                             ;   in Loop: Header=BB670_4 Depth=1
	s_or_b32 exec_lo, exec_lo, s39
	s_and_saveexec_b32 s7, s1
	s_cbranch_execz .LBB670_50
; %bb.43:                               ;   in Loop: Header=BB670_4 Depth=1
	v_mul_lo_u32 v16, v40, s28
	v_or_b32_e32 v15, 2, v40
	v_mul_lo_u32 v19, v17, s28
	v_or_b32_e32 v18, 3, v40
	s_delay_alu instid0(VALU_DEP_3) | instskip(NEXT) | instid1(VALU_DEP_2)
	v_mul_lo_u32 v20, v15, s28
	v_mul_lo_u32 v40, v18, s28
	v_cndmask_b32_e32 v16, 0, v16, vcc_lo
	v_cmp_gt_i32_e32 vcc_lo, s21, v17
	s_wait_alu 0xfffd
	v_cndmask_b32_e32 v17, 0, v19, vcc_lo
	v_cmp_gt_i32_e32 vcc_lo, s21, v15
	v_add_nc_u32_e32 v15, v16, v29
	s_delay_alu instid0(VALU_DEP_3)
	v_add_nc_u32_e32 v17, v17, v29
	s_wait_alu 0xfffd
	v_cndmask_b32_e32 v19, 0, v20, vcc_lo
	v_cmp_gt_i32_e32 vcc_lo, s21, v18
	v_ashrrev_i32_e32 v16, 31, v15
	s_wait_alu 0xfffd
	v_cndmask_b32_e32 v18, 0, v40, vcc_lo
	s_delay_alu instid0(VALU_DEP_2) | instskip(NEXT) | instid1(VALU_DEP_2)
	v_lshlrev_b64_e32 v[15:16], 1, v[15:16]
	v_add_nc_u32_e32 v40, v18, v29
	v_add_nc_u32_e32 v19, v19, v29
	v_ashrrev_i32_e32 v18, 31, v17
	s_delay_alu instid0(VALU_DEP_3) | instskip(NEXT) | instid1(VALU_DEP_3)
	v_ashrrev_i32_e32 v41, 31, v40
	v_ashrrev_i32_e32 v20, 31, v19
	s_delay_alu instid0(VALU_DEP_3) | instskip(SKIP_1) | instid1(VALU_DEP_4)
	v_lshlrev_b64_e32 v[42:43], 1, v[17:18]
	v_add_co_u32 v17, vcc_lo, v13, v15
	v_lshlrev_b64_e32 v[40:41], 1, v[40:41]
	s_delay_alu instid0(VALU_DEP_4)
	v_lshlrev_b64_e32 v[44:45], 1, v[19:20]
	s_wait_alu 0xfffd
	v_add_co_ci_u32_e64 v18, null, v14, v16, vcc_lo
	v_add_co_u32 v19, vcc_lo, v13, v42
	s_wait_alu 0xfffd
	v_add_co_ci_u32_e64 v20, null, v14, v43, vcc_lo
	v_add_co_u32 v15, vcc_lo, v13, v44
	;; [unrolled: 3-line block ×3, first 2 shown]
	s_wait_alu 0xfffd
	v_add_co_ci_u32_e64 v14, null, v14, v41, vcc_lo
	s_clause 0x3
	flat_load_u16 v43, v[17:18]
	flat_load_u16 v42, v[19:20]
	flat_load_u16 v41, v[15:16]
	flat_load_u16 v40, v[13:14]
	s_and_saveexec_b32 s39, s3
	s_cbranch_execz .LBB670_49
; %bb.44:                               ;   in Loop: Header=BB670_4 Depth=1
	s_clause 0x3
	flat_load_u16 v47, v[17:18] offset:64
	flat_load_u16 v46, v[19:20] offset:64
	flat_load_u16 v45, v[15:16] offset:64
	flat_load_u16 v44, v[13:14] offset:64
	s_and_saveexec_b32 s40, s4
	s_cbranch_execz .LBB670_48
; %bb.45:                               ;   in Loop: Header=BB670_4 Depth=1
	s_clause 0x3
	flat_load_u16 v51, v[17:18] offset:128
	flat_load_u16 v50, v[19:20] offset:128
	flat_load_u16 v49, v[15:16] offset:128
	flat_load_u16 v48, v[13:14] offset:128
	;; [unrolled: 8-line block ×3, first 2 shown]
	s_wait_loadcnt_dscnt 0x0
	v_lshlrev_b32_e32 v13, 16, v13
	v_lshlrev_b32_e32 v16, 16, v18
	v_lshlrev_b32_e32 v14, 16, v17
	s_delay_alu instid0(VALU_DEP_1) | instskip(NEXT) | instid1(VALU_DEP_1)
	v_dual_fmac_f32 v39, v24, v14 :: v_dual_lshlrev_b32 v14, 16, v15
	v_fmac_f32_e32 v39, v23, v16
	s_delay_alu instid0(VALU_DEP_1) | instskip(NEXT) | instid1(VALU_DEP_1)
	v_fmac_f32_e32 v39, v22, v14
	v_fmac_f32_e32 v39, v21, v13
.LBB670_47:                             ;   in Loop: Header=BB670_4 Depth=1
	s_wait_alu 0xfffe
	s_or_b32 exec_lo, exec_lo, s41
	s_wait_loadcnt_dscnt 0x202
	v_lshlrev_b32_e32 v14, 16, v50
	v_lshlrev_b32_e32 v13, 16, v51
	s_delay_alu instid0(VALU_DEP_1) | instskip(SKIP_1) | instid1(VALU_DEP_1)
	v_fmac_f32_e32 v38, v24, v13
	s_wait_loadcnt_dscnt 0x101
	v_dual_fmac_f32 v38, v23, v14 :: v_dual_lshlrev_b32 v13, 16, v49
	s_wait_loadcnt_dscnt 0x0
	s_delay_alu instid0(VALU_DEP_1) | instskip(NEXT) | instid1(VALU_DEP_1)
	v_dual_fmac_f32 v38, v22, v13 :: v_dual_lshlrev_b32 v13, 16, v48
	v_fmac_f32_e32 v38, v21, v13
.LBB670_48:                             ;   in Loop: Header=BB670_4 Depth=1
	s_wait_alu 0xfffe
	s_or_b32 exec_lo, exec_lo, s40
	s_wait_loadcnt_dscnt 0x303
	v_lshlrev_b32_e32 v13, 16, v47
	s_wait_loadcnt_dscnt 0x202
	s_delay_alu instid0(VALU_DEP_1) | instskip(SKIP_2) | instid1(VALU_DEP_2)
	v_dual_fmac_f32 v37, v24, v13 :: v_dual_lshlrev_b32 v14, 16, v46
	s_wait_loadcnt_dscnt 0x101
	v_lshlrev_b32_e32 v13, 16, v45
	v_fmac_f32_e32 v37, v23, v14
	s_delay_alu instid0(VALU_DEP_1) | instskip(SKIP_2) | instid1(VALU_DEP_1)
	v_fmac_f32_e32 v37, v22, v13
	s_wait_loadcnt_dscnt 0x0
	v_lshlrev_b32_e32 v13, 16, v44
	v_fmac_f32_e32 v37, v21, v13
.LBB670_49:                             ;   in Loop: Header=BB670_4 Depth=1
	s_or_b32 exec_lo, exec_lo, s39
	s_wait_loadcnt_dscnt 0x202
	v_lshlrev_b32_e32 v14, 16, v42
	v_lshlrev_b32_e32 v13, 16, v43
	s_delay_alu instid0(VALU_DEP_1) | instskip(SKIP_1) | instid1(VALU_DEP_1)
	v_fmac_f32_e32 v36, v24, v13
	s_wait_loadcnt_dscnt 0x101
	v_dual_fmac_f32 v36, v23, v14 :: v_dual_lshlrev_b32 v13, 16, v41
	s_wait_loadcnt_dscnt 0x0
	s_delay_alu instid0(VALU_DEP_1) | instskip(NEXT) | instid1(VALU_DEP_1)
	v_dual_fmac_f32 v36, v22, v13 :: v_dual_lshlrev_b32 v13, 16, v40
	v_fmac_f32_e32 v36, v21, v13
.LBB670_50:                             ;   in Loop: Header=BB670_4 Depth=1
	s_wait_alu 0xfffe
	s_or_b32 exec_lo, exec_lo, s7
.LBB670_51:                             ;   in Loop: Header=BB670_4 Depth=1
	ds_store_2addr_b32 v26, v36, v37 offset1:32
	ds_store_2addr_b32 v26, v38, v39 offset0:64 offset1:96
	s_wait_dscnt 0x0
	s_barrier_signal -1
	s_barrier_wait -1
	global_inv scope:SCOPE_SE
                                        ; implicit-def: $vgpr17
	s_and_saveexec_b32 s7, s0
	s_cbranch_execz .LBB670_57
; %bb.52:                               ;   in Loop: Header=BB670_4 Depth=1
	ds_load_2addr_stride64_b32 v[13:14], v27 offset1:2
	ds_load_2addr_stride64_b32 v[15:16], v27 offset0:4 offset1:6
	ds_load_2addr_stride64_b32 v[17:18], v27 offset0:8 offset1:10
	s_mov_b32 s40, s38
	s_wait_dscnt 0x2
	v_add_f32_e32 v19, v13, v14
	ds_load_2addr_stride64_b32 v[13:14], v27 offset0:12 offset1:14
	s_wait_dscnt 0x2
	v_add_f32_e32 v15, v15, v19
	s_delay_alu instid0(VALU_DEP_1) | instskip(SKIP_3) | instid1(VALU_DEP_1)
	v_add_f32_e32 v19, v16, v15
	ds_load_2addr_stride64_b32 v[15:16], v27 offset0:16 offset1:18
	s_wait_dscnt 0x2
	v_add_f32_e32 v17, v17, v19
	v_add_f32_e32 v19, v18, v17
	ds_load_2addr_stride64_b32 v[17:18], v27 offset0:20 offset1:22
	s_wait_dscnt 0x2
	v_add_f32_e32 v13, v13, v19
	s_delay_alu instid0(VALU_DEP_1) | instskip(SKIP_1) | instid1(VALU_DEP_1)
	v_add_f32_e32 v13, v14, v13
	s_wait_dscnt 0x1
	v_add_f32_e32 v15, v15, v13
	ds_load_2addr_stride64_b32 v[13:14], v27 offset0:24 offset1:26
	v_add_f32_e32 v15, v16, v15
	s_wait_dscnt 0x1
	s_delay_alu instid0(VALU_DEP_1) | instskip(SKIP_3) | instid1(VALU_DEP_1)
	v_add_f32_e32 v17, v17, v15
	ds_load_2addr_stride64_b32 v[15:16], v27 offset0:28 offset1:30
	v_add_f32_e32 v17, v18, v17
	s_wait_dscnt 0x1
	v_add_f32_e32 v13, v13, v17
                                        ; implicit-def: $vgpr17
	s_delay_alu instid0(VALU_DEP_1) | instskip(SKIP_1) | instid1(VALU_DEP_1)
	v_add_f32_e32 v13, v14, v13
	s_wait_dscnt 0x0
	v_add_f32_e32 v13, v15, v13
	s_delay_alu instid0(VALU_DEP_1)
	v_add_f32_e32 v13, v16, v13
	ds_store_b32 v27, v13
	s_and_saveexec_b32 s39, s2
	s_cbranch_execz .LBB670_56
; %bb.53:                               ;   in Loop: Header=BB670_4 Depth=1
	v_mul_f32_e32 v17, s22, v13
	s_and_not1_b32 vcc_lo, exec_lo, s33
	s_wait_alu 0xfffe
	s_cbranch_vccnz .LBB670_55
; %bb.54:                               ;   in Loop: Header=BB670_4 Depth=1
	v_add_co_u32 v13, vcc_lo, v34, v11
	s_wait_alu 0xfffd
	v_add_co_ci_u32_e64 v14, null, v35, v12, vcc_lo
	flat_load_b32 v13, v[13:14]
	s_wait_loadcnt_dscnt 0x0
	v_fmac_f32_e32 v17, s27, v13
.LBB670_55:                             ;   in Loop: Header=BB670_4 Depth=1
	s_or_b32 s40, s38, exec_lo
.LBB670_56:                             ;   in Loop: Header=BB670_4 Depth=1
	s_or_b32 exec_lo, exec_lo, s39
	s_delay_alu instid0(SALU_CYCLE_1) | instskip(SKIP_2) | instid1(SALU_CYCLE_1)
	s_and_not1_b32 s38, s38, exec_lo
	s_wait_alu 0xfffe
	s_and_b32 s39, s40, exec_lo
	s_or_b32 s38, s38, s39
.LBB670_57:                             ;   in Loop: Header=BB670_4 Depth=1
	s_wait_alu 0xfffe
	s_or_b32 exec_lo, exec_lo, s7
	v_dual_mov_b32 v14, v5 :: v_dual_mov_b32 v13, v4
	s_and_saveexec_b32 s7, s38
	s_cbranch_execz .LBB670_2
.LBB670_58:                             ;   in Loop: Header=BB670_4 Depth=1
	s_delay_alu instid0(VALU_DEP_1) | instskip(NEXT) | instid1(VALU_DEP_1)
	v_lshlrev_b64_e32 v[13:14], 2, v[13:14]
	v_add_co_u32 v13, vcc_lo, v34, v13
	s_wait_alu 0xfffd
	s_delay_alu instid0(VALU_DEP_2)
	v_add_co_ci_u32_e64 v14, null, v35, v14, vcc_lo
	flat_store_b32 v[13:14], v17
	s_branch .LBB670_2
.LBB670_59:
	s_endpgm
	.section	.rodata,"a",@progbits
	.p2align	6, 0x0
	.amdhsa_kernel _ZL20rocblas_gemvn_kernelILi32ELi16EiPK16rocblas_bfloat16fKPfEviiT3_lPKT2_lT1_lS8_lS9_lS5_lPT4_lS9_li
		.amdhsa_group_segment_fixed_size 8192
		.amdhsa_private_segment_fixed_size 0
		.amdhsa_kernarg_size 400
		.amdhsa_user_sgpr_count 2
		.amdhsa_user_sgpr_dispatch_ptr 0
		.amdhsa_user_sgpr_queue_ptr 0
		.amdhsa_user_sgpr_kernarg_segment_ptr 1
		.amdhsa_user_sgpr_dispatch_id 0
		.amdhsa_user_sgpr_private_segment_size 0
		.amdhsa_wavefront_size32 1
		.amdhsa_uses_dynamic_stack 0
		.amdhsa_enable_private_segment 0
		.amdhsa_system_sgpr_workgroup_id_x 1
		.amdhsa_system_sgpr_workgroup_id_y 0
		.amdhsa_system_sgpr_workgroup_id_z 1
		.amdhsa_system_sgpr_workgroup_info 0
		.amdhsa_system_vgpr_workitem_id 1
		.amdhsa_next_free_vgpr 61
		.amdhsa_next_free_sgpr 45
		.amdhsa_reserve_vcc 1
		.amdhsa_float_round_mode_32 0
		.amdhsa_float_round_mode_16_64 0
		.amdhsa_float_denorm_mode_32 3
		.amdhsa_float_denorm_mode_16_64 3
		.amdhsa_fp16_overflow 0
		.amdhsa_workgroup_processor_mode 1
		.amdhsa_memory_ordered 1
		.amdhsa_forward_progress 1
		.amdhsa_inst_pref_size 28
		.amdhsa_round_robin_scheduling 0
		.amdhsa_exception_fp_ieee_invalid_op 0
		.amdhsa_exception_fp_denorm_src 0
		.amdhsa_exception_fp_ieee_div_zero 0
		.amdhsa_exception_fp_ieee_overflow 0
		.amdhsa_exception_fp_ieee_underflow 0
		.amdhsa_exception_fp_ieee_inexact 0
		.amdhsa_exception_int_div_zero 0
	.end_amdhsa_kernel
	.section	.text._ZL20rocblas_gemvn_kernelILi32ELi16EiPK16rocblas_bfloat16fKPfEviiT3_lPKT2_lT1_lS8_lS9_lS5_lPT4_lS9_li,"axG",@progbits,_ZL20rocblas_gemvn_kernelILi32ELi16EiPK16rocblas_bfloat16fKPfEviiT3_lPKT2_lT1_lS8_lS9_lS5_lPT4_lS9_li,comdat
.Lfunc_end670:
	.size	_ZL20rocblas_gemvn_kernelILi32ELi16EiPK16rocblas_bfloat16fKPfEviiT3_lPKT2_lT1_lS8_lS9_lS5_lPT4_lS9_li, .Lfunc_end670-_ZL20rocblas_gemvn_kernelILi32ELi16EiPK16rocblas_bfloat16fKPfEviiT3_lPKT2_lT1_lS8_lS9_lS5_lPT4_lS9_li
                                        ; -- End function
	.set _ZL20rocblas_gemvn_kernelILi32ELi16EiPK16rocblas_bfloat16fKPfEviiT3_lPKT2_lT1_lS8_lS9_lS5_lPT4_lS9_li.num_vgpr, 61
	.set _ZL20rocblas_gemvn_kernelILi32ELi16EiPK16rocblas_bfloat16fKPfEviiT3_lPKT2_lT1_lS8_lS9_lS5_lPT4_lS9_li.num_agpr, 0
	.set _ZL20rocblas_gemvn_kernelILi32ELi16EiPK16rocblas_bfloat16fKPfEviiT3_lPKT2_lT1_lS8_lS9_lS5_lPT4_lS9_li.numbered_sgpr, 45
	.set _ZL20rocblas_gemvn_kernelILi32ELi16EiPK16rocblas_bfloat16fKPfEviiT3_lPKT2_lT1_lS8_lS9_lS5_lPT4_lS9_li.num_named_barrier, 0
	.set _ZL20rocblas_gemvn_kernelILi32ELi16EiPK16rocblas_bfloat16fKPfEviiT3_lPKT2_lT1_lS8_lS9_lS5_lPT4_lS9_li.private_seg_size, 0
	.set _ZL20rocblas_gemvn_kernelILi32ELi16EiPK16rocblas_bfloat16fKPfEviiT3_lPKT2_lT1_lS8_lS9_lS5_lPT4_lS9_li.uses_vcc, 1
	.set _ZL20rocblas_gemvn_kernelILi32ELi16EiPK16rocblas_bfloat16fKPfEviiT3_lPKT2_lT1_lS8_lS9_lS5_lPT4_lS9_li.uses_flat_scratch, 1
	.set _ZL20rocblas_gemvn_kernelILi32ELi16EiPK16rocblas_bfloat16fKPfEviiT3_lPKT2_lT1_lS8_lS9_lS5_lPT4_lS9_li.has_dyn_sized_stack, 0
	.set _ZL20rocblas_gemvn_kernelILi32ELi16EiPK16rocblas_bfloat16fKPfEviiT3_lPKT2_lT1_lS8_lS9_lS5_lPT4_lS9_li.has_recursion, 0
	.set _ZL20rocblas_gemvn_kernelILi32ELi16EiPK16rocblas_bfloat16fKPfEviiT3_lPKT2_lT1_lS8_lS9_lS5_lPT4_lS9_li.has_indirect_call, 0
	.section	.AMDGPU.csdata,"",@progbits
; Kernel info:
; codeLenInByte = 3480
; TotalNumSgprs: 47
; NumVgprs: 61
; ScratchSize: 0
; MemoryBound: 0
; FloatMode: 240
; IeeeMode: 1
; LDSByteSize: 8192 bytes/workgroup (compile time only)
; SGPRBlocks: 0
; VGPRBlocks: 7
; NumSGPRsForWavesPerEU: 47
; NumVGPRsForWavesPerEU: 61
; Occupancy: 16
; WaveLimiterHint : 1
; COMPUTE_PGM_RSRC2:SCRATCH_EN: 0
; COMPUTE_PGM_RSRC2:USER_SGPR: 2
; COMPUTE_PGM_RSRC2:TRAP_HANDLER: 0
; COMPUTE_PGM_RSRC2:TGID_X_EN: 1
; COMPUTE_PGM_RSRC2:TGID_Y_EN: 0
; COMPUTE_PGM_RSRC2:TGID_Z_EN: 1
; COMPUTE_PGM_RSRC2:TIDIG_COMP_CNT: 1
	.section	.text._ZL20rocblas_gemvn_kernelILi32ELi16ElPK16rocblas_bfloat16fKPfEviiT3_lPKT2_lT1_lS8_lS9_lS5_lPT4_lS9_li,"axG",@progbits,_ZL20rocblas_gemvn_kernelILi32ELi16ElPK16rocblas_bfloat16fKPfEviiT3_lPKT2_lT1_lS8_lS9_lS5_lPT4_lS9_li,comdat
	.globl	_ZL20rocblas_gemvn_kernelILi32ELi16ElPK16rocblas_bfloat16fKPfEviiT3_lPKT2_lT1_lS8_lS9_lS5_lPT4_lS9_li ; -- Begin function _ZL20rocblas_gemvn_kernelILi32ELi16ElPK16rocblas_bfloat16fKPfEviiT3_lPKT2_lT1_lS8_lS9_lS5_lPT4_lS9_li
	.p2align	8
	.type	_ZL20rocblas_gemvn_kernelILi32ELi16ElPK16rocblas_bfloat16fKPfEviiT3_lPKT2_lT1_lS8_lS9_lS5_lPT4_lS9_li,@function
_ZL20rocblas_gemvn_kernelILi32ELi16ElPK16rocblas_bfloat16fKPfEviiT3_lPKT2_lT1_lS8_lS9_lS5_lPT4_lS9_li: ; @_ZL20rocblas_gemvn_kernelILi32ELi16ElPK16rocblas_bfloat16fKPfEviiT3_lPKT2_lT1_lS8_lS9_lS5_lPT4_lS9_li
; %bb.0:
	s_clause 0x1
	s_load_b64 s[2:3], s[0:1], 0x9c
	s_load_b32 s23, s[0:1], 0x88
	s_lshr_b32 s24, ttmp7, 16
	s_wait_kmcnt 0x0
	s_lshr_b32 s4, s2, 16
	s_and_b32 s2, s2, 0xffff
	s_and_b32 s3, s3, 0xffff
	s_mul_i32 s2, s4, s2
	s_delay_alu instid0(SALU_CYCLE_1) | instskip(NEXT) | instid1(SALU_CYCLE_1)
	s_mul_i32 s2, s2, s3
	s_cmp_lg_u32 s2, 0x200
	s_cselect_b32 s2, -1, 0
	s_cmp_ge_u32 s24, s23
	s_cselect_b32 s3, -1, 0
	s_delay_alu instid0(SALU_CYCLE_1) | instskip(NEXT) | instid1(SALU_CYCLE_1)
	s_or_b32 s2, s2, s3
	s_and_b32 vcc_lo, exec_lo, s2
	s_cbranch_vccnz .LBB671_59
; %bb.1:
	s_clause 0x7
	s_load_b96 s[20:22], s[0:1], 0x0
	s_load_b32 s33, s[0:1], 0x58
	s_load_b64 s[26:27], s[0:1], 0x48
	s_load_b128 s[8:11], s[0:1], 0x18
	s_load_b64 s[28:29], s[0:1], 0x28
	s_load_b128 s[12:15], s[0:1], 0x38
	s_load_b64 s[6:7], s[0:1], 0x78
	s_load_b128 s[16:19], s[0:1], 0x68
	v_dual_mov_b32 v1, 0 :: v_dual_and_b32 v2, 0x3ff, v0
	v_bfe_u32 v26, v0, 10, 10
	s_mov_b32 s25, 0
	s_delay_alu instid0(VALU_DEP_2) | instskip(NEXT) | instid1(VALU_DEP_2)
	v_lshlrev_b32_e32 v16, 2, v2
	v_lshl_add_u32 v3, v26, 5, v2
	v_lshlrev_b32_e32 v40, 2, v26
	s_delay_alu instid0(VALU_DEP_2)
	v_cmp_gt_u32_e64 s0, 0x80, v3
	s_wait_kmcnt 0x0
	s_cmp_eq_f32 s22, 0
	v_mad_co_u64_u32 v[6:7], null, s26, v26, 0
	s_mov_b32 s2, s20
	s_cselect_b32 s36, -1, 0
	s_cmp_neq_f32 s33, 1.0
	v_or_b32_e32 v17, 3, v40
	s_cselect_b32 s1, -1, 0
	s_cmp_neq_f32 s22, 0
	s_delay_alu instid0(VALU_DEP_1)
	v_mad_co_u64_u32 v[12:13], null, s26, v17, 0
	s_cselect_b32 s4, -1, 0
	s_lshl_b32 s30, ttmp9, 7
	s_ashr_i32 s3, s20, 31
	v_add_nc_u32_e32 v0, s30, v3
	v_add_nc_u32_e32 v8, s30, v2
	s_or_b32 s37, s4, s1
	s_cmp_neq_f32 s33, 0
	v_or_b32_e32 v18, s30, v3
	v_mad_co_u64_u32 v[2:3], null, s6, v0, 0
	v_add_nc_u32_e32 v4, 32, v8
	v_cmp_gt_i64_e32 vcc_lo, s[2:3], v[0:1]
	s_cselect_b32 s38, -1, 0
	s_ashr_i32 s2, s21, 31
	v_add_nc_u32_e32 v5, 64, v8
	s_wait_alu 0xfffe
	s_lshr_b32 s2, s2, 26
	v_add_nc_u32_e32 v10, 0x60, v8
	s_wait_alu 0xfffe
	s_add_co_i32 s39, s21, s2
	v_cmp_gt_i32_e64 s2, s20, v4
	v_mad_co_u64_u32 v[3:4], null, s7, v0, v[3:4]
	v_mov_b32_e32 v0, v7
	v_cndmask_b32_e64 v42, 0, 1, s4
	v_cmp_gt_i32_e64 s4, s20, v10
	v_mad_co_u64_u32 v[10:11], null, s28, v17, 0
	s_delay_alu instid0(VALU_DEP_4)
	v_mad_co_u64_u32 v[14:15], null, s27, v26, v[0:1]
	s_and_not1_b32 s39, s39, 63
	v_mul_lo_u32 v19, s7, v18
	v_cmp_gt_i32_e64 s3, s20, v5
	s_sub_co_i32 s5, s21, s39
	v_mad_co_u64_u32 v[4:5], null, s6, v18, 0
	v_mov_b32_e32 v7, v14
	v_mad_co_u64_u32 v[14:15], null, s29, v17, v[11:12]
	s_wait_alu 0xfffe
	s_cmp_gt_i32 s5, 0
	v_lshl_add_u32 v41, v26, 9, v16
	s_cselect_b32 s40, -1, 0
	s_ashr_i32 s7, s30, 31
	v_lshl_add_u32 v0, v26, 7, v16
	s_wait_alu 0xfffe
	s_mul_i32 s7, s6, s7
	v_mov_b32_e32 v11, v14
	v_or_b32_e32 v29, 2, v40
	v_mad_co_u64_u32 v[15:16], null, s27, v17, v[13:14]
	v_cmp_gt_i32_e64 s6, s20, v18
	s_wait_alu 0xfffe
	v_add3_u32 v5, v5, s7, v19
	v_mad_co_u64_u32 v[16:17], null, s28, v26, 0
	v_mad_co_u64_u32 v[18:19], null, s28, v29, 0
	v_mov_b32_e32 v13, v15
	v_mad_co_u64_u32 v[20:21], null, s26, v29, 0
	v_mad_co_u64_u32 v[22:23], null, s26, v40, s[26:27]
	s_delay_alu instid0(VALU_DEP_4) | instskip(SKIP_3) | instid1(VALU_DEP_4)
	v_dual_mov_b32 v14, v17 :: v_dual_mov_b32 v15, v19
	v_mad_co_u64_u32 v[24:25], null, s28, v40, s[28:29]
	v_ashrrev_i32_e32 v9, 31, v8
	v_cmp_gt_i32_e64 s1, s20, v8
	v_mad_co_u64_u32 v[26:27], null, s29, v26, v[14:15]
	v_mad_co_u64_u32 v[27:28], null, s29, v29, v[15:16]
	v_dual_mov_b32 v14, v21 :: v_dual_mov_b32 v15, v23
	v_mov_b32_e32 v17, v25
	v_lshlrev_b64_e32 v[6:7], 3, v[6:7]
	v_lshlrev_b64_e32 v[8:9], 1, v[8:9]
	;; [unrolled: 1-line block ×3, first 2 shown]
	v_mov_b32_e32 v19, v27
	v_mad_co_u64_u32 v[28:29], null, s27, v29, v[14:15]
	v_mad_co_u64_u32 v[14:15], null, s27, v40, v[15:16]
	;; [unrolled: 1-line block ×3, first 2 shown]
	v_mov_b32_e32 v17, v26
	v_lshlrev_b64_e32 v[12:13], 1, v[12:13]
	v_mov_b32_e32 v21, v28
	v_cmp_gt_i32_e64 s5, s39, v40
	v_mov_b32_e32 v23, v14
	v_lshlrev_b64_e32 v[14:15], 3, v[16:17]
	v_mov_b32_e32 v25, v29
	v_lshlrev_b64_e32 v[16:17], 1, v[18:19]
	v_lshlrev_b64_e32 v[18:19], 1, v[20:21]
	;; [unrolled: 1-line block ×3, first 2 shown]
	s_and_b32 s20, s0, vcc_lo
	v_lshlrev_b64_e32 v[22:23], 1, v[24:25]
	v_lshlrev_b64_e32 v[24:25], 2, v[2:3]
	s_lshl_b64 s[30:31], s[26:27], 7
	s_lshl_b64 s[34:35], s[28:29], 7
	;; [unrolled: 1-line block ×5, first 2 shown]
	s_branch .LBB671_4
.LBB671_2:                              ;   in Loop: Header=BB671_4 Depth=1
	s_wait_alu 0xfffe
	s_or_b32 exec_lo, exec_lo, s7
.LBB671_3:                              ;   in Loop: Header=BB671_4 Depth=1
	s_add_co_i32 s24, s24, 0x10000
	s_delay_alu instid0(SALU_CYCLE_1)
	s_cmp_lt_u32 s24, s23
	s_cbranch_scc0 .LBB671_59
.LBB671_4:                              ; =>This Loop Header: Depth=1
                                        ;     Child Loop BB671_27 Depth 2
	s_and_not1_b32 vcc_lo, exec_lo, s37
	s_wait_alu 0xfffe
	s_cbranch_vccnz .LBB671_3
; %bb.5:                                ;   in Loop: Header=BB671_4 Depth=1
	s_and_not1_b32 vcc_lo, exec_lo, s36
	s_wait_alu 0xfffe
	s_cbranch_vccnz .LBB671_7
; %bb.6:                                ;   in Loop: Header=BB671_4 Depth=1
	s_mov_b32 s7, 0
	s_branch .LBB671_8
.LBB671_7:                              ;   in Loop: Header=BB671_4 Depth=1
	s_mov_b32 s7, -1
.LBB671_8:                              ;   in Loop: Header=BB671_4 Depth=1
	v_mov_b32_e32 v28, 0
	v_dual_mov_b32 v29, 0 :: v_dual_mov_b32 v26, 0
	v_mov_b32_e32 v27, 0
	s_wait_alu 0xfffe
	s_and_not1_b32 vcc_lo, exec_lo, s7
	s_wait_alu 0xfffe
	s_cbranch_vccnz .LBB671_10
; %bb.9:                                ;   in Loop: Header=BB671_4 Depth=1
	s_lshl_b64 s[42:43], s[24:25], 3
	s_delay_alu instid0(SALU_CYCLE_1)
	s_add_nc_u64 s[42:43], s[8:9], s[42:43]
	global_load_b64 v[26:27], v1, s[42:43]
	s_wait_loadcnt 0x0
	v_add_co_u32 v26, vcc_lo, v26, s10
	s_wait_alu 0xfffd
	v_add_co_ci_u32_e64 v27, null, s11, v27, vcc_lo
.LBB671_10:                             ;   in Loop: Header=BB671_4 Depth=1
	v_cmp_ne_u32_e32 vcc_lo, 1, v42
	s_cbranch_vccnz .LBB671_12
; %bb.11:                               ;   in Loop: Header=BB671_4 Depth=1
	s_lshl_b64 s[42:43], s[24:25], 3
	s_delay_alu instid0(SALU_CYCLE_1)
	s_add_nc_u64 s[42:43], s[12:13], s[42:43]
	global_load_b64 v[28:29], v1, s[42:43]
	s_wait_loadcnt 0x0
	v_add_co_u32 v28, vcc_lo, v28, s14
	s_wait_alu 0xfffd
	v_add_co_ci_u32_e64 v29, null, s15, v29, vcc_lo
.LBB671_12:                             ;   in Loop: Header=BB671_4 Depth=1
	s_lshl_b64 s[42:43], s[24:25], 3
	s_delay_alu instid0(SALU_CYCLE_1)
	s_add_nc_u64 s[42:43], s[16:17], s[42:43]
	global_load_b64 v[30:31], v1, s[42:43]
	s_wait_loadcnt 0x0
	v_add_co_u32 v43, vcc_lo, v30, s18
	s_wait_alu 0xfffd
	v_add_co_ci_u32_e64 v44, null, s19, v31, vcc_lo
	s_and_not1_b32 vcc_lo, exec_lo, s36
	s_wait_alu 0xfffe
	s_cbranch_vccnz .LBB671_16
; %bb.13:                               ;   in Loop: Header=BB671_4 Depth=1
	s_mov_b32 s7, 0
	s_mov_b32 s41, 0
                                        ; implicit-def: $vgpr30
	s_and_saveexec_b32 s42, s20
	s_cbranch_execz .LBB671_17
; %bb.14:                               ;   in Loop: Header=BB671_4 Depth=1
	s_and_not1_b32 vcc_lo, exec_lo, s38
	s_wait_alu 0xfffe
	s_cbranch_vccnz .LBB671_19
; %bb.15:                               ;   in Loop: Header=BB671_4 Depth=1
	v_add_co_u32 v30, vcc_lo, v43, v24
	s_wait_alu 0xfffd
	v_add_co_ci_u32_e64 v31, null, v44, v25, vcc_lo
	flat_load_b32 v30, v[30:31]
	s_wait_loadcnt_dscnt 0x0
	v_mul_f32_e32 v30, s33, v30
	s_branch .LBB671_20
.LBB671_16:                             ;   in Loop: Header=BB671_4 Depth=1
	s_mov_b32 s41, 0
                                        ; implicit-def: $vgpr30
	s_cbranch_execz .LBB671_18
	s_branch .LBB671_21
.LBB671_17:                             ;   in Loop: Header=BB671_4 Depth=1
	s_or_b32 exec_lo, exec_lo, s42
	s_wait_alu 0xfffe
	s_and_b32 vcc_lo, exec_lo, s7
	s_wait_alu 0xfffe
	s_cbranch_vccnz .LBB671_21
.LBB671_18:                             ;   in Loop: Header=BB671_4 Depth=1
	v_dual_mov_b32 v27, v3 :: v_dual_mov_b32 v26, v2
	s_and_saveexec_b32 s7, s41
	s_cbranch_execz .LBB671_2
	s_branch .LBB671_58
.LBB671_19:                             ;   in Loop: Header=BB671_4 Depth=1
	v_mov_b32_e32 v30, 0
.LBB671_20:                             ;   in Loop: Header=BB671_4 Depth=1
	s_mov_b32 s41, exec_lo
	s_or_b32 exec_lo, exec_lo, s42
	s_delay_alu instid0(SALU_CYCLE_1)
	s_and_b32 vcc_lo, exec_lo, s7
	s_wait_alu 0xfffe
	s_cbranch_vccz .LBB671_18
.LBB671_21:                             ;   in Loop: Header=BB671_4 Depth=1
	v_dual_mov_b32 v45, 0 :: v_dual_mov_b32 v46, 0
	v_dual_mov_b32 v49, v40 :: v_dual_mov_b32 v48, 0
	v_mov_b32_e32 v47, 0
	s_and_saveexec_b32 s42, s5
	s_cbranch_execz .LBB671_33
; %bb.22:                               ;   in Loop: Header=BB671_4 Depth=1
	v_add_co_u32 v50, vcc_lo, v26, v10
	s_wait_alu 0xfffd
	v_add_co_ci_u32_e64 v51, null, v27, v11, vcc_lo
	v_add_co_u32 v52, vcc_lo, v26, v14
	s_wait_alu 0xfffd
	v_add_co_ci_u32_e64 v53, null, v27, v15, vcc_lo
	;; [unrolled: 3-line block ×3, first 2 shown]
	v_add_co_u32 v56, vcc_lo, v26, v22
	v_dual_mov_b32 v31, v29 :: v_dual_mov_b32 v46, 0
	s_wait_alu 0xfffd
	v_add_co_ci_u32_e64 v57, null, v27, v23, vcc_lo
	v_dual_mov_b32 v45, 0 :: v_dual_mov_b32 v30, v28
	v_dual_mov_b32 v49, v40 :: v_dual_mov_b32 v48, 0
	v_mov_b32_e32 v47, 0
	s_mov_b32 s43, 0
	s_branch .LBB671_27
.LBB671_23:                             ;   in Loop: Header=BB671_27 Depth=2
	s_or_b32 exec_lo, exec_lo, s46
	s_wait_loadcnt_dscnt 0x303
	v_lshlrev_b32_e32 v32, 16, v73
	s_wait_loadcnt_dscnt 0x202
	v_lshlrev_b32_e32 v33, 16, v72
	s_wait_loadcnt_dscnt 0x101
	s_delay_alu instid0(VALU_DEP_2) | instskip(NEXT) | instid1(VALU_DEP_1)
	v_dual_fmac_f32 v47, v65, v32 :: v_dual_lshlrev_b32 v32, 16, v71
	v_fmac_f32_e32 v47, v61, v33
	s_wait_loadcnt_dscnt 0x0
	s_delay_alu instid0(VALU_DEP_1) | instskip(NEXT) | instid1(VALU_DEP_1)
	v_dual_fmac_f32 v47, v63, v32 :: v_dual_lshlrev_b32 v32, 16, v70
	v_fmac_f32_e32 v47, v59, v32
.LBB671_24:                             ;   in Loop: Header=BB671_27 Depth=2
	s_or_b32 exec_lo, exec_lo, s45
	s_wait_loadcnt_dscnt 0x303
	v_lshlrev_b32_e32 v32, 16, v69
	s_wait_loadcnt_dscnt 0x202
	v_lshlrev_b32_e32 v33, 16, v68
	s_delay_alu instid0(VALU_DEP_2) | instskip(SKIP_2) | instid1(VALU_DEP_2)
	v_fmac_f32_e32 v46, v65, v32
	s_wait_loadcnt_dscnt 0x101
	v_lshlrev_b32_e32 v32, 16, v67
	v_fmac_f32_e32 v46, v61, v33
	s_delay_alu instid0(VALU_DEP_1) | instskip(SKIP_2) | instid1(VALU_DEP_1)
	v_fmac_f32_e32 v46, v63, v32
	s_wait_loadcnt_dscnt 0x0
	v_lshlrev_b32_e32 v32, 16, v66
	v_fmac_f32_e32 v46, v59, v32
.LBB671_25:                             ;   in Loop: Header=BB671_27 Depth=2
	s_or_b32 exec_lo, exec_lo, s44
	s_wait_loadcnt_dscnt 0x202
	v_lshlrev_b32_e32 v33, 16, v62
	v_lshlrev_b32_e32 v32, 16, v64
	s_delay_alu instid0(VALU_DEP_1) | instskip(SKIP_1) | instid1(VALU_DEP_1)
	v_fmac_f32_e32 v45, v65, v32
	s_wait_loadcnt_dscnt 0x101
	v_dual_fmac_f32 v45, v61, v33 :: v_dual_lshlrev_b32 v32, 16, v60
	s_wait_loadcnt_dscnt 0x0
	s_delay_alu instid0(VALU_DEP_1) | instskip(NEXT) | instid1(VALU_DEP_1)
	v_dual_fmac_f32 v45, v63, v32 :: v_dual_lshlrev_b32 v32, 16, v58
	v_fmac_f32_e32 v45, v59, v32
.LBB671_26:                             ;   in Loop: Header=BB671_27 Depth=2
	s_wait_alu 0xfffe
	s_or_b32 exec_lo, exec_lo, s7
	v_add_co_u32 v30, vcc_lo, v30, s30
	s_wait_alu 0xfffd
	v_add_co_ci_u32_e64 v31, null, s31, v31, vcc_lo
	v_add_co_u32 v50, vcc_lo, v50, s34
	v_add_nc_u32_e32 v49, 64, v49
	s_wait_alu 0xfffd
	v_add_co_ci_u32_e64 v51, null, s35, v51, vcc_lo
	v_add_co_u32 v52, vcc_lo, v52, s34
	s_wait_alu 0xfffd
	v_add_co_ci_u32_e64 v53, null, s35, v53, vcc_lo
	v_add_co_u32 v54, vcc_lo, v54, s34
	s_wait_alu 0xfffd
	v_add_co_ci_u32_e64 v55, null, s35, v55, vcc_lo
	v_cmp_le_i32_e32 vcc_lo, s39, v49
	v_add_co_u32 v56, s7, v56, s34
	s_wait_alu 0xf1ff
	v_add_co_ci_u32_e64 v57, null, s35, v57, s7
	s_or_b32 s43, vcc_lo, s43
	s_delay_alu instid0(SALU_CYCLE_1)
	s_and_not1_b32 exec_lo, exec_lo, s43
	s_cbranch_execz .LBB671_32
.LBB671_27:                             ;   Parent Loop BB671_4 Depth=1
                                        ; =>  This Inner Loop Header: Depth=2
	s_and_saveexec_b32 s7, s1
	s_cbranch_execz .LBB671_26
; %bb.28:                               ;   in Loop: Header=BB671_27 Depth=2
	v_add_co_u32 v32, vcc_lo, v30, v6
	s_wait_alu 0xfffd
	v_add_co_ci_u32_e64 v33, null, v31, v7, vcc_lo
	v_add_co_u32 v34, vcc_lo, v30, v20
	s_wait_alu 0xfffd
	v_add_co_ci_u32_e64 v35, null, v31, v21, vcc_lo
	;; [unrolled: 3-line block ×4, first 2 shown]
	s_clause 0x3
	flat_load_u16 v59, v[32:33]
	flat_load_u16 v61, v[34:35]
	;; [unrolled: 1-line block ×4, first 2 shown]
	v_add_co_u32 v32, vcc_lo, v52, v8
	s_wait_alu 0xfffd
	v_add_co_ci_u32_e64 v33, null, v53, v9, vcc_lo
	v_add_co_u32 v36, vcc_lo, v56, v8
	s_wait_alu 0xfffd
	v_add_co_ci_u32_e64 v37, null, v57, v9, vcc_lo
	;; [unrolled: 3-line block ×4, first 2 shown]
	flat_load_u16 v64, v[32:33]
	flat_load_u16 v62, v[36:37]
	;; [unrolled: 1-line block ×4, first 2 shown]
	s_wait_loadcnt_dscnt 0x707
	v_lshlrev_b32_e32 v65, 16, v59
	s_wait_loadcnt_dscnt 0x606
	v_lshlrev_b32_e32 v61, 16, v61
	;; [unrolled: 2-line block ×4, first 2 shown]
	s_and_saveexec_b32 s44, s2
	s_cbranch_execz .LBB671_25
; %bb.29:                               ;   in Loop: Header=BB671_27 Depth=2
	flat_load_u16 v69, v[32:33] offset:64
	flat_load_u16 v68, v[36:37] offset:64
	flat_load_u16 v67, v[34:35] offset:64
	flat_load_u16 v66, v[38:39] offset:64
	s_and_saveexec_b32 s45, s3
	s_cbranch_execz .LBB671_24
; %bb.30:                               ;   in Loop: Header=BB671_27 Depth=2
	flat_load_u16 v73, v[32:33] offset:128
	flat_load_u16 v72, v[36:37] offset:128
	flat_load_u16 v71, v[34:35] offset:128
	flat_load_u16 v70, v[38:39] offset:128
	;; [unrolled: 7-line block ×3, first 2 shown]
	s_wait_loadcnt_dscnt 0x303
	v_lshlrev_b32_e32 v32, 16, v32
	s_wait_loadcnt_dscnt 0x202
	s_delay_alu instid0(VALU_DEP_1) | instskip(SKIP_3) | instid1(VALU_DEP_2)
	v_dual_fmac_f32 v48, v65, v32 :: v_dual_lshlrev_b32 v33, 16, v33
	s_wait_loadcnt_dscnt 0x101
	v_lshlrev_b32_e32 v32, 16, v34
	s_wait_loadcnt_dscnt 0x0
	v_dual_fmac_f32 v48, v61, v33 :: v_dual_lshlrev_b32 v33, 16, v35
	s_delay_alu instid0(VALU_DEP_1) | instskip(NEXT) | instid1(VALU_DEP_1)
	v_fmac_f32_e32 v48, v63, v32
	v_fmac_f32_e32 v48, v59, v33
	s_branch .LBB671_23
.LBB671_32:                             ;   in Loop: Header=BB671_4 Depth=1
	s_or_b32 exec_lo, exec_lo, s43
.LBB671_33:                             ;   in Loop: Header=BB671_4 Depth=1
	s_delay_alu instid0(SALU_CYCLE_1) | instskip(NEXT) | instid1(SALU_CYCLE_1)
	s_or_b32 exec_lo, exec_lo, s42
	s_and_not1_b32 vcc_lo, exec_lo, s40
	s_wait_alu 0xfffe
	s_cbranch_vccnz .LBB671_51
; %bb.34:                               ;   in Loop: Header=BB671_4 Depth=1
	v_cmp_gt_i32_e32 vcc_lo, s21, v49
	v_dual_mov_b32 v35, 0 :: v_dual_mov_b32 v34, 0
	v_or_b32_e32 v30, 1, v49
	v_dual_mov_b32 v37, 0 :: v_dual_mov_b32 v36, 0
	s_and_saveexec_b32 s42, vcc_lo
	s_cbranch_execz .LBB671_42
; %bb.35:                               ;   in Loop: Header=BB671_4 Depth=1
	v_mad_co_u64_u32 v[31:32], null, s26, v49, 0
	v_dual_mov_b32 v36, 0 :: v_dual_mov_b32 v35, 0
	v_mov_b32_e32 v34, 0
	s_mov_b32 s43, exec_lo
	s_delay_alu instid0(VALU_DEP_3) | instskip(NEXT) | instid1(VALU_DEP_1)
	v_mad_co_u64_u32 v[32:33], null, s27, v49, v[32:33]
	v_lshlrev_b64_e32 v[31:32], 1, v[31:32]
	s_delay_alu instid0(VALU_DEP_1) | instskip(SKIP_1) | instid1(VALU_DEP_2)
	v_add_co_u32 v31, s7, v28, v31
	s_wait_alu 0xf1ff
	v_add_co_ci_u32_e64 v32, null, v29, v32, s7
	flat_load_u16 v31, v[31:32]
	v_cmpx_gt_i32_e64 s21, v30
	s_cbranch_execz .LBB671_41
; %bb.36:                               ;   in Loop: Header=BB671_4 Depth=1
	v_mad_co_u64_u32 v[32:33], null, s26, v30, 0
	s_mov_b32 s44, exec_lo
	v_mov_b32_e32 v35, 0
	v_mad_co_u64_u32 v[33:34], null, s27, v30, v[33:34]
	v_mov_b32_e32 v34, 0
	s_delay_alu instid0(VALU_DEP_2) | instskip(NEXT) | instid1(VALU_DEP_1)
	v_lshlrev_b64_e32 v[32:33], 1, v[32:33]
	v_add_co_u32 v32, s7, v28, v32
	s_wait_alu 0xf1ff
	s_delay_alu instid0(VALU_DEP_2) | instskip(SKIP_2) | instid1(VALU_DEP_1)
	v_add_co_ci_u32_e64 v33, null, v29, v33, s7
	flat_load_u16 v32, v[32:33]
	v_or_b32_e32 v33, 2, v49
	v_cmpx_gt_i32_e64 s21, v33
	s_cbranch_execz .LBB671_40
; %bb.37:                               ;   in Loop: Header=BB671_4 Depth=1
	v_mad_co_u64_u32 v[34:35], null, s26, v33, 0
	s_mov_b32 s45, exec_lo
	v_mad_co_u64_u32 v[35:36], null, s27, v33, v[35:36]
	s_delay_alu instid0(VALU_DEP_1) | instskip(SKIP_1) | instid1(VALU_DEP_2)
	v_lshlrev_b64_e32 v[33:34], 1, v[34:35]
	v_or_b32_e32 v35, 3, v49
	v_add_co_u32 v33, s7, v28, v33
	s_wait_alu 0xf1ff
	s_delay_alu instid0(VALU_DEP_3)
	v_add_co_ci_u32_e64 v34, null, v29, v34, s7
	flat_load_u16 v33, v[33:34]
	v_mov_b32_e32 v34, 0
	v_cmpx_gt_i32_e64 s21, v35
	s_cbranch_execz .LBB671_39
; %bb.38:                               ;   in Loop: Header=BB671_4 Depth=1
	v_mad_co_u64_u32 v[36:37], null, s26, v35, 0
	s_delay_alu instid0(VALU_DEP_1) | instskip(NEXT) | instid1(VALU_DEP_1)
	v_mov_b32_e32 v34, v37
	v_mad_co_u64_u32 v[34:35], null, s27, v35, v[34:35]
	s_delay_alu instid0(VALU_DEP_1) | instskip(NEXT) | instid1(VALU_DEP_1)
	v_mov_b32_e32 v37, v34
	v_lshlrev_b64_e32 v[34:35], 1, v[36:37]
	s_delay_alu instid0(VALU_DEP_1) | instskip(SKIP_1) | instid1(VALU_DEP_2)
	v_add_co_u32 v28, s7, v28, v34
	s_wait_alu 0xf1ff
	v_add_co_ci_u32_e64 v29, null, v29, v35, s7
	flat_load_u16 v28, v[28:29]
	s_wait_loadcnt_dscnt 0x0
	v_lshlrev_b32_e32 v34, 16, v28
.LBB671_39:                             ;   in Loop: Header=BB671_4 Depth=1
	s_or_b32 exec_lo, exec_lo, s45
	s_wait_loadcnt_dscnt 0x0
	v_lshlrev_b32_e32 v35, 16, v33
.LBB671_40:                             ;   in Loop: Header=BB671_4 Depth=1
	s_or_b32 exec_lo, exec_lo, s44
	s_wait_loadcnt_dscnt 0x0
	v_lshlrev_b32_e32 v36, 16, v32
.LBB671_41:                             ;   in Loop: Header=BB671_4 Depth=1
	s_or_b32 exec_lo, exec_lo, s43
	s_wait_loadcnt_dscnt 0x0
	v_lshlrev_b32_e32 v37, 16, v31
.LBB671_42:                             ;   in Loop: Header=BB671_4 Depth=1
	s_or_b32 exec_lo, exec_lo, s42
	s_and_saveexec_b32 s42, s1
	s_cbranch_execz .LBB671_50
; %bb.43:                               ;   in Loop: Header=BB671_4 Depth=1
	v_mad_co_u64_u32 v[28:29], null, s28, v49, 0
	v_or_b32_e32 v52, 2, v49
	v_mad_co_u64_u32 v[31:32], null, s28, v30, 0
	v_or_b32_e32 v53, 3, v49
	v_cmp_gt_i32_e64 s7, s21, v30
	s_delay_alu instid0(VALU_DEP_4) | instskip(SKIP_3) | instid1(VALU_DEP_4)
	v_mad_co_u64_u32 v[38:39], null, s28, v52, 0
	v_mad_co_u64_u32 v[49:50], null, s29, v49, v[29:30]
	;; [unrolled: 1-line block ×4, first 2 shown]
	v_mov_b32_e32 v30, v39
	s_delay_alu instid0(VALU_DEP_4)
	v_dual_cndmask_b32 v50, 0, v28 :: v_dual_cndmask_b32 v51, 0, v49
	s_wait_alu 0xf1ff
	v_cndmask_b32_e64 v28, 0, v31, s7
	v_cndmask_b32_e64 v29, 0, v29, s7
	v_mad_co_u64_u32 v[30:31], null, s29, v52, v[30:31]
	v_mov_b32_e32 v31, v33
	v_lshlrev_b64_e32 v[49:50], 1, v[50:51]
	v_cmp_gt_i32_e32 vcc_lo, s21, v52
	v_lshlrev_b64_e32 v[51:52], 1, v[28:29]
	s_wait_alu 0xfffd
	v_cndmask_b32_e32 v39, 0, v30, vcc_lo
	s_delay_alu instid0(VALU_DEP_4)
	v_add_co_u32 v28, s7, v26, v49
	s_wait_alu 0xf1ff
	v_add_co_ci_u32_e64 v29, null, v27, v50, s7
	v_mad_co_u64_u32 v[30:31], null, s29, v53, v[31:32]
	v_cndmask_b32_e32 v38, 0, v38, vcc_lo
	v_add_co_u32 v28, vcc_lo, v28, v8
	s_wait_alu 0xfffd
	v_add_co_ci_u32_e64 v29, null, v29, v9, vcc_lo
	v_cmp_gt_i32_e32 vcc_lo, s21, v53
	v_add_co_u32 v31, s7, v26, v51
	s_wait_alu 0xf1ff
	v_add_co_ci_u32_e64 v49, null, v27, v52, s7
	s_wait_alu 0xfffd
	v_dual_cndmask_b32 v32, 0, v32 :: v_dual_cndmask_b32 v33, 0, v30
	v_lshlrev_b64_e32 v[38:39], 1, v[38:39]
	v_add_co_u32 v30, vcc_lo, v31, v8
	s_wait_alu 0xfffd
	v_add_co_ci_u32_e64 v31, null, v49, v9, vcc_lo
	v_lshlrev_b64_e32 v[32:33], 1, v[32:33]
	s_delay_alu instid0(VALU_DEP_4) | instskip(SKIP_2) | instid1(VALU_DEP_3)
	v_add_co_u32 v38, vcc_lo, v26, v38
	s_wait_alu 0xfffd
	v_add_co_ci_u32_e64 v39, null, v27, v39, vcc_lo
	v_add_co_u32 v32, vcc_lo, v26, v32
	s_wait_alu 0xfffd
	v_add_co_ci_u32_e64 v33, null, v27, v33, vcc_lo
	v_add_co_u32 v26, vcc_lo, v38, v8
	s_wait_alu 0xfffd
	v_add_co_ci_u32_e64 v27, null, v39, v9, vcc_lo
	v_add_co_u32 v32, vcc_lo, v32, v8
	s_wait_alu 0xfffd
	v_add_co_ci_u32_e64 v33, null, v33, v9, vcc_lo
	s_clause 0x3
	flat_load_u16 v50, v[28:29]
	flat_load_u16 v49, v[30:31]
	;; [unrolled: 1-line block ×4, first 2 shown]
	s_and_saveexec_b32 s7, s2
	s_cbranch_execz .LBB671_49
; %bb.44:                               ;   in Loop: Header=BB671_4 Depth=1
	s_clause 0x3
	flat_load_u16 v54, v[28:29] offset:64
	flat_load_u16 v53, v[30:31] offset:64
	flat_load_u16 v52, v[26:27] offset:64
	flat_load_u16 v51, v[32:33] offset:64
	s_and_saveexec_b32 s43, s3
	s_cbranch_execz .LBB671_48
; %bb.45:                               ;   in Loop: Header=BB671_4 Depth=1
	s_clause 0x3
	flat_load_u16 v58, v[28:29] offset:128
	flat_load_u16 v57, v[30:31] offset:128
	flat_load_u16 v56, v[26:27] offset:128
	flat_load_u16 v55, v[32:33] offset:128
	;; [unrolled: 8-line block ×3, first 2 shown]
	s_wait_loadcnt_dscnt 0x303
	v_lshlrev_b32_e32 v28, 16, v28
	s_wait_loadcnt_dscnt 0x202
	v_lshlrev_b32_e32 v29, 16, v29
	;; [unrolled: 2-line block ×3, first 2 shown]
	s_wait_loadcnt_dscnt 0x0
	v_dual_fmac_f32 v48, v37, v28 :: v_dual_lshlrev_b32 v27, 16, v27
	s_delay_alu instid0(VALU_DEP_1) | instskip(NEXT) | instid1(VALU_DEP_1)
	v_fmac_f32_e32 v48, v36, v29
	v_fmac_f32_e32 v48, v35, v26
	s_delay_alu instid0(VALU_DEP_1)
	v_fmac_f32_e32 v48, v34, v27
.LBB671_47:                             ;   in Loop: Header=BB671_4 Depth=1
	s_or_b32 exec_lo, exec_lo, s44
	s_wait_loadcnt_dscnt 0x202
	v_lshlrev_b32_e32 v27, 16, v57
	v_lshlrev_b32_e32 v26, 16, v58
	s_wait_loadcnt_dscnt 0x101
	s_delay_alu instid0(VALU_DEP_1) | instskip(NEXT) | instid1(VALU_DEP_1)
	v_dual_fmac_f32 v47, v37, v26 :: v_dual_lshlrev_b32 v26, 16, v56
	v_fmac_f32_e32 v47, v36, v27
	s_wait_loadcnt_dscnt 0x0
	s_delay_alu instid0(VALU_DEP_1) | instskip(NEXT) | instid1(VALU_DEP_1)
	v_dual_fmac_f32 v47, v35, v26 :: v_dual_lshlrev_b32 v26, 16, v55
	v_fmac_f32_e32 v47, v34, v26
.LBB671_48:                             ;   in Loop: Header=BB671_4 Depth=1
	s_or_b32 exec_lo, exec_lo, s43
	s_wait_loadcnt_dscnt 0x303
	v_lshlrev_b32_e32 v26, 16, v54
	s_wait_loadcnt_dscnt 0x202
	s_delay_alu instid0(VALU_DEP_1) | instskip(SKIP_2) | instid1(VALU_DEP_2)
	v_dual_fmac_f32 v46, v37, v26 :: v_dual_lshlrev_b32 v27, 16, v53
	s_wait_loadcnt_dscnt 0x101
	v_lshlrev_b32_e32 v26, 16, v52
	v_fmac_f32_e32 v46, v36, v27
	s_delay_alu instid0(VALU_DEP_1) | instskip(SKIP_2) | instid1(VALU_DEP_1)
	v_fmac_f32_e32 v46, v35, v26
	s_wait_loadcnt_dscnt 0x0
	v_lshlrev_b32_e32 v26, 16, v51
	v_fmac_f32_e32 v46, v34, v26
.LBB671_49:                             ;   in Loop: Header=BB671_4 Depth=1
	s_wait_alu 0xfffe
	s_or_b32 exec_lo, exec_lo, s7
	s_wait_loadcnt_dscnt 0x202
	v_lshlrev_b32_e32 v27, 16, v49
	v_lshlrev_b32_e32 v26, 16, v50
	s_wait_loadcnt_dscnt 0x101
	s_delay_alu instid0(VALU_DEP_1) | instskip(NEXT) | instid1(VALU_DEP_1)
	v_dual_fmac_f32 v45, v37, v26 :: v_dual_lshlrev_b32 v26, 16, v39
	v_fmac_f32_e32 v45, v36, v27
	s_delay_alu instid0(VALU_DEP_1) | instskip(SKIP_2) | instid1(VALU_DEP_1)
	v_fmac_f32_e32 v45, v35, v26
	s_wait_loadcnt_dscnt 0x0
	v_lshlrev_b32_e32 v26, 16, v38
	v_fmac_f32_e32 v45, v34, v26
.LBB671_50:                             ;   in Loop: Header=BB671_4 Depth=1
	s_or_b32 exec_lo, exec_lo, s42
.LBB671_51:                             ;   in Loop: Header=BB671_4 Depth=1
	ds_store_2addr_b32 v41, v45, v46 offset1:32
	ds_store_2addr_b32 v41, v47, v48 offset0:64 offset1:96
	s_wait_dscnt 0x0
	s_barrier_signal -1
	s_barrier_wait -1
	global_inv scope:SCOPE_SE
                                        ; implicit-def: $vgpr30
	s_and_saveexec_b32 s7, s0
	s_cbranch_execz .LBB671_57
; %bb.52:                               ;   in Loop: Header=BB671_4 Depth=1
	ds_load_2addr_stride64_b32 v[26:27], v0 offset1:2
	ds_load_2addr_stride64_b32 v[28:29], v0 offset0:4 offset1:6
	ds_load_2addr_stride64_b32 v[30:31], v0 offset0:8 offset1:10
	s_mov_b32 s43, s41
	s_wait_dscnt 0x2
	v_add_f32_e32 v32, v26, v27
	ds_load_2addr_stride64_b32 v[26:27], v0 offset0:12 offset1:14
	s_wait_dscnt 0x2
	v_add_f32_e32 v28, v28, v32
	s_delay_alu instid0(VALU_DEP_1) | instskip(SKIP_3) | instid1(VALU_DEP_1)
	v_add_f32_e32 v32, v29, v28
	ds_load_2addr_stride64_b32 v[28:29], v0 offset0:16 offset1:18
	s_wait_dscnt 0x2
	v_add_f32_e32 v30, v30, v32
	v_add_f32_e32 v32, v31, v30
	ds_load_2addr_stride64_b32 v[30:31], v0 offset0:20 offset1:22
	s_wait_dscnt 0x2
	v_add_f32_e32 v26, v26, v32
	s_delay_alu instid0(VALU_DEP_1) | instskip(SKIP_1) | instid1(VALU_DEP_1)
	v_add_f32_e32 v26, v27, v26
	s_wait_dscnt 0x1
	v_add_f32_e32 v28, v28, v26
	ds_load_2addr_stride64_b32 v[26:27], v0 offset0:24 offset1:26
	v_add_f32_e32 v28, v29, v28
	s_wait_dscnt 0x1
	s_delay_alu instid0(VALU_DEP_1) | instskip(SKIP_3) | instid1(VALU_DEP_1)
	v_add_f32_e32 v30, v30, v28
	ds_load_2addr_stride64_b32 v[28:29], v0 offset0:28 offset1:30
	v_add_f32_e32 v30, v31, v30
	s_wait_dscnt 0x1
	v_add_f32_e32 v26, v26, v30
                                        ; implicit-def: $vgpr30
	s_delay_alu instid0(VALU_DEP_1) | instskip(SKIP_1) | instid1(VALU_DEP_1)
	v_add_f32_e32 v26, v27, v26
	s_wait_dscnt 0x0
	v_add_f32_e32 v26, v28, v26
	s_delay_alu instid0(VALU_DEP_1)
	v_add_f32_e32 v26, v29, v26
	ds_store_b32 v0, v26
	s_and_saveexec_b32 s42, s6
	s_cbranch_execz .LBB671_56
; %bb.53:                               ;   in Loop: Header=BB671_4 Depth=1
	v_mul_f32_e32 v30, s22, v26
	s_and_not1_b32 vcc_lo, exec_lo, s38
	s_wait_alu 0xfffe
	s_cbranch_vccnz .LBB671_55
; %bb.54:                               ;   in Loop: Header=BB671_4 Depth=1
	v_lshlrev_b64_e32 v[26:27], 2, v[4:5]
	s_delay_alu instid0(VALU_DEP_1) | instskip(SKIP_1) | instid1(VALU_DEP_2)
	v_add_co_u32 v26, vcc_lo, v43, v26
	s_wait_alu 0xfffd
	v_add_co_ci_u32_e64 v27, null, v44, v27, vcc_lo
	flat_load_b32 v26, v[26:27]
	s_wait_loadcnt_dscnt 0x0
	v_fmac_f32_e32 v30, s33, v26
.LBB671_55:                             ;   in Loop: Header=BB671_4 Depth=1
	s_or_b32 s43, s41, exec_lo
.LBB671_56:                             ;   in Loop: Header=BB671_4 Depth=1
	s_or_b32 exec_lo, exec_lo, s42
	s_delay_alu instid0(SALU_CYCLE_1) | instskip(SKIP_1) | instid1(SALU_CYCLE_1)
	s_and_not1_b32 s41, s41, exec_lo
	s_and_b32 s42, s43, exec_lo
	s_or_b32 s41, s41, s42
.LBB671_57:                             ;   in Loop: Header=BB671_4 Depth=1
	s_wait_alu 0xfffe
	s_or_b32 exec_lo, exec_lo, s7
	v_dual_mov_b32 v27, v5 :: v_dual_mov_b32 v26, v4
	s_and_saveexec_b32 s7, s41
	s_cbranch_execz .LBB671_2
.LBB671_58:                             ;   in Loop: Header=BB671_4 Depth=1
	s_delay_alu instid0(VALU_DEP_1) | instskip(NEXT) | instid1(VALU_DEP_1)
	v_lshlrev_b64_e32 v[26:27], 2, v[26:27]
	v_add_co_u32 v26, vcc_lo, v43, v26
	s_wait_alu 0xfffd
	s_delay_alu instid0(VALU_DEP_2)
	v_add_co_ci_u32_e64 v27, null, v44, v27, vcc_lo
	flat_store_b32 v[26:27], v30
	s_branch .LBB671_2
.LBB671_59:
	s_endpgm
	.section	.rodata,"a",@progbits
	.p2align	6, 0x0
	.amdhsa_kernel _ZL20rocblas_gemvn_kernelILi32ELi16ElPK16rocblas_bfloat16fKPfEviiT3_lPKT2_lT1_lS8_lS9_lS5_lPT4_lS9_li
		.amdhsa_group_segment_fixed_size 8192
		.amdhsa_private_segment_fixed_size 0
		.amdhsa_kernarg_size 400
		.amdhsa_user_sgpr_count 2
		.amdhsa_user_sgpr_dispatch_ptr 0
		.amdhsa_user_sgpr_queue_ptr 0
		.amdhsa_user_sgpr_kernarg_segment_ptr 1
		.amdhsa_user_sgpr_dispatch_id 0
		.amdhsa_user_sgpr_private_segment_size 0
		.amdhsa_wavefront_size32 1
		.amdhsa_uses_dynamic_stack 0
		.amdhsa_enable_private_segment 0
		.amdhsa_system_sgpr_workgroup_id_x 1
		.amdhsa_system_sgpr_workgroup_id_y 0
		.amdhsa_system_sgpr_workgroup_id_z 1
		.amdhsa_system_sgpr_workgroup_info 0
		.amdhsa_system_vgpr_workitem_id 1
		.amdhsa_next_free_vgpr 74
		.amdhsa_next_free_sgpr 47
		.amdhsa_reserve_vcc 1
		.amdhsa_float_round_mode_32 0
		.amdhsa_float_round_mode_16_64 0
		.amdhsa_float_denorm_mode_32 3
		.amdhsa_float_denorm_mode_16_64 3
		.amdhsa_fp16_overflow 0
		.amdhsa_workgroup_processor_mode 1
		.amdhsa_memory_ordered 1
		.amdhsa_forward_progress 1
		.amdhsa_inst_pref_size 30
		.amdhsa_round_robin_scheduling 0
		.amdhsa_exception_fp_ieee_invalid_op 0
		.amdhsa_exception_fp_denorm_src 0
		.amdhsa_exception_fp_ieee_div_zero 0
		.amdhsa_exception_fp_ieee_overflow 0
		.amdhsa_exception_fp_ieee_underflow 0
		.amdhsa_exception_fp_ieee_inexact 0
		.amdhsa_exception_int_div_zero 0
	.end_amdhsa_kernel
	.section	.text._ZL20rocblas_gemvn_kernelILi32ELi16ElPK16rocblas_bfloat16fKPfEviiT3_lPKT2_lT1_lS8_lS9_lS5_lPT4_lS9_li,"axG",@progbits,_ZL20rocblas_gemvn_kernelILi32ELi16ElPK16rocblas_bfloat16fKPfEviiT3_lPKT2_lT1_lS8_lS9_lS5_lPT4_lS9_li,comdat
.Lfunc_end671:
	.size	_ZL20rocblas_gemvn_kernelILi32ELi16ElPK16rocblas_bfloat16fKPfEviiT3_lPKT2_lT1_lS8_lS9_lS5_lPT4_lS9_li, .Lfunc_end671-_ZL20rocblas_gemvn_kernelILi32ELi16ElPK16rocblas_bfloat16fKPfEviiT3_lPKT2_lT1_lS8_lS9_lS5_lPT4_lS9_li
                                        ; -- End function
	.set _ZL20rocblas_gemvn_kernelILi32ELi16ElPK16rocblas_bfloat16fKPfEviiT3_lPKT2_lT1_lS8_lS9_lS5_lPT4_lS9_li.num_vgpr, 74
	.set _ZL20rocblas_gemvn_kernelILi32ELi16ElPK16rocblas_bfloat16fKPfEviiT3_lPKT2_lT1_lS8_lS9_lS5_lPT4_lS9_li.num_agpr, 0
	.set _ZL20rocblas_gemvn_kernelILi32ELi16ElPK16rocblas_bfloat16fKPfEviiT3_lPKT2_lT1_lS8_lS9_lS5_lPT4_lS9_li.numbered_sgpr, 47
	.set _ZL20rocblas_gemvn_kernelILi32ELi16ElPK16rocblas_bfloat16fKPfEviiT3_lPKT2_lT1_lS8_lS9_lS5_lPT4_lS9_li.num_named_barrier, 0
	.set _ZL20rocblas_gemvn_kernelILi32ELi16ElPK16rocblas_bfloat16fKPfEviiT3_lPKT2_lT1_lS8_lS9_lS5_lPT4_lS9_li.private_seg_size, 0
	.set _ZL20rocblas_gemvn_kernelILi32ELi16ElPK16rocblas_bfloat16fKPfEviiT3_lPKT2_lT1_lS8_lS9_lS5_lPT4_lS9_li.uses_vcc, 1
	.set _ZL20rocblas_gemvn_kernelILi32ELi16ElPK16rocblas_bfloat16fKPfEviiT3_lPKT2_lT1_lS8_lS9_lS5_lPT4_lS9_li.uses_flat_scratch, 1
	.set _ZL20rocblas_gemvn_kernelILi32ELi16ElPK16rocblas_bfloat16fKPfEviiT3_lPKT2_lT1_lS8_lS9_lS5_lPT4_lS9_li.has_dyn_sized_stack, 0
	.set _ZL20rocblas_gemvn_kernelILi32ELi16ElPK16rocblas_bfloat16fKPfEviiT3_lPKT2_lT1_lS8_lS9_lS5_lPT4_lS9_li.has_recursion, 0
	.set _ZL20rocblas_gemvn_kernelILi32ELi16ElPK16rocblas_bfloat16fKPfEviiT3_lPKT2_lT1_lS8_lS9_lS5_lPT4_lS9_li.has_indirect_call, 0
	.section	.AMDGPU.csdata,"",@progbits
; Kernel info:
; codeLenInByte = 3804
; TotalNumSgprs: 49
; NumVgprs: 74
; ScratchSize: 0
; MemoryBound: 0
; FloatMode: 240
; IeeeMode: 1
; LDSByteSize: 8192 bytes/workgroup (compile time only)
; SGPRBlocks: 0
; VGPRBlocks: 9
; NumSGPRsForWavesPerEU: 49
; NumVGPRsForWavesPerEU: 74
; Occupancy: 16
; WaveLimiterHint : 1
; COMPUTE_PGM_RSRC2:SCRATCH_EN: 0
; COMPUTE_PGM_RSRC2:USER_SGPR: 2
; COMPUTE_PGM_RSRC2:TRAP_HANDLER: 0
; COMPUTE_PGM_RSRC2:TGID_X_EN: 1
; COMPUTE_PGM_RSRC2:TGID_Y_EN: 0
; COMPUTE_PGM_RSRC2:TGID_Z_EN: 1
; COMPUTE_PGM_RSRC2:TIDIG_COMP_CNT: 1
	.section	.text._ZL20rocblas_gemvn_kernelILi64ELi16EiPK16rocblas_bfloat16PKfKPfEviiT3_lPKT2_lT1_lSA_lSB_lS7_lPT4_lSB_li,"axG",@progbits,_ZL20rocblas_gemvn_kernelILi64ELi16EiPK16rocblas_bfloat16PKfKPfEviiT3_lPKT2_lT1_lSA_lSB_lS7_lPT4_lSB_li,comdat
	.globl	_ZL20rocblas_gemvn_kernelILi64ELi16EiPK16rocblas_bfloat16PKfKPfEviiT3_lPKT2_lT1_lSA_lSB_lS7_lPT4_lSB_li ; -- Begin function _ZL20rocblas_gemvn_kernelILi64ELi16EiPK16rocblas_bfloat16PKfKPfEviiT3_lPKT2_lT1_lSA_lSB_lS7_lPT4_lSB_li
	.p2align	8
	.type	_ZL20rocblas_gemvn_kernelILi64ELi16EiPK16rocblas_bfloat16PKfKPfEviiT3_lPKT2_lT1_lSA_lSB_lS7_lPT4_lSB_li,@function
_ZL20rocblas_gemvn_kernelILi64ELi16EiPK16rocblas_bfloat16PKfKPfEviiT3_lPKT2_lT1_lSA_lSB_lS7_lPT4_lSB_li: ; @_ZL20rocblas_gemvn_kernelILi64ELi16EiPK16rocblas_bfloat16PKfKPfEviiT3_lPKT2_lT1_lSA_lSB_lS7_lPT4_lSB_li
; %bb.0:
	s_clause 0x1
	s_load_b64 s[2:3], s[0:1], 0x9c
	s_load_b32 s33, s[0:1], 0x88
	s_lshr_b32 s10, ttmp7, 16
	s_wait_kmcnt 0x0
	s_lshr_b32 s4, s2, 16
	s_and_b32 s2, s2, 0xffff
	s_and_b32 s3, s3, 0xffff
	s_mul_i32 s2, s4, s2
	s_delay_alu instid0(SALU_CYCLE_1) | instskip(NEXT) | instid1(SALU_CYCLE_1)
	s_mul_i32 s2, s2, s3
	s_cmp_lg_u32 s2, 0x400
	s_cselect_b32 s2, -1, 0
	s_cmp_ge_u32 s10, s33
	s_cselect_b32 s3, -1, 0
	s_delay_alu instid0(SALU_CYCLE_1) | instskip(NEXT) | instid1(SALU_CYCLE_1)
	s_or_b32 s2, s2, s3
	s_and_b32 vcc_lo, exec_lo, s2
	s_cbranch_vccnz .LBB672_56
; %bb.1:
	s_clause 0x2
	s_load_b32 s6, s[0:1], 0x78
	s_load_b64 s[8:9], s[0:1], 0x0
	s_load_b256 s[12:19], s[0:1], 0x8
	v_and_b32_e32 v9, 0x3ff, v0
	v_bfe_u32 v8, v0, 10, 10
	s_clause 0x3
	s_load_b32 s35, s[0:1], 0x28
	s_load_b128 s[28:31], s[0:1], 0x38
	s_load_b32 s34, s[0:1], 0x48
	s_load_b256 s[20:27], s[0:1], 0x58
	s_lshl_b32 s36, ttmp9, 8
	v_mov_b32_e32 v1, 0
	v_add_nc_u32_e32 v23, s36, v9
	v_lshl_add_u32 v5, v8, 6, v9
	v_lshlrev_b32_e32 v24, 2, v8
	v_lshlrev_b32_e32 v6, 2, v9
	s_mov_b32 s11, 0
	v_add_nc_u32_e32 v7, 0x80, v23
	v_add_nc_u32_e32 v0, s36, v5
	;; [unrolled: 1-line block ×3, first 2 shown]
	v_or_b32_e32 v11, s36, v5
	v_add_nc_u32_e32 v10, 0xc0, v23
	v_or_b32_e32 v12, 3, v24
	v_lshl_add_u32 v25, v8, 8, v6
	s_wait_kmcnt 0x0
	v_mad_co_u64_u32 v[2:3], null, s6, v0, 0
	s_ashr_i32 s3, s6, 31
	v_cmp_gt_i32_e64 s2, s8, v7
	v_mul_lo_u32 v7, s35, v24
	s_ashr_i32 s7, s9, 31
	v_cmp_gt_i32_e64 s1, s8, v4
	s_wait_alu 0xfffe
	s_lshr_b32 s7, s7, 26
	v_mad_co_u64_u32 v[3:4], null, s3, v0, v[3:4]
	v_mul_lo_u32 v4, s6, v11
	v_cmp_gt_i32_e64 s6, s8, v11
	v_mul_lo_u32 v11, v8, s35
	v_cmp_gt_i32_e64 s3, s8, v10
	v_or_b32_e32 v10, 2, v24
	s_wait_alu 0xfffe
	s_add_co_i32 s37, s9, s7
	v_mul_lo_u32 v13, v8, s34
	s_ashr_i32 s5, s8, 31
	s_mov_b32 s4, s8
	s_wait_alu 0xfffe
	s_and_not1_b32 s37, s37, 63
	v_cmp_gt_i64_e32 vcc_lo, s[4:5], v[0:1]
	v_lshl_add_u32 v0, v8, 10, v6
	v_add3_u32 v26, v7, s35, v9
	v_mad_co_u64_u32 v[6:7], null, s35, v10, v[9:10]
	s_wait_alu 0xfffe
	s_sub_co_i32 s5, s9, s37
	v_mad_co_u64_u32 v[7:8], null, s35, v12, v[9:10]
	v_lshl_add_u32 v27, v11, 2, v9
	v_mad_co_u64_u32 v[8:9], null, s34, v24, s[34:35]
	v_mul_lo_u32 v28, s34, v10
	v_mul_lo_u32 v29, s34, v12
	s_wait_alu 0xfffe
	s_cmp_gt_i32 s5, 0
	v_cmp_gt_u32_e64 s5, 0x100, v5
	v_lshlrev_b64_e32 v[9:10], 2, v[2:3]
	v_cmp_gt_i32_e64 s0, s8, v23
	v_cmp_gt_i32_e64 s4, s37, v24
	v_ashrrev_i32_e32 v5, 31, v4
	v_lshlrev_b32_e32 v30, 2, v13
	s_cselect_b32 s38, -1, 0
	s_and_b32 s39, s5, vcc_lo
	s_lshl_b32 s40, s35, 6
	s_lshl_b32 s41, s34, 6
	s_lshl_b64 s[18:19], s[18:19], 1
	s_lshl_b64 s[30:31], s[30:31], 1
	;; [unrolled: 1-line block ×3, first 2 shown]
	s_branch .LBB672_4
.LBB672_2:                              ;   in Loop: Header=BB672_4 Depth=1
	s_wait_alu 0xfffe
	s_or_b32 exec_lo, exec_lo, s7
.LBB672_3:                              ;   in Loop: Header=BB672_4 Depth=1
	s_add_co_i32 s10, s10, 0x10000
	s_delay_alu instid0(SALU_CYCLE_1)
	s_cmp_lt_u32 s10, s33
	s_cbranch_scc0 .LBB672_56
.LBB672_4:                              ; =>This Loop Header: Depth=1
                                        ;     Child Loop BB672_24 Depth 2
	s_mul_u64 s[42:43], s[14:15], s[10:11]
	s_mul_u64 s[44:45], s[22:23], s[10:11]
	s_wait_alu 0xfffe
	s_lshl_b64 s[42:43], s[42:43], 2
	s_lshl_b64 s[44:45], s[44:45], 2
	s_wait_alu 0xfffe
	s_add_nc_u64 s[42:43], s[12:13], s[42:43]
	s_add_nc_u64 s[44:45], s[20:21], s[44:45]
	s_clause 0x1
	global_load_b32 v31, v1, s[42:43]
	global_load_b32 v11, v1, s[44:45]
	s_wait_loadcnt 0x1
	v_cmp_eq_f32_e64 s7, 0, v31
	s_wait_loadcnt 0x0
	v_cmp_eq_f32_e32 vcc_lo, 1.0, v11
	v_readfirstlane_b32 s42, v11
	s_and_b32 s8, s7, vcc_lo
	s_wait_alu 0xfffe
	s_and_b32 vcc_lo, exec_lo, s8
	s_wait_alu 0xfffe
	s_cbranch_vccnz .LBB672_3
; %bb.5:                                ;   in Loop: Header=BB672_4 Depth=1
	v_mov_b32_e32 v13, 0
	v_dual_mov_b32 v14, 0 :: v_dual_mov_b32 v11, 0
	v_cmp_neq_f32_e64 s8, 0, v31
	v_mov_b32_e32 v12, 0
	s_and_b32 vcc_lo, exec_lo, s7
	s_wait_alu 0xfffe
	s_cbranch_vccnz .LBB672_7
; %bb.6:                                ;   in Loop: Header=BB672_4 Depth=1
	s_lshl_b64 s[44:45], s[10:11], 3
	s_wait_alu 0xfffe
	s_add_nc_u64 s[44:45], s[16:17], s[44:45]
	global_load_b64 v[11:12], v1, s[44:45]
	s_wait_loadcnt 0x0
	v_add_co_u32 v11, vcc_lo, v11, s18
	s_wait_alu 0xfffd
	v_add_co_ci_u32_e64 v12, null, s19, v12, vcc_lo
.LBB672_7:                              ;   in Loop: Header=BB672_4 Depth=1
	s_and_not1_b32 vcc_lo, exec_lo, s8
	s_wait_alu 0xfffe
	s_cbranch_vccnz .LBB672_9
; %bb.8:                                ;   in Loop: Header=BB672_4 Depth=1
	s_lshl_b64 s[44:45], s[10:11], 3
	s_wait_alu 0xfffe
	s_add_nc_u64 s[44:45], s[28:29], s[44:45]
	global_load_b64 v[13:14], v1, s[44:45]
	s_wait_loadcnt 0x0
	v_add_co_u32 v13, vcc_lo, v13, s30
	s_wait_alu 0xfffd
	v_add_co_ci_u32_e64 v14, null, s31, v14, vcc_lo
.LBB672_9:                              ;   in Loop: Header=BB672_4 Depth=1
	s_lshl_b64 s[44:45], s[10:11], 3
	s_wait_alu 0xfffe
	s_add_nc_u64 s[44:45], s[24:25], s[44:45]
	global_load_b64 v[15:16], v1, s[44:45]
	s_wait_loadcnt 0x0
	v_add_co_u32 v32, vcc_lo, v15, s26
	s_wait_alu 0xfffd
	v_add_co_ci_u32_e64 v33, null, s27, v16, vcc_lo
	s_and_not1_b32 vcc_lo, exec_lo, s7
	s_wait_alu 0xfffe
	s_cbranch_vccnz .LBB672_13
; %bb.10:                               ;   in Loop: Header=BB672_4 Depth=1
	s_mov_b32 s7, 0
	s_mov_b32 s8, 0
                                        ; implicit-def: $vgpr15
	s_and_saveexec_b32 s43, s39
	s_cbranch_execz .LBB672_14
; %bb.11:                               ;   in Loop: Header=BB672_4 Depth=1
	s_cmp_eq_f32 s42, 0
	s_cbranch_scc1 .LBB672_16
; %bb.12:                               ;   in Loop: Header=BB672_4 Depth=1
	v_add_co_u32 v15, vcc_lo, v32, v9
	s_wait_alu 0xfffd
	v_add_co_ci_u32_e64 v16, null, v33, v10, vcc_lo
	flat_load_b32 v15, v[15:16]
	s_wait_loadcnt_dscnt 0x0
	v_mul_f32_e32 v15, s42, v15
	s_branch .LBB672_17
.LBB672_13:                             ;   in Loop: Header=BB672_4 Depth=1
	s_mov_b32 s8, 0
                                        ; implicit-def: $vgpr15
	s_cbranch_execz .LBB672_15
	s_branch .LBB672_18
.LBB672_14:                             ;   in Loop: Header=BB672_4 Depth=1
	s_wait_alu 0xfffe
	s_or_b32 exec_lo, exec_lo, s43
	s_delay_alu instid0(SALU_CYCLE_1)
	s_and_b32 vcc_lo, exec_lo, s7
	s_wait_alu 0xfffe
	s_cbranch_vccnz .LBB672_18
.LBB672_15:                             ;   in Loop: Header=BB672_4 Depth=1
	v_dual_mov_b32 v12, v3 :: v_dual_mov_b32 v11, v2
	s_wait_alu 0xfffe
	s_and_saveexec_b32 s7, s8
	s_cbranch_execz .LBB672_2
	s_branch .LBB672_55
.LBB672_16:                             ;   in Loop: Header=BB672_4 Depth=1
	v_mov_b32_e32 v15, 0
.LBB672_17:                             ;   in Loop: Header=BB672_4 Depth=1
	s_mov_b32 s8, exec_lo
	s_wait_alu 0xfffe
	s_or_b32 exec_lo, exec_lo, s43
	s_delay_alu instid0(SALU_CYCLE_1)
	s_and_b32 vcc_lo, exec_lo, s7
	s_wait_alu 0xfffe
	s_cbranch_vccz .LBB672_15
.LBB672_18:                             ;   in Loop: Header=BB672_4 Depth=1
	v_dual_mov_b32 v34, 0 :: v_dual_mov_b32 v35, 0
	v_dual_mov_b32 v38, v24 :: v_dual_mov_b32 v37, 0
	v_mov_b32_e32 v36, 0
	s_and_saveexec_b32 s7, s4
	s_cbranch_execz .LBB672_30
; %bb.19:                               ;   in Loop: Header=BB672_4 Depth=1
	v_dual_mov_b32 v34, 0 :: v_dual_mov_b32 v39, v27
	v_dual_mov_b32 v40, v7 :: v_dual_mov_b32 v41, v6
	;; [unrolled: 1-line block ×4, first 2 shown]
	v_mov_b32_e32 v36, 0
	s_mov_b32 s43, 0
	s_mov_b32 s44, 0
	s_branch .LBB672_24
.LBB672_20:                             ;   in Loop: Header=BB672_24 Depth=2
	s_or_b32 exec_lo, exec_lo, s48
	s_wait_loadcnt_dscnt 0x202
	v_lshlrev_b32_e32 v16, 16, v57
	v_lshlrev_b32_e32 v15, 16, v58
	s_wait_loadcnt_dscnt 0x101
	s_delay_alu instid0(VALU_DEP_1) | instskip(NEXT) | instid1(VALU_DEP_1)
	v_dual_fmac_f32 v36, v50, v15 :: v_dual_lshlrev_b32 v15, 16, v56
	v_fmac_f32_e32 v36, v46, v16
	s_delay_alu instid0(VALU_DEP_1) | instskip(SKIP_2) | instid1(VALU_DEP_1)
	v_fmac_f32_e32 v36, v48, v15
	s_wait_loadcnt_dscnt 0x0
	v_lshlrev_b32_e32 v15, 16, v55
	v_fmac_f32_e32 v36, v44, v15
.LBB672_21:                             ;   in Loop: Header=BB672_24 Depth=2
	s_or_b32 exec_lo, exec_lo, s47
	s_wait_loadcnt_dscnt 0x303
	v_lshlrev_b32_e32 v15, 16, v54
	s_wait_loadcnt_dscnt 0x202
	s_delay_alu instid0(VALU_DEP_1) | instskip(SKIP_2) | instid1(VALU_DEP_2)
	v_dual_fmac_f32 v35, v50, v15 :: v_dual_lshlrev_b32 v16, 16, v53
	s_wait_loadcnt_dscnt 0x101
	v_lshlrev_b32_e32 v15, 16, v52
	v_fmac_f32_e32 v35, v46, v16
	s_delay_alu instid0(VALU_DEP_1) | instskip(SKIP_2) | instid1(VALU_DEP_1)
	v_fmac_f32_e32 v35, v48, v15
	s_wait_loadcnt_dscnt 0x0
	v_lshlrev_b32_e32 v15, 16, v51
	v_fmac_f32_e32 v35, v44, v15
.LBB672_22:                             ;   in Loop: Header=BB672_24 Depth=2
	s_or_b32 exec_lo, exec_lo, s46
	s_wait_loadcnt_dscnt 0x202
	v_lshlrev_b32_e32 v16, 16, v47
	v_lshlrev_b32_e32 v15, 16, v49
	s_wait_loadcnt_dscnt 0x101
	s_delay_alu instid0(VALU_DEP_1) | instskip(NEXT) | instid1(VALU_DEP_1)
	v_dual_fmac_f32 v34, v50, v15 :: v_dual_lshlrev_b32 v15, 16, v45
	v_fmac_f32_e32 v34, v46, v16
	s_delay_alu instid0(VALU_DEP_1) | instskip(SKIP_2) | instid1(VALU_DEP_1)
	v_fmac_f32_e32 v34, v48, v15
	s_wait_loadcnt_dscnt 0x0
	v_lshlrev_b32_e32 v15, 16, v43
	v_fmac_f32_e32 v34, v44, v15
.LBB672_23:                             ;   in Loop: Header=BB672_24 Depth=2
	s_wait_alu 0xfffe
	s_or_b32 exec_lo, exec_lo, s45
	v_add_nc_u32_e32 v38, 64, v38
	v_add_nc_u32_e32 v42, s40, v42
	v_add_nc_u32_e32 v41, s40, v41
	v_add_nc_u32_e32 v40, s40, v40
	v_add_nc_u32_e32 v39, s40, v39
	v_cmp_le_i32_e32 vcc_lo, s37, v38
	s_add_co_i32 s44, s44, s41
	s_or_b32 s43, vcc_lo, s43
	s_wait_alu 0xfffe
	s_and_not1_b32 exec_lo, exec_lo, s43
	s_cbranch_execz .LBB672_29
.LBB672_24:                             ;   Parent Loop BB672_4 Depth=1
                                        ; =>  This Inner Loop Header: Depth=2
	s_and_saveexec_b32 s45, s0
	s_cbranch_execz .LBB672_23
; %bb.25:                               ;   in Loop: Header=BB672_24 Depth=2
	s_wait_alu 0xfffe
	v_add_nc_u32_e32 v15, s44, v30
	v_add_nc_u32_e32 v17, s44, v8
	;; [unrolled: 1-line block ×5, first 2 shown]
	v_ashrrev_i32_e32 v16, 31, v15
	v_ashrrev_i32_e32 v18, 31, v17
	;; [unrolled: 1-line block ×5, first 2 shown]
	v_lshlrev_b64_e32 v[15:16], 1, v[15:16]
	v_lshlrev_b64_e32 v[17:18], 1, v[17:18]
	;; [unrolled: 1-line block ×4, first 2 shown]
	v_add_nc_u32_e32 v45, s36, v42
	v_add_nc_u32_e32 v47, s36, v41
	v_add_co_u32 v15, vcc_lo, v13, v15
	s_wait_alu 0xfffd
	v_add_co_ci_u32_e64 v16, null, v14, v16, vcc_lo
	v_add_co_u32 v17, vcc_lo, v13, v17
	s_wait_alu 0xfffd
	v_add_co_ci_u32_e64 v18, null, v14, v18, vcc_lo
	;; [unrolled: 3-line block ×4, first 2 shown]
	v_lshlrev_b64_e32 v[43:44], 1, v[43:44]
	s_clause 0x3
	flat_load_u16 v50, v[15:16]
	flat_load_u16 v51, v[17:18]
	;; [unrolled: 1-line block ×4, first 2 shown]
	v_add_nc_u32_e32 v19, s36, v40
	v_ashrrev_i32_e32 v46, 31, v45
	v_ashrrev_i32_e32 v48, 31, v47
	v_add_co_u32 v15, vcc_lo, v11, v43
	s_delay_alu instid0(VALU_DEP_4) | instskip(NEXT) | instid1(VALU_DEP_4)
	v_ashrrev_i32_e32 v20, 31, v19
	v_lshlrev_b64_e32 v[17:18], 1, v[45:46]
	s_wait_alu 0xfffd
	v_add_co_ci_u32_e64 v16, null, v12, v44, vcc_lo
	v_lshlrev_b64_e32 v[43:44], 1, v[47:48]
	v_lshlrev_b64_e32 v[19:20], 1, v[19:20]
	s_delay_alu instid0(VALU_DEP_4) | instskip(SKIP_2) | instid1(VALU_DEP_4)
	v_add_co_u32 v21, vcc_lo, v11, v17
	s_wait_alu 0xfffd
	v_add_co_ci_u32_e64 v22, null, v12, v18, vcc_lo
	v_add_co_u32 v17, vcc_lo, v11, v43
	s_wait_alu 0xfffd
	v_add_co_ci_u32_e64 v18, null, v12, v44, vcc_lo
	;; [unrolled: 3-line block ×3, first 2 shown]
	s_clause 0x3
	flat_load_u16 v49, v[15:16]
	flat_load_u16 v47, v[21:22]
	;; [unrolled: 1-line block ×4, first 2 shown]
	s_wait_loadcnt_dscnt 0x707
	v_lshlrev_b32_e32 v50, 16, v50
	s_wait_loadcnt_dscnt 0x606
	v_lshlrev_b32_e32 v46, 16, v51
	;; [unrolled: 2-line block ×4, first 2 shown]
	s_and_saveexec_b32 s46, s1
	s_cbranch_execz .LBB672_22
; %bb.26:                               ;   in Loop: Header=BB672_24 Depth=2
	s_clause 0x3
	flat_load_u16 v54, v[15:16] offset:128
	flat_load_u16 v53, v[21:22] offset:128
	flat_load_u16 v52, v[17:18] offset:128
	flat_load_u16 v51, v[19:20] offset:128
	s_and_saveexec_b32 s47, s2
	s_cbranch_execz .LBB672_21
; %bb.27:                               ;   in Loop: Header=BB672_24 Depth=2
	s_clause 0x3
	flat_load_u16 v58, v[15:16] offset:256
	flat_load_u16 v57, v[21:22] offset:256
	flat_load_u16 v56, v[17:18] offset:256
	flat_load_u16 v55, v[19:20] offset:256
	;; [unrolled: 8-line block ×3, first 2 shown]
	s_wait_loadcnt_dscnt 0x303
	v_lshlrev_b32_e32 v15, 16, v15
	s_wait_loadcnt_dscnt 0x202
	s_delay_alu instid0(VALU_DEP_1) | instskip(SKIP_3) | instid1(VALU_DEP_2)
	v_dual_fmac_f32 v37, v50, v15 :: v_dual_lshlrev_b32 v16, 16, v16
	s_wait_loadcnt_dscnt 0x101
	v_lshlrev_b32_e32 v15, 16, v17
	s_wait_loadcnt_dscnt 0x0
	v_dual_fmac_f32 v37, v46, v16 :: v_dual_lshlrev_b32 v16, 16, v18
	s_delay_alu instid0(VALU_DEP_1) | instskip(NEXT) | instid1(VALU_DEP_1)
	v_fmac_f32_e32 v37, v48, v15
	v_fmac_f32_e32 v37, v44, v16
	s_branch .LBB672_20
.LBB672_29:                             ;   in Loop: Header=BB672_4 Depth=1
	s_or_b32 exec_lo, exec_lo, s43
.LBB672_30:                             ;   in Loop: Header=BB672_4 Depth=1
	s_wait_alu 0xfffe
	s_or_b32 exec_lo, exec_lo, s7
	s_delay_alu instid0(SALU_CYCLE_1)
	s_and_not1_b32 vcc_lo, exec_lo, s38
	s_wait_alu 0xfffe
	s_cbranch_vccnz .LBB672_48
; %bb.31:                               ;   in Loop: Header=BB672_4 Depth=1
	v_cmp_gt_i32_e32 vcc_lo, s9, v38
	v_dual_mov_b32 v20, 0 :: v_dual_mov_b32 v19, 0
	v_or_b32_e32 v15, 1, v38
	v_dual_mov_b32 v22, 0 :: v_dual_mov_b32 v21, 0
	s_and_saveexec_b32 s43, vcc_lo
	s_cbranch_execz .LBB672_39
; %bb.32:                               ;   in Loop: Header=BB672_4 Depth=1
	v_mul_lo_u32 v16, v38, s34
	v_dual_mov_b32 v21, 0 :: v_dual_mov_b32 v20, 0
	v_mov_b32_e32 v19, 0
	s_mov_b32 s44, exec_lo
	s_delay_alu instid0(VALU_DEP_3) | instskip(NEXT) | instid1(VALU_DEP_1)
	v_ashrrev_i32_e32 v17, 31, v16
	v_lshlrev_b64_e32 v[16:17], 1, v[16:17]
	s_delay_alu instid0(VALU_DEP_1) | instskip(SKIP_1) | instid1(VALU_DEP_2)
	v_add_co_u32 v16, s7, v13, v16
	s_wait_alu 0xf1ff
	v_add_co_ci_u32_e64 v17, null, v14, v17, s7
	flat_load_u16 v16, v[16:17]
	v_cmpx_gt_i32_e64 s9, v15
	s_cbranch_execz .LBB672_38
; %bb.33:                               ;   in Loop: Header=BB672_4 Depth=1
	v_mul_lo_u32 v17, v15, s34
	v_dual_mov_b32 v19, 0 :: v_dual_mov_b32 v20, 0
	s_mov_b32 s45, exec_lo
	s_delay_alu instid0(VALU_DEP_2) | instskip(NEXT) | instid1(VALU_DEP_1)
	v_ashrrev_i32_e32 v18, 31, v17
	v_lshlrev_b64_e32 v[17:18], 1, v[17:18]
	s_delay_alu instid0(VALU_DEP_1) | instskip(SKIP_1) | instid1(VALU_DEP_2)
	v_add_co_u32 v17, s7, v13, v17
	s_wait_alu 0xf1ff
	v_add_co_ci_u32_e64 v18, null, v14, v18, s7
	flat_load_u16 v17, v[17:18]
	v_or_b32_e32 v18, 2, v38
	s_delay_alu instid0(VALU_DEP_1)
	v_cmpx_gt_i32_e64 s9, v18
	s_cbranch_execz .LBB672_37
; %bb.34:                               ;   in Loop: Header=BB672_4 Depth=1
	v_mul_lo_u32 v18, v18, s34
	v_or_b32_e32 v20, 3, v38
	s_mov_b32 s46, exec_lo
	s_delay_alu instid0(VALU_DEP_2) | instskip(NEXT) | instid1(VALU_DEP_1)
	v_ashrrev_i32_e32 v19, 31, v18
	v_lshlrev_b64_e32 v[18:19], 1, v[18:19]
	s_delay_alu instid0(VALU_DEP_1) | instskip(SKIP_1) | instid1(VALU_DEP_2)
	v_add_co_u32 v18, s7, v13, v18
	s_wait_alu 0xf1ff
	v_add_co_ci_u32_e64 v19, null, v14, v19, s7
	flat_load_u16 v18, v[18:19]
	v_mov_b32_e32 v19, 0
	v_cmpx_gt_i32_e64 s9, v20
	s_cbranch_execz .LBB672_36
; %bb.35:                               ;   in Loop: Header=BB672_4 Depth=1
	v_mul_lo_u32 v19, v20, s34
	s_delay_alu instid0(VALU_DEP_1) | instskip(NEXT) | instid1(VALU_DEP_1)
	v_ashrrev_i32_e32 v20, 31, v19
	v_lshlrev_b64_e32 v[19:20], 1, v[19:20]
	s_delay_alu instid0(VALU_DEP_1) | instskip(SKIP_1) | instid1(VALU_DEP_2)
	v_add_co_u32 v13, s7, v13, v19
	s_wait_alu 0xf1ff
	v_add_co_ci_u32_e64 v14, null, v14, v20, s7
	flat_load_u16 v13, v[13:14]
	s_wait_loadcnt_dscnt 0x0
	v_lshlrev_b32_e32 v19, 16, v13
.LBB672_36:                             ;   in Loop: Header=BB672_4 Depth=1
	s_or_b32 exec_lo, exec_lo, s46
	s_wait_loadcnt_dscnt 0x0
	v_lshlrev_b32_e32 v20, 16, v18
.LBB672_37:                             ;   in Loop: Header=BB672_4 Depth=1
	s_wait_alu 0xfffe
	s_or_b32 exec_lo, exec_lo, s45
	s_wait_loadcnt_dscnt 0x0
	v_lshlrev_b32_e32 v21, 16, v17
.LBB672_38:                             ;   in Loop: Header=BB672_4 Depth=1
	s_wait_alu 0xfffe
	s_or_b32 exec_lo, exec_lo, s44
	s_wait_loadcnt_dscnt 0x0
	v_lshlrev_b32_e32 v22, 16, v16
.LBB672_39:                             ;   in Loop: Header=BB672_4 Depth=1
	s_wait_alu 0xfffe
	s_or_b32 exec_lo, exec_lo, s43
	s_and_saveexec_b32 s7, s0
	s_cbranch_execz .LBB672_47
; %bb.40:                               ;   in Loop: Header=BB672_4 Depth=1
	v_mul_lo_u32 v14, v38, s35
	v_or_b32_e32 v13, 2, v38
	v_mul_lo_u32 v17, v15, s35
	v_or_b32_e32 v16, 3, v38
	s_delay_alu instid0(VALU_DEP_3) | instskip(NEXT) | instid1(VALU_DEP_2)
	v_mul_lo_u32 v18, v13, s35
	v_mul_lo_u32 v38, v16, s35
	v_cndmask_b32_e32 v14, 0, v14, vcc_lo
	v_cmp_gt_i32_e32 vcc_lo, s9, v15
	s_wait_alu 0xfffd
	v_cndmask_b32_e32 v15, 0, v17, vcc_lo
	v_cmp_gt_i32_e32 vcc_lo, s9, v13
	v_add_nc_u32_e32 v13, v14, v23
	s_delay_alu instid0(VALU_DEP_3)
	v_add_nc_u32_e32 v15, v15, v23
	s_wait_alu 0xfffd
	v_cndmask_b32_e32 v17, 0, v18, vcc_lo
	v_cmp_gt_i32_e32 vcc_lo, s9, v16
	v_ashrrev_i32_e32 v14, 31, v13
	s_wait_alu 0xfffd
	v_cndmask_b32_e32 v16, 0, v38, vcc_lo
	s_delay_alu instid0(VALU_DEP_2) | instskip(NEXT) | instid1(VALU_DEP_2)
	v_lshlrev_b64_e32 v[13:14], 1, v[13:14]
	v_add_nc_u32_e32 v38, v16, v23
	v_add_nc_u32_e32 v17, v17, v23
	v_ashrrev_i32_e32 v16, 31, v15
	s_delay_alu instid0(VALU_DEP_3) | instskip(NEXT) | instid1(VALU_DEP_3)
	v_ashrrev_i32_e32 v39, 31, v38
	v_ashrrev_i32_e32 v18, 31, v17
	s_delay_alu instid0(VALU_DEP_3) | instskip(SKIP_1) | instid1(VALU_DEP_4)
	v_lshlrev_b64_e32 v[40:41], 1, v[15:16]
	v_add_co_u32 v15, vcc_lo, v11, v13
	v_lshlrev_b64_e32 v[38:39], 1, v[38:39]
	s_delay_alu instid0(VALU_DEP_4)
	v_lshlrev_b64_e32 v[42:43], 1, v[17:18]
	s_wait_alu 0xfffd
	v_add_co_ci_u32_e64 v16, null, v12, v14, vcc_lo
	v_add_co_u32 v17, vcc_lo, v11, v40
	s_wait_alu 0xfffd
	v_add_co_ci_u32_e64 v18, null, v12, v41, vcc_lo
	v_add_co_u32 v13, vcc_lo, v11, v42
	;; [unrolled: 3-line block ×3, first 2 shown]
	s_wait_alu 0xfffd
	v_add_co_ci_u32_e64 v12, null, v12, v39, vcc_lo
	s_clause 0x3
	flat_load_u16 v41, v[15:16]
	flat_load_u16 v40, v[17:18]
	flat_load_u16 v39, v[13:14]
	flat_load_u16 v38, v[11:12]
	s_and_saveexec_b32 s43, s1
	s_cbranch_execz .LBB672_46
; %bb.41:                               ;   in Loop: Header=BB672_4 Depth=1
	s_clause 0x3
	flat_load_u16 v45, v[15:16] offset:128
	flat_load_u16 v44, v[17:18] offset:128
	flat_load_u16 v43, v[13:14] offset:128
	flat_load_u16 v42, v[11:12] offset:128
	s_and_saveexec_b32 s44, s2
	s_cbranch_execz .LBB672_45
; %bb.42:                               ;   in Loop: Header=BB672_4 Depth=1
	s_clause 0x3
	flat_load_u16 v49, v[15:16] offset:256
	flat_load_u16 v48, v[17:18] offset:256
	flat_load_u16 v47, v[13:14] offset:256
	flat_load_u16 v46, v[11:12] offset:256
	;; [unrolled: 8-line block ×3, first 2 shown]
	s_wait_loadcnt_dscnt 0x0
	v_lshlrev_b32_e32 v11, 16, v11
	v_lshlrev_b32_e32 v14, 16, v16
	;; [unrolled: 1-line block ×3, first 2 shown]
	s_delay_alu instid0(VALU_DEP_1) | instskip(NEXT) | instid1(VALU_DEP_1)
	v_dual_fmac_f32 v37, v22, v12 :: v_dual_lshlrev_b32 v12, 16, v13
	v_fmac_f32_e32 v37, v21, v14
	s_delay_alu instid0(VALU_DEP_1) | instskip(NEXT) | instid1(VALU_DEP_1)
	v_fmac_f32_e32 v37, v20, v12
	v_fmac_f32_e32 v37, v19, v11
.LBB672_44:                             ;   in Loop: Header=BB672_4 Depth=1
	s_wait_alu 0xfffe
	s_or_b32 exec_lo, exec_lo, s45
	s_wait_loadcnt_dscnt 0x202
	v_lshlrev_b32_e32 v12, 16, v48
	v_lshlrev_b32_e32 v11, 16, v49
	s_delay_alu instid0(VALU_DEP_1) | instskip(SKIP_1) | instid1(VALU_DEP_1)
	v_fmac_f32_e32 v36, v22, v11
	s_wait_loadcnt_dscnt 0x101
	v_dual_fmac_f32 v36, v21, v12 :: v_dual_lshlrev_b32 v11, 16, v47
	s_wait_loadcnt_dscnt 0x0
	s_delay_alu instid0(VALU_DEP_1) | instskip(NEXT) | instid1(VALU_DEP_1)
	v_dual_fmac_f32 v36, v20, v11 :: v_dual_lshlrev_b32 v11, 16, v46
	v_fmac_f32_e32 v36, v19, v11
.LBB672_45:                             ;   in Loop: Header=BB672_4 Depth=1
	s_wait_alu 0xfffe
	s_or_b32 exec_lo, exec_lo, s44
	s_wait_loadcnt_dscnt 0x303
	v_lshlrev_b32_e32 v11, 16, v45
	s_wait_loadcnt_dscnt 0x202
	s_delay_alu instid0(VALU_DEP_1) | instskip(SKIP_2) | instid1(VALU_DEP_2)
	v_dual_fmac_f32 v35, v22, v11 :: v_dual_lshlrev_b32 v12, 16, v44
	s_wait_loadcnt_dscnt 0x101
	v_lshlrev_b32_e32 v11, 16, v43
	v_fmac_f32_e32 v35, v21, v12
	s_delay_alu instid0(VALU_DEP_1) | instskip(SKIP_2) | instid1(VALU_DEP_1)
	v_fmac_f32_e32 v35, v20, v11
	s_wait_loadcnt_dscnt 0x0
	v_lshlrev_b32_e32 v11, 16, v42
	v_fmac_f32_e32 v35, v19, v11
.LBB672_46:                             ;   in Loop: Header=BB672_4 Depth=1
	s_wait_alu 0xfffe
	s_or_b32 exec_lo, exec_lo, s43
	s_wait_loadcnt_dscnt 0x202
	v_lshlrev_b32_e32 v12, 16, v40
	v_lshlrev_b32_e32 v11, 16, v41
	s_delay_alu instid0(VALU_DEP_1) | instskip(SKIP_1) | instid1(VALU_DEP_1)
	v_fmac_f32_e32 v34, v22, v11
	s_wait_loadcnt_dscnt 0x101
	v_dual_fmac_f32 v34, v21, v12 :: v_dual_lshlrev_b32 v11, 16, v39
	s_wait_loadcnt_dscnt 0x0
	s_delay_alu instid0(VALU_DEP_1) | instskip(NEXT) | instid1(VALU_DEP_1)
	v_dual_fmac_f32 v34, v20, v11 :: v_dual_lshlrev_b32 v11, 16, v38
	v_fmac_f32_e32 v34, v19, v11
.LBB672_47:                             ;   in Loop: Header=BB672_4 Depth=1
	s_wait_alu 0xfffe
	s_or_b32 exec_lo, exec_lo, s7
.LBB672_48:                             ;   in Loop: Header=BB672_4 Depth=1
	ds_store_2addr_stride64_b32 v0, v34, v35 offset1:1
	ds_store_2addr_stride64_b32 v0, v36, v37 offset0:2 offset1:3
	s_wait_dscnt 0x0
	s_barrier_signal -1
	s_barrier_wait -1
	global_inv scope:SCOPE_SE
                                        ; implicit-def: $vgpr15
	s_and_saveexec_b32 s7, s5
	s_cbranch_execz .LBB672_54
; %bb.49:                               ;   in Loop: Header=BB672_4 Depth=1
	ds_load_2addr_stride64_b32 v[11:12], v25 offset1:4
	ds_load_2addr_stride64_b32 v[13:14], v25 offset0:8 offset1:12
	ds_load_2addr_stride64_b32 v[15:16], v25 offset0:16 offset1:20
	s_mov_b32 s44, s8
	s_wait_dscnt 0x2
	v_add_f32_e32 v17, v11, v12
	ds_load_2addr_stride64_b32 v[11:12], v25 offset0:24 offset1:28
	s_wait_dscnt 0x2
	v_add_f32_e32 v13, v13, v17
	s_delay_alu instid0(VALU_DEP_1) | instskip(SKIP_3) | instid1(VALU_DEP_1)
	v_add_f32_e32 v17, v14, v13
	ds_load_2addr_stride64_b32 v[13:14], v25 offset0:32 offset1:36
	s_wait_dscnt 0x2
	v_add_f32_e32 v15, v15, v17
	v_add_f32_e32 v17, v16, v15
	ds_load_2addr_stride64_b32 v[15:16], v25 offset0:40 offset1:44
	s_wait_dscnt 0x2
	v_add_f32_e32 v11, v11, v17
	s_delay_alu instid0(VALU_DEP_1) | instskip(SKIP_1) | instid1(VALU_DEP_1)
	v_add_f32_e32 v11, v12, v11
	s_wait_dscnt 0x1
	v_add_f32_e32 v13, v13, v11
	ds_load_2addr_stride64_b32 v[11:12], v25 offset0:48 offset1:52
	v_add_f32_e32 v13, v14, v13
	s_wait_dscnt 0x1
	s_delay_alu instid0(VALU_DEP_1) | instskip(SKIP_3) | instid1(VALU_DEP_1)
	v_add_f32_e32 v15, v15, v13
	ds_load_2addr_stride64_b32 v[13:14], v25 offset0:56 offset1:60
	v_add_f32_e32 v15, v16, v15
	s_wait_dscnt 0x1
	v_add_f32_e32 v11, v11, v15
                                        ; implicit-def: $vgpr15
	s_delay_alu instid0(VALU_DEP_1) | instskip(SKIP_1) | instid1(VALU_DEP_1)
	v_add_f32_e32 v11, v12, v11
	s_wait_dscnt 0x0
	v_add_f32_e32 v11, v13, v11
	s_delay_alu instid0(VALU_DEP_1)
	v_add_f32_e32 v11, v14, v11
	ds_store_b32 v25, v11
	s_and_saveexec_b32 s43, s6
	s_cbranch_execz .LBB672_53
; %bb.50:                               ;   in Loop: Header=BB672_4 Depth=1
	v_mul_f32_e32 v15, v31, v11
	s_cmp_eq_f32 s42, 0
	s_cbranch_scc1 .LBB672_52
; %bb.51:                               ;   in Loop: Header=BB672_4 Depth=1
	v_lshlrev_b64_e32 v[11:12], 2, v[4:5]
	s_delay_alu instid0(VALU_DEP_1) | instskip(SKIP_1) | instid1(VALU_DEP_2)
	v_add_co_u32 v11, vcc_lo, v32, v11
	s_wait_alu 0xfffd
	v_add_co_ci_u32_e64 v12, null, v33, v12, vcc_lo
	flat_load_b32 v11, v[11:12]
	s_wait_loadcnt_dscnt 0x0
	v_fmac_f32_e32 v15, s42, v11
.LBB672_52:                             ;   in Loop: Header=BB672_4 Depth=1
	s_or_b32 s44, s8, exec_lo
.LBB672_53:                             ;   in Loop: Header=BB672_4 Depth=1
	s_wait_alu 0xfffe
	s_or_b32 exec_lo, exec_lo, s43
	s_delay_alu instid0(SALU_CYCLE_1)
	s_and_not1_b32 s8, s8, exec_lo
	s_and_b32 s42, s44, exec_lo
	s_wait_alu 0xfffe
	s_or_b32 s8, s8, s42
.LBB672_54:                             ;   in Loop: Header=BB672_4 Depth=1
	s_wait_alu 0xfffe
	s_or_b32 exec_lo, exec_lo, s7
	v_dual_mov_b32 v12, v5 :: v_dual_mov_b32 v11, v4
	s_and_saveexec_b32 s7, s8
	s_cbranch_execz .LBB672_2
.LBB672_55:                             ;   in Loop: Header=BB672_4 Depth=1
	s_delay_alu instid0(VALU_DEP_1) | instskip(NEXT) | instid1(VALU_DEP_1)
	v_lshlrev_b64_e32 v[11:12], 2, v[11:12]
	v_add_co_u32 v11, vcc_lo, v32, v11
	s_wait_alu 0xfffd
	s_delay_alu instid0(VALU_DEP_2)
	v_add_co_ci_u32_e64 v12, null, v33, v12, vcc_lo
	flat_store_b32 v[11:12], v15
	s_branch .LBB672_2
.LBB672_56:
	s_endpgm
	.section	.rodata,"a",@progbits
	.p2align	6, 0x0
	.amdhsa_kernel _ZL20rocblas_gemvn_kernelILi64ELi16EiPK16rocblas_bfloat16PKfKPfEviiT3_lPKT2_lT1_lSA_lSB_lS7_lPT4_lSB_li
		.amdhsa_group_segment_fixed_size 16384
		.amdhsa_private_segment_fixed_size 0
		.amdhsa_kernarg_size 400
		.amdhsa_user_sgpr_count 2
		.amdhsa_user_sgpr_dispatch_ptr 0
		.amdhsa_user_sgpr_queue_ptr 0
		.amdhsa_user_sgpr_kernarg_segment_ptr 1
		.amdhsa_user_sgpr_dispatch_id 0
		.amdhsa_user_sgpr_private_segment_size 0
		.amdhsa_wavefront_size32 1
		.amdhsa_uses_dynamic_stack 0
		.amdhsa_enable_private_segment 0
		.amdhsa_system_sgpr_workgroup_id_x 1
		.amdhsa_system_sgpr_workgroup_id_y 0
		.amdhsa_system_sgpr_workgroup_id_z 1
		.amdhsa_system_sgpr_workgroup_info 0
		.amdhsa_system_vgpr_workitem_id 1
		.amdhsa_next_free_vgpr 59
		.amdhsa_next_free_sgpr 49
		.amdhsa_reserve_vcc 1
		.amdhsa_float_round_mode_32 0
		.amdhsa_float_round_mode_16_64 0
		.amdhsa_float_denorm_mode_32 3
		.amdhsa_float_denorm_mode_16_64 3
		.amdhsa_fp16_overflow 0
		.amdhsa_workgroup_processor_mode 1
		.amdhsa_memory_ordered 1
		.amdhsa_forward_progress 1
		.amdhsa_inst_pref_size 28
		.amdhsa_round_robin_scheduling 0
		.amdhsa_exception_fp_ieee_invalid_op 0
		.amdhsa_exception_fp_denorm_src 0
		.amdhsa_exception_fp_ieee_div_zero 0
		.amdhsa_exception_fp_ieee_overflow 0
		.amdhsa_exception_fp_ieee_underflow 0
		.amdhsa_exception_fp_ieee_inexact 0
		.amdhsa_exception_int_div_zero 0
	.end_amdhsa_kernel
	.section	.text._ZL20rocblas_gemvn_kernelILi64ELi16EiPK16rocblas_bfloat16PKfKPfEviiT3_lPKT2_lT1_lSA_lSB_lS7_lPT4_lSB_li,"axG",@progbits,_ZL20rocblas_gemvn_kernelILi64ELi16EiPK16rocblas_bfloat16PKfKPfEviiT3_lPKT2_lT1_lSA_lSB_lS7_lPT4_lSB_li,comdat
.Lfunc_end672:
	.size	_ZL20rocblas_gemvn_kernelILi64ELi16EiPK16rocblas_bfloat16PKfKPfEviiT3_lPKT2_lT1_lSA_lSB_lS7_lPT4_lSB_li, .Lfunc_end672-_ZL20rocblas_gemvn_kernelILi64ELi16EiPK16rocblas_bfloat16PKfKPfEviiT3_lPKT2_lT1_lSA_lSB_lS7_lPT4_lSB_li
                                        ; -- End function
	.set _ZL20rocblas_gemvn_kernelILi64ELi16EiPK16rocblas_bfloat16PKfKPfEviiT3_lPKT2_lT1_lSA_lSB_lS7_lPT4_lSB_li.num_vgpr, 59
	.set _ZL20rocblas_gemvn_kernelILi64ELi16EiPK16rocblas_bfloat16PKfKPfEviiT3_lPKT2_lT1_lSA_lSB_lS7_lPT4_lSB_li.num_agpr, 0
	.set _ZL20rocblas_gemvn_kernelILi64ELi16EiPK16rocblas_bfloat16PKfKPfEviiT3_lPKT2_lT1_lSA_lSB_lS7_lPT4_lSB_li.numbered_sgpr, 49
	.set _ZL20rocblas_gemvn_kernelILi64ELi16EiPK16rocblas_bfloat16PKfKPfEviiT3_lPKT2_lT1_lSA_lSB_lS7_lPT4_lSB_li.num_named_barrier, 0
	.set _ZL20rocblas_gemvn_kernelILi64ELi16EiPK16rocblas_bfloat16PKfKPfEviiT3_lPKT2_lT1_lSA_lSB_lS7_lPT4_lSB_li.private_seg_size, 0
	.set _ZL20rocblas_gemvn_kernelILi64ELi16EiPK16rocblas_bfloat16PKfKPfEviiT3_lPKT2_lT1_lSA_lSB_lS7_lPT4_lSB_li.uses_vcc, 1
	.set _ZL20rocblas_gemvn_kernelILi64ELi16EiPK16rocblas_bfloat16PKfKPfEviiT3_lPKT2_lT1_lSA_lSB_lS7_lPT4_lSB_li.uses_flat_scratch, 1
	.set _ZL20rocblas_gemvn_kernelILi64ELi16EiPK16rocblas_bfloat16PKfKPfEviiT3_lPKT2_lT1_lSA_lSB_lS7_lPT4_lSB_li.has_dyn_sized_stack, 0
	.set _ZL20rocblas_gemvn_kernelILi64ELi16EiPK16rocblas_bfloat16PKfKPfEviiT3_lPKT2_lT1_lSA_lSB_lS7_lPT4_lSB_li.has_recursion, 0
	.set _ZL20rocblas_gemvn_kernelILi64ELi16EiPK16rocblas_bfloat16PKfKPfEviiT3_lPKT2_lT1_lSA_lSB_lS7_lPT4_lSB_li.has_indirect_call, 0
	.section	.AMDGPU.csdata,"",@progbits
; Kernel info:
; codeLenInByte = 3528
; TotalNumSgprs: 51
; NumVgprs: 59
; ScratchSize: 0
; MemoryBound: 0
; FloatMode: 240
; IeeeMode: 1
; LDSByteSize: 16384 bytes/workgroup (compile time only)
; SGPRBlocks: 0
; VGPRBlocks: 7
; NumSGPRsForWavesPerEU: 51
; NumVGPRsForWavesPerEU: 59
; Occupancy: 16
; WaveLimiterHint : 1
; COMPUTE_PGM_RSRC2:SCRATCH_EN: 0
; COMPUTE_PGM_RSRC2:USER_SGPR: 2
; COMPUTE_PGM_RSRC2:TRAP_HANDLER: 0
; COMPUTE_PGM_RSRC2:TGID_X_EN: 1
; COMPUTE_PGM_RSRC2:TGID_Y_EN: 0
; COMPUTE_PGM_RSRC2:TGID_Z_EN: 1
; COMPUTE_PGM_RSRC2:TIDIG_COMP_CNT: 1
	.section	.text._ZL20rocblas_gemvn_kernelILi64ELi16ElPK16rocblas_bfloat16PKfKPfEviiT3_lPKT2_lT1_lSA_lSB_lS7_lPT4_lSB_li,"axG",@progbits,_ZL20rocblas_gemvn_kernelILi64ELi16ElPK16rocblas_bfloat16PKfKPfEviiT3_lPKT2_lT1_lSA_lSB_lS7_lPT4_lSB_li,comdat
	.globl	_ZL20rocblas_gemvn_kernelILi64ELi16ElPK16rocblas_bfloat16PKfKPfEviiT3_lPKT2_lT1_lSA_lSB_lS7_lPT4_lSB_li ; -- Begin function _ZL20rocblas_gemvn_kernelILi64ELi16ElPK16rocblas_bfloat16PKfKPfEviiT3_lPKT2_lT1_lSA_lSB_lS7_lPT4_lSB_li
	.p2align	8
	.type	_ZL20rocblas_gemvn_kernelILi64ELi16ElPK16rocblas_bfloat16PKfKPfEviiT3_lPKT2_lT1_lSA_lSB_lS7_lPT4_lSB_li,@function
_ZL20rocblas_gemvn_kernelILi64ELi16ElPK16rocblas_bfloat16PKfKPfEviiT3_lPKT2_lT1_lSA_lSB_lS7_lPT4_lSB_li: ; @_ZL20rocblas_gemvn_kernelILi64ELi16ElPK16rocblas_bfloat16PKfKPfEviiT3_lPKT2_lT1_lSA_lSB_lS7_lPT4_lSB_li
; %bb.0:
	s_clause 0x1
	s_load_b64 s[2:3], s[0:1], 0x9c
	s_load_b32 s33, s[0:1], 0x88
	s_lshr_b32 s10, ttmp7, 16
	s_wait_kmcnt 0x0
	s_lshr_b32 s4, s2, 16
	s_and_b32 s2, s2, 0xffff
	s_and_b32 s3, s3, 0xffff
	s_mul_i32 s2, s4, s2
	s_delay_alu instid0(SALU_CYCLE_1) | instskip(NEXT) | instid1(SALU_CYCLE_1)
	s_mul_i32 s2, s2, s3
	s_cmp_lg_u32 s2, 0x400
	s_cselect_b32 s2, -1, 0
	s_cmp_ge_u32 s10, s33
	s_cselect_b32 s3, -1, 0
	s_delay_alu instid0(SALU_CYCLE_1) | instskip(NEXT) | instid1(SALU_CYCLE_1)
	s_or_b32 s2, s2, s3
	s_and_b32 vcc_lo, exec_lo, s2
	s_cbranch_vccnz .LBB673_56
; %bb.1:
	s_clause 0x6
	s_load_b64 s[38:39], s[0:1], 0x78
	s_load_b64 s[8:9], s[0:1], 0x0
	s_load_b256 s[12:19], s[0:1], 0x8
	s_load_b64 s[34:35], s[0:1], 0x28
	s_load_b128 s[28:31], s[0:1], 0x38
	s_load_b64 s[36:37], s[0:1], 0x48
	s_load_b256 s[20:27], s[0:1], 0x58
	v_dual_mov_b32 v1, 0 :: v_dual_and_b32 v2, 0x3ff, v0
	s_lshl_b32 s6, ttmp9, 8
	v_bfe_u32 v26, v0, 10, 10
	s_mov_b32 s11, 0
	s_delay_alu instid0(VALU_DEP_2) | instskip(SKIP_1) | instid1(VALU_DEP_3)
	v_add_nc_u32_e32 v8, s6, v2
	v_lshlrev_b32_e32 v16, 2, v2
	v_lshlrev_b32_e32 v40, 2, v26
	v_lshl_add_u32 v5, v26, 6, v2
	s_delay_alu instid0(VALU_DEP_4)
	v_add_nc_u32_e32 v6, 0x80, v8
	v_add_nc_u32_e32 v7, 0xc0, v8
	v_lshl_add_u32 v41, v26, 8, v16
	v_or_b32_e32 v19, 3, v40
	v_add_nc_u32_e32 v0, s6, v5
	v_or_b32_e32 v17, s6, v5
	s_wait_kmcnt 0x0
	s_ashr_i32 s3, s9, 31
	v_cmp_gt_i32_e64 s2, s8, v6
	s_lshr_b32 s3, s3, 26
	v_mad_co_u64_u32 v[10:11], null, s34, v19, 0
	s_add_co_i32 s42, s9, s3
	v_cmp_gt_i32_e64 s3, s8, v7
	v_mad_co_u64_u32 v[6:7], null, s36, v26, 0
	v_mad_co_u64_u32 v[12:13], null, s36, v19, 0
	;; [unrolled: 1-line block ×3, first 2 shown]
	s_ashr_i32 s5, s8, 31
	s_mov_b32 s4, s8
	v_mad_co_u64_u32 v[14:15], null, s37, v26, v[7:8]
	s_and_not1_b32 s42, s42, 63
	v_cmp_gt_i64_e32 vcc_lo, s[4:5], v[0:1]
	s_sub_co_i32 s5, s9, s42
	v_mul_lo_u32 v18, s39, v17
	s_wait_alu 0xfffe
	s_cmp_gt_i32 s5, 0
	v_cmp_gt_u32_e64 s5, 0x100, v5
	v_mov_b32_e32 v7, v14
	v_mad_co_u64_u32 v[14:15], null, s35, v19, v[11:12]
	s_cselect_b32 s43, -1, 0
	s_ashr_i32 s7, s6, 31
	v_cmp_gt_i32_e64 s6, s8, v17
	s_wait_alu 0xfffe
	s_mul_i32 s7, s38, s7
	v_ashrrev_i32_e32 v9, 31, v8
	v_cmp_gt_i32_e64 s0, s8, v8
	v_mov_b32_e32 v11, v14
	v_mad_co_u64_u32 v[22:23], null, s36, v40, s[36:37]
	v_add_nc_u32_e32 v4, 64, v8
	v_or_b32_e32 v29, 2, v40
	v_mad_co_u64_u32 v[24:25], null, s34, v40, s[34:35]
	v_lshlrev_b64_e32 v[6:7], 3, v[6:7]
	s_delay_alu instid0(VALU_DEP_4)
	v_cmp_gt_i32_e64 s1, s8, v4
	v_mad_co_u64_u32 v[3:4], null, s39, v0, v[3:4]
	v_mad_co_u64_u32 v[4:5], null, s38, v17, 0
	v_lshl_add_u32 v0, v26, 10, v16
	v_mad_co_u64_u32 v[15:16], null, s37, v19, v[13:14]
	v_mad_co_u64_u32 v[16:17], null, s34, v26, 0
	;; [unrolled: 1-line block ×3, first 2 shown]
	s_wait_alu 0xfffe
	v_add3_u32 v5, v5, s7, v18
	v_mad_co_u64_u32 v[18:19], null, s34, v29, 0
	s_delay_alu instid0(VALU_DEP_4) | instskip(SKIP_3) | instid1(VALU_DEP_4)
	v_dual_mov_b32 v13, v15 :: v_dual_mov_b32 v14, v17
	v_mov_b32_e32 v17, v25
	v_lshlrev_b64_e32 v[8:9], 1, v[8:9]
	v_lshlrev_b64_e32 v[10:11], 1, v[10:11]
	;; [unrolled: 1-line block ×3, first 2 shown]
	v_mov_b32_e32 v15, v19
	v_cmp_gt_i32_e64 s4, s42, v40
	s_and_b32 s44, s5, vcc_lo
	s_lshl_b64 s[38:39], s[36:37], 7
	s_lshl_b64 s[40:41], s[34:35], 7
	v_mad_co_u64_u32 v[26:27], null, s35, v26, v[14:15]
	v_mov_b32_e32 v14, v21
	v_mad_co_u64_u32 v[27:28], null, s35, v29, v[15:16]
	v_mov_b32_e32 v15, v23
	s_lshl_b64 s[18:19], s[18:19], 1
	s_lshl_b64 s[30:31], s[30:31], 1
	;; [unrolled: 1-line block ×3, first 2 shown]
	s_delay_alu instid0(VALU_DEP_1)
	v_mad_co_u64_u32 v[28:29], null, s37, v29, v[14:15]
	v_mad_co_u64_u32 v[14:15], null, s37, v40, v[15:16]
	;; [unrolled: 1-line block ×3, first 2 shown]
	v_mov_b32_e32 v17, v26
	v_mov_b32_e32 v19, v27
	;; [unrolled: 1-line block ×4, first 2 shown]
	s_delay_alu instid0(VALU_DEP_4) | instskip(SKIP_4) | instid1(VALU_DEP_4)
	v_lshlrev_b64_e32 v[14:15], 3, v[16:17]
	v_mov_b32_e32 v25, v29
	v_lshlrev_b64_e32 v[16:17], 1, v[18:19]
	v_lshlrev_b64_e32 v[18:19], 1, v[20:21]
	;; [unrolled: 1-line block ×5, first 2 shown]
	s_branch .LBB673_4
.LBB673_2:                              ;   in Loop: Header=BB673_4 Depth=1
	s_wait_alu 0xfffe
	s_or_b32 exec_lo, exec_lo, s7
.LBB673_3:                              ;   in Loop: Header=BB673_4 Depth=1
	s_add_co_i32 s10, s10, 0x10000
	s_delay_alu instid0(SALU_CYCLE_1)
	s_cmp_lt_u32 s10, s33
	s_cbranch_scc0 .LBB673_56
.LBB673_4:                              ; =>This Loop Header: Depth=1
                                        ;     Child Loop BB673_24 Depth 2
	s_mul_u64 s[46:47], s[14:15], s[10:11]
	s_mul_u64 s[48:49], s[22:23], s[10:11]
	s_lshl_b64 s[46:47], s[46:47], 2
	s_lshl_b64 s[48:49], s[48:49], 2
	s_add_nc_u64 s[46:47], s[12:13], s[46:47]
	s_add_nc_u64 s[48:49], s[20:21], s[48:49]
	s_clause 0x1
	global_load_b32 v42, v1, s[46:47]
	global_load_b32 v26, v1, s[48:49]
	s_wait_loadcnt 0x1
	v_cmp_eq_f32_e64 s7, 0, v42
	s_wait_loadcnt 0x0
	v_cmp_eq_f32_e32 vcc_lo, 1.0, v26
	v_readfirstlane_b32 s45, v26
	s_and_b32 s8, s7, vcc_lo
	s_wait_alu 0xfffe
	s_and_b32 vcc_lo, exec_lo, s8
	s_wait_alu 0xfffe
	s_cbranch_vccnz .LBB673_3
; %bb.5:                                ;   in Loop: Header=BB673_4 Depth=1
	v_mov_b32_e32 v28, 0
	v_dual_mov_b32 v29, 0 :: v_dual_mov_b32 v26, 0
	v_cmp_neq_f32_e64 s8, 0, v42
	v_mov_b32_e32 v27, 0
	s_and_b32 vcc_lo, exec_lo, s7
	s_wait_alu 0xfffe
	s_cbranch_vccnz .LBB673_7
; %bb.6:                                ;   in Loop: Header=BB673_4 Depth=1
	s_lshl_b64 s[46:47], s[10:11], 3
	s_delay_alu instid0(SALU_CYCLE_1)
	s_add_nc_u64 s[46:47], s[16:17], s[46:47]
	global_load_b64 v[26:27], v1, s[46:47]
	s_wait_loadcnt 0x0
	v_add_co_u32 v26, vcc_lo, v26, s18
	s_wait_alu 0xfffd
	v_add_co_ci_u32_e64 v27, null, s19, v27, vcc_lo
.LBB673_7:                              ;   in Loop: Header=BB673_4 Depth=1
	s_and_not1_b32 vcc_lo, exec_lo, s8
	s_wait_alu 0xfffe
	s_cbranch_vccnz .LBB673_9
; %bb.8:                                ;   in Loop: Header=BB673_4 Depth=1
	s_lshl_b64 s[46:47], s[10:11], 3
	s_delay_alu instid0(SALU_CYCLE_1)
	s_add_nc_u64 s[46:47], s[28:29], s[46:47]
	global_load_b64 v[28:29], v1, s[46:47]
	s_wait_loadcnt 0x0
	v_add_co_u32 v28, vcc_lo, v28, s30
	s_wait_alu 0xfffd
	v_add_co_ci_u32_e64 v29, null, s31, v29, vcc_lo
.LBB673_9:                              ;   in Loop: Header=BB673_4 Depth=1
	s_lshl_b64 s[46:47], s[10:11], 3
	s_delay_alu instid0(SALU_CYCLE_1)
	s_add_nc_u64 s[46:47], s[24:25], s[46:47]
	global_load_b64 v[30:31], v1, s[46:47]
	s_wait_loadcnt 0x0
	v_add_co_u32 v43, vcc_lo, v30, s26
	s_wait_alu 0xfffd
	v_add_co_ci_u32_e64 v44, null, s27, v31, vcc_lo
	s_and_not1_b32 vcc_lo, exec_lo, s7
	s_wait_alu 0xfffe
	s_cbranch_vccnz .LBB673_13
; %bb.10:                               ;   in Loop: Header=BB673_4 Depth=1
	s_mov_b32 s7, 0
	s_mov_b32 s8, 0
                                        ; implicit-def: $vgpr30
	s_and_saveexec_b32 s46, s44
	s_cbranch_execz .LBB673_14
; %bb.11:                               ;   in Loop: Header=BB673_4 Depth=1
	s_cmp_eq_f32 s45, 0
	s_cbranch_scc1 .LBB673_16
; %bb.12:                               ;   in Loop: Header=BB673_4 Depth=1
	v_add_co_u32 v30, vcc_lo, v43, v24
	s_wait_alu 0xfffd
	v_add_co_ci_u32_e64 v31, null, v44, v25, vcc_lo
	flat_load_b32 v30, v[30:31]
	s_wait_loadcnt_dscnt 0x0
	v_mul_f32_e32 v30, s45, v30
	s_branch .LBB673_17
.LBB673_13:                             ;   in Loop: Header=BB673_4 Depth=1
	s_mov_b32 s8, 0
                                        ; implicit-def: $vgpr30
	s_cbranch_execz .LBB673_15
	s_branch .LBB673_18
.LBB673_14:                             ;   in Loop: Header=BB673_4 Depth=1
	s_or_b32 exec_lo, exec_lo, s46
	s_wait_alu 0xfffe
	s_and_b32 vcc_lo, exec_lo, s7
	s_wait_alu 0xfffe
	s_cbranch_vccnz .LBB673_18
.LBB673_15:                             ;   in Loop: Header=BB673_4 Depth=1
	v_dual_mov_b32 v27, v3 :: v_dual_mov_b32 v26, v2
	s_wait_alu 0xfffe
	s_and_saveexec_b32 s7, s8
	s_cbranch_execz .LBB673_2
	s_branch .LBB673_55
.LBB673_16:                             ;   in Loop: Header=BB673_4 Depth=1
	v_mov_b32_e32 v30, 0
.LBB673_17:                             ;   in Loop: Header=BB673_4 Depth=1
	s_mov_b32 s8, exec_lo
	s_or_b32 exec_lo, exec_lo, s46
	s_wait_alu 0xfffe
	s_and_b32 vcc_lo, exec_lo, s7
	s_wait_alu 0xfffe
	s_cbranch_vccz .LBB673_15
.LBB673_18:                             ;   in Loop: Header=BB673_4 Depth=1
	v_dual_mov_b32 v45, 0 :: v_dual_mov_b32 v46, 0
	v_dual_mov_b32 v49, v40 :: v_dual_mov_b32 v48, 0
	v_mov_b32_e32 v47, 0
	s_and_saveexec_b32 s46, s4
	s_cbranch_execz .LBB673_30
; %bb.19:                               ;   in Loop: Header=BB673_4 Depth=1
	v_add_co_u32 v50, vcc_lo, v26, v10
	s_wait_alu 0xfffd
	v_add_co_ci_u32_e64 v51, null, v27, v11, vcc_lo
	v_add_co_u32 v52, vcc_lo, v26, v14
	s_wait_alu 0xfffd
	v_add_co_ci_u32_e64 v53, null, v27, v15, vcc_lo
	;; [unrolled: 3-line block ×3, first 2 shown]
	v_add_co_u32 v56, vcc_lo, v26, v22
	v_dual_mov_b32 v31, v29 :: v_dual_mov_b32 v46, 0
	s_wait_alu 0xfffd
	v_add_co_ci_u32_e64 v57, null, v27, v23, vcc_lo
	v_dual_mov_b32 v45, 0 :: v_dual_mov_b32 v30, v28
	v_dual_mov_b32 v49, v40 :: v_dual_mov_b32 v48, 0
	v_mov_b32_e32 v47, 0
	s_mov_b32 s47, 0
	s_branch .LBB673_24
.LBB673_20:                             ;   in Loop: Header=BB673_24 Depth=2
	s_or_b32 exec_lo, exec_lo, s50
	s_wait_loadcnt_dscnt 0x303
	v_lshlrev_b32_e32 v32, 16, v73
	s_wait_loadcnt_dscnt 0x202
	v_lshlrev_b32_e32 v33, 16, v72
	s_wait_loadcnt_dscnt 0x101
	s_delay_alu instid0(VALU_DEP_2) | instskip(NEXT) | instid1(VALU_DEP_1)
	v_dual_fmac_f32 v47, v65, v32 :: v_dual_lshlrev_b32 v32, 16, v71
	v_fmac_f32_e32 v47, v61, v33
	s_wait_loadcnt_dscnt 0x0
	s_delay_alu instid0(VALU_DEP_1) | instskip(NEXT) | instid1(VALU_DEP_1)
	v_dual_fmac_f32 v47, v63, v32 :: v_dual_lshlrev_b32 v32, 16, v70
	v_fmac_f32_e32 v47, v59, v32
.LBB673_21:                             ;   in Loop: Header=BB673_24 Depth=2
	s_or_b32 exec_lo, exec_lo, s49
	s_wait_loadcnt_dscnt 0x303
	v_lshlrev_b32_e32 v32, 16, v69
	s_wait_loadcnt_dscnt 0x202
	v_lshlrev_b32_e32 v33, 16, v68
	s_delay_alu instid0(VALU_DEP_2) | instskip(SKIP_2) | instid1(VALU_DEP_2)
	v_fmac_f32_e32 v46, v65, v32
	s_wait_loadcnt_dscnt 0x101
	v_lshlrev_b32_e32 v32, 16, v67
	v_fmac_f32_e32 v46, v61, v33
	s_delay_alu instid0(VALU_DEP_1) | instskip(SKIP_2) | instid1(VALU_DEP_1)
	v_fmac_f32_e32 v46, v63, v32
	s_wait_loadcnt_dscnt 0x0
	v_lshlrev_b32_e32 v32, 16, v66
	v_fmac_f32_e32 v46, v59, v32
.LBB673_22:                             ;   in Loop: Header=BB673_24 Depth=2
	s_or_b32 exec_lo, exec_lo, s48
	s_wait_loadcnt_dscnt 0x202
	v_lshlrev_b32_e32 v33, 16, v62
	v_lshlrev_b32_e32 v32, 16, v64
	s_delay_alu instid0(VALU_DEP_1) | instskip(SKIP_1) | instid1(VALU_DEP_1)
	v_fmac_f32_e32 v45, v65, v32
	s_wait_loadcnt_dscnt 0x101
	v_dual_fmac_f32 v45, v61, v33 :: v_dual_lshlrev_b32 v32, 16, v60
	s_wait_loadcnt_dscnt 0x0
	s_delay_alu instid0(VALU_DEP_1) | instskip(NEXT) | instid1(VALU_DEP_1)
	v_dual_fmac_f32 v45, v63, v32 :: v_dual_lshlrev_b32 v32, 16, v58
	v_fmac_f32_e32 v45, v59, v32
.LBB673_23:                             ;   in Loop: Header=BB673_24 Depth=2
	s_wait_alu 0xfffe
	s_or_b32 exec_lo, exec_lo, s7
	v_add_co_u32 v30, vcc_lo, v30, s38
	s_wait_alu 0xfffd
	v_add_co_ci_u32_e64 v31, null, s39, v31, vcc_lo
	v_add_co_u32 v50, vcc_lo, v50, s40
	v_add_nc_u32_e32 v49, 64, v49
	s_wait_alu 0xfffd
	v_add_co_ci_u32_e64 v51, null, s41, v51, vcc_lo
	v_add_co_u32 v52, vcc_lo, v52, s40
	s_wait_alu 0xfffd
	v_add_co_ci_u32_e64 v53, null, s41, v53, vcc_lo
	v_add_co_u32 v54, vcc_lo, v54, s40
	s_wait_alu 0xfffd
	v_add_co_ci_u32_e64 v55, null, s41, v55, vcc_lo
	v_cmp_le_i32_e32 vcc_lo, s42, v49
	v_add_co_u32 v56, s7, v56, s40
	s_wait_alu 0xf1ff
	v_add_co_ci_u32_e64 v57, null, s41, v57, s7
	s_or_b32 s47, vcc_lo, s47
	s_delay_alu instid0(SALU_CYCLE_1)
	s_and_not1_b32 exec_lo, exec_lo, s47
	s_cbranch_execz .LBB673_29
.LBB673_24:                             ;   Parent Loop BB673_4 Depth=1
                                        ; =>  This Inner Loop Header: Depth=2
	s_and_saveexec_b32 s7, s0
	s_cbranch_execz .LBB673_23
; %bb.25:                               ;   in Loop: Header=BB673_24 Depth=2
	v_add_co_u32 v32, vcc_lo, v30, v6
	s_wait_alu 0xfffd
	v_add_co_ci_u32_e64 v33, null, v31, v7, vcc_lo
	v_add_co_u32 v34, vcc_lo, v30, v20
	s_wait_alu 0xfffd
	v_add_co_ci_u32_e64 v35, null, v31, v21, vcc_lo
	;; [unrolled: 3-line block ×4, first 2 shown]
	s_clause 0x3
	flat_load_u16 v59, v[32:33]
	flat_load_u16 v61, v[34:35]
	;; [unrolled: 1-line block ×4, first 2 shown]
	v_add_co_u32 v32, vcc_lo, v52, v8
	s_wait_alu 0xfffd
	v_add_co_ci_u32_e64 v33, null, v53, v9, vcc_lo
	v_add_co_u32 v36, vcc_lo, v56, v8
	s_wait_alu 0xfffd
	v_add_co_ci_u32_e64 v37, null, v57, v9, vcc_lo
	;; [unrolled: 3-line block ×4, first 2 shown]
	flat_load_u16 v64, v[32:33]
	flat_load_u16 v62, v[36:37]
	;; [unrolled: 1-line block ×4, first 2 shown]
	s_wait_loadcnt_dscnt 0x707
	v_lshlrev_b32_e32 v65, 16, v59
	s_wait_loadcnt_dscnt 0x606
	v_lshlrev_b32_e32 v61, 16, v61
	;; [unrolled: 2-line block ×4, first 2 shown]
	s_and_saveexec_b32 s48, s1
	s_cbranch_execz .LBB673_22
; %bb.26:                               ;   in Loop: Header=BB673_24 Depth=2
	flat_load_u16 v69, v[32:33] offset:128
	flat_load_u16 v68, v[36:37] offset:128
	flat_load_u16 v67, v[34:35] offset:128
	flat_load_u16 v66, v[38:39] offset:128
	s_and_saveexec_b32 s49, s2
	s_cbranch_execz .LBB673_21
; %bb.27:                               ;   in Loop: Header=BB673_24 Depth=2
	flat_load_u16 v73, v[32:33] offset:256
	flat_load_u16 v72, v[36:37] offset:256
	flat_load_u16 v71, v[34:35] offset:256
	flat_load_u16 v70, v[38:39] offset:256
	;; [unrolled: 7-line block ×3, first 2 shown]
	s_wait_loadcnt_dscnt 0x303
	v_lshlrev_b32_e32 v32, 16, v32
	s_wait_loadcnt_dscnt 0x202
	s_delay_alu instid0(VALU_DEP_1) | instskip(SKIP_3) | instid1(VALU_DEP_2)
	v_dual_fmac_f32 v48, v65, v32 :: v_dual_lshlrev_b32 v33, 16, v33
	s_wait_loadcnt_dscnt 0x101
	v_lshlrev_b32_e32 v32, 16, v34
	s_wait_loadcnt_dscnt 0x0
	v_dual_fmac_f32 v48, v61, v33 :: v_dual_lshlrev_b32 v33, 16, v35
	s_delay_alu instid0(VALU_DEP_1) | instskip(NEXT) | instid1(VALU_DEP_1)
	v_fmac_f32_e32 v48, v63, v32
	v_fmac_f32_e32 v48, v59, v33
	s_branch .LBB673_20
.LBB673_29:                             ;   in Loop: Header=BB673_4 Depth=1
	s_or_b32 exec_lo, exec_lo, s47
.LBB673_30:                             ;   in Loop: Header=BB673_4 Depth=1
	s_delay_alu instid0(SALU_CYCLE_1) | instskip(NEXT) | instid1(SALU_CYCLE_1)
	s_or_b32 exec_lo, exec_lo, s46
	s_and_not1_b32 vcc_lo, exec_lo, s43
	s_wait_alu 0xfffe
	s_cbranch_vccnz .LBB673_48
; %bb.31:                               ;   in Loop: Header=BB673_4 Depth=1
	v_cmp_gt_i32_e32 vcc_lo, s9, v49
	v_dual_mov_b32 v35, 0 :: v_dual_mov_b32 v34, 0
	v_or_b32_e32 v30, 1, v49
	v_dual_mov_b32 v37, 0 :: v_dual_mov_b32 v36, 0
	s_and_saveexec_b32 s46, vcc_lo
	s_cbranch_execz .LBB673_39
; %bb.32:                               ;   in Loop: Header=BB673_4 Depth=1
	v_mad_co_u64_u32 v[31:32], null, s36, v49, 0
	v_dual_mov_b32 v36, 0 :: v_dual_mov_b32 v35, 0
	v_mov_b32_e32 v34, 0
	s_mov_b32 s47, exec_lo
	s_delay_alu instid0(VALU_DEP_3) | instskip(NEXT) | instid1(VALU_DEP_1)
	v_mad_co_u64_u32 v[32:33], null, s37, v49, v[32:33]
	v_lshlrev_b64_e32 v[31:32], 1, v[31:32]
	s_delay_alu instid0(VALU_DEP_1) | instskip(SKIP_1) | instid1(VALU_DEP_2)
	v_add_co_u32 v31, s7, v28, v31
	s_wait_alu 0xf1ff
	v_add_co_ci_u32_e64 v32, null, v29, v32, s7
	flat_load_u16 v31, v[31:32]
	v_cmpx_gt_i32_e64 s9, v30
	s_cbranch_execz .LBB673_38
; %bb.33:                               ;   in Loop: Header=BB673_4 Depth=1
	v_mad_co_u64_u32 v[32:33], null, s36, v30, 0
	s_mov_b32 s48, exec_lo
	v_mov_b32_e32 v35, 0
	v_mad_co_u64_u32 v[33:34], null, s37, v30, v[33:34]
	v_mov_b32_e32 v34, 0
	s_delay_alu instid0(VALU_DEP_2) | instskip(NEXT) | instid1(VALU_DEP_1)
	v_lshlrev_b64_e32 v[32:33], 1, v[32:33]
	v_add_co_u32 v32, s7, v28, v32
	s_wait_alu 0xf1ff
	s_delay_alu instid0(VALU_DEP_2) | instskip(SKIP_2) | instid1(VALU_DEP_1)
	v_add_co_ci_u32_e64 v33, null, v29, v33, s7
	flat_load_u16 v32, v[32:33]
	v_or_b32_e32 v33, 2, v49
	v_cmpx_gt_i32_e64 s9, v33
	s_cbranch_execz .LBB673_37
; %bb.34:                               ;   in Loop: Header=BB673_4 Depth=1
	v_mad_co_u64_u32 v[34:35], null, s36, v33, 0
	s_mov_b32 s49, exec_lo
	v_mad_co_u64_u32 v[35:36], null, s37, v33, v[35:36]
	s_delay_alu instid0(VALU_DEP_1) | instskip(SKIP_1) | instid1(VALU_DEP_2)
	v_lshlrev_b64_e32 v[33:34], 1, v[34:35]
	v_or_b32_e32 v35, 3, v49
	v_add_co_u32 v33, s7, v28, v33
	s_wait_alu 0xf1ff
	s_delay_alu instid0(VALU_DEP_3)
	v_add_co_ci_u32_e64 v34, null, v29, v34, s7
	flat_load_u16 v33, v[33:34]
	v_mov_b32_e32 v34, 0
	v_cmpx_gt_i32_e64 s9, v35
	s_cbranch_execz .LBB673_36
; %bb.35:                               ;   in Loop: Header=BB673_4 Depth=1
	v_mad_co_u64_u32 v[36:37], null, s36, v35, 0
	s_delay_alu instid0(VALU_DEP_1) | instskip(NEXT) | instid1(VALU_DEP_1)
	v_mov_b32_e32 v34, v37
	v_mad_co_u64_u32 v[34:35], null, s37, v35, v[34:35]
	s_delay_alu instid0(VALU_DEP_1) | instskip(NEXT) | instid1(VALU_DEP_1)
	v_mov_b32_e32 v37, v34
	v_lshlrev_b64_e32 v[34:35], 1, v[36:37]
	s_delay_alu instid0(VALU_DEP_1) | instskip(SKIP_1) | instid1(VALU_DEP_2)
	v_add_co_u32 v28, s7, v28, v34
	s_wait_alu 0xf1ff
	v_add_co_ci_u32_e64 v29, null, v29, v35, s7
	flat_load_u16 v28, v[28:29]
	s_wait_loadcnt_dscnt 0x0
	v_lshlrev_b32_e32 v34, 16, v28
.LBB673_36:                             ;   in Loop: Header=BB673_4 Depth=1
	s_or_b32 exec_lo, exec_lo, s49
	s_wait_loadcnt_dscnt 0x0
	v_lshlrev_b32_e32 v35, 16, v33
.LBB673_37:                             ;   in Loop: Header=BB673_4 Depth=1
	s_or_b32 exec_lo, exec_lo, s48
	s_wait_loadcnt_dscnt 0x0
	v_lshlrev_b32_e32 v36, 16, v32
.LBB673_38:                             ;   in Loop: Header=BB673_4 Depth=1
	s_or_b32 exec_lo, exec_lo, s47
	s_wait_loadcnt_dscnt 0x0
	v_lshlrev_b32_e32 v37, 16, v31
.LBB673_39:                             ;   in Loop: Header=BB673_4 Depth=1
	s_or_b32 exec_lo, exec_lo, s46
	s_and_saveexec_b32 s46, s0
	s_cbranch_execz .LBB673_47
; %bb.40:                               ;   in Loop: Header=BB673_4 Depth=1
	v_mad_co_u64_u32 v[28:29], null, s34, v49, 0
	v_or_b32_e32 v52, 2, v49
	v_mad_co_u64_u32 v[31:32], null, s34, v30, 0
	v_or_b32_e32 v53, 3, v49
	v_cmp_gt_i32_e64 s7, s9, v30
	s_delay_alu instid0(VALU_DEP_4) | instskip(SKIP_3) | instid1(VALU_DEP_4)
	v_mad_co_u64_u32 v[38:39], null, s34, v52, 0
	v_mad_co_u64_u32 v[49:50], null, s35, v49, v[29:30]
	;; [unrolled: 1-line block ×4, first 2 shown]
	v_mov_b32_e32 v30, v39
	s_delay_alu instid0(VALU_DEP_4)
	v_dual_cndmask_b32 v50, 0, v28 :: v_dual_cndmask_b32 v51, 0, v49
	s_wait_alu 0xf1ff
	v_cndmask_b32_e64 v28, 0, v31, s7
	v_cndmask_b32_e64 v29, 0, v29, s7
	v_mad_co_u64_u32 v[30:31], null, s35, v52, v[30:31]
	v_mov_b32_e32 v31, v33
	v_lshlrev_b64_e32 v[49:50], 1, v[50:51]
	v_cmp_gt_i32_e32 vcc_lo, s9, v52
	v_lshlrev_b64_e32 v[51:52], 1, v[28:29]
	s_wait_alu 0xfffd
	v_cndmask_b32_e32 v39, 0, v30, vcc_lo
	s_delay_alu instid0(VALU_DEP_4)
	v_add_co_u32 v28, s7, v26, v49
	s_wait_alu 0xf1ff
	v_add_co_ci_u32_e64 v29, null, v27, v50, s7
	v_mad_co_u64_u32 v[30:31], null, s35, v53, v[31:32]
	v_cndmask_b32_e32 v38, 0, v38, vcc_lo
	v_add_co_u32 v28, vcc_lo, v28, v8
	s_wait_alu 0xfffd
	v_add_co_ci_u32_e64 v29, null, v29, v9, vcc_lo
	v_cmp_gt_i32_e32 vcc_lo, s9, v53
	v_add_co_u32 v31, s7, v26, v51
	s_wait_alu 0xf1ff
	v_add_co_ci_u32_e64 v49, null, v27, v52, s7
	s_wait_alu 0xfffd
	v_dual_cndmask_b32 v32, 0, v32 :: v_dual_cndmask_b32 v33, 0, v30
	v_lshlrev_b64_e32 v[38:39], 1, v[38:39]
	v_add_co_u32 v30, vcc_lo, v31, v8
	s_wait_alu 0xfffd
	v_add_co_ci_u32_e64 v31, null, v49, v9, vcc_lo
	v_lshlrev_b64_e32 v[32:33], 1, v[32:33]
	s_delay_alu instid0(VALU_DEP_4) | instskip(SKIP_2) | instid1(VALU_DEP_3)
	v_add_co_u32 v38, vcc_lo, v26, v38
	s_wait_alu 0xfffd
	v_add_co_ci_u32_e64 v39, null, v27, v39, vcc_lo
	v_add_co_u32 v32, vcc_lo, v26, v32
	s_wait_alu 0xfffd
	v_add_co_ci_u32_e64 v33, null, v27, v33, vcc_lo
	;; [unrolled: 3-line block ×4, first 2 shown]
	s_clause 0x3
	flat_load_u16 v50, v[28:29]
	flat_load_u16 v49, v[30:31]
	;; [unrolled: 1-line block ×4, first 2 shown]
	s_and_saveexec_b32 s7, s1
	s_cbranch_execz .LBB673_46
; %bb.41:                               ;   in Loop: Header=BB673_4 Depth=1
	s_clause 0x3
	flat_load_u16 v54, v[28:29] offset:128
	flat_load_u16 v53, v[30:31] offset:128
	flat_load_u16 v52, v[26:27] offset:128
	flat_load_u16 v51, v[32:33] offset:128
	s_and_saveexec_b32 s47, s2
	s_cbranch_execz .LBB673_45
; %bb.42:                               ;   in Loop: Header=BB673_4 Depth=1
	s_clause 0x3
	flat_load_u16 v58, v[28:29] offset:256
	flat_load_u16 v57, v[30:31] offset:256
	flat_load_u16 v56, v[26:27] offset:256
	flat_load_u16 v55, v[32:33] offset:256
	;; [unrolled: 8-line block ×3, first 2 shown]
	s_wait_loadcnt_dscnt 0x303
	v_lshlrev_b32_e32 v28, 16, v28
	s_wait_loadcnt_dscnt 0x202
	v_lshlrev_b32_e32 v29, 16, v29
	;; [unrolled: 2-line block ×3, first 2 shown]
	s_wait_loadcnt_dscnt 0x0
	v_dual_fmac_f32 v48, v37, v28 :: v_dual_lshlrev_b32 v27, 16, v27
	s_delay_alu instid0(VALU_DEP_1) | instskip(NEXT) | instid1(VALU_DEP_1)
	v_fmac_f32_e32 v48, v36, v29
	v_fmac_f32_e32 v48, v35, v26
	s_delay_alu instid0(VALU_DEP_1)
	v_fmac_f32_e32 v48, v34, v27
.LBB673_44:                             ;   in Loop: Header=BB673_4 Depth=1
	s_or_b32 exec_lo, exec_lo, s48
	s_wait_loadcnt_dscnt 0x202
	v_lshlrev_b32_e32 v27, 16, v57
	v_lshlrev_b32_e32 v26, 16, v58
	s_wait_loadcnt_dscnt 0x101
	s_delay_alu instid0(VALU_DEP_1) | instskip(NEXT) | instid1(VALU_DEP_1)
	v_dual_fmac_f32 v47, v37, v26 :: v_dual_lshlrev_b32 v26, 16, v56
	v_fmac_f32_e32 v47, v36, v27
	s_wait_loadcnt_dscnt 0x0
	s_delay_alu instid0(VALU_DEP_1) | instskip(NEXT) | instid1(VALU_DEP_1)
	v_dual_fmac_f32 v47, v35, v26 :: v_dual_lshlrev_b32 v26, 16, v55
	v_fmac_f32_e32 v47, v34, v26
.LBB673_45:                             ;   in Loop: Header=BB673_4 Depth=1
	s_or_b32 exec_lo, exec_lo, s47
	s_wait_loadcnt_dscnt 0x303
	v_lshlrev_b32_e32 v26, 16, v54
	s_wait_loadcnt_dscnt 0x202
	s_delay_alu instid0(VALU_DEP_1) | instskip(SKIP_2) | instid1(VALU_DEP_2)
	v_dual_fmac_f32 v46, v37, v26 :: v_dual_lshlrev_b32 v27, 16, v53
	s_wait_loadcnt_dscnt 0x101
	v_lshlrev_b32_e32 v26, 16, v52
	v_fmac_f32_e32 v46, v36, v27
	s_delay_alu instid0(VALU_DEP_1) | instskip(SKIP_2) | instid1(VALU_DEP_1)
	v_fmac_f32_e32 v46, v35, v26
	s_wait_loadcnt_dscnt 0x0
	v_lshlrev_b32_e32 v26, 16, v51
	v_fmac_f32_e32 v46, v34, v26
.LBB673_46:                             ;   in Loop: Header=BB673_4 Depth=1
	s_wait_alu 0xfffe
	s_or_b32 exec_lo, exec_lo, s7
	s_wait_loadcnt_dscnt 0x202
	v_lshlrev_b32_e32 v27, 16, v49
	v_lshlrev_b32_e32 v26, 16, v50
	s_wait_loadcnt_dscnt 0x101
	s_delay_alu instid0(VALU_DEP_1) | instskip(NEXT) | instid1(VALU_DEP_1)
	v_dual_fmac_f32 v45, v37, v26 :: v_dual_lshlrev_b32 v26, 16, v39
	v_fmac_f32_e32 v45, v36, v27
	s_delay_alu instid0(VALU_DEP_1) | instskip(SKIP_2) | instid1(VALU_DEP_1)
	v_fmac_f32_e32 v45, v35, v26
	s_wait_loadcnt_dscnt 0x0
	v_lshlrev_b32_e32 v26, 16, v38
	v_fmac_f32_e32 v45, v34, v26
.LBB673_47:                             ;   in Loop: Header=BB673_4 Depth=1
	s_or_b32 exec_lo, exec_lo, s46
.LBB673_48:                             ;   in Loop: Header=BB673_4 Depth=1
	ds_store_2addr_stride64_b32 v0, v45, v46 offset1:1
	ds_store_2addr_stride64_b32 v0, v47, v48 offset0:2 offset1:3
	s_wait_dscnt 0x0
	s_barrier_signal -1
	s_barrier_wait -1
	global_inv scope:SCOPE_SE
                                        ; implicit-def: $vgpr30
	s_and_saveexec_b32 s7, s5
	s_cbranch_execz .LBB673_54
; %bb.49:                               ;   in Loop: Header=BB673_4 Depth=1
	ds_load_2addr_stride64_b32 v[26:27], v41 offset1:4
	ds_load_2addr_stride64_b32 v[28:29], v41 offset0:8 offset1:12
	ds_load_2addr_stride64_b32 v[30:31], v41 offset0:16 offset1:20
	s_mov_b32 s47, s8
	s_wait_dscnt 0x2
	v_add_f32_e32 v32, v26, v27
	ds_load_2addr_stride64_b32 v[26:27], v41 offset0:24 offset1:28
	s_wait_dscnt 0x2
	v_add_f32_e32 v28, v28, v32
	s_delay_alu instid0(VALU_DEP_1) | instskip(SKIP_3) | instid1(VALU_DEP_1)
	v_add_f32_e32 v32, v29, v28
	ds_load_2addr_stride64_b32 v[28:29], v41 offset0:32 offset1:36
	s_wait_dscnt 0x2
	v_add_f32_e32 v30, v30, v32
	v_add_f32_e32 v32, v31, v30
	ds_load_2addr_stride64_b32 v[30:31], v41 offset0:40 offset1:44
	s_wait_dscnt 0x2
	v_add_f32_e32 v26, v26, v32
	s_delay_alu instid0(VALU_DEP_1) | instskip(SKIP_1) | instid1(VALU_DEP_1)
	v_add_f32_e32 v26, v27, v26
	s_wait_dscnt 0x1
	v_add_f32_e32 v28, v28, v26
	ds_load_2addr_stride64_b32 v[26:27], v41 offset0:48 offset1:52
	v_add_f32_e32 v28, v29, v28
	s_wait_dscnt 0x1
	s_delay_alu instid0(VALU_DEP_1) | instskip(SKIP_3) | instid1(VALU_DEP_1)
	v_add_f32_e32 v30, v30, v28
	ds_load_2addr_stride64_b32 v[28:29], v41 offset0:56 offset1:60
	v_add_f32_e32 v30, v31, v30
	s_wait_dscnt 0x1
	v_add_f32_e32 v26, v26, v30
                                        ; implicit-def: $vgpr30
	s_delay_alu instid0(VALU_DEP_1) | instskip(SKIP_1) | instid1(VALU_DEP_1)
	v_add_f32_e32 v26, v27, v26
	s_wait_dscnt 0x0
	v_add_f32_e32 v26, v28, v26
	s_delay_alu instid0(VALU_DEP_1)
	v_add_f32_e32 v26, v29, v26
	ds_store_b32 v41, v26
	s_and_saveexec_b32 s46, s6
	s_cbranch_execz .LBB673_53
; %bb.50:                               ;   in Loop: Header=BB673_4 Depth=1
	v_mul_f32_e32 v30, v42, v26
	s_cmp_eq_f32 s45, 0
	s_cbranch_scc1 .LBB673_52
; %bb.51:                               ;   in Loop: Header=BB673_4 Depth=1
	v_lshlrev_b64_e32 v[26:27], 2, v[4:5]
	s_delay_alu instid0(VALU_DEP_1) | instskip(SKIP_1) | instid1(VALU_DEP_2)
	v_add_co_u32 v26, vcc_lo, v43, v26
	s_wait_alu 0xfffd
	v_add_co_ci_u32_e64 v27, null, v44, v27, vcc_lo
	flat_load_b32 v26, v[26:27]
	s_wait_loadcnt_dscnt 0x0
	v_fmac_f32_e32 v30, s45, v26
.LBB673_52:                             ;   in Loop: Header=BB673_4 Depth=1
	s_or_b32 s47, s8, exec_lo
.LBB673_53:                             ;   in Loop: Header=BB673_4 Depth=1
	s_or_b32 exec_lo, exec_lo, s46
	s_delay_alu instid0(SALU_CYCLE_1)
	s_and_not1_b32 s8, s8, exec_lo
	s_and_b32 s45, s47, exec_lo
	s_wait_alu 0xfffe
	s_or_b32 s8, s8, s45
.LBB673_54:                             ;   in Loop: Header=BB673_4 Depth=1
	s_wait_alu 0xfffe
	s_or_b32 exec_lo, exec_lo, s7
	v_dual_mov_b32 v27, v5 :: v_dual_mov_b32 v26, v4
	s_and_saveexec_b32 s7, s8
	s_cbranch_execz .LBB673_2
.LBB673_55:                             ;   in Loop: Header=BB673_4 Depth=1
	s_delay_alu instid0(VALU_DEP_1) | instskip(NEXT) | instid1(VALU_DEP_1)
	v_lshlrev_b64_e32 v[26:27], 2, v[26:27]
	v_add_co_u32 v26, vcc_lo, v43, v26
	s_wait_alu 0xfffd
	s_delay_alu instid0(VALU_DEP_2)
	v_add_co_ci_u32_e64 v27, null, v44, v27, vcc_lo
	flat_store_b32 v[26:27], v30
	s_branch .LBB673_2
.LBB673_56:
	s_endpgm
	.section	.rodata,"a",@progbits
	.p2align	6, 0x0
	.amdhsa_kernel _ZL20rocblas_gemvn_kernelILi64ELi16ElPK16rocblas_bfloat16PKfKPfEviiT3_lPKT2_lT1_lSA_lSB_lS7_lPT4_lSB_li
		.amdhsa_group_segment_fixed_size 16384
		.amdhsa_private_segment_fixed_size 0
		.amdhsa_kernarg_size 400
		.amdhsa_user_sgpr_count 2
		.amdhsa_user_sgpr_dispatch_ptr 0
		.amdhsa_user_sgpr_queue_ptr 0
		.amdhsa_user_sgpr_kernarg_segment_ptr 1
		.amdhsa_user_sgpr_dispatch_id 0
		.amdhsa_user_sgpr_private_segment_size 0
		.amdhsa_wavefront_size32 1
		.amdhsa_uses_dynamic_stack 0
		.amdhsa_enable_private_segment 0
		.amdhsa_system_sgpr_workgroup_id_x 1
		.amdhsa_system_sgpr_workgroup_id_y 0
		.amdhsa_system_sgpr_workgroup_id_z 1
		.amdhsa_system_sgpr_workgroup_info 0
		.amdhsa_system_vgpr_workitem_id 1
		.amdhsa_next_free_vgpr 74
		.amdhsa_next_free_sgpr 51
		.amdhsa_reserve_vcc 1
		.amdhsa_float_round_mode_32 0
		.amdhsa_float_round_mode_16_64 0
		.amdhsa_float_denorm_mode_32 3
		.amdhsa_float_denorm_mode_16_64 3
		.amdhsa_fp16_overflow 0
		.amdhsa_workgroup_processor_mode 1
		.amdhsa_memory_ordered 1
		.amdhsa_forward_progress 1
		.amdhsa_inst_pref_size 30
		.amdhsa_round_robin_scheduling 0
		.amdhsa_exception_fp_ieee_invalid_op 0
		.amdhsa_exception_fp_denorm_src 0
		.amdhsa_exception_fp_ieee_div_zero 0
		.amdhsa_exception_fp_ieee_overflow 0
		.amdhsa_exception_fp_ieee_underflow 0
		.amdhsa_exception_fp_ieee_inexact 0
		.amdhsa_exception_int_div_zero 0
	.end_amdhsa_kernel
	.section	.text._ZL20rocblas_gemvn_kernelILi64ELi16ElPK16rocblas_bfloat16PKfKPfEviiT3_lPKT2_lT1_lSA_lSB_lS7_lPT4_lSB_li,"axG",@progbits,_ZL20rocblas_gemvn_kernelILi64ELi16ElPK16rocblas_bfloat16PKfKPfEviiT3_lPKT2_lT1_lSA_lSB_lS7_lPT4_lSB_li,comdat
.Lfunc_end673:
	.size	_ZL20rocblas_gemvn_kernelILi64ELi16ElPK16rocblas_bfloat16PKfKPfEviiT3_lPKT2_lT1_lSA_lSB_lS7_lPT4_lSB_li, .Lfunc_end673-_ZL20rocblas_gemvn_kernelILi64ELi16ElPK16rocblas_bfloat16PKfKPfEviiT3_lPKT2_lT1_lSA_lSB_lS7_lPT4_lSB_li
                                        ; -- End function
	.set _ZL20rocblas_gemvn_kernelILi64ELi16ElPK16rocblas_bfloat16PKfKPfEviiT3_lPKT2_lT1_lSA_lSB_lS7_lPT4_lSB_li.num_vgpr, 74
	.set _ZL20rocblas_gemvn_kernelILi64ELi16ElPK16rocblas_bfloat16PKfKPfEviiT3_lPKT2_lT1_lSA_lSB_lS7_lPT4_lSB_li.num_agpr, 0
	.set _ZL20rocblas_gemvn_kernelILi64ELi16ElPK16rocblas_bfloat16PKfKPfEviiT3_lPKT2_lT1_lSA_lSB_lS7_lPT4_lSB_li.numbered_sgpr, 51
	.set _ZL20rocblas_gemvn_kernelILi64ELi16ElPK16rocblas_bfloat16PKfKPfEviiT3_lPKT2_lT1_lSA_lSB_lS7_lPT4_lSB_li.num_named_barrier, 0
	.set _ZL20rocblas_gemvn_kernelILi64ELi16ElPK16rocblas_bfloat16PKfKPfEviiT3_lPKT2_lT1_lSA_lSB_lS7_lPT4_lSB_li.private_seg_size, 0
	.set _ZL20rocblas_gemvn_kernelILi64ELi16ElPK16rocblas_bfloat16PKfKPfEviiT3_lPKT2_lT1_lSA_lSB_lS7_lPT4_lSB_li.uses_vcc, 1
	.set _ZL20rocblas_gemvn_kernelILi64ELi16ElPK16rocblas_bfloat16PKfKPfEviiT3_lPKT2_lT1_lSA_lSB_lS7_lPT4_lSB_li.uses_flat_scratch, 1
	.set _ZL20rocblas_gemvn_kernelILi64ELi16ElPK16rocblas_bfloat16PKfKPfEviiT3_lPKT2_lT1_lSA_lSB_lS7_lPT4_lSB_li.has_dyn_sized_stack, 0
	.set _ZL20rocblas_gemvn_kernelILi64ELi16ElPK16rocblas_bfloat16PKfKPfEviiT3_lPKT2_lT1_lSA_lSB_lS7_lPT4_lSB_li.has_recursion, 0
	.set _ZL20rocblas_gemvn_kernelILi64ELi16ElPK16rocblas_bfloat16PKfKPfEviiT3_lPKT2_lT1_lSA_lSB_lS7_lPT4_lSB_li.has_indirect_call, 0
	.section	.AMDGPU.csdata,"",@progbits
; Kernel info:
; codeLenInByte = 3816
; TotalNumSgprs: 53
; NumVgprs: 74
; ScratchSize: 0
; MemoryBound: 0
; FloatMode: 240
; IeeeMode: 1
; LDSByteSize: 16384 bytes/workgroup (compile time only)
; SGPRBlocks: 0
; VGPRBlocks: 9
; NumSGPRsForWavesPerEU: 53
; NumVGPRsForWavesPerEU: 74
; Occupancy: 16
; WaveLimiterHint : 1
; COMPUTE_PGM_RSRC2:SCRATCH_EN: 0
; COMPUTE_PGM_RSRC2:USER_SGPR: 2
; COMPUTE_PGM_RSRC2:TRAP_HANDLER: 0
; COMPUTE_PGM_RSRC2:TGID_X_EN: 1
; COMPUTE_PGM_RSRC2:TGID_Y_EN: 0
; COMPUTE_PGM_RSRC2:TGID_Z_EN: 1
; COMPUTE_PGM_RSRC2:TIDIG_COMP_CNT: 1
	.section	.text._ZL20rocblas_gemvn_kernelILi64ELi16EiPK16rocblas_bfloat16fKPfEviiT3_lPKT2_lT1_lS8_lS9_lS5_lPT4_lS9_li,"axG",@progbits,_ZL20rocblas_gemvn_kernelILi64ELi16EiPK16rocblas_bfloat16fKPfEviiT3_lPKT2_lT1_lS8_lS9_lS5_lPT4_lS9_li,comdat
	.globl	_ZL20rocblas_gemvn_kernelILi64ELi16EiPK16rocblas_bfloat16fKPfEviiT3_lPKT2_lT1_lS8_lS9_lS5_lPT4_lS9_li ; -- Begin function _ZL20rocblas_gemvn_kernelILi64ELi16EiPK16rocblas_bfloat16fKPfEviiT3_lPKT2_lT1_lS8_lS9_lS5_lPT4_lS9_li
	.p2align	8
	.type	_ZL20rocblas_gemvn_kernelILi64ELi16EiPK16rocblas_bfloat16fKPfEviiT3_lPKT2_lT1_lS8_lS9_lS5_lPT4_lS9_li,@function
_ZL20rocblas_gemvn_kernelILi64ELi16EiPK16rocblas_bfloat16fKPfEviiT3_lPKT2_lT1_lS8_lS9_lS5_lPT4_lS9_li: ; @_ZL20rocblas_gemvn_kernelILi64ELi16EiPK16rocblas_bfloat16fKPfEviiT3_lPKT2_lT1_lS8_lS9_lS5_lPT4_lS9_li
; %bb.0:
	s_clause 0x1
	s_load_b64 s[2:3], s[0:1], 0x9c
	s_load_b32 s23, s[0:1], 0x88
	s_lshr_b32 s24, ttmp7, 16
	s_wait_kmcnt 0x0
	s_lshr_b32 s4, s2, 16
	s_and_b32 s2, s2, 0xffff
	s_and_b32 s3, s3, 0xffff
	s_mul_i32 s2, s4, s2
	s_delay_alu instid0(SALU_CYCLE_1) | instskip(NEXT) | instid1(SALU_CYCLE_1)
	s_mul_i32 s2, s2, s3
	s_cmp_lg_u32 s2, 0x400
	s_cselect_b32 s2, -1, 0
	s_cmp_ge_u32 s24, s23
	s_cselect_b32 s3, -1, 0
	s_delay_alu instid0(SALU_CYCLE_1) | instskip(NEXT) | instid1(SALU_CYCLE_1)
	s_or_b32 s2, s2, s3
	s_and_b32 vcc_lo, exec_lo, s2
	s_cbranch_vccnz .LBB674_59
; %bb.1:
	s_clause 0x7
	s_load_b32 s4, s[0:1], 0x78
	s_load_b96 s[20:22], s[0:1], 0x0
	s_load_b32 s27, s[0:1], 0x58
	s_load_b32 s28, s[0:1], 0x28
	s_load_b128 s[8:11], s[0:1], 0x38
	s_load_b32 s26, s[0:1], 0x48
	s_load_b128 s[12:15], s[0:1], 0x68
	s_load_b128 s[16:19], s[0:1], 0x18
	v_and_b32_e32 v9, 0x3ff, v0
	v_bfe_u32 v8, v0, 10, 10
	v_mov_b32_e32 v1, 0
	s_mov_b32 s25, 0
	s_delay_alu instid0(VALU_DEP_3) | instskip(NEXT) | instid1(VALU_DEP_3)
	v_lshlrev_b32_e32 v0, 2, v9
	v_lshl_add_u32 v2, v8, 6, v9
	v_lshlrev_b32_e32 v23, 2, v8
	s_delay_alu instid0(VALU_DEP_3)
	v_lshl_add_u32 v24, v8, 10, v0
	v_lshl_add_u32 v25, v8, 8, v0
	s_wait_kmcnt 0x0
	s_ashr_i32 s5, s4, 31
	s_cmp_eq_f32 s22, 0
	s_mov_b32 s2, s20
	v_cmp_gt_u32_e64 s0, 0x100, v2
	v_mul_lo_u32 v10, s28, v23
	s_cselect_b32 s29, -1, 0
	s_cmp_neq_f32 s27, 1.0
	v_or_b32_e32 v12, 3, v23
	v_mul_lo_u32 v13, v8, s26
	s_cselect_b32 s1, -1, 0
	s_cmp_neq_f32 s22, 0
	s_delay_alu instid0(VALU_DEP_2)
	v_mul_lo_u32 v30, s26, v12
	s_cselect_b32 s6, -1, 0
	s_lshl_b32 s30, ttmp9, 8
	s_ashr_i32 s3, s20, 31
	v_add_nc_u32_e32 v0, s30, v2
	v_or_b32_e32 v4, s30, v2
	v_add_nc_u32_e32 v27, s30, v9
	s_or_b32 s31, s6, s1
	s_cmp_neq_f32 s27, 0
	v_cmp_gt_i64_e32 vcc_lo, s[2:3], v[0:1]
	v_mad_co_u64_u32 v[2:3], null, s4, v0, 0
	v_cmp_gt_i32_e64 s2, s20, v4
	v_mul_lo_u32 v4, s4, v4
	v_add_nc_u32_e32 v6, 0x80, v27
	v_add_nc_u32_e32 v11, 0xc0, v27
	s_cselect_b32 s33, -1, 0
	s_ashr_i32 s3, s21, 31
	v_add_nc_u32_e32 v5, 64, v27
	v_cmp_gt_i32_e64 s4, s20, v6
	s_wait_alu 0xfffe
	s_lshr_b32 s3, s3, 26
	v_mad_co_u64_u32 v[6:7], null, s5, v0, v[3:4]
	v_cmp_gt_i32_e64 s5, s20, v11
	v_mul_lo_u32 v11, v8, s28
	v_add3_u32 v0, v10, s28, v9
	v_or_b32_e32 v10, 2, v23
	s_wait_alu 0xfffe
	s_add_co_i32 s34, s21, s3
	v_cndmask_b32_e64 v26, 0, 1, s6
	v_mov_b32_e32 v3, v6
	s_and_not1_b32 s34, s34, 63
	v_mad_co_u64_u32 v[6:7], null, s28, v10, v[9:10]
	v_mad_co_u64_u32 v[7:8], null, s28, v12, v[9:10]
	v_lshl_add_u32 v28, v11, 2, v9
	v_mad_co_u64_u32 v[8:9], null, s26, v23, s[26:27]
	v_mul_lo_u32 v29, s26, v10
	s_sub_co_i32 s7, s21, s34
	v_lshlrev_b64_e32 v[9:10], 2, v[2:3]
	v_cmp_gt_i32_e64 s1, s20, v27
	v_cmp_gt_i32_e64 s3, s20, v5
	v_cmp_gt_i32_e64 s6, s34, v23
	v_ashrrev_i32_e32 v5, 31, v4
	v_lshlrev_b32_e32 v31, 2, v13
	s_wait_alu 0xfffe
	s_cmp_gt_i32 s7, 0
	s_cselect_b32 s20, -1, 0
	s_and_b32 s35, s0, vcc_lo
	s_lshl_b32 s36, s28, 6
	s_lshl_b32 s37, s26, 6
	s_lshl_b64 s[18:19], s[18:19], 1
	s_lshl_b64 s[10:11], s[10:11], 1
	;; [unrolled: 1-line block ×3, first 2 shown]
	s_branch .LBB674_4
.LBB674_2:                              ;   in Loop: Header=BB674_4 Depth=1
	s_wait_alu 0xfffe
	s_or_b32 exec_lo, exec_lo, s7
.LBB674_3:                              ;   in Loop: Header=BB674_4 Depth=1
	s_add_co_i32 s24, s24, 0x10000
	s_delay_alu instid0(SALU_CYCLE_1)
	s_cmp_lt_u32 s24, s23
	s_cbranch_scc0 .LBB674_59
.LBB674_4:                              ; =>This Loop Header: Depth=1
                                        ;     Child Loop BB674_27 Depth 2
	s_and_not1_b32 vcc_lo, exec_lo, s31
	s_wait_alu 0xfffe
	s_cbranch_vccnz .LBB674_3
; %bb.5:                                ;   in Loop: Header=BB674_4 Depth=1
	s_and_not1_b32 vcc_lo, exec_lo, s29
	s_wait_alu 0xfffe
	s_cbranch_vccnz .LBB674_7
; %bb.6:                                ;   in Loop: Header=BB674_4 Depth=1
	s_mov_b32 s7, 0
	s_branch .LBB674_8
.LBB674_7:                              ;   in Loop: Header=BB674_4 Depth=1
	s_mov_b32 s7, -1
.LBB674_8:                              ;   in Loop: Header=BB674_4 Depth=1
	v_mov_b32_e32 v13, 0
	v_dual_mov_b32 v14, 0 :: v_dual_mov_b32 v11, 0
	v_mov_b32_e32 v12, 0
	s_wait_alu 0xfffe
	s_and_not1_b32 vcc_lo, exec_lo, s7
	s_wait_alu 0xfffe
	s_cbranch_vccnz .LBB674_10
; %bb.9:                                ;   in Loop: Header=BB674_4 Depth=1
	s_lshl_b64 s[38:39], s[24:25], 3
	s_delay_alu instid0(SALU_CYCLE_1)
	s_add_nc_u64 s[38:39], s[16:17], s[38:39]
	global_load_b64 v[11:12], v1, s[38:39]
	s_wait_loadcnt 0x0
	v_add_co_u32 v11, vcc_lo, v11, s18
	s_wait_alu 0xfffd
	v_add_co_ci_u32_e64 v12, null, s19, v12, vcc_lo
.LBB674_10:                             ;   in Loop: Header=BB674_4 Depth=1
	v_cmp_ne_u32_e32 vcc_lo, 1, v26
	s_cbranch_vccnz .LBB674_12
; %bb.11:                               ;   in Loop: Header=BB674_4 Depth=1
	s_lshl_b64 s[38:39], s[24:25], 3
	s_delay_alu instid0(SALU_CYCLE_1)
	s_add_nc_u64 s[38:39], s[8:9], s[38:39]
	global_load_b64 v[13:14], v1, s[38:39]
	s_wait_loadcnt 0x0
	v_add_co_u32 v13, vcc_lo, v13, s10
	s_wait_alu 0xfffd
	v_add_co_ci_u32_e64 v14, null, s11, v14, vcc_lo
.LBB674_12:                             ;   in Loop: Header=BB674_4 Depth=1
	s_lshl_b64 s[38:39], s[24:25], 3
	s_delay_alu instid0(SALU_CYCLE_1)
	s_add_nc_u64 s[38:39], s[12:13], s[38:39]
	global_load_b64 v[15:16], v1, s[38:39]
	s_wait_loadcnt 0x0
	v_add_co_u32 v32, vcc_lo, v15, s14
	s_wait_alu 0xfffd
	v_add_co_ci_u32_e64 v33, null, s15, v16, vcc_lo
	s_and_not1_b32 vcc_lo, exec_lo, s29
	s_wait_alu 0xfffe
	s_cbranch_vccnz .LBB674_16
; %bb.13:                               ;   in Loop: Header=BB674_4 Depth=1
	s_mov_b32 s7, 0
	s_mov_b32 s38, 0
                                        ; implicit-def: $vgpr15
	s_and_saveexec_b32 s39, s35
	s_cbranch_execz .LBB674_17
; %bb.14:                               ;   in Loop: Header=BB674_4 Depth=1
	s_and_not1_b32 vcc_lo, exec_lo, s33
	s_wait_alu 0xfffe
	s_cbranch_vccnz .LBB674_19
; %bb.15:                               ;   in Loop: Header=BB674_4 Depth=1
	v_add_co_u32 v15, vcc_lo, v32, v9
	s_wait_alu 0xfffd
	v_add_co_ci_u32_e64 v16, null, v33, v10, vcc_lo
	flat_load_b32 v15, v[15:16]
	s_wait_loadcnt_dscnt 0x0
	v_mul_f32_e32 v15, s27, v15
	s_branch .LBB674_20
.LBB674_16:                             ;   in Loop: Header=BB674_4 Depth=1
	s_mov_b32 s38, 0
                                        ; implicit-def: $vgpr15
	s_cbranch_execz .LBB674_18
	s_branch .LBB674_21
.LBB674_17:                             ;   in Loop: Header=BB674_4 Depth=1
	s_or_b32 exec_lo, exec_lo, s39
	s_wait_alu 0xfffe
	s_and_b32 vcc_lo, exec_lo, s7
	s_wait_alu 0xfffe
	s_cbranch_vccnz .LBB674_21
.LBB674_18:                             ;   in Loop: Header=BB674_4 Depth=1
	v_dual_mov_b32 v12, v3 :: v_dual_mov_b32 v11, v2
	s_and_saveexec_b32 s7, s38
	s_cbranch_execz .LBB674_2
	s_branch .LBB674_58
.LBB674_19:                             ;   in Loop: Header=BB674_4 Depth=1
	v_mov_b32_e32 v15, 0
.LBB674_20:                             ;   in Loop: Header=BB674_4 Depth=1
	s_mov_b32 s38, exec_lo
	s_or_b32 exec_lo, exec_lo, s39
	s_delay_alu instid0(SALU_CYCLE_1)
	s_and_b32 vcc_lo, exec_lo, s7
	s_wait_alu 0xfffe
	s_cbranch_vccz .LBB674_18
.LBB674_21:                             ;   in Loop: Header=BB674_4 Depth=1
	v_dual_mov_b32 v34, 0 :: v_dual_mov_b32 v35, 0
	v_dual_mov_b32 v38, v23 :: v_dual_mov_b32 v37, 0
	v_mov_b32_e32 v36, 0
	s_and_saveexec_b32 s7, s6
	s_cbranch_execz .LBB674_33
; %bb.22:                               ;   in Loop: Header=BB674_4 Depth=1
	v_dual_mov_b32 v34, 0 :: v_dual_mov_b32 v39, v28
	v_dual_mov_b32 v40, v7 :: v_dual_mov_b32 v41, v6
	;; [unrolled: 1-line block ×4, first 2 shown]
	v_mov_b32_e32 v36, 0
	s_mov_b32 s39, 0
	s_mov_b32 s40, 0
	s_branch .LBB674_27
.LBB674_23:                             ;   in Loop: Header=BB674_27 Depth=2
	s_or_b32 exec_lo, exec_lo, s44
	s_wait_loadcnt_dscnt 0x202
	v_lshlrev_b32_e32 v16, 16, v57
	v_lshlrev_b32_e32 v15, 16, v58
	s_wait_loadcnt_dscnt 0x101
	s_delay_alu instid0(VALU_DEP_1) | instskip(NEXT) | instid1(VALU_DEP_1)
	v_dual_fmac_f32 v36, v50, v15 :: v_dual_lshlrev_b32 v15, 16, v56
	v_fmac_f32_e32 v36, v46, v16
	s_delay_alu instid0(VALU_DEP_1) | instskip(SKIP_2) | instid1(VALU_DEP_1)
	v_fmac_f32_e32 v36, v48, v15
	s_wait_loadcnt_dscnt 0x0
	v_lshlrev_b32_e32 v15, 16, v55
	v_fmac_f32_e32 v36, v44, v15
.LBB674_24:                             ;   in Loop: Header=BB674_27 Depth=2
	s_or_b32 exec_lo, exec_lo, s43
	s_wait_loadcnt_dscnt 0x303
	v_lshlrev_b32_e32 v15, 16, v54
	s_wait_loadcnt_dscnt 0x202
	s_delay_alu instid0(VALU_DEP_1) | instskip(SKIP_2) | instid1(VALU_DEP_2)
	v_dual_fmac_f32 v35, v50, v15 :: v_dual_lshlrev_b32 v16, 16, v53
	s_wait_loadcnt_dscnt 0x101
	v_lshlrev_b32_e32 v15, 16, v52
	v_fmac_f32_e32 v35, v46, v16
	s_delay_alu instid0(VALU_DEP_1) | instskip(SKIP_2) | instid1(VALU_DEP_1)
	v_fmac_f32_e32 v35, v48, v15
	s_wait_loadcnt_dscnt 0x0
	v_lshlrev_b32_e32 v15, 16, v51
	v_fmac_f32_e32 v35, v44, v15
.LBB674_25:                             ;   in Loop: Header=BB674_27 Depth=2
	s_or_b32 exec_lo, exec_lo, s42
	s_wait_loadcnt_dscnt 0x202
	v_lshlrev_b32_e32 v16, 16, v47
	v_lshlrev_b32_e32 v15, 16, v49
	s_wait_loadcnt_dscnt 0x101
	s_delay_alu instid0(VALU_DEP_1) | instskip(NEXT) | instid1(VALU_DEP_1)
	v_dual_fmac_f32 v34, v50, v15 :: v_dual_lshlrev_b32 v15, 16, v45
	v_fmac_f32_e32 v34, v46, v16
	s_delay_alu instid0(VALU_DEP_1) | instskip(SKIP_2) | instid1(VALU_DEP_1)
	v_fmac_f32_e32 v34, v48, v15
	s_wait_loadcnt_dscnt 0x0
	v_lshlrev_b32_e32 v15, 16, v43
	v_fmac_f32_e32 v34, v44, v15
.LBB674_26:                             ;   in Loop: Header=BB674_27 Depth=2
	s_wait_alu 0xfffe
	s_or_b32 exec_lo, exec_lo, s41
	v_add_nc_u32_e32 v38, 64, v38
	v_add_nc_u32_e32 v42, s36, v42
	;; [unrolled: 1-line block ×5, first 2 shown]
	v_cmp_le_i32_e32 vcc_lo, s34, v38
	s_add_co_i32 s40, s40, s37
	s_or_b32 s39, vcc_lo, s39
	s_delay_alu instid0(SALU_CYCLE_1)
	s_and_not1_b32 exec_lo, exec_lo, s39
	s_cbranch_execz .LBB674_32
.LBB674_27:                             ;   Parent Loop BB674_4 Depth=1
                                        ; =>  This Inner Loop Header: Depth=2
	s_and_saveexec_b32 s41, s1
	s_cbranch_execz .LBB674_26
; %bb.28:                               ;   in Loop: Header=BB674_27 Depth=2
	s_wait_alu 0xfffe
	v_add_nc_u32_e32 v15, s40, v31
	v_add_nc_u32_e32 v17, s40, v8
	;; [unrolled: 1-line block ×5, first 2 shown]
	v_ashrrev_i32_e32 v16, 31, v15
	v_ashrrev_i32_e32 v18, 31, v17
	v_ashrrev_i32_e32 v20, 31, v19
	v_ashrrev_i32_e32 v22, 31, v21
	v_ashrrev_i32_e32 v44, 31, v43
	v_lshlrev_b64_e32 v[15:16], 1, v[15:16]
	v_lshlrev_b64_e32 v[17:18], 1, v[17:18]
	;; [unrolled: 1-line block ×4, first 2 shown]
	v_add_nc_u32_e32 v45, s30, v42
	v_add_nc_u32_e32 v47, s30, v41
	v_add_co_u32 v15, vcc_lo, v13, v15
	s_wait_alu 0xfffd
	v_add_co_ci_u32_e64 v16, null, v14, v16, vcc_lo
	v_add_co_u32 v17, vcc_lo, v13, v17
	s_wait_alu 0xfffd
	v_add_co_ci_u32_e64 v18, null, v14, v18, vcc_lo
	;; [unrolled: 3-line block ×4, first 2 shown]
	v_lshlrev_b64_e32 v[43:44], 1, v[43:44]
	s_clause 0x3
	flat_load_u16 v50, v[15:16]
	flat_load_u16 v51, v[17:18]
	;; [unrolled: 1-line block ×4, first 2 shown]
	v_add_nc_u32_e32 v19, s30, v40
	v_ashrrev_i32_e32 v46, 31, v45
	v_ashrrev_i32_e32 v48, 31, v47
	v_add_co_u32 v15, vcc_lo, v11, v43
	s_delay_alu instid0(VALU_DEP_4) | instskip(NEXT) | instid1(VALU_DEP_4)
	v_ashrrev_i32_e32 v20, 31, v19
	v_lshlrev_b64_e32 v[17:18], 1, v[45:46]
	s_wait_alu 0xfffd
	v_add_co_ci_u32_e64 v16, null, v12, v44, vcc_lo
	v_lshlrev_b64_e32 v[43:44], 1, v[47:48]
	v_lshlrev_b64_e32 v[19:20], 1, v[19:20]
	s_delay_alu instid0(VALU_DEP_4) | instskip(SKIP_2) | instid1(VALU_DEP_4)
	v_add_co_u32 v21, vcc_lo, v11, v17
	s_wait_alu 0xfffd
	v_add_co_ci_u32_e64 v22, null, v12, v18, vcc_lo
	v_add_co_u32 v17, vcc_lo, v11, v43
	s_wait_alu 0xfffd
	v_add_co_ci_u32_e64 v18, null, v12, v44, vcc_lo
	;; [unrolled: 3-line block ×3, first 2 shown]
	s_clause 0x3
	flat_load_u16 v49, v[15:16]
	flat_load_u16 v47, v[21:22]
	flat_load_u16 v45, v[17:18]
	flat_load_u16 v43, v[19:20]
	s_wait_loadcnt_dscnt 0x707
	v_lshlrev_b32_e32 v50, 16, v50
	s_wait_loadcnt_dscnt 0x606
	v_lshlrev_b32_e32 v46, 16, v51
	;; [unrolled: 2-line block ×4, first 2 shown]
	s_and_saveexec_b32 s42, s3
	s_cbranch_execz .LBB674_25
; %bb.29:                               ;   in Loop: Header=BB674_27 Depth=2
	s_clause 0x3
	flat_load_u16 v54, v[15:16] offset:128
	flat_load_u16 v53, v[21:22] offset:128
	flat_load_u16 v52, v[17:18] offset:128
	flat_load_u16 v51, v[19:20] offset:128
	s_and_saveexec_b32 s43, s4
	s_cbranch_execz .LBB674_24
; %bb.30:                               ;   in Loop: Header=BB674_27 Depth=2
	s_clause 0x3
	flat_load_u16 v58, v[15:16] offset:256
	flat_load_u16 v57, v[21:22] offset:256
	flat_load_u16 v56, v[17:18] offset:256
	flat_load_u16 v55, v[19:20] offset:256
	;; [unrolled: 8-line block ×3, first 2 shown]
	s_wait_loadcnt_dscnt 0x303
	v_lshlrev_b32_e32 v15, 16, v15
	s_wait_loadcnt_dscnt 0x202
	s_delay_alu instid0(VALU_DEP_1) | instskip(SKIP_3) | instid1(VALU_DEP_2)
	v_dual_fmac_f32 v37, v50, v15 :: v_dual_lshlrev_b32 v16, 16, v16
	s_wait_loadcnt_dscnt 0x101
	v_lshlrev_b32_e32 v15, 16, v17
	s_wait_loadcnt_dscnt 0x0
	v_dual_fmac_f32 v37, v46, v16 :: v_dual_lshlrev_b32 v16, 16, v18
	s_delay_alu instid0(VALU_DEP_1) | instskip(NEXT) | instid1(VALU_DEP_1)
	v_fmac_f32_e32 v37, v48, v15
	v_fmac_f32_e32 v37, v44, v16
	s_branch .LBB674_23
.LBB674_32:                             ;   in Loop: Header=BB674_4 Depth=1
	s_or_b32 exec_lo, exec_lo, s39
.LBB674_33:                             ;   in Loop: Header=BB674_4 Depth=1
	s_wait_alu 0xfffe
	s_or_b32 exec_lo, exec_lo, s7
	s_delay_alu instid0(SALU_CYCLE_1)
	s_and_not1_b32 vcc_lo, exec_lo, s20
	s_wait_alu 0xfffe
	s_cbranch_vccnz .LBB674_51
; %bb.34:                               ;   in Loop: Header=BB674_4 Depth=1
	v_cmp_gt_i32_e32 vcc_lo, s21, v38
	v_dual_mov_b32 v20, 0 :: v_dual_mov_b32 v19, 0
	v_or_b32_e32 v15, 1, v38
	v_dual_mov_b32 v22, 0 :: v_dual_mov_b32 v21, 0
	s_and_saveexec_b32 s39, vcc_lo
	s_cbranch_execz .LBB674_42
; %bb.35:                               ;   in Loop: Header=BB674_4 Depth=1
	v_mul_lo_u32 v16, v38, s26
	v_dual_mov_b32 v21, 0 :: v_dual_mov_b32 v20, 0
	v_mov_b32_e32 v19, 0
	s_mov_b32 s40, exec_lo
	s_delay_alu instid0(VALU_DEP_3) | instskip(NEXT) | instid1(VALU_DEP_1)
	v_ashrrev_i32_e32 v17, 31, v16
	v_lshlrev_b64_e32 v[16:17], 1, v[16:17]
	s_delay_alu instid0(VALU_DEP_1) | instskip(SKIP_1) | instid1(VALU_DEP_2)
	v_add_co_u32 v16, s7, v13, v16
	s_wait_alu 0xf1ff
	v_add_co_ci_u32_e64 v17, null, v14, v17, s7
	flat_load_u16 v16, v[16:17]
	v_cmpx_gt_i32_e64 s21, v15
	s_cbranch_execz .LBB674_41
; %bb.36:                               ;   in Loop: Header=BB674_4 Depth=1
	v_mul_lo_u32 v17, v15, s26
	v_dual_mov_b32 v19, 0 :: v_dual_mov_b32 v20, 0
	s_mov_b32 s41, exec_lo
	s_delay_alu instid0(VALU_DEP_2) | instskip(NEXT) | instid1(VALU_DEP_1)
	v_ashrrev_i32_e32 v18, 31, v17
	v_lshlrev_b64_e32 v[17:18], 1, v[17:18]
	s_delay_alu instid0(VALU_DEP_1) | instskip(SKIP_1) | instid1(VALU_DEP_2)
	v_add_co_u32 v17, s7, v13, v17
	s_wait_alu 0xf1ff
	v_add_co_ci_u32_e64 v18, null, v14, v18, s7
	flat_load_u16 v17, v[17:18]
	v_or_b32_e32 v18, 2, v38
	s_delay_alu instid0(VALU_DEP_1)
	v_cmpx_gt_i32_e64 s21, v18
	s_cbranch_execz .LBB674_40
; %bb.37:                               ;   in Loop: Header=BB674_4 Depth=1
	v_mul_lo_u32 v18, v18, s26
	v_or_b32_e32 v20, 3, v38
	s_mov_b32 s42, exec_lo
	s_delay_alu instid0(VALU_DEP_2) | instskip(NEXT) | instid1(VALU_DEP_1)
	v_ashrrev_i32_e32 v19, 31, v18
	v_lshlrev_b64_e32 v[18:19], 1, v[18:19]
	s_delay_alu instid0(VALU_DEP_1) | instskip(SKIP_1) | instid1(VALU_DEP_2)
	v_add_co_u32 v18, s7, v13, v18
	s_wait_alu 0xf1ff
	v_add_co_ci_u32_e64 v19, null, v14, v19, s7
	flat_load_u16 v18, v[18:19]
	v_mov_b32_e32 v19, 0
	v_cmpx_gt_i32_e64 s21, v20
	s_cbranch_execz .LBB674_39
; %bb.38:                               ;   in Loop: Header=BB674_4 Depth=1
	v_mul_lo_u32 v19, v20, s26
	s_delay_alu instid0(VALU_DEP_1) | instskip(NEXT) | instid1(VALU_DEP_1)
	v_ashrrev_i32_e32 v20, 31, v19
	v_lshlrev_b64_e32 v[19:20], 1, v[19:20]
	s_delay_alu instid0(VALU_DEP_1) | instskip(SKIP_1) | instid1(VALU_DEP_2)
	v_add_co_u32 v13, s7, v13, v19
	s_wait_alu 0xf1ff
	v_add_co_ci_u32_e64 v14, null, v14, v20, s7
	flat_load_u16 v13, v[13:14]
	s_wait_loadcnt_dscnt 0x0
	v_lshlrev_b32_e32 v19, 16, v13
.LBB674_39:                             ;   in Loop: Header=BB674_4 Depth=1
	s_or_b32 exec_lo, exec_lo, s42
	s_wait_loadcnt_dscnt 0x0
	v_lshlrev_b32_e32 v20, 16, v18
.LBB674_40:                             ;   in Loop: Header=BB674_4 Depth=1
	s_wait_alu 0xfffe
	s_or_b32 exec_lo, exec_lo, s41
	s_wait_loadcnt_dscnt 0x0
	v_lshlrev_b32_e32 v21, 16, v17
.LBB674_41:                             ;   in Loop: Header=BB674_4 Depth=1
	s_wait_alu 0xfffe
	s_or_b32 exec_lo, exec_lo, s40
	s_wait_loadcnt_dscnt 0x0
	v_lshlrev_b32_e32 v22, 16, v16
.LBB674_42:                             ;   in Loop: Header=BB674_4 Depth=1
	s_or_b32 exec_lo, exec_lo, s39
	s_and_saveexec_b32 s7, s1
	s_cbranch_execz .LBB674_50
; %bb.43:                               ;   in Loop: Header=BB674_4 Depth=1
	v_mul_lo_u32 v14, v38, s28
	v_or_b32_e32 v13, 2, v38
	v_mul_lo_u32 v17, v15, s28
	v_or_b32_e32 v16, 3, v38
	s_delay_alu instid0(VALU_DEP_3) | instskip(NEXT) | instid1(VALU_DEP_2)
	v_mul_lo_u32 v18, v13, s28
	v_mul_lo_u32 v38, v16, s28
	v_cndmask_b32_e32 v14, 0, v14, vcc_lo
	v_cmp_gt_i32_e32 vcc_lo, s21, v15
	s_wait_alu 0xfffd
	v_cndmask_b32_e32 v15, 0, v17, vcc_lo
	v_cmp_gt_i32_e32 vcc_lo, s21, v13
	v_add_nc_u32_e32 v13, v14, v27
	s_delay_alu instid0(VALU_DEP_3)
	v_add_nc_u32_e32 v15, v15, v27
	s_wait_alu 0xfffd
	v_cndmask_b32_e32 v17, 0, v18, vcc_lo
	v_cmp_gt_i32_e32 vcc_lo, s21, v16
	v_ashrrev_i32_e32 v14, 31, v13
	s_wait_alu 0xfffd
	v_cndmask_b32_e32 v16, 0, v38, vcc_lo
	s_delay_alu instid0(VALU_DEP_2) | instskip(NEXT) | instid1(VALU_DEP_2)
	v_lshlrev_b64_e32 v[13:14], 1, v[13:14]
	v_add_nc_u32_e32 v38, v16, v27
	v_add_nc_u32_e32 v17, v17, v27
	v_ashrrev_i32_e32 v16, 31, v15
	s_delay_alu instid0(VALU_DEP_3) | instskip(NEXT) | instid1(VALU_DEP_3)
	v_ashrrev_i32_e32 v39, 31, v38
	v_ashrrev_i32_e32 v18, 31, v17
	s_delay_alu instid0(VALU_DEP_3) | instskip(SKIP_1) | instid1(VALU_DEP_4)
	v_lshlrev_b64_e32 v[40:41], 1, v[15:16]
	v_add_co_u32 v15, vcc_lo, v11, v13
	v_lshlrev_b64_e32 v[38:39], 1, v[38:39]
	s_delay_alu instid0(VALU_DEP_4)
	v_lshlrev_b64_e32 v[42:43], 1, v[17:18]
	s_wait_alu 0xfffd
	v_add_co_ci_u32_e64 v16, null, v12, v14, vcc_lo
	v_add_co_u32 v17, vcc_lo, v11, v40
	s_wait_alu 0xfffd
	v_add_co_ci_u32_e64 v18, null, v12, v41, vcc_lo
	v_add_co_u32 v13, vcc_lo, v11, v42
	;; [unrolled: 3-line block ×3, first 2 shown]
	s_wait_alu 0xfffd
	v_add_co_ci_u32_e64 v12, null, v12, v39, vcc_lo
	s_clause 0x3
	flat_load_u16 v41, v[15:16]
	flat_load_u16 v40, v[17:18]
	;; [unrolled: 1-line block ×4, first 2 shown]
	s_and_saveexec_b32 s39, s3
	s_cbranch_execz .LBB674_49
; %bb.44:                               ;   in Loop: Header=BB674_4 Depth=1
	s_clause 0x3
	flat_load_u16 v45, v[15:16] offset:128
	flat_load_u16 v44, v[17:18] offset:128
	flat_load_u16 v43, v[13:14] offset:128
	flat_load_u16 v42, v[11:12] offset:128
	s_and_saveexec_b32 s40, s4
	s_cbranch_execz .LBB674_48
; %bb.45:                               ;   in Loop: Header=BB674_4 Depth=1
	s_clause 0x3
	flat_load_u16 v49, v[15:16] offset:256
	flat_load_u16 v48, v[17:18] offset:256
	flat_load_u16 v47, v[13:14] offset:256
	flat_load_u16 v46, v[11:12] offset:256
	;; [unrolled: 8-line block ×3, first 2 shown]
	s_wait_loadcnt_dscnt 0x0
	v_lshlrev_b32_e32 v11, 16, v11
	v_lshlrev_b32_e32 v14, 16, v16
	;; [unrolled: 1-line block ×3, first 2 shown]
	s_delay_alu instid0(VALU_DEP_1) | instskip(NEXT) | instid1(VALU_DEP_1)
	v_dual_fmac_f32 v37, v22, v12 :: v_dual_lshlrev_b32 v12, 16, v13
	v_fmac_f32_e32 v37, v21, v14
	s_delay_alu instid0(VALU_DEP_1) | instskip(NEXT) | instid1(VALU_DEP_1)
	v_fmac_f32_e32 v37, v20, v12
	v_fmac_f32_e32 v37, v19, v11
.LBB674_47:                             ;   in Loop: Header=BB674_4 Depth=1
	s_wait_alu 0xfffe
	s_or_b32 exec_lo, exec_lo, s41
	s_wait_loadcnt_dscnt 0x202
	v_lshlrev_b32_e32 v12, 16, v48
	v_lshlrev_b32_e32 v11, 16, v49
	s_delay_alu instid0(VALU_DEP_1) | instskip(SKIP_1) | instid1(VALU_DEP_1)
	v_fmac_f32_e32 v36, v22, v11
	s_wait_loadcnt_dscnt 0x101
	v_dual_fmac_f32 v36, v21, v12 :: v_dual_lshlrev_b32 v11, 16, v47
	s_wait_loadcnt_dscnt 0x0
	s_delay_alu instid0(VALU_DEP_1) | instskip(NEXT) | instid1(VALU_DEP_1)
	v_dual_fmac_f32 v36, v20, v11 :: v_dual_lshlrev_b32 v11, 16, v46
	v_fmac_f32_e32 v36, v19, v11
.LBB674_48:                             ;   in Loop: Header=BB674_4 Depth=1
	s_wait_alu 0xfffe
	s_or_b32 exec_lo, exec_lo, s40
	s_wait_loadcnt_dscnt 0x303
	v_lshlrev_b32_e32 v11, 16, v45
	s_wait_loadcnt_dscnt 0x202
	s_delay_alu instid0(VALU_DEP_1) | instskip(SKIP_2) | instid1(VALU_DEP_2)
	v_dual_fmac_f32 v35, v22, v11 :: v_dual_lshlrev_b32 v12, 16, v44
	s_wait_loadcnt_dscnt 0x101
	v_lshlrev_b32_e32 v11, 16, v43
	v_fmac_f32_e32 v35, v21, v12
	s_delay_alu instid0(VALU_DEP_1) | instskip(SKIP_2) | instid1(VALU_DEP_1)
	v_fmac_f32_e32 v35, v20, v11
	s_wait_loadcnt_dscnt 0x0
	v_lshlrev_b32_e32 v11, 16, v42
	v_fmac_f32_e32 v35, v19, v11
.LBB674_49:                             ;   in Loop: Header=BB674_4 Depth=1
	s_or_b32 exec_lo, exec_lo, s39
	s_wait_loadcnt_dscnt 0x202
	v_lshlrev_b32_e32 v12, 16, v40
	v_lshlrev_b32_e32 v11, 16, v41
	s_delay_alu instid0(VALU_DEP_1) | instskip(SKIP_1) | instid1(VALU_DEP_1)
	v_fmac_f32_e32 v34, v22, v11
	s_wait_loadcnt_dscnt 0x101
	v_dual_fmac_f32 v34, v21, v12 :: v_dual_lshlrev_b32 v11, 16, v39
	s_wait_loadcnt_dscnt 0x0
	s_delay_alu instid0(VALU_DEP_1) | instskip(NEXT) | instid1(VALU_DEP_1)
	v_dual_fmac_f32 v34, v20, v11 :: v_dual_lshlrev_b32 v11, 16, v38
	v_fmac_f32_e32 v34, v19, v11
.LBB674_50:                             ;   in Loop: Header=BB674_4 Depth=1
	s_wait_alu 0xfffe
	s_or_b32 exec_lo, exec_lo, s7
.LBB674_51:                             ;   in Loop: Header=BB674_4 Depth=1
	ds_store_2addr_stride64_b32 v24, v34, v35 offset1:1
	ds_store_2addr_stride64_b32 v24, v36, v37 offset0:2 offset1:3
	s_wait_dscnt 0x0
	s_barrier_signal -1
	s_barrier_wait -1
	global_inv scope:SCOPE_SE
                                        ; implicit-def: $vgpr15
	s_and_saveexec_b32 s7, s0
	s_cbranch_execz .LBB674_57
; %bb.52:                               ;   in Loop: Header=BB674_4 Depth=1
	ds_load_2addr_stride64_b32 v[11:12], v25 offset1:4
	ds_load_2addr_stride64_b32 v[13:14], v25 offset0:8 offset1:12
	ds_load_2addr_stride64_b32 v[15:16], v25 offset0:16 offset1:20
	s_mov_b32 s40, s38
	s_wait_dscnt 0x2
	v_add_f32_e32 v17, v11, v12
	ds_load_2addr_stride64_b32 v[11:12], v25 offset0:24 offset1:28
	s_wait_dscnt 0x2
	v_add_f32_e32 v13, v13, v17
	s_delay_alu instid0(VALU_DEP_1) | instskip(SKIP_3) | instid1(VALU_DEP_1)
	v_add_f32_e32 v17, v14, v13
	ds_load_2addr_stride64_b32 v[13:14], v25 offset0:32 offset1:36
	s_wait_dscnt 0x2
	v_add_f32_e32 v15, v15, v17
	v_add_f32_e32 v17, v16, v15
	ds_load_2addr_stride64_b32 v[15:16], v25 offset0:40 offset1:44
	s_wait_dscnt 0x2
	v_add_f32_e32 v11, v11, v17
	s_delay_alu instid0(VALU_DEP_1) | instskip(SKIP_1) | instid1(VALU_DEP_1)
	v_add_f32_e32 v11, v12, v11
	s_wait_dscnt 0x1
	v_add_f32_e32 v13, v13, v11
	ds_load_2addr_stride64_b32 v[11:12], v25 offset0:48 offset1:52
	v_add_f32_e32 v13, v14, v13
	s_wait_dscnt 0x1
	s_delay_alu instid0(VALU_DEP_1) | instskip(SKIP_3) | instid1(VALU_DEP_1)
	v_add_f32_e32 v15, v15, v13
	ds_load_2addr_stride64_b32 v[13:14], v25 offset0:56 offset1:60
	v_add_f32_e32 v15, v16, v15
	s_wait_dscnt 0x1
	v_add_f32_e32 v11, v11, v15
                                        ; implicit-def: $vgpr15
	s_delay_alu instid0(VALU_DEP_1) | instskip(SKIP_1) | instid1(VALU_DEP_1)
	v_add_f32_e32 v11, v12, v11
	s_wait_dscnt 0x0
	v_add_f32_e32 v11, v13, v11
	s_delay_alu instid0(VALU_DEP_1)
	v_add_f32_e32 v11, v14, v11
	ds_store_b32 v25, v11
	s_and_saveexec_b32 s39, s2
	s_cbranch_execz .LBB674_56
; %bb.53:                               ;   in Loop: Header=BB674_4 Depth=1
	v_mul_f32_e32 v15, s22, v11
	s_and_not1_b32 vcc_lo, exec_lo, s33
	s_wait_alu 0xfffe
	s_cbranch_vccnz .LBB674_55
; %bb.54:                               ;   in Loop: Header=BB674_4 Depth=1
	v_lshlrev_b64_e32 v[11:12], 2, v[4:5]
	s_delay_alu instid0(VALU_DEP_1) | instskip(SKIP_1) | instid1(VALU_DEP_2)
	v_add_co_u32 v11, vcc_lo, v32, v11
	s_wait_alu 0xfffd
	v_add_co_ci_u32_e64 v12, null, v33, v12, vcc_lo
	flat_load_b32 v11, v[11:12]
	s_wait_loadcnt_dscnt 0x0
	v_fmac_f32_e32 v15, s27, v11
.LBB674_55:                             ;   in Loop: Header=BB674_4 Depth=1
	s_or_b32 s40, s38, exec_lo
.LBB674_56:                             ;   in Loop: Header=BB674_4 Depth=1
	s_or_b32 exec_lo, exec_lo, s39
	s_delay_alu instid0(SALU_CYCLE_1) | instskip(SKIP_2) | instid1(SALU_CYCLE_1)
	s_and_not1_b32 s38, s38, exec_lo
	s_wait_alu 0xfffe
	s_and_b32 s39, s40, exec_lo
	s_or_b32 s38, s38, s39
.LBB674_57:                             ;   in Loop: Header=BB674_4 Depth=1
	s_wait_alu 0xfffe
	s_or_b32 exec_lo, exec_lo, s7
	v_dual_mov_b32 v12, v5 :: v_dual_mov_b32 v11, v4
	s_and_saveexec_b32 s7, s38
	s_cbranch_execz .LBB674_2
.LBB674_58:                             ;   in Loop: Header=BB674_4 Depth=1
	s_delay_alu instid0(VALU_DEP_1) | instskip(NEXT) | instid1(VALU_DEP_1)
	v_lshlrev_b64_e32 v[11:12], 2, v[11:12]
	v_add_co_u32 v11, vcc_lo, v32, v11
	s_wait_alu 0xfffd
	s_delay_alu instid0(VALU_DEP_2)
	v_add_co_ci_u32_e64 v12, null, v33, v12, vcc_lo
	flat_store_b32 v[11:12], v15
	s_branch .LBB674_2
.LBB674_59:
	s_endpgm
	.section	.rodata,"a",@progbits
	.p2align	6, 0x0
	.amdhsa_kernel _ZL20rocblas_gemvn_kernelILi64ELi16EiPK16rocblas_bfloat16fKPfEviiT3_lPKT2_lT1_lS8_lS9_lS5_lPT4_lS9_li
		.amdhsa_group_segment_fixed_size 16384
		.amdhsa_private_segment_fixed_size 0
		.amdhsa_kernarg_size 400
		.amdhsa_user_sgpr_count 2
		.amdhsa_user_sgpr_dispatch_ptr 0
		.amdhsa_user_sgpr_queue_ptr 0
		.amdhsa_user_sgpr_kernarg_segment_ptr 1
		.amdhsa_user_sgpr_dispatch_id 0
		.amdhsa_user_sgpr_private_segment_size 0
		.amdhsa_wavefront_size32 1
		.amdhsa_uses_dynamic_stack 0
		.amdhsa_enable_private_segment 0
		.amdhsa_system_sgpr_workgroup_id_x 1
		.amdhsa_system_sgpr_workgroup_id_y 0
		.amdhsa_system_sgpr_workgroup_id_z 1
		.amdhsa_system_sgpr_workgroup_info 0
		.amdhsa_system_vgpr_workitem_id 1
		.amdhsa_next_free_vgpr 59
		.amdhsa_next_free_sgpr 45
		.amdhsa_reserve_vcc 1
		.amdhsa_float_round_mode_32 0
		.amdhsa_float_round_mode_16_64 0
		.amdhsa_float_denorm_mode_32 3
		.amdhsa_float_denorm_mode_16_64 3
		.amdhsa_fp16_overflow 0
		.amdhsa_workgroup_processor_mode 1
		.amdhsa_memory_ordered 1
		.amdhsa_forward_progress 1
		.amdhsa_inst_pref_size 28
		.amdhsa_round_robin_scheduling 0
		.amdhsa_exception_fp_ieee_invalid_op 0
		.amdhsa_exception_fp_denorm_src 0
		.amdhsa_exception_fp_ieee_div_zero 0
		.amdhsa_exception_fp_ieee_overflow 0
		.amdhsa_exception_fp_ieee_underflow 0
		.amdhsa_exception_fp_ieee_inexact 0
		.amdhsa_exception_int_div_zero 0
	.end_amdhsa_kernel
	.section	.text._ZL20rocblas_gemvn_kernelILi64ELi16EiPK16rocblas_bfloat16fKPfEviiT3_lPKT2_lT1_lS8_lS9_lS5_lPT4_lS9_li,"axG",@progbits,_ZL20rocblas_gemvn_kernelILi64ELi16EiPK16rocblas_bfloat16fKPfEviiT3_lPKT2_lT1_lS8_lS9_lS5_lPT4_lS9_li,comdat
.Lfunc_end674:
	.size	_ZL20rocblas_gemvn_kernelILi64ELi16EiPK16rocblas_bfloat16fKPfEviiT3_lPKT2_lT1_lS8_lS9_lS5_lPT4_lS9_li, .Lfunc_end674-_ZL20rocblas_gemvn_kernelILi64ELi16EiPK16rocblas_bfloat16fKPfEviiT3_lPKT2_lT1_lS8_lS9_lS5_lPT4_lS9_li
                                        ; -- End function
	.set _ZL20rocblas_gemvn_kernelILi64ELi16EiPK16rocblas_bfloat16fKPfEviiT3_lPKT2_lT1_lS8_lS9_lS5_lPT4_lS9_li.num_vgpr, 59
	.set _ZL20rocblas_gemvn_kernelILi64ELi16EiPK16rocblas_bfloat16fKPfEviiT3_lPKT2_lT1_lS8_lS9_lS5_lPT4_lS9_li.num_agpr, 0
	.set _ZL20rocblas_gemvn_kernelILi64ELi16EiPK16rocblas_bfloat16fKPfEviiT3_lPKT2_lT1_lS8_lS9_lS5_lPT4_lS9_li.numbered_sgpr, 45
	.set _ZL20rocblas_gemvn_kernelILi64ELi16EiPK16rocblas_bfloat16fKPfEviiT3_lPKT2_lT1_lS8_lS9_lS5_lPT4_lS9_li.num_named_barrier, 0
	.set _ZL20rocblas_gemvn_kernelILi64ELi16EiPK16rocblas_bfloat16fKPfEviiT3_lPKT2_lT1_lS8_lS9_lS5_lPT4_lS9_li.private_seg_size, 0
	.set _ZL20rocblas_gemvn_kernelILi64ELi16EiPK16rocblas_bfloat16fKPfEviiT3_lPKT2_lT1_lS8_lS9_lS5_lPT4_lS9_li.uses_vcc, 1
	.set _ZL20rocblas_gemvn_kernelILi64ELi16EiPK16rocblas_bfloat16fKPfEviiT3_lPKT2_lT1_lS8_lS9_lS5_lPT4_lS9_li.uses_flat_scratch, 1
	.set _ZL20rocblas_gemvn_kernelILi64ELi16EiPK16rocblas_bfloat16fKPfEviiT3_lPKT2_lT1_lS8_lS9_lS5_lPT4_lS9_li.has_dyn_sized_stack, 0
	.set _ZL20rocblas_gemvn_kernelILi64ELi16EiPK16rocblas_bfloat16fKPfEviiT3_lPKT2_lT1_lS8_lS9_lS5_lPT4_lS9_li.has_recursion, 0
	.set _ZL20rocblas_gemvn_kernelILi64ELi16EiPK16rocblas_bfloat16fKPfEviiT3_lPKT2_lT1_lS8_lS9_lS5_lPT4_lS9_li.has_indirect_call, 0
	.section	.AMDGPU.csdata,"",@progbits
; Kernel info:
; codeLenInByte = 3492
; TotalNumSgprs: 47
; NumVgprs: 59
; ScratchSize: 0
; MemoryBound: 0
; FloatMode: 240
; IeeeMode: 1
; LDSByteSize: 16384 bytes/workgroup (compile time only)
; SGPRBlocks: 0
; VGPRBlocks: 7
; NumSGPRsForWavesPerEU: 47
; NumVGPRsForWavesPerEU: 59
; Occupancy: 16
; WaveLimiterHint : 1
; COMPUTE_PGM_RSRC2:SCRATCH_EN: 0
; COMPUTE_PGM_RSRC2:USER_SGPR: 2
; COMPUTE_PGM_RSRC2:TRAP_HANDLER: 0
; COMPUTE_PGM_RSRC2:TGID_X_EN: 1
; COMPUTE_PGM_RSRC2:TGID_Y_EN: 0
; COMPUTE_PGM_RSRC2:TGID_Z_EN: 1
; COMPUTE_PGM_RSRC2:TIDIG_COMP_CNT: 1
	.section	.text._ZL20rocblas_gemvn_kernelILi64ELi16ElPK16rocblas_bfloat16fKPfEviiT3_lPKT2_lT1_lS8_lS9_lS5_lPT4_lS9_li,"axG",@progbits,_ZL20rocblas_gemvn_kernelILi64ELi16ElPK16rocblas_bfloat16fKPfEviiT3_lPKT2_lT1_lS8_lS9_lS5_lPT4_lS9_li,comdat
	.globl	_ZL20rocblas_gemvn_kernelILi64ELi16ElPK16rocblas_bfloat16fKPfEviiT3_lPKT2_lT1_lS8_lS9_lS5_lPT4_lS9_li ; -- Begin function _ZL20rocblas_gemvn_kernelILi64ELi16ElPK16rocblas_bfloat16fKPfEviiT3_lPKT2_lT1_lS8_lS9_lS5_lPT4_lS9_li
	.p2align	8
	.type	_ZL20rocblas_gemvn_kernelILi64ELi16ElPK16rocblas_bfloat16fKPfEviiT3_lPKT2_lT1_lS8_lS9_lS5_lPT4_lS9_li,@function
_ZL20rocblas_gemvn_kernelILi64ELi16ElPK16rocblas_bfloat16fKPfEviiT3_lPKT2_lT1_lS8_lS9_lS5_lPT4_lS9_li: ; @_ZL20rocblas_gemvn_kernelILi64ELi16ElPK16rocblas_bfloat16fKPfEviiT3_lPKT2_lT1_lS8_lS9_lS5_lPT4_lS9_li
; %bb.0:
	s_clause 0x1
	s_load_b64 s[2:3], s[0:1], 0x9c
	s_load_b32 s23, s[0:1], 0x88
	s_lshr_b32 s24, ttmp7, 16
	s_wait_kmcnt 0x0
	s_lshr_b32 s4, s2, 16
	s_and_b32 s2, s2, 0xffff
	s_and_b32 s3, s3, 0xffff
	s_mul_i32 s2, s4, s2
	s_delay_alu instid0(SALU_CYCLE_1) | instskip(NEXT) | instid1(SALU_CYCLE_1)
	s_mul_i32 s2, s2, s3
	s_cmp_lg_u32 s2, 0x400
	s_cselect_b32 s2, -1, 0
	s_cmp_ge_u32 s24, s23
	s_cselect_b32 s3, -1, 0
	s_delay_alu instid0(SALU_CYCLE_1) | instskip(NEXT) | instid1(SALU_CYCLE_1)
	s_or_b32 s2, s2, s3
	s_and_b32 vcc_lo, exec_lo, s2
	s_cbranch_vccnz .LBB675_59
; %bb.1:
	s_clause 0x7
	s_load_b96 s[20:22], s[0:1], 0x0
	s_load_b32 s33, s[0:1], 0x58
	s_load_b64 s[26:27], s[0:1], 0x48
	s_load_b128 s[8:11], s[0:1], 0x18
	s_load_b64 s[28:29], s[0:1], 0x28
	s_load_b128 s[12:15], s[0:1], 0x38
	;; [unrolled: 2-line block ×3, first 2 shown]
	v_dual_mov_b32 v1, 0 :: v_dual_and_b32 v2, 0x3ff, v0
	v_bfe_u32 v26, v0, 10, 10
	s_mov_b32 s25, 0
	s_delay_alu instid0(VALU_DEP_2) | instskip(NEXT) | instid1(VALU_DEP_2)
	v_lshlrev_b32_e32 v16, 2, v2
	v_lshl_add_u32 v3, v26, 6, v2
	v_lshlrev_b32_e32 v40, 2, v26
	s_delay_alu instid0(VALU_DEP_2)
	v_cmp_gt_u32_e64 s0, 0x100, v3
	s_wait_kmcnt 0x0
	s_cmp_eq_f32 s22, 0
	v_mad_co_u64_u32 v[6:7], null, s26, v26, 0
	s_mov_b32 s2, s20
	s_cselect_b32 s36, -1, 0
	s_cmp_neq_f32 s33, 1.0
	v_or_b32_e32 v17, 3, v40
	s_cselect_b32 s1, -1, 0
	s_cmp_neq_f32 s22, 0
	s_delay_alu instid0(VALU_DEP_1)
	v_mad_co_u64_u32 v[12:13], null, s26, v17, 0
	s_cselect_b32 s4, -1, 0
	s_lshl_b32 s30, ttmp9, 8
	s_ashr_i32 s3, s20, 31
	v_add_nc_u32_e32 v0, s30, v3
	v_add_nc_u32_e32 v8, s30, v2
	s_or_b32 s37, s4, s1
	s_cmp_neq_f32 s33, 0
	v_or_b32_e32 v18, s30, v3
	v_mad_co_u64_u32 v[2:3], null, s6, v0, 0
	v_add_nc_u32_e32 v4, 64, v8
	v_cmp_gt_i64_e32 vcc_lo, s[2:3], v[0:1]
	s_cselect_b32 s38, -1, 0
	s_ashr_i32 s2, s21, 31
	v_add_nc_u32_e32 v5, 0x80, v8
	s_wait_alu 0xfffe
	s_lshr_b32 s2, s2, 26
	v_add_nc_u32_e32 v10, 0xc0, v8
	s_wait_alu 0xfffe
	s_add_co_i32 s39, s21, s2
	v_cmp_gt_i32_e64 s2, s20, v4
	v_mad_co_u64_u32 v[3:4], null, s7, v0, v[3:4]
	v_mov_b32_e32 v0, v7
	v_cndmask_b32_e64 v42, 0, 1, s4
	v_cmp_gt_i32_e64 s4, s20, v10
	v_mad_co_u64_u32 v[10:11], null, s28, v17, 0
	s_delay_alu instid0(VALU_DEP_4)
	v_mad_co_u64_u32 v[14:15], null, s27, v26, v[0:1]
	s_and_not1_b32 s39, s39, 63
	v_mul_lo_u32 v19, s7, v18
	v_cmp_gt_i32_e64 s3, s20, v5
	s_sub_co_i32 s5, s21, s39
	v_mad_co_u64_u32 v[4:5], null, s6, v18, 0
	v_mov_b32_e32 v7, v14
	v_mad_co_u64_u32 v[14:15], null, s29, v17, v[11:12]
	s_wait_alu 0xfffe
	s_cmp_gt_i32 s5, 0
	v_lshl_add_u32 v41, v26, 10, v16
	s_cselect_b32 s40, -1, 0
	s_ashr_i32 s7, s30, 31
	v_lshl_add_u32 v0, v26, 8, v16
	s_wait_alu 0xfffe
	s_mul_i32 s7, s6, s7
	v_mov_b32_e32 v11, v14
	v_or_b32_e32 v29, 2, v40
	v_mad_co_u64_u32 v[15:16], null, s27, v17, v[13:14]
	v_cmp_gt_i32_e64 s6, s20, v18
	s_wait_alu 0xfffe
	v_add3_u32 v5, v5, s7, v19
	v_mad_co_u64_u32 v[16:17], null, s28, v26, 0
	v_mad_co_u64_u32 v[18:19], null, s28, v29, 0
	v_mov_b32_e32 v13, v15
	v_mad_co_u64_u32 v[20:21], null, s26, v29, 0
	v_mad_co_u64_u32 v[22:23], null, s26, v40, s[26:27]
	s_delay_alu instid0(VALU_DEP_4) | instskip(SKIP_3) | instid1(VALU_DEP_4)
	v_dual_mov_b32 v14, v17 :: v_dual_mov_b32 v15, v19
	v_mad_co_u64_u32 v[24:25], null, s28, v40, s[28:29]
	v_ashrrev_i32_e32 v9, 31, v8
	v_cmp_gt_i32_e64 s1, s20, v8
	v_mad_co_u64_u32 v[26:27], null, s29, v26, v[14:15]
	v_mad_co_u64_u32 v[27:28], null, s29, v29, v[15:16]
	v_dual_mov_b32 v14, v21 :: v_dual_mov_b32 v15, v23
	v_mov_b32_e32 v17, v25
	v_lshlrev_b64_e32 v[6:7], 3, v[6:7]
	v_lshlrev_b64_e32 v[8:9], 1, v[8:9]
	;; [unrolled: 1-line block ×3, first 2 shown]
	v_mov_b32_e32 v19, v27
	v_mad_co_u64_u32 v[28:29], null, s27, v29, v[14:15]
	v_mad_co_u64_u32 v[14:15], null, s27, v40, v[15:16]
	;; [unrolled: 1-line block ×3, first 2 shown]
	v_mov_b32_e32 v17, v26
	v_lshlrev_b64_e32 v[12:13], 1, v[12:13]
	v_mov_b32_e32 v21, v28
	v_cmp_gt_i32_e64 s5, s39, v40
	v_mov_b32_e32 v23, v14
	v_lshlrev_b64_e32 v[14:15], 3, v[16:17]
	v_mov_b32_e32 v25, v29
	v_lshlrev_b64_e32 v[16:17], 1, v[18:19]
	v_lshlrev_b64_e32 v[18:19], 1, v[20:21]
	;; [unrolled: 1-line block ×3, first 2 shown]
	s_and_b32 s20, s0, vcc_lo
	v_lshlrev_b64_e32 v[22:23], 1, v[24:25]
	v_lshlrev_b64_e32 v[24:25], 2, v[2:3]
	s_lshl_b64 s[30:31], s[26:27], 7
	s_lshl_b64 s[34:35], s[28:29], 7
	;; [unrolled: 1-line block ×5, first 2 shown]
	s_branch .LBB675_4
.LBB675_2:                              ;   in Loop: Header=BB675_4 Depth=1
	s_wait_alu 0xfffe
	s_or_b32 exec_lo, exec_lo, s7
.LBB675_3:                              ;   in Loop: Header=BB675_4 Depth=1
	s_add_co_i32 s24, s24, 0x10000
	s_delay_alu instid0(SALU_CYCLE_1)
	s_cmp_lt_u32 s24, s23
	s_cbranch_scc0 .LBB675_59
.LBB675_4:                              ; =>This Loop Header: Depth=1
                                        ;     Child Loop BB675_27 Depth 2
	s_and_not1_b32 vcc_lo, exec_lo, s37
	s_wait_alu 0xfffe
	s_cbranch_vccnz .LBB675_3
; %bb.5:                                ;   in Loop: Header=BB675_4 Depth=1
	s_and_not1_b32 vcc_lo, exec_lo, s36
	s_wait_alu 0xfffe
	s_cbranch_vccnz .LBB675_7
; %bb.6:                                ;   in Loop: Header=BB675_4 Depth=1
	s_mov_b32 s7, 0
	s_branch .LBB675_8
.LBB675_7:                              ;   in Loop: Header=BB675_4 Depth=1
	s_mov_b32 s7, -1
.LBB675_8:                              ;   in Loop: Header=BB675_4 Depth=1
	v_mov_b32_e32 v28, 0
	v_dual_mov_b32 v29, 0 :: v_dual_mov_b32 v26, 0
	v_mov_b32_e32 v27, 0
	s_wait_alu 0xfffe
	s_and_not1_b32 vcc_lo, exec_lo, s7
	s_wait_alu 0xfffe
	s_cbranch_vccnz .LBB675_10
; %bb.9:                                ;   in Loop: Header=BB675_4 Depth=1
	s_lshl_b64 s[42:43], s[24:25], 3
	s_delay_alu instid0(SALU_CYCLE_1)
	s_add_nc_u64 s[42:43], s[8:9], s[42:43]
	global_load_b64 v[26:27], v1, s[42:43]
	s_wait_loadcnt 0x0
	v_add_co_u32 v26, vcc_lo, v26, s10
	s_wait_alu 0xfffd
	v_add_co_ci_u32_e64 v27, null, s11, v27, vcc_lo
.LBB675_10:                             ;   in Loop: Header=BB675_4 Depth=1
	v_cmp_ne_u32_e32 vcc_lo, 1, v42
	s_cbranch_vccnz .LBB675_12
; %bb.11:                               ;   in Loop: Header=BB675_4 Depth=1
	s_lshl_b64 s[42:43], s[24:25], 3
	s_delay_alu instid0(SALU_CYCLE_1)
	s_add_nc_u64 s[42:43], s[12:13], s[42:43]
	global_load_b64 v[28:29], v1, s[42:43]
	s_wait_loadcnt 0x0
	v_add_co_u32 v28, vcc_lo, v28, s14
	s_wait_alu 0xfffd
	v_add_co_ci_u32_e64 v29, null, s15, v29, vcc_lo
.LBB675_12:                             ;   in Loop: Header=BB675_4 Depth=1
	s_lshl_b64 s[42:43], s[24:25], 3
	s_delay_alu instid0(SALU_CYCLE_1)
	s_add_nc_u64 s[42:43], s[16:17], s[42:43]
	global_load_b64 v[30:31], v1, s[42:43]
	s_wait_loadcnt 0x0
	v_add_co_u32 v43, vcc_lo, v30, s18
	s_wait_alu 0xfffd
	v_add_co_ci_u32_e64 v44, null, s19, v31, vcc_lo
	s_and_not1_b32 vcc_lo, exec_lo, s36
	s_wait_alu 0xfffe
	s_cbranch_vccnz .LBB675_16
; %bb.13:                               ;   in Loop: Header=BB675_4 Depth=1
	s_mov_b32 s7, 0
	s_mov_b32 s41, 0
                                        ; implicit-def: $vgpr30
	s_and_saveexec_b32 s42, s20
	s_cbranch_execz .LBB675_17
; %bb.14:                               ;   in Loop: Header=BB675_4 Depth=1
	s_and_not1_b32 vcc_lo, exec_lo, s38
	s_wait_alu 0xfffe
	s_cbranch_vccnz .LBB675_19
; %bb.15:                               ;   in Loop: Header=BB675_4 Depth=1
	v_add_co_u32 v30, vcc_lo, v43, v24
	s_wait_alu 0xfffd
	v_add_co_ci_u32_e64 v31, null, v44, v25, vcc_lo
	flat_load_b32 v30, v[30:31]
	s_wait_loadcnt_dscnt 0x0
	v_mul_f32_e32 v30, s33, v30
	s_branch .LBB675_20
.LBB675_16:                             ;   in Loop: Header=BB675_4 Depth=1
	s_mov_b32 s41, 0
                                        ; implicit-def: $vgpr30
	s_cbranch_execz .LBB675_18
	s_branch .LBB675_21
.LBB675_17:                             ;   in Loop: Header=BB675_4 Depth=1
	s_or_b32 exec_lo, exec_lo, s42
	s_wait_alu 0xfffe
	s_and_b32 vcc_lo, exec_lo, s7
	s_wait_alu 0xfffe
	s_cbranch_vccnz .LBB675_21
.LBB675_18:                             ;   in Loop: Header=BB675_4 Depth=1
	v_dual_mov_b32 v27, v3 :: v_dual_mov_b32 v26, v2
	s_and_saveexec_b32 s7, s41
	s_cbranch_execz .LBB675_2
	s_branch .LBB675_58
.LBB675_19:                             ;   in Loop: Header=BB675_4 Depth=1
	v_mov_b32_e32 v30, 0
.LBB675_20:                             ;   in Loop: Header=BB675_4 Depth=1
	s_mov_b32 s41, exec_lo
	s_or_b32 exec_lo, exec_lo, s42
	s_delay_alu instid0(SALU_CYCLE_1)
	s_and_b32 vcc_lo, exec_lo, s7
	s_wait_alu 0xfffe
	s_cbranch_vccz .LBB675_18
.LBB675_21:                             ;   in Loop: Header=BB675_4 Depth=1
	v_dual_mov_b32 v45, 0 :: v_dual_mov_b32 v46, 0
	v_dual_mov_b32 v49, v40 :: v_dual_mov_b32 v48, 0
	v_mov_b32_e32 v47, 0
	s_and_saveexec_b32 s42, s5
	s_cbranch_execz .LBB675_33
; %bb.22:                               ;   in Loop: Header=BB675_4 Depth=1
	v_add_co_u32 v50, vcc_lo, v26, v10
	s_wait_alu 0xfffd
	v_add_co_ci_u32_e64 v51, null, v27, v11, vcc_lo
	v_add_co_u32 v52, vcc_lo, v26, v14
	s_wait_alu 0xfffd
	v_add_co_ci_u32_e64 v53, null, v27, v15, vcc_lo
	;; [unrolled: 3-line block ×3, first 2 shown]
	v_add_co_u32 v56, vcc_lo, v26, v22
	v_dual_mov_b32 v31, v29 :: v_dual_mov_b32 v46, 0
	s_wait_alu 0xfffd
	v_add_co_ci_u32_e64 v57, null, v27, v23, vcc_lo
	v_dual_mov_b32 v45, 0 :: v_dual_mov_b32 v30, v28
	v_dual_mov_b32 v49, v40 :: v_dual_mov_b32 v48, 0
	v_mov_b32_e32 v47, 0
	s_mov_b32 s43, 0
	s_branch .LBB675_27
.LBB675_23:                             ;   in Loop: Header=BB675_27 Depth=2
	s_or_b32 exec_lo, exec_lo, s46
	s_wait_loadcnt_dscnt 0x303
	v_lshlrev_b32_e32 v32, 16, v73
	s_wait_loadcnt_dscnt 0x202
	v_lshlrev_b32_e32 v33, 16, v72
	s_wait_loadcnt_dscnt 0x101
	s_delay_alu instid0(VALU_DEP_2) | instskip(NEXT) | instid1(VALU_DEP_1)
	v_dual_fmac_f32 v47, v65, v32 :: v_dual_lshlrev_b32 v32, 16, v71
	v_fmac_f32_e32 v47, v61, v33
	s_wait_loadcnt_dscnt 0x0
	s_delay_alu instid0(VALU_DEP_1) | instskip(NEXT) | instid1(VALU_DEP_1)
	v_dual_fmac_f32 v47, v63, v32 :: v_dual_lshlrev_b32 v32, 16, v70
	v_fmac_f32_e32 v47, v59, v32
.LBB675_24:                             ;   in Loop: Header=BB675_27 Depth=2
	s_or_b32 exec_lo, exec_lo, s45
	s_wait_loadcnt_dscnt 0x303
	v_lshlrev_b32_e32 v32, 16, v69
	s_wait_loadcnt_dscnt 0x202
	v_lshlrev_b32_e32 v33, 16, v68
	s_delay_alu instid0(VALU_DEP_2) | instskip(SKIP_2) | instid1(VALU_DEP_2)
	v_fmac_f32_e32 v46, v65, v32
	s_wait_loadcnt_dscnt 0x101
	v_lshlrev_b32_e32 v32, 16, v67
	v_fmac_f32_e32 v46, v61, v33
	s_delay_alu instid0(VALU_DEP_1) | instskip(SKIP_2) | instid1(VALU_DEP_1)
	v_fmac_f32_e32 v46, v63, v32
	s_wait_loadcnt_dscnt 0x0
	v_lshlrev_b32_e32 v32, 16, v66
	v_fmac_f32_e32 v46, v59, v32
.LBB675_25:                             ;   in Loop: Header=BB675_27 Depth=2
	s_or_b32 exec_lo, exec_lo, s44
	s_wait_loadcnt_dscnt 0x202
	v_lshlrev_b32_e32 v33, 16, v62
	v_lshlrev_b32_e32 v32, 16, v64
	s_delay_alu instid0(VALU_DEP_1) | instskip(SKIP_1) | instid1(VALU_DEP_1)
	v_fmac_f32_e32 v45, v65, v32
	s_wait_loadcnt_dscnt 0x101
	v_dual_fmac_f32 v45, v61, v33 :: v_dual_lshlrev_b32 v32, 16, v60
	s_wait_loadcnt_dscnt 0x0
	s_delay_alu instid0(VALU_DEP_1) | instskip(NEXT) | instid1(VALU_DEP_1)
	v_dual_fmac_f32 v45, v63, v32 :: v_dual_lshlrev_b32 v32, 16, v58
	v_fmac_f32_e32 v45, v59, v32
.LBB675_26:                             ;   in Loop: Header=BB675_27 Depth=2
	s_wait_alu 0xfffe
	s_or_b32 exec_lo, exec_lo, s7
	v_add_co_u32 v30, vcc_lo, v30, s30
	s_wait_alu 0xfffd
	v_add_co_ci_u32_e64 v31, null, s31, v31, vcc_lo
	v_add_co_u32 v50, vcc_lo, v50, s34
	v_add_nc_u32_e32 v49, 64, v49
	s_wait_alu 0xfffd
	v_add_co_ci_u32_e64 v51, null, s35, v51, vcc_lo
	v_add_co_u32 v52, vcc_lo, v52, s34
	s_wait_alu 0xfffd
	v_add_co_ci_u32_e64 v53, null, s35, v53, vcc_lo
	v_add_co_u32 v54, vcc_lo, v54, s34
	s_wait_alu 0xfffd
	v_add_co_ci_u32_e64 v55, null, s35, v55, vcc_lo
	v_cmp_le_i32_e32 vcc_lo, s39, v49
	v_add_co_u32 v56, s7, v56, s34
	s_wait_alu 0xf1ff
	v_add_co_ci_u32_e64 v57, null, s35, v57, s7
	s_or_b32 s43, vcc_lo, s43
	s_delay_alu instid0(SALU_CYCLE_1)
	s_and_not1_b32 exec_lo, exec_lo, s43
	s_cbranch_execz .LBB675_32
.LBB675_27:                             ;   Parent Loop BB675_4 Depth=1
                                        ; =>  This Inner Loop Header: Depth=2
	s_and_saveexec_b32 s7, s1
	s_cbranch_execz .LBB675_26
; %bb.28:                               ;   in Loop: Header=BB675_27 Depth=2
	v_add_co_u32 v32, vcc_lo, v30, v6
	s_wait_alu 0xfffd
	v_add_co_ci_u32_e64 v33, null, v31, v7, vcc_lo
	v_add_co_u32 v34, vcc_lo, v30, v20
	s_wait_alu 0xfffd
	v_add_co_ci_u32_e64 v35, null, v31, v21, vcc_lo
	;; [unrolled: 3-line block ×4, first 2 shown]
	s_clause 0x3
	flat_load_u16 v59, v[32:33]
	flat_load_u16 v61, v[34:35]
	;; [unrolled: 1-line block ×4, first 2 shown]
	v_add_co_u32 v32, vcc_lo, v52, v8
	s_wait_alu 0xfffd
	v_add_co_ci_u32_e64 v33, null, v53, v9, vcc_lo
	v_add_co_u32 v36, vcc_lo, v56, v8
	s_wait_alu 0xfffd
	v_add_co_ci_u32_e64 v37, null, v57, v9, vcc_lo
	;; [unrolled: 3-line block ×4, first 2 shown]
	flat_load_u16 v64, v[32:33]
	flat_load_u16 v62, v[36:37]
	;; [unrolled: 1-line block ×4, first 2 shown]
	s_wait_loadcnt_dscnt 0x707
	v_lshlrev_b32_e32 v65, 16, v59
	s_wait_loadcnt_dscnt 0x606
	v_lshlrev_b32_e32 v61, 16, v61
	;; [unrolled: 2-line block ×4, first 2 shown]
	s_and_saveexec_b32 s44, s2
	s_cbranch_execz .LBB675_25
; %bb.29:                               ;   in Loop: Header=BB675_27 Depth=2
	flat_load_u16 v69, v[32:33] offset:128
	flat_load_u16 v68, v[36:37] offset:128
	flat_load_u16 v67, v[34:35] offset:128
	flat_load_u16 v66, v[38:39] offset:128
	s_and_saveexec_b32 s45, s3
	s_cbranch_execz .LBB675_24
; %bb.30:                               ;   in Loop: Header=BB675_27 Depth=2
	flat_load_u16 v73, v[32:33] offset:256
	flat_load_u16 v72, v[36:37] offset:256
	flat_load_u16 v71, v[34:35] offset:256
	flat_load_u16 v70, v[38:39] offset:256
	;; [unrolled: 7-line block ×3, first 2 shown]
	s_wait_loadcnt_dscnt 0x303
	v_lshlrev_b32_e32 v32, 16, v32
	s_wait_loadcnt_dscnt 0x202
	s_delay_alu instid0(VALU_DEP_1) | instskip(SKIP_3) | instid1(VALU_DEP_2)
	v_dual_fmac_f32 v48, v65, v32 :: v_dual_lshlrev_b32 v33, 16, v33
	s_wait_loadcnt_dscnt 0x101
	v_lshlrev_b32_e32 v32, 16, v34
	s_wait_loadcnt_dscnt 0x0
	v_dual_fmac_f32 v48, v61, v33 :: v_dual_lshlrev_b32 v33, 16, v35
	s_delay_alu instid0(VALU_DEP_1) | instskip(NEXT) | instid1(VALU_DEP_1)
	v_fmac_f32_e32 v48, v63, v32
	v_fmac_f32_e32 v48, v59, v33
	s_branch .LBB675_23
.LBB675_32:                             ;   in Loop: Header=BB675_4 Depth=1
	s_or_b32 exec_lo, exec_lo, s43
.LBB675_33:                             ;   in Loop: Header=BB675_4 Depth=1
	s_delay_alu instid0(SALU_CYCLE_1) | instskip(NEXT) | instid1(SALU_CYCLE_1)
	s_or_b32 exec_lo, exec_lo, s42
	s_and_not1_b32 vcc_lo, exec_lo, s40
	s_wait_alu 0xfffe
	s_cbranch_vccnz .LBB675_51
; %bb.34:                               ;   in Loop: Header=BB675_4 Depth=1
	v_cmp_gt_i32_e32 vcc_lo, s21, v49
	v_dual_mov_b32 v35, 0 :: v_dual_mov_b32 v34, 0
	v_or_b32_e32 v30, 1, v49
	v_dual_mov_b32 v37, 0 :: v_dual_mov_b32 v36, 0
	s_and_saveexec_b32 s42, vcc_lo
	s_cbranch_execz .LBB675_42
; %bb.35:                               ;   in Loop: Header=BB675_4 Depth=1
	v_mad_co_u64_u32 v[31:32], null, s26, v49, 0
	v_dual_mov_b32 v36, 0 :: v_dual_mov_b32 v35, 0
	v_mov_b32_e32 v34, 0
	s_mov_b32 s43, exec_lo
	s_delay_alu instid0(VALU_DEP_3) | instskip(NEXT) | instid1(VALU_DEP_1)
	v_mad_co_u64_u32 v[32:33], null, s27, v49, v[32:33]
	v_lshlrev_b64_e32 v[31:32], 1, v[31:32]
	s_delay_alu instid0(VALU_DEP_1) | instskip(SKIP_1) | instid1(VALU_DEP_2)
	v_add_co_u32 v31, s7, v28, v31
	s_wait_alu 0xf1ff
	v_add_co_ci_u32_e64 v32, null, v29, v32, s7
	flat_load_u16 v31, v[31:32]
	v_cmpx_gt_i32_e64 s21, v30
	s_cbranch_execz .LBB675_41
; %bb.36:                               ;   in Loop: Header=BB675_4 Depth=1
	v_mad_co_u64_u32 v[32:33], null, s26, v30, 0
	s_mov_b32 s44, exec_lo
	v_mov_b32_e32 v35, 0
	v_mad_co_u64_u32 v[33:34], null, s27, v30, v[33:34]
	v_mov_b32_e32 v34, 0
	s_delay_alu instid0(VALU_DEP_2) | instskip(NEXT) | instid1(VALU_DEP_1)
	v_lshlrev_b64_e32 v[32:33], 1, v[32:33]
	v_add_co_u32 v32, s7, v28, v32
	s_wait_alu 0xf1ff
	s_delay_alu instid0(VALU_DEP_2) | instskip(SKIP_2) | instid1(VALU_DEP_1)
	v_add_co_ci_u32_e64 v33, null, v29, v33, s7
	flat_load_u16 v32, v[32:33]
	v_or_b32_e32 v33, 2, v49
	v_cmpx_gt_i32_e64 s21, v33
	s_cbranch_execz .LBB675_40
; %bb.37:                               ;   in Loop: Header=BB675_4 Depth=1
	v_mad_co_u64_u32 v[34:35], null, s26, v33, 0
	s_mov_b32 s45, exec_lo
	v_mad_co_u64_u32 v[35:36], null, s27, v33, v[35:36]
	s_delay_alu instid0(VALU_DEP_1) | instskip(SKIP_1) | instid1(VALU_DEP_2)
	v_lshlrev_b64_e32 v[33:34], 1, v[34:35]
	v_or_b32_e32 v35, 3, v49
	v_add_co_u32 v33, s7, v28, v33
	s_wait_alu 0xf1ff
	s_delay_alu instid0(VALU_DEP_3)
	v_add_co_ci_u32_e64 v34, null, v29, v34, s7
	flat_load_u16 v33, v[33:34]
	v_mov_b32_e32 v34, 0
	v_cmpx_gt_i32_e64 s21, v35
	s_cbranch_execz .LBB675_39
; %bb.38:                               ;   in Loop: Header=BB675_4 Depth=1
	v_mad_co_u64_u32 v[36:37], null, s26, v35, 0
	s_delay_alu instid0(VALU_DEP_1) | instskip(NEXT) | instid1(VALU_DEP_1)
	v_mov_b32_e32 v34, v37
	v_mad_co_u64_u32 v[34:35], null, s27, v35, v[34:35]
	s_delay_alu instid0(VALU_DEP_1) | instskip(NEXT) | instid1(VALU_DEP_1)
	v_mov_b32_e32 v37, v34
	v_lshlrev_b64_e32 v[34:35], 1, v[36:37]
	s_delay_alu instid0(VALU_DEP_1) | instskip(SKIP_1) | instid1(VALU_DEP_2)
	v_add_co_u32 v28, s7, v28, v34
	s_wait_alu 0xf1ff
	v_add_co_ci_u32_e64 v29, null, v29, v35, s7
	flat_load_u16 v28, v[28:29]
	s_wait_loadcnt_dscnt 0x0
	v_lshlrev_b32_e32 v34, 16, v28
.LBB675_39:                             ;   in Loop: Header=BB675_4 Depth=1
	s_or_b32 exec_lo, exec_lo, s45
	s_wait_loadcnt_dscnt 0x0
	v_lshlrev_b32_e32 v35, 16, v33
.LBB675_40:                             ;   in Loop: Header=BB675_4 Depth=1
	s_or_b32 exec_lo, exec_lo, s44
	s_wait_loadcnt_dscnt 0x0
	v_lshlrev_b32_e32 v36, 16, v32
.LBB675_41:                             ;   in Loop: Header=BB675_4 Depth=1
	s_or_b32 exec_lo, exec_lo, s43
	s_wait_loadcnt_dscnt 0x0
	v_lshlrev_b32_e32 v37, 16, v31
.LBB675_42:                             ;   in Loop: Header=BB675_4 Depth=1
	s_or_b32 exec_lo, exec_lo, s42
	s_and_saveexec_b32 s42, s1
	s_cbranch_execz .LBB675_50
; %bb.43:                               ;   in Loop: Header=BB675_4 Depth=1
	v_mad_co_u64_u32 v[28:29], null, s28, v49, 0
	v_or_b32_e32 v52, 2, v49
	v_mad_co_u64_u32 v[31:32], null, s28, v30, 0
	v_or_b32_e32 v53, 3, v49
	v_cmp_gt_i32_e64 s7, s21, v30
	s_delay_alu instid0(VALU_DEP_4) | instskip(SKIP_3) | instid1(VALU_DEP_4)
	v_mad_co_u64_u32 v[38:39], null, s28, v52, 0
	v_mad_co_u64_u32 v[49:50], null, s29, v49, v[29:30]
	;; [unrolled: 1-line block ×4, first 2 shown]
	v_mov_b32_e32 v30, v39
	s_delay_alu instid0(VALU_DEP_4)
	v_dual_cndmask_b32 v50, 0, v28 :: v_dual_cndmask_b32 v51, 0, v49
	s_wait_alu 0xf1ff
	v_cndmask_b32_e64 v28, 0, v31, s7
	v_cndmask_b32_e64 v29, 0, v29, s7
	v_mad_co_u64_u32 v[30:31], null, s29, v52, v[30:31]
	v_mov_b32_e32 v31, v33
	v_lshlrev_b64_e32 v[49:50], 1, v[50:51]
	v_cmp_gt_i32_e32 vcc_lo, s21, v52
	v_lshlrev_b64_e32 v[51:52], 1, v[28:29]
	s_wait_alu 0xfffd
	v_cndmask_b32_e32 v39, 0, v30, vcc_lo
	s_delay_alu instid0(VALU_DEP_4)
	v_add_co_u32 v28, s7, v26, v49
	s_wait_alu 0xf1ff
	v_add_co_ci_u32_e64 v29, null, v27, v50, s7
	v_mad_co_u64_u32 v[30:31], null, s29, v53, v[31:32]
	v_cndmask_b32_e32 v38, 0, v38, vcc_lo
	v_add_co_u32 v28, vcc_lo, v28, v8
	s_wait_alu 0xfffd
	v_add_co_ci_u32_e64 v29, null, v29, v9, vcc_lo
	v_cmp_gt_i32_e32 vcc_lo, s21, v53
	v_add_co_u32 v31, s7, v26, v51
	s_wait_alu 0xf1ff
	v_add_co_ci_u32_e64 v49, null, v27, v52, s7
	s_wait_alu 0xfffd
	v_dual_cndmask_b32 v32, 0, v32 :: v_dual_cndmask_b32 v33, 0, v30
	v_lshlrev_b64_e32 v[38:39], 1, v[38:39]
	v_add_co_u32 v30, vcc_lo, v31, v8
	s_wait_alu 0xfffd
	v_add_co_ci_u32_e64 v31, null, v49, v9, vcc_lo
	v_lshlrev_b64_e32 v[32:33], 1, v[32:33]
	s_delay_alu instid0(VALU_DEP_4) | instskip(SKIP_2) | instid1(VALU_DEP_3)
	v_add_co_u32 v38, vcc_lo, v26, v38
	s_wait_alu 0xfffd
	v_add_co_ci_u32_e64 v39, null, v27, v39, vcc_lo
	v_add_co_u32 v32, vcc_lo, v26, v32
	s_wait_alu 0xfffd
	v_add_co_ci_u32_e64 v33, null, v27, v33, vcc_lo
	;; [unrolled: 3-line block ×4, first 2 shown]
	s_clause 0x3
	flat_load_u16 v50, v[28:29]
	flat_load_u16 v49, v[30:31]
	;; [unrolled: 1-line block ×4, first 2 shown]
	s_and_saveexec_b32 s7, s2
	s_cbranch_execz .LBB675_49
; %bb.44:                               ;   in Loop: Header=BB675_4 Depth=1
	s_clause 0x3
	flat_load_u16 v54, v[28:29] offset:128
	flat_load_u16 v53, v[30:31] offset:128
	flat_load_u16 v52, v[26:27] offset:128
	flat_load_u16 v51, v[32:33] offset:128
	s_and_saveexec_b32 s43, s3
	s_cbranch_execz .LBB675_48
; %bb.45:                               ;   in Loop: Header=BB675_4 Depth=1
	s_clause 0x3
	flat_load_u16 v58, v[28:29] offset:256
	flat_load_u16 v57, v[30:31] offset:256
	flat_load_u16 v56, v[26:27] offset:256
	flat_load_u16 v55, v[32:33] offset:256
	s_and_saveexec_b32 s44, s4
	s_cbranch_execz .LBB675_47
; %bb.46:                               ;   in Loop: Header=BB675_4 Depth=1
	s_clause 0x3
	flat_load_u16 v28, v[28:29] offset:384
	flat_load_u16 v29, v[30:31] offset:384
	flat_load_u16 v26, v[26:27] offset:384
	flat_load_u16 v27, v[32:33] offset:384
	s_wait_loadcnt_dscnt 0x303
	v_lshlrev_b32_e32 v28, 16, v28
	s_wait_loadcnt_dscnt 0x202
	v_lshlrev_b32_e32 v29, 16, v29
	;; [unrolled: 2-line block ×3, first 2 shown]
	s_wait_loadcnt_dscnt 0x0
	v_dual_fmac_f32 v48, v37, v28 :: v_dual_lshlrev_b32 v27, 16, v27
	s_delay_alu instid0(VALU_DEP_1) | instskip(NEXT) | instid1(VALU_DEP_1)
	v_fmac_f32_e32 v48, v36, v29
	v_fmac_f32_e32 v48, v35, v26
	s_delay_alu instid0(VALU_DEP_1)
	v_fmac_f32_e32 v48, v34, v27
.LBB675_47:                             ;   in Loop: Header=BB675_4 Depth=1
	s_or_b32 exec_lo, exec_lo, s44
	s_wait_loadcnt_dscnt 0x202
	v_lshlrev_b32_e32 v27, 16, v57
	v_lshlrev_b32_e32 v26, 16, v58
	s_wait_loadcnt_dscnt 0x101
	s_delay_alu instid0(VALU_DEP_1) | instskip(NEXT) | instid1(VALU_DEP_1)
	v_dual_fmac_f32 v47, v37, v26 :: v_dual_lshlrev_b32 v26, 16, v56
	v_fmac_f32_e32 v47, v36, v27
	s_wait_loadcnt_dscnt 0x0
	s_delay_alu instid0(VALU_DEP_1) | instskip(NEXT) | instid1(VALU_DEP_1)
	v_dual_fmac_f32 v47, v35, v26 :: v_dual_lshlrev_b32 v26, 16, v55
	v_fmac_f32_e32 v47, v34, v26
.LBB675_48:                             ;   in Loop: Header=BB675_4 Depth=1
	s_or_b32 exec_lo, exec_lo, s43
	s_wait_loadcnt_dscnt 0x303
	v_lshlrev_b32_e32 v26, 16, v54
	s_wait_loadcnt_dscnt 0x202
	s_delay_alu instid0(VALU_DEP_1) | instskip(SKIP_2) | instid1(VALU_DEP_2)
	v_dual_fmac_f32 v46, v37, v26 :: v_dual_lshlrev_b32 v27, 16, v53
	s_wait_loadcnt_dscnt 0x101
	v_lshlrev_b32_e32 v26, 16, v52
	v_fmac_f32_e32 v46, v36, v27
	s_delay_alu instid0(VALU_DEP_1) | instskip(SKIP_2) | instid1(VALU_DEP_1)
	v_fmac_f32_e32 v46, v35, v26
	s_wait_loadcnt_dscnt 0x0
	v_lshlrev_b32_e32 v26, 16, v51
	v_fmac_f32_e32 v46, v34, v26
.LBB675_49:                             ;   in Loop: Header=BB675_4 Depth=1
	s_wait_alu 0xfffe
	s_or_b32 exec_lo, exec_lo, s7
	s_wait_loadcnt_dscnt 0x202
	v_lshlrev_b32_e32 v27, 16, v49
	v_lshlrev_b32_e32 v26, 16, v50
	s_wait_loadcnt_dscnt 0x101
	s_delay_alu instid0(VALU_DEP_1) | instskip(NEXT) | instid1(VALU_DEP_1)
	v_dual_fmac_f32 v45, v37, v26 :: v_dual_lshlrev_b32 v26, 16, v39
	v_fmac_f32_e32 v45, v36, v27
	s_delay_alu instid0(VALU_DEP_1) | instskip(SKIP_2) | instid1(VALU_DEP_1)
	v_fmac_f32_e32 v45, v35, v26
	s_wait_loadcnt_dscnt 0x0
	v_lshlrev_b32_e32 v26, 16, v38
	v_fmac_f32_e32 v45, v34, v26
.LBB675_50:                             ;   in Loop: Header=BB675_4 Depth=1
	s_or_b32 exec_lo, exec_lo, s42
.LBB675_51:                             ;   in Loop: Header=BB675_4 Depth=1
	ds_store_2addr_stride64_b32 v41, v45, v46 offset1:1
	ds_store_2addr_stride64_b32 v41, v47, v48 offset0:2 offset1:3
	s_wait_dscnt 0x0
	s_barrier_signal -1
	s_barrier_wait -1
	global_inv scope:SCOPE_SE
                                        ; implicit-def: $vgpr30
	s_and_saveexec_b32 s7, s0
	s_cbranch_execz .LBB675_57
; %bb.52:                               ;   in Loop: Header=BB675_4 Depth=1
	ds_load_2addr_stride64_b32 v[26:27], v0 offset1:4
	ds_load_2addr_stride64_b32 v[28:29], v0 offset0:8 offset1:12
	ds_load_2addr_stride64_b32 v[30:31], v0 offset0:16 offset1:20
	s_mov_b32 s43, s41
	s_wait_dscnt 0x2
	v_add_f32_e32 v32, v26, v27
	ds_load_2addr_stride64_b32 v[26:27], v0 offset0:24 offset1:28
	s_wait_dscnt 0x2
	v_add_f32_e32 v28, v28, v32
	s_delay_alu instid0(VALU_DEP_1) | instskip(SKIP_3) | instid1(VALU_DEP_1)
	v_add_f32_e32 v32, v29, v28
	ds_load_2addr_stride64_b32 v[28:29], v0 offset0:32 offset1:36
	s_wait_dscnt 0x2
	v_add_f32_e32 v30, v30, v32
	v_add_f32_e32 v32, v31, v30
	ds_load_2addr_stride64_b32 v[30:31], v0 offset0:40 offset1:44
	s_wait_dscnt 0x2
	v_add_f32_e32 v26, v26, v32
	s_delay_alu instid0(VALU_DEP_1) | instskip(SKIP_1) | instid1(VALU_DEP_1)
	v_add_f32_e32 v26, v27, v26
	s_wait_dscnt 0x1
	v_add_f32_e32 v28, v28, v26
	ds_load_2addr_stride64_b32 v[26:27], v0 offset0:48 offset1:52
	v_add_f32_e32 v28, v29, v28
	s_wait_dscnt 0x1
	s_delay_alu instid0(VALU_DEP_1) | instskip(SKIP_3) | instid1(VALU_DEP_1)
	v_add_f32_e32 v30, v30, v28
	ds_load_2addr_stride64_b32 v[28:29], v0 offset0:56 offset1:60
	v_add_f32_e32 v30, v31, v30
	s_wait_dscnt 0x1
	v_add_f32_e32 v26, v26, v30
                                        ; implicit-def: $vgpr30
	s_delay_alu instid0(VALU_DEP_1) | instskip(SKIP_1) | instid1(VALU_DEP_1)
	v_add_f32_e32 v26, v27, v26
	s_wait_dscnt 0x0
	v_add_f32_e32 v26, v28, v26
	s_delay_alu instid0(VALU_DEP_1)
	v_add_f32_e32 v26, v29, v26
	ds_store_b32 v0, v26
	s_and_saveexec_b32 s42, s6
	s_cbranch_execz .LBB675_56
; %bb.53:                               ;   in Loop: Header=BB675_4 Depth=1
	v_mul_f32_e32 v30, s22, v26
	s_and_not1_b32 vcc_lo, exec_lo, s38
	s_wait_alu 0xfffe
	s_cbranch_vccnz .LBB675_55
; %bb.54:                               ;   in Loop: Header=BB675_4 Depth=1
	v_lshlrev_b64_e32 v[26:27], 2, v[4:5]
	s_delay_alu instid0(VALU_DEP_1) | instskip(SKIP_1) | instid1(VALU_DEP_2)
	v_add_co_u32 v26, vcc_lo, v43, v26
	s_wait_alu 0xfffd
	v_add_co_ci_u32_e64 v27, null, v44, v27, vcc_lo
	flat_load_b32 v26, v[26:27]
	s_wait_loadcnt_dscnt 0x0
	v_fmac_f32_e32 v30, s33, v26
.LBB675_55:                             ;   in Loop: Header=BB675_4 Depth=1
	s_or_b32 s43, s41, exec_lo
.LBB675_56:                             ;   in Loop: Header=BB675_4 Depth=1
	s_or_b32 exec_lo, exec_lo, s42
	s_delay_alu instid0(SALU_CYCLE_1) | instskip(SKIP_1) | instid1(SALU_CYCLE_1)
	s_and_not1_b32 s41, s41, exec_lo
	s_and_b32 s42, s43, exec_lo
	s_or_b32 s41, s41, s42
.LBB675_57:                             ;   in Loop: Header=BB675_4 Depth=1
	s_wait_alu 0xfffe
	s_or_b32 exec_lo, exec_lo, s7
	v_dual_mov_b32 v27, v5 :: v_dual_mov_b32 v26, v4
	s_and_saveexec_b32 s7, s41
	s_cbranch_execz .LBB675_2
.LBB675_58:                             ;   in Loop: Header=BB675_4 Depth=1
	s_delay_alu instid0(VALU_DEP_1) | instskip(NEXT) | instid1(VALU_DEP_1)
	v_lshlrev_b64_e32 v[26:27], 2, v[26:27]
	v_add_co_u32 v26, vcc_lo, v43, v26
	s_wait_alu 0xfffd
	s_delay_alu instid0(VALU_DEP_2)
	v_add_co_ci_u32_e64 v27, null, v44, v27, vcc_lo
	flat_store_b32 v[26:27], v30
	s_branch .LBB675_2
.LBB675_59:
	s_endpgm
	.section	.rodata,"a",@progbits
	.p2align	6, 0x0
	.amdhsa_kernel _ZL20rocblas_gemvn_kernelILi64ELi16ElPK16rocblas_bfloat16fKPfEviiT3_lPKT2_lT1_lS8_lS9_lS5_lPT4_lS9_li
		.amdhsa_group_segment_fixed_size 16384
		.amdhsa_private_segment_fixed_size 0
		.amdhsa_kernarg_size 400
		.amdhsa_user_sgpr_count 2
		.amdhsa_user_sgpr_dispatch_ptr 0
		.amdhsa_user_sgpr_queue_ptr 0
		.amdhsa_user_sgpr_kernarg_segment_ptr 1
		.amdhsa_user_sgpr_dispatch_id 0
		.amdhsa_user_sgpr_private_segment_size 0
		.amdhsa_wavefront_size32 1
		.amdhsa_uses_dynamic_stack 0
		.amdhsa_enable_private_segment 0
		.amdhsa_system_sgpr_workgroup_id_x 1
		.amdhsa_system_sgpr_workgroup_id_y 0
		.amdhsa_system_sgpr_workgroup_id_z 1
		.amdhsa_system_sgpr_workgroup_info 0
		.amdhsa_system_vgpr_workitem_id 1
		.amdhsa_next_free_vgpr 74
		.amdhsa_next_free_sgpr 47
		.amdhsa_reserve_vcc 1
		.amdhsa_float_round_mode_32 0
		.amdhsa_float_round_mode_16_64 0
		.amdhsa_float_denorm_mode_32 3
		.amdhsa_float_denorm_mode_16_64 3
		.amdhsa_fp16_overflow 0
		.amdhsa_workgroup_processor_mode 1
		.amdhsa_memory_ordered 1
		.amdhsa_forward_progress 1
		.amdhsa_inst_pref_size 30
		.amdhsa_round_robin_scheduling 0
		.amdhsa_exception_fp_ieee_invalid_op 0
		.amdhsa_exception_fp_denorm_src 0
		.amdhsa_exception_fp_ieee_div_zero 0
		.amdhsa_exception_fp_ieee_overflow 0
		.amdhsa_exception_fp_ieee_underflow 0
		.amdhsa_exception_fp_ieee_inexact 0
		.amdhsa_exception_int_div_zero 0
	.end_amdhsa_kernel
	.section	.text._ZL20rocblas_gemvn_kernelILi64ELi16ElPK16rocblas_bfloat16fKPfEviiT3_lPKT2_lT1_lS8_lS9_lS5_lPT4_lS9_li,"axG",@progbits,_ZL20rocblas_gemvn_kernelILi64ELi16ElPK16rocblas_bfloat16fKPfEviiT3_lPKT2_lT1_lS8_lS9_lS5_lPT4_lS9_li,comdat
.Lfunc_end675:
	.size	_ZL20rocblas_gemvn_kernelILi64ELi16ElPK16rocblas_bfloat16fKPfEviiT3_lPKT2_lT1_lS8_lS9_lS5_lPT4_lS9_li, .Lfunc_end675-_ZL20rocblas_gemvn_kernelILi64ELi16ElPK16rocblas_bfloat16fKPfEviiT3_lPKT2_lT1_lS8_lS9_lS5_lPT4_lS9_li
                                        ; -- End function
	.set _ZL20rocblas_gemvn_kernelILi64ELi16ElPK16rocblas_bfloat16fKPfEviiT3_lPKT2_lT1_lS8_lS9_lS5_lPT4_lS9_li.num_vgpr, 74
	.set _ZL20rocblas_gemvn_kernelILi64ELi16ElPK16rocblas_bfloat16fKPfEviiT3_lPKT2_lT1_lS8_lS9_lS5_lPT4_lS9_li.num_agpr, 0
	.set _ZL20rocblas_gemvn_kernelILi64ELi16ElPK16rocblas_bfloat16fKPfEviiT3_lPKT2_lT1_lS8_lS9_lS5_lPT4_lS9_li.numbered_sgpr, 47
	.set _ZL20rocblas_gemvn_kernelILi64ELi16ElPK16rocblas_bfloat16fKPfEviiT3_lPKT2_lT1_lS8_lS9_lS5_lPT4_lS9_li.num_named_barrier, 0
	.set _ZL20rocblas_gemvn_kernelILi64ELi16ElPK16rocblas_bfloat16fKPfEviiT3_lPKT2_lT1_lS8_lS9_lS5_lPT4_lS9_li.private_seg_size, 0
	.set _ZL20rocblas_gemvn_kernelILi64ELi16ElPK16rocblas_bfloat16fKPfEviiT3_lPKT2_lT1_lS8_lS9_lS5_lPT4_lS9_li.uses_vcc, 1
	.set _ZL20rocblas_gemvn_kernelILi64ELi16ElPK16rocblas_bfloat16fKPfEviiT3_lPKT2_lT1_lS8_lS9_lS5_lPT4_lS9_li.uses_flat_scratch, 1
	.set _ZL20rocblas_gemvn_kernelILi64ELi16ElPK16rocblas_bfloat16fKPfEviiT3_lPKT2_lT1_lS8_lS9_lS5_lPT4_lS9_li.has_dyn_sized_stack, 0
	.set _ZL20rocblas_gemvn_kernelILi64ELi16ElPK16rocblas_bfloat16fKPfEviiT3_lPKT2_lT1_lS8_lS9_lS5_lPT4_lS9_li.has_recursion, 0
	.set _ZL20rocblas_gemvn_kernelILi64ELi16ElPK16rocblas_bfloat16fKPfEviiT3_lPKT2_lT1_lS8_lS9_lS5_lPT4_lS9_li.has_indirect_call, 0
	.section	.AMDGPU.csdata,"",@progbits
; Kernel info:
; codeLenInByte = 3808
; TotalNumSgprs: 49
; NumVgprs: 74
; ScratchSize: 0
; MemoryBound: 0
; FloatMode: 240
; IeeeMode: 1
; LDSByteSize: 16384 bytes/workgroup (compile time only)
; SGPRBlocks: 0
; VGPRBlocks: 9
; NumSGPRsForWavesPerEU: 49
; NumVGPRsForWavesPerEU: 74
; Occupancy: 16
; WaveLimiterHint : 1
; COMPUTE_PGM_RSRC2:SCRATCH_EN: 0
; COMPUTE_PGM_RSRC2:USER_SGPR: 2
; COMPUTE_PGM_RSRC2:TRAP_HANDLER: 0
; COMPUTE_PGM_RSRC2:TGID_X_EN: 1
; COMPUTE_PGM_RSRC2:TGID_Y_EN: 0
; COMPUTE_PGM_RSRC2:TGID_Z_EN: 1
; COMPUTE_PGM_RSRC2:TIDIG_COMP_CNT: 1
	.section	.text._ZL22rocblas_gemvtsm_kernelILb0ELi256EPK16rocblas_bfloat16PKfKPfEviiT2_lPKT1_lilSA_lilS7_lPT3_lil,"axG",@progbits,_ZL22rocblas_gemvtsm_kernelILb0ELi256EPK16rocblas_bfloat16PKfKPfEviiT2_lPKT1_lilSA_lilS7_lPT3_lil,comdat
	.globl	_ZL22rocblas_gemvtsm_kernelILb0ELi256EPK16rocblas_bfloat16PKfKPfEviiT2_lPKT1_lilSA_lilS7_lPT3_lil ; -- Begin function _ZL22rocblas_gemvtsm_kernelILb0ELi256EPK16rocblas_bfloat16PKfKPfEviiT2_lPKT1_lilSA_lilS7_lPT3_lil
	.p2align	8
	.type	_ZL22rocblas_gemvtsm_kernelILb0ELi256EPK16rocblas_bfloat16PKfKPfEviiT2_lPKT1_lilSA_lilS7_lPT3_lil,@function
_ZL22rocblas_gemvtsm_kernelILb0ELi256EPK16rocblas_bfloat16PKfKPfEviiT2_lPKT1_lilSA_lilS7_lPT3_lil: ; @_ZL22rocblas_gemvtsm_kernelILb0ELi256EPK16rocblas_bfloat16PKfKPfEviiT2_lPKT1_lilSA_lilS7_lPT3_lil
; %bb.0:
	s_clause 0x1
	s_load_b256 s[12:19], s[0:1], 0x8
	s_load_b256 s[4:11], s[0:1], 0x58
	s_mov_b32 s2, ttmp9
	s_mov_b32 s3, 0
	s_wait_kmcnt 0x0
	s_mul_u64 s[14:15], s[14:15], s[2:3]
	s_mul_u64 s[6:7], s[6:7], s[2:3]
	s_lshl_b64 s[14:15], s[14:15], 2
	s_lshl_b64 s[6:7], s[6:7], 2
	s_add_nc_u64 s[12:13], s[12:13], s[14:15]
	s_add_nc_u64 s[4:5], s[4:5], s[6:7]
	s_load_b32 s21, s[12:13], 0x0
	s_load_b32 s20, s[4:5], 0x0
	s_wait_kmcnt 0x0
	s_cmp_eq_f32 s21, 0
	s_cselect_b32 s4, -1, 0
	s_cmp_eq_f32 s20, 1.0
	s_cselect_b32 s5, -1, 0
	s_delay_alu instid0(SALU_CYCLE_1) | instskip(NEXT) | instid1(SALU_CYCLE_1)
	s_and_b32 s4, s4, s5
	s_and_b32 vcc_lo, exec_lo, s4
	s_cbranch_vccnz .LBB676_62
; %bb.1:
	s_cmp_neq_f32 s21, 0
	s_mov_b64 s[12:13], 0
	s_mov_b64 s[6:7], 0
	s_cselect_b32 s4, -1, 0
	s_cmp_eq_f32 s21, 0
	s_cselect_b32 s5, -1, 0
	s_delay_alu instid0(SALU_CYCLE_1)
	s_and_b32 vcc_lo, exec_lo, s5
	s_cbranch_vccnz .LBB676_3
; %bb.2:
	s_lshl_b64 s[6:7], s[2:3], 3
	s_lshl_b64 s[14:15], s[18:19], 1
	s_add_nc_u64 s[6:7], s[16:17], s[6:7]
	s_load_b64 s[6:7], s[6:7], 0x0
	s_wait_kmcnt 0x0
	s_add_nc_u64 s[6:7], s[6:7], s[14:15]
.LBB676_3:
	s_and_not1_b32 vcc_lo, exec_lo, s4
	s_cbranch_vccnz .LBB676_5
; %bb.4:
	s_load_b128 s[12:15], s[0:1], 0x38
	s_lshl_b64 s[16:17], s[2:3], 3
	s_wait_kmcnt 0x0
	s_add_nc_u64 s[12:13], s[12:13], s[16:17]
	s_lshl_b64 s[14:15], s[14:15], 1
	s_load_b64 s[12:13], s[12:13], 0x0
	s_wait_kmcnt 0x0
	s_add_nc_u64 s[12:13], s[12:13], s[14:15]
.LBB676_5:
	s_lshl_b64 s[2:3], s[2:3], 3
	s_and_not1_b32 vcc_lo, exec_lo, s5
	s_add_nc_u64 s[8:9], s[8:9], s[2:3]
	s_clause 0x1
	s_load_b64 s[2:3], s[0:1], 0x0
	s_load_b32 s4, s[0:1], 0x78
	s_load_b64 s[8:9], s[8:9], 0x0
	s_mov_b32 s5, -1
	s_cbranch_vccnz .LBB676_20
; %bb.6:
	s_wait_kmcnt 0x0
	s_cmp_gt_i32 s3, 0
	s_cselect_b32 s16, -1, 0
	s_cmp_neq_f32 s20, 0
	v_cndmask_b32_e64 v1, 0, 1, s16
	s_delay_alu instid0(VALU_DEP_1)
	v_cmp_ne_u32_e32 vcc_lo, 1, v1
	s_cbranch_scc1 .LBB676_13
; %bb.7:
	s_and_b32 vcc_lo, exec_lo, vcc_lo
	s_cbranch_vccnz .LBB676_12
; %bb.8:
	v_mad_co_i64_i32 v[1:2], null, s4, v0, 0
	s_lshl_b64 s[14:15], s[10:11], 2
	v_mov_b32_e32 v3, 0
	s_add_nc_u64 s[14:15], s[8:9], s[14:15]
	s_ashr_i32 s5, s4, 31
	v_lshlrev_b64_e32 v[1:2], 2, v[1:2]
	s_delay_alu instid0(VALU_DEP_1) | instskip(NEXT) | instid1(VALU_DEP_1)
	v_add_co_u32 v1, vcc_lo, s14, v1
	v_add_co_ci_u32_e64 v2, null, s15, v2, vcc_lo
	s_wait_alu 0xfffe
	s_lshl_b64 s[14:15], s[4:5], 10
	s_mov_b32 s5, 0
	s_branch .LBB676_10
.LBB676_9:                              ;   in Loop: Header=BB676_10 Depth=1
	s_wait_alu 0xfffe
	s_or_b32 exec_lo, exec_lo, s17
	v_add_co_u32 v1, vcc_lo, v1, s14
	s_wait_alu 0xfffd
	v_add_co_ci_u32_e64 v2, null, s15, v2, vcc_lo
	s_addk_co_i32 s5, 0x100
	s_wait_alu 0xfffe
	s_cmp_ge_i32 s5, s3
	s_cbranch_scc1 .LBB676_12
.LBB676_10:                             ; =>This Inner Loop Header: Depth=1
	s_wait_alu 0xfffe
	v_add_nc_u32_e32 v4, s5, v0
	s_mov_b32 s17, exec_lo
	s_delay_alu instid0(VALU_DEP_1)
	v_cmpx_gt_i32_e64 s3, v4
	s_cbranch_execz .LBB676_9
; %bb.11:                               ;   in Loop: Header=BB676_10 Depth=1
	flat_store_b32 v[1:2], v3
	s_branch .LBB676_9
.LBB676_12:
	s_mov_b32 s5, 0
.LBB676_13:
	s_wait_alu 0xfffe
	s_and_not1_b32 vcc_lo, exec_lo, s5
	s_wait_alu 0xfffe
	s_cbranch_vccnz .LBB676_19
; %bb.14:
	s_and_not1_b32 vcc_lo, exec_lo, s16
	s_wait_alu 0xfffe
	s_cbranch_vccnz .LBB676_19
; %bb.15:
	v_mad_co_i64_i32 v[1:2], null, s4, v0, 0
	s_lshl_b64 s[14:15], s[10:11], 2
	s_ashr_i32 s5, s4, 31
	s_wait_alu 0xfffe
	s_add_nc_u64 s[14:15], s[8:9], s[14:15]
	v_lshlrev_b64_e32 v[1:2], 2, v[1:2]
	s_wait_alu 0xfffe
	s_delay_alu instid0(VALU_DEP_1) | instskip(SKIP_1) | instid1(VALU_DEP_2)
	v_add_co_u32 v1, vcc_lo, s14, v1
	s_wait_alu 0xfffd
	v_add_co_ci_u32_e64 v2, null, s15, v2, vcc_lo
	s_lshl_b64 s[14:15], s[4:5], 10
	s_mov_b32 s5, 0
	s_branch .LBB676_17
.LBB676_16:                             ;   in Loop: Header=BB676_17 Depth=1
	s_wait_alu 0xfffe
	s_or_b32 exec_lo, exec_lo, s16
	v_add_co_u32 v1, vcc_lo, v1, s14
	s_wait_alu 0xfffd
	v_add_co_ci_u32_e64 v2, null, s15, v2, vcc_lo
	s_addk_co_i32 s5, 0x100
	s_wait_alu 0xfffe
	s_cmp_ge_i32 s5, s3
	s_cbranch_scc1 .LBB676_19
.LBB676_17:                             ; =>This Inner Loop Header: Depth=1
	s_wait_alu 0xfffe
	v_add_nc_u32_e32 v3, s5, v0
	s_mov_b32 s16, exec_lo
	s_delay_alu instid0(VALU_DEP_1)
	v_cmpx_gt_i32_e64 s3, v3
	s_cbranch_execz .LBB676_16
; %bb.18:                               ;   in Loop: Header=BB676_17 Depth=1
	flat_load_b32 v3, v[1:2]
	s_wait_loadcnt_dscnt 0x0
	v_mul_f32_e32 v3, s20, v3
	flat_store_b32 v[1:2], v3
	s_branch .LBB676_16
.LBB676_19:
	s_mov_b32 s5, 0
.LBB676_20:
	s_wait_alu 0xfffe
	s_and_not1_b32 vcc_lo, exec_lo, s5
	s_wait_alu 0xfffe
	s_cbranch_vccnz .LBB676_62
; %bb.21:
	s_mov_b32 s5, exec_lo
	s_wait_kmcnt 0x0
	v_cmpx_gt_i32_e64 s2, v0
	s_cbranch_execz .LBB676_27
; %bb.22:
	s_load_b32 s14, s[0:1], 0x48
	s_wait_kmcnt 0x0
	v_mad_co_i64_i32 v[1:2], null, s14, v0, 0
	s_delay_alu instid0(VALU_DEP_1) | instskip(NEXT) | instid1(VALU_DEP_1)
	v_lshlrev_b64_e32 v[1:2], 1, v[1:2]
	v_add_co_u32 v1, vcc_lo, s12, v1
	s_wait_alu 0xfffd
	s_delay_alu instid0(VALU_DEP_2) | instskip(SKIP_3) | instid1(VALU_DEP_1)
	v_add_co_ci_u32_e64 v2, null, s13, v2, vcc_lo
	flat_load_u16 v1, v[1:2]
	s_wait_loadcnt_dscnt 0x0
	v_lshlrev_b32_e32 v1, 16, v1
	v_mul_f32_e32 v1, s21, v1
	s_delay_alu instid0(VALU_DEP_1) | instskip(NEXT) | instid1(VALU_DEP_1)
	v_and_b32_e32 v2, 0x7f800000, v1
	v_cmp_ne_u32_e32 vcc_lo, 0x7f800000, v2
                                        ; implicit-def: $vgpr2
	s_and_saveexec_b32 s12, vcc_lo
	s_wait_alu 0xfffe
	s_xor_b32 s12, exec_lo, s12
; %bb.23:
	v_bfe_u32 v2, v1, 16, 1
	s_delay_alu instid0(VALU_DEP_1)
	v_add3_u32 v2, v1, v2, 0x7fff
                                        ; implicit-def: $vgpr1
; %bb.24:
	s_wait_alu 0xfffe
	s_and_not1_saveexec_b32 s12, s12
; %bb.25:
	v_and_b32_e32 v2, 0xffff, v1
	v_or_b32_e32 v3, 0x10000, v1
	s_delay_alu instid0(VALU_DEP_2) | instskip(SKIP_1) | instid1(VALU_DEP_2)
	v_cmp_eq_u32_e32 vcc_lo, 0, v2
	s_wait_alu 0xfffd
	v_cndmask_b32_e32 v2, v3, v1, vcc_lo
; %bb.26:
	s_wait_alu 0xfffe
	s_or_b32 exec_lo, exec_lo, s12
	s_delay_alu instid0(VALU_DEP_1)
	v_and_b32_e32 v1, 0xffff0000, v2
	v_lshlrev_b32_e32 v2, 2, v0
	ds_store_b32 v2, v1
.LBB676_27:
	s_wait_alu 0xfffe
	s_or_b32 exec_lo, exec_lo, s5
	s_cmp_lt_i32 s3, 1
	s_wait_storecnt_dscnt 0x0
	s_barrier_signal -1
	s_barrier_wait -1
	global_inv scope:SCOPE_SE
	s_cbranch_scc1 .LBB676_62
; %bb.28:
	s_load_b32 s16, s[0:1], 0x28
	s_lshl_b64 s[0:1], s[10:11], 2
	s_ashr_i32 s5, s4, 31
	s_add_nc_u64 s[0:1], s[8:9], s[0:1]
	s_mov_b32 s8, 0
	s_wait_kmcnt 0x0
	v_mad_co_i64_i32 v[1:2], null, s16, v0, 0
	s_ashr_i32 s17, s16, 31
	s_cmp_neq_f32 s20, 0
	s_cselect_b32 s10, -1, 0
	v_lshlrev_b64_e32 v[1:2], 1, v[1:2]
	s_cmp_gt_i32 s2, 0
	s_cselect_b32 s11, -1, 0
	s_and_b32 s12, s2, 3
	s_cmp_gt_u32 s2, 3
	s_delay_alu instid0(VALU_DEP_1)
	v_add_co_u32 v7, vcc_lo, s6, v1
	s_wait_alu 0xfffd
	v_add_co_ci_u32_e64 v8, null, s7, v2, vcc_lo
	s_cselect_b32 s13, -1, 0
	v_add_co_u32 v1, vcc_lo, v7, 4
	s_and_b32 s2, s2, 0x7ffffffc
	s_wait_alu 0xfffd
	v_add_co_ci_u32_e64 v2, null, 0, v8, vcc_lo
	s_wait_alu 0xfffe
	s_cmp_lg_u32 s12, 0
	s_cselect_b32 s14, -1, 0
	s_lshl_b64 s[6:7], s[16:17], 9
	s_branch .LBB676_31
.LBB676_29:                             ;   in Loop: Header=BB676_31 Depth=1
	v_add_co_u32 v3, vcc_lo, s0, v3
	s_wait_alu 0xfffd
	v_add_co_ci_u32_e64 v4, null, s1, v4, vcc_lo
	flat_store_b32 v[3:4], v9
.LBB676_30:                             ;   in Loop: Header=BB676_31 Depth=1
	s_wait_alu 0xfffe
	s_or_b32 exec_lo, exec_lo, s9
	v_add_co_u32 v1, vcc_lo, v1, s6
	s_wait_alu 0xfffd
	v_add_co_ci_u32_e64 v2, null, s7, v2, vcc_lo
	v_add_co_u32 v7, vcc_lo, v7, s6
	s_wait_alu 0xfffd
	v_add_co_ci_u32_e64 v8, null, s7, v8, vcc_lo
	s_addk_co_i32 s8, 0x100
	s_wait_alu 0xfffe
	s_cmp_ge_i32 s8, s3
	s_cbranch_scc1 .LBB676_62
.LBB676_31:                             ; =>This Loop Header: Depth=1
                                        ;     Child Loop BB676_38 Depth 2
                                        ;     Child Loop BB676_58 Depth 2
	v_add_nc_u32_e32 v3, s8, v0
	s_mov_b32 s9, exec_lo
	s_delay_alu instid0(VALU_DEP_1)
	v_cmpx_gt_i32_e64 s3, v3
	s_cbranch_execz .LBB676_30
; %bb.32:                               ;   in Loop: Header=BB676_31 Depth=1
	v_mad_co_u64_u32 v[4:5], null, v3, s4, 0
	s_and_not1_b32 vcc_lo, exec_lo, s10
	v_mad_co_u64_u32 v[5:6], null, v3, s5, v[5:6]
	s_delay_alu instid0(VALU_DEP_1)
	v_lshlrev_b64_e32 v[3:4], 2, v[4:5]
	s_wait_alu 0xfffe
	s_cbranch_vccnz .LBB676_34
; %bb.33:                               ;   in Loop: Header=BB676_31 Depth=1
	s_delay_alu instid0(VALU_DEP_1) | instskip(SKIP_1) | instid1(VALU_DEP_2)
	v_add_co_u32 v5, vcc_lo, s0, v3
	s_wait_alu 0xfffd
	v_add_co_ci_u32_e64 v6, null, s1, v4, vcc_lo
	flat_load_b32 v5, v[5:6]
	s_wait_loadcnt_dscnt 0x0
	v_mul_f32_e32 v9, s20, v5
	s_and_not1_b32 vcc_lo, exec_lo, s11
	s_wait_alu 0xfffe
	s_cbranch_vccz .LBB676_35
	s_branch .LBB676_29
.LBB676_34:                             ;   in Loop: Header=BB676_31 Depth=1
	v_mov_b32_e32 v9, 0
	s_and_not1_b32 vcc_lo, exec_lo, s11
	s_wait_alu 0xfffe
	s_cbranch_vccnz .LBB676_29
.LBB676_35:                             ;   in Loop: Header=BB676_31 Depth=1
	s_and_not1_b32 vcc_lo, exec_lo, s13
	s_mov_b32 s15, 0
	s_wait_alu 0xfffe
	s_cbranch_vccnz .LBB676_55
; %bb.36:                               ;   in Loop: Header=BB676_31 Depth=1
	v_dual_mov_b32 v6, v2 :: v_dual_mov_b32 v5, v1
	s_mov_b32 s16, 0
	s_branch .LBB676_38
.LBB676_37:                             ;   in Loop: Header=BB676_38 Depth=2
	s_wait_alu 0xfffe
	s_or_b32 exec_lo, exec_lo, s17
	v_and_b32_e32 v11, 0xffff0000, v11
	v_and_b32_e32 v10, 0xffff0000, v10
	v_add_co_u32 v5, vcc_lo, v5, 8
	s_wait_alu 0xfffd
	v_add_co_ci_u32_e64 v6, null, 0, v6, vcc_lo
	s_delay_alu instid0(VALU_DEP_3)
	v_dual_add_f32 v9, v9, v10 :: v_dual_and_b32 v10, 0xffff0000, v12
	s_add_co_i32 s16, s16, 4
	s_add_co_i32 s15, s15, 16
	s_wait_alu 0xfffe
	s_cmp_eq_u32 s2, s16
	v_add_f32_e32 v9, v9, v11
	v_and_b32_e32 v11, 0xffff0000, v13
	s_delay_alu instid0(VALU_DEP_2) | instskip(NEXT) | instid1(VALU_DEP_1)
	v_add_f32_e32 v9, v9, v10
	v_add_f32_e32 v9, v9, v11
	s_cbranch_scc1 .LBB676_54
.LBB676_38:                             ;   Parent Loop BB676_31 Depth=1
                                        ; =>  This Inner Loop Header: Depth=2
	flat_load_u16 v10, v[5:6] offset:-4
	s_wait_loadcnt_dscnt 0x0
	v_dual_mov_b32 v11, s15 :: v_dual_lshlrev_b32 v10, 16, v10
	ds_load_b32 v11, v11
	s_wait_dscnt 0x0
	v_mul_f32_e32 v11, v11, v10
	s_delay_alu instid0(VALU_DEP_1) | instskip(NEXT) | instid1(VALU_DEP_1)
	v_and_b32_e32 v10, 0x7f800000, v11
	v_cmp_ne_u32_e32 vcc_lo, 0x7f800000, v10
                                        ; implicit-def: $vgpr10
	s_and_saveexec_b32 s17, vcc_lo
	s_wait_alu 0xfffe
	s_xor_b32 s17, exec_lo, s17
; %bb.39:                               ;   in Loop: Header=BB676_38 Depth=2
	v_bfe_u32 v10, v11, 16, 1
	s_delay_alu instid0(VALU_DEP_1)
	v_add3_u32 v10, v11, v10, 0x7fff
                                        ; implicit-def: $vgpr11
; %bb.40:                               ;   in Loop: Header=BB676_38 Depth=2
	s_wait_alu 0xfffe
	s_and_not1_saveexec_b32 s17, s17
; %bb.41:                               ;   in Loop: Header=BB676_38 Depth=2
	v_and_b32_e32 v10, 0xffff, v11
	v_or_b32_e32 v12, 0x10000, v11
	s_delay_alu instid0(VALU_DEP_2) | instskip(SKIP_1) | instid1(VALU_DEP_2)
	v_cmp_eq_u32_e32 vcc_lo, 0, v10
	s_wait_alu 0xfffd
	v_cndmask_b32_e32 v10, v12, v11, vcc_lo
; %bb.42:                               ;   in Loop: Header=BB676_38 Depth=2
	s_wait_alu 0xfffe
	s_or_b32 exec_lo, exec_lo, s17
	flat_load_u16 v11, v[5:6] offset:-2
	s_wait_loadcnt_dscnt 0x0
	v_dual_mov_b32 v12, s15 :: v_dual_lshlrev_b32 v11, 16, v11
	ds_load_b32 v12, v12 offset:4
	s_wait_dscnt 0x0
	v_mul_f32_e32 v12, v12, v11
	s_delay_alu instid0(VALU_DEP_1) | instskip(NEXT) | instid1(VALU_DEP_1)
	v_and_b32_e32 v11, 0x7f800000, v12
	v_cmp_ne_u32_e32 vcc_lo, 0x7f800000, v11
                                        ; implicit-def: $vgpr11
	s_and_saveexec_b32 s17, vcc_lo
	s_wait_alu 0xfffe
	s_xor_b32 s17, exec_lo, s17
; %bb.43:                               ;   in Loop: Header=BB676_38 Depth=2
	v_bfe_u32 v11, v12, 16, 1
	s_delay_alu instid0(VALU_DEP_1)
	v_add3_u32 v11, v12, v11, 0x7fff
                                        ; implicit-def: $vgpr12
; %bb.44:                               ;   in Loop: Header=BB676_38 Depth=2
	s_wait_alu 0xfffe
	s_and_not1_saveexec_b32 s17, s17
; %bb.45:                               ;   in Loop: Header=BB676_38 Depth=2
	v_and_b32_e32 v11, 0xffff, v12
	v_or_b32_e32 v13, 0x10000, v12
	s_delay_alu instid0(VALU_DEP_2) | instskip(SKIP_1) | instid1(VALU_DEP_2)
	v_cmp_eq_u32_e32 vcc_lo, 0, v11
	s_wait_alu 0xfffd
	v_cndmask_b32_e32 v11, v13, v12, vcc_lo
; %bb.46:                               ;   in Loop: Header=BB676_38 Depth=2
	s_wait_alu 0xfffe
	s_or_b32 exec_lo, exec_lo, s17
	flat_load_u16 v12, v[5:6]
	s_wait_loadcnt_dscnt 0x0
	v_dual_mov_b32 v13, s15 :: v_dual_lshlrev_b32 v12, 16, v12
	ds_load_b32 v13, v13 offset:8
	s_wait_dscnt 0x0
	v_mul_f32_e32 v13, v13, v12
	s_delay_alu instid0(VALU_DEP_1) | instskip(NEXT) | instid1(VALU_DEP_1)
	v_and_b32_e32 v12, 0x7f800000, v13
	v_cmp_ne_u32_e32 vcc_lo, 0x7f800000, v12
                                        ; implicit-def: $vgpr12
	s_and_saveexec_b32 s17, vcc_lo
	s_wait_alu 0xfffe
	s_xor_b32 s17, exec_lo, s17
; %bb.47:                               ;   in Loop: Header=BB676_38 Depth=2
	v_bfe_u32 v12, v13, 16, 1
	s_delay_alu instid0(VALU_DEP_1)
	v_add3_u32 v12, v13, v12, 0x7fff
                                        ; implicit-def: $vgpr13
; %bb.48:                               ;   in Loop: Header=BB676_38 Depth=2
	s_wait_alu 0xfffe
	s_and_not1_saveexec_b32 s17, s17
; %bb.49:                               ;   in Loop: Header=BB676_38 Depth=2
	v_and_b32_e32 v12, 0xffff, v13
	v_or_b32_e32 v14, 0x10000, v13
	s_delay_alu instid0(VALU_DEP_2) | instskip(SKIP_1) | instid1(VALU_DEP_2)
	v_cmp_eq_u32_e32 vcc_lo, 0, v12
	s_wait_alu 0xfffd
	v_cndmask_b32_e32 v12, v14, v13, vcc_lo
; %bb.50:                               ;   in Loop: Header=BB676_38 Depth=2
	s_wait_alu 0xfffe
	s_or_b32 exec_lo, exec_lo, s17
	flat_load_u16 v13, v[5:6] offset:2
	s_wait_loadcnt_dscnt 0x0
	v_dual_mov_b32 v14, s15 :: v_dual_lshlrev_b32 v13, 16, v13
	ds_load_b32 v14, v14 offset:12
	s_wait_dscnt 0x0
	v_mul_f32_e32 v14, v14, v13
	s_delay_alu instid0(VALU_DEP_1) | instskip(NEXT) | instid1(VALU_DEP_1)
	v_and_b32_e32 v13, 0x7f800000, v14
	v_cmp_ne_u32_e32 vcc_lo, 0x7f800000, v13
                                        ; implicit-def: $vgpr13
	s_and_saveexec_b32 s17, vcc_lo
	s_wait_alu 0xfffe
	s_xor_b32 s17, exec_lo, s17
; %bb.51:                               ;   in Loop: Header=BB676_38 Depth=2
	v_bfe_u32 v13, v14, 16, 1
	s_delay_alu instid0(VALU_DEP_1)
	v_add3_u32 v13, v14, v13, 0x7fff
                                        ; implicit-def: $vgpr14
; %bb.52:                               ;   in Loop: Header=BB676_38 Depth=2
	s_wait_alu 0xfffe
	s_and_not1_saveexec_b32 s17, s17
	s_cbranch_execz .LBB676_37
; %bb.53:                               ;   in Loop: Header=BB676_38 Depth=2
	v_and_b32_e32 v13, 0xffff, v14
	v_or_b32_e32 v15, 0x10000, v14
	s_delay_alu instid0(VALU_DEP_2) | instskip(SKIP_1) | instid1(VALU_DEP_2)
	v_cmp_eq_u32_e32 vcc_lo, 0, v13
	s_wait_alu 0xfffd
	v_cndmask_b32_e32 v13, v15, v14, vcc_lo
	s_branch .LBB676_37
.LBB676_54:                             ;   in Loop: Header=BB676_31 Depth=1
	s_mov_b32 s15, s2
.LBB676_55:                             ;   in Loop: Header=BB676_31 Depth=1
	s_and_not1_b32 vcc_lo, exec_lo, s14
	s_wait_alu 0xfffe
	s_cbranch_vccnz .LBB676_29
; %bb.56:                               ;   in Loop: Header=BB676_31 Depth=1
	s_lshl_b32 s16, s15, 1
	s_lshl_b32 s15, s15, 2
	s_wait_alu 0xfffe
	v_add_co_u32 v5, vcc_lo, v7, s16
	s_wait_alu 0xfffd
	v_add_co_ci_u32_e64 v6, null, 0, v8, vcc_lo
	s_mov_b32 s16, s12
	s_branch .LBB676_58
.LBB676_57:                             ;   in Loop: Header=BB676_58 Depth=2
	s_wait_alu 0xfffe
	s_or_b32 exec_lo, exec_lo, s17
	s_delay_alu instid0(VALU_DEP_1) | instskip(SKIP_3) | instid1(VALU_DEP_3)
	v_and_b32_e32 v10, 0xffff0000, v11
	v_add_co_u32 v5, vcc_lo, v5, 2
	s_wait_alu 0xfffd
	v_add_co_ci_u32_e64 v6, null, 0, v6, vcc_lo
	v_add_f32_e32 v9, v9, v10
	s_add_co_i32 s16, s16, -1
	s_add_co_i32 s15, s15, 4
	s_wait_alu 0xfffe
	s_cmp_lg_u32 s16, 0
	s_cbranch_scc0 .LBB676_29
.LBB676_58:                             ;   Parent Loop BB676_31 Depth=1
                                        ; =>  This Inner Loop Header: Depth=2
	flat_load_u16 v10, v[5:6]
	s_wait_loadcnt_dscnt 0x0
	v_dual_mov_b32 v11, s15 :: v_dual_lshlrev_b32 v10, 16, v10
	ds_load_b32 v11, v11
	s_wait_dscnt 0x0
	v_mul_f32_e32 v10, v11, v10
	s_delay_alu instid0(VALU_DEP_1) | instskip(NEXT) | instid1(VALU_DEP_1)
	v_and_b32_e32 v11, 0x7f800000, v10
	v_cmp_ne_u32_e32 vcc_lo, 0x7f800000, v11
                                        ; implicit-def: $vgpr11
	s_and_saveexec_b32 s17, vcc_lo
	s_wait_alu 0xfffe
	s_xor_b32 s17, exec_lo, s17
; %bb.59:                               ;   in Loop: Header=BB676_58 Depth=2
	v_bfe_u32 v11, v10, 16, 1
	s_delay_alu instid0(VALU_DEP_1)
	v_add3_u32 v11, v10, v11, 0x7fff
                                        ; implicit-def: $vgpr10
; %bb.60:                               ;   in Loop: Header=BB676_58 Depth=2
	s_wait_alu 0xfffe
	s_and_not1_saveexec_b32 s17, s17
	s_cbranch_execz .LBB676_57
; %bb.61:                               ;   in Loop: Header=BB676_58 Depth=2
	v_and_b32_e32 v11, 0xffff, v10
	v_or_b32_e32 v12, 0x10000, v10
	s_delay_alu instid0(VALU_DEP_2) | instskip(SKIP_1) | instid1(VALU_DEP_2)
	v_cmp_eq_u32_e32 vcc_lo, 0, v11
	s_wait_alu 0xfffd
	v_cndmask_b32_e32 v11, v12, v10, vcc_lo
	s_branch .LBB676_57
.LBB676_62:
	s_endpgm
	.section	.rodata,"a",@progbits
	.p2align	6, 0x0
	.amdhsa_kernel _ZL22rocblas_gemvtsm_kernelILb0ELi256EPK16rocblas_bfloat16PKfKPfEviiT2_lPKT1_lilSA_lilS7_lPT3_lil
		.amdhsa_group_segment_fixed_size 256
		.amdhsa_private_segment_fixed_size 0
		.amdhsa_kernarg_size 136
		.amdhsa_user_sgpr_count 2
		.amdhsa_user_sgpr_dispatch_ptr 0
		.amdhsa_user_sgpr_queue_ptr 0
		.amdhsa_user_sgpr_kernarg_segment_ptr 1
		.amdhsa_user_sgpr_dispatch_id 0
		.amdhsa_user_sgpr_private_segment_size 0
		.amdhsa_wavefront_size32 1
		.amdhsa_uses_dynamic_stack 0
		.amdhsa_enable_private_segment 0
		.amdhsa_system_sgpr_workgroup_id_x 1
		.amdhsa_system_sgpr_workgroup_id_y 0
		.amdhsa_system_sgpr_workgroup_id_z 0
		.amdhsa_system_sgpr_workgroup_info 0
		.amdhsa_system_vgpr_workitem_id 0
		.amdhsa_next_free_vgpr 16
		.amdhsa_next_free_sgpr 22
		.amdhsa_reserve_vcc 1
		.amdhsa_float_round_mode_32 0
		.amdhsa_float_round_mode_16_64 0
		.amdhsa_float_denorm_mode_32 3
		.amdhsa_float_denorm_mode_16_64 3
		.amdhsa_fp16_overflow 0
		.amdhsa_workgroup_processor_mode 1
		.amdhsa_memory_ordered 1
		.amdhsa_forward_progress 1
		.amdhsa_inst_pref_size 19
		.amdhsa_round_robin_scheduling 0
		.amdhsa_exception_fp_ieee_invalid_op 0
		.amdhsa_exception_fp_denorm_src 0
		.amdhsa_exception_fp_ieee_div_zero 0
		.amdhsa_exception_fp_ieee_overflow 0
		.amdhsa_exception_fp_ieee_underflow 0
		.amdhsa_exception_fp_ieee_inexact 0
		.amdhsa_exception_int_div_zero 0
	.end_amdhsa_kernel
	.section	.text._ZL22rocblas_gemvtsm_kernelILb0ELi256EPK16rocblas_bfloat16PKfKPfEviiT2_lPKT1_lilSA_lilS7_lPT3_lil,"axG",@progbits,_ZL22rocblas_gemvtsm_kernelILb0ELi256EPK16rocblas_bfloat16PKfKPfEviiT2_lPKT1_lilSA_lilS7_lPT3_lil,comdat
.Lfunc_end676:
	.size	_ZL22rocblas_gemvtsm_kernelILb0ELi256EPK16rocblas_bfloat16PKfKPfEviiT2_lPKT1_lilSA_lilS7_lPT3_lil, .Lfunc_end676-_ZL22rocblas_gemvtsm_kernelILb0ELi256EPK16rocblas_bfloat16PKfKPfEviiT2_lPKT1_lilSA_lilS7_lPT3_lil
                                        ; -- End function
	.set _ZL22rocblas_gemvtsm_kernelILb0ELi256EPK16rocblas_bfloat16PKfKPfEviiT2_lPKT1_lilSA_lilS7_lPT3_lil.num_vgpr, 16
	.set _ZL22rocblas_gemvtsm_kernelILb0ELi256EPK16rocblas_bfloat16PKfKPfEviiT2_lPKT1_lilSA_lilS7_lPT3_lil.num_agpr, 0
	.set _ZL22rocblas_gemvtsm_kernelILb0ELi256EPK16rocblas_bfloat16PKfKPfEviiT2_lPKT1_lilSA_lilS7_lPT3_lil.numbered_sgpr, 22
	.set _ZL22rocblas_gemvtsm_kernelILb0ELi256EPK16rocblas_bfloat16PKfKPfEviiT2_lPKT1_lilSA_lilS7_lPT3_lil.num_named_barrier, 0
	.set _ZL22rocblas_gemvtsm_kernelILb0ELi256EPK16rocblas_bfloat16PKfKPfEviiT2_lPKT1_lilSA_lilS7_lPT3_lil.private_seg_size, 0
	.set _ZL22rocblas_gemvtsm_kernelILb0ELi256EPK16rocblas_bfloat16PKfKPfEviiT2_lPKT1_lilSA_lilS7_lPT3_lil.uses_vcc, 1
	.set _ZL22rocblas_gemvtsm_kernelILb0ELi256EPK16rocblas_bfloat16PKfKPfEviiT2_lPKT1_lilSA_lilS7_lPT3_lil.uses_flat_scratch, 0
	.set _ZL22rocblas_gemvtsm_kernelILb0ELi256EPK16rocblas_bfloat16PKfKPfEviiT2_lPKT1_lilSA_lilS7_lPT3_lil.has_dyn_sized_stack, 0
	.set _ZL22rocblas_gemvtsm_kernelILb0ELi256EPK16rocblas_bfloat16PKfKPfEviiT2_lPKT1_lilSA_lilS7_lPT3_lil.has_recursion, 0
	.set _ZL22rocblas_gemvtsm_kernelILb0ELi256EPK16rocblas_bfloat16PKfKPfEviiT2_lPKT1_lilSA_lilS7_lPT3_lil.has_indirect_call, 0
	.section	.AMDGPU.csdata,"",@progbits
; Kernel info:
; codeLenInByte = 2312
; TotalNumSgprs: 24
; NumVgprs: 16
; ScratchSize: 0
; MemoryBound: 0
; FloatMode: 240
; IeeeMode: 1
; LDSByteSize: 256 bytes/workgroup (compile time only)
; SGPRBlocks: 0
; VGPRBlocks: 1
; NumSGPRsForWavesPerEU: 24
; NumVGPRsForWavesPerEU: 16
; Occupancy: 16
; WaveLimiterHint : 1
; COMPUTE_PGM_RSRC2:SCRATCH_EN: 0
; COMPUTE_PGM_RSRC2:USER_SGPR: 2
; COMPUTE_PGM_RSRC2:TRAP_HANDLER: 0
; COMPUTE_PGM_RSRC2:TGID_X_EN: 1
; COMPUTE_PGM_RSRC2:TGID_Y_EN: 0
; COMPUTE_PGM_RSRC2:TGID_Z_EN: 0
; COMPUTE_PGM_RSRC2:TIDIG_COMP_CNT: 0
	.section	.text._ZL22rocblas_gemvtsm_kernelILb0ELi256EPK16rocblas_bfloat16fKPfEviiT2_lPKT1_lilS8_lilS5_lPT3_lil,"axG",@progbits,_ZL22rocblas_gemvtsm_kernelILb0ELi256EPK16rocblas_bfloat16fKPfEviiT2_lPKT1_lilS8_lilS5_lPT3_lil,comdat
	.globl	_ZL22rocblas_gemvtsm_kernelILb0ELi256EPK16rocblas_bfloat16fKPfEviiT2_lPKT1_lilS8_lilS5_lPT3_lil ; -- Begin function _ZL22rocblas_gemvtsm_kernelILb0ELi256EPK16rocblas_bfloat16fKPfEviiT2_lPKT1_lilS8_lilS5_lPT3_lil
	.p2align	8
	.type	_ZL22rocblas_gemvtsm_kernelILb0ELi256EPK16rocblas_bfloat16fKPfEviiT2_lPKT1_lilS8_lilS5_lPT3_lil,@function
_ZL22rocblas_gemvtsm_kernelILb0ELi256EPK16rocblas_bfloat16fKPfEviiT2_lPKT1_lilS8_lilS5_lPT3_lil: ; @_ZL22rocblas_gemvtsm_kernelILb0ELi256EPK16rocblas_bfloat16fKPfEviiT2_lPKT1_lilS8_lilS5_lPT3_lil
; %bb.0:
	s_clause 0x1
	s_load_b96 s[8:10], s[0:1], 0x0
	s_load_b32 s11, s[0:1], 0x58
	s_mov_b32 s5, 0
	s_wait_kmcnt 0x0
	s_cmp_eq_f32 s10, 0
	s_cselect_b32 s2, -1, 0
	s_cmp_eq_f32 s11, 1.0
	s_cselect_b32 s3, -1, 0
	s_delay_alu instid0(SALU_CYCLE_1) | instskip(NEXT) | instid1(SALU_CYCLE_1)
	s_and_b32 s2, s2, s3
	s_and_b32 vcc_lo, exec_lo, s2
	s_cbranch_vccnz .LBB677_64
; %bb.1:
	s_cmp_neq_f32 s10, 0
	s_mov_b32 s4, ttmp9
	s_cselect_b32 s6, -1, 0
	s_cmp_eq_f32 s10, 0
	s_cselect_b32 s16, -1, 0
	s_and_b32 vcc_lo, exec_lo, s6
	s_cbranch_vccnz .LBB677_3
; %bb.2:
	s_mov_b32 s3, 0
	s_mov_b32 s2, ttmp9
	s_mov_b32 s7, s3
	s_mov_b64 s[14:15], 0
	s_and_not1_b32 vcc_lo, exec_lo, s7
	s_mov_b64 s[12:13], 0
	s_cbranch_vccz .LBB677_4
	s_branch .LBB677_5
.LBB677_3:
	s_mov_b64 s[2:3], s[4:5]
	s_mov_b64 s[14:15], 0
	;; [unrolled: 1-line block ×3, first 2 shown]
.LBB677_4:
	s_load_b128 s[20:23], s[0:1], 0x18
	s_lshl_b64 s[4:5], s[4:5], 3
	s_wait_kmcnt 0x0
	s_add_nc_u64 s[4:5], s[20:21], s[4:5]
	s_lshl_b64 s[12:13], s[22:23], 1
	s_load_b64 s[4:5], s[4:5], 0x0
	s_wait_kmcnt 0x0
	s_add_nc_u64 s[12:13], s[4:5], s[12:13]
.LBB677_5:
	s_and_not1_b32 vcc_lo, exec_lo, s6
	s_cbranch_vccnz .LBB677_7
; %bb.6:
	s_load_b128 s[4:7], s[0:1], 0x38
	s_lshl_b64 s[14:15], s[2:3], 3
	s_wait_kmcnt 0x0
	s_add_nc_u64 s[4:5], s[4:5], s[14:15]
	s_lshl_b64 s[6:7], s[6:7], 1
	s_load_b64 s[4:5], s[4:5], 0x0
	s_wait_kmcnt 0x0
	s_add_nc_u64 s[14:15], s[4:5], s[6:7]
.LBB677_7:
	s_load_b128 s[4:7], s[0:1], 0x68
	s_lshl_b64 s[18:19], s[2:3], 3
	s_load_b32 s2, s[0:1], 0x78
	s_and_not1_b32 vcc_lo, exec_lo, s16
	s_mov_b32 s3, -1
	s_wait_kmcnt 0x0
	s_add_nc_u64 s[4:5], s[4:5], s[18:19]
	s_load_b64 s[4:5], s[4:5], 0x0
	s_cbranch_vccnz .LBB677_22
; %bb.8:
	s_cmp_gt_i32 s9, 0
	s_cselect_b32 s18, -1, 0
	s_cmp_neq_f32 s11, 0
	v_cndmask_b32_e64 v1, 0, 1, s18
	s_delay_alu instid0(VALU_DEP_1)
	v_cmp_ne_u32_e32 vcc_lo, 1, v1
	s_cbranch_scc1 .LBB677_15
; %bb.9:
	s_and_b32 vcc_lo, exec_lo, vcc_lo
	s_cbranch_vccnz .LBB677_14
; %bb.10:
	v_mad_co_i64_i32 v[1:2], null, s2, v0, 0
	s_lshl_b64 s[16:17], s[6:7], 2
	v_mov_b32_e32 v3, 0
	s_wait_kmcnt 0x0
	s_add_nc_u64 s[16:17], s[4:5], s[16:17]
	s_ashr_i32 s3, s2, 31
	v_lshlrev_b64_e32 v[1:2], 2, v[1:2]
	s_delay_alu instid0(VALU_DEP_1) | instskip(NEXT) | instid1(VALU_DEP_1)
	v_add_co_u32 v1, vcc_lo, s16, v1
	v_add_co_ci_u32_e64 v2, null, s17, v2, vcc_lo
	s_wait_alu 0xfffe
	s_lshl_b64 s[16:17], s[2:3], 10
	s_mov_b32 s3, 0
	s_branch .LBB677_12
.LBB677_11:                             ;   in Loop: Header=BB677_12 Depth=1
	s_wait_alu 0xfffe
	s_or_b32 exec_lo, exec_lo, s19
	v_add_co_u32 v1, vcc_lo, v1, s16
	s_wait_alu 0xfffd
	v_add_co_ci_u32_e64 v2, null, s17, v2, vcc_lo
	s_addk_co_i32 s3, 0x100
	s_wait_alu 0xfffe
	s_cmp_ge_i32 s3, s9
	s_cbranch_scc1 .LBB677_14
.LBB677_12:                             ; =>This Inner Loop Header: Depth=1
	s_wait_alu 0xfffe
	v_add_nc_u32_e32 v4, s3, v0
	s_mov_b32 s19, exec_lo
	s_delay_alu instid0(VALU_DEP_1)
	v_cmpx_gt_i32_e64 s9, v4
	s_cbranch_execz .LBB677_11
; %bb.13:                               ;   in Loop: Header=BB677_12 Depth=1
	flat_store_b32 v[1:2], v3
	s_branch .LBB677_11
.LBB677_14:
	s_mov_b32 s3, 0
.LBB677_15:
	s_wait_alu 0xfffe
	s_and_not1_b32 vcc_lo, exec_lo, s3
	s_wait_alu 0xfffe
	s_cbranch_vccnz .LBB677_21
; %bb.16:
	s_and_not1_b32 vcc_lo, exec_lo, s18
	s_wait_alu 0xfffe
	s_cbranch_vccnz .LBB677_21
; %bb.17:
	v_mad_co_i64_i32 v[1:2], null, s2, v0, 0
	s_lshl_b64 s[16:17], s[6:7], 2
	s_ashr_i32 s3, s2, 31
	s_wait_kmcnt 0x0
	s_wait_alu 0xfffe
	s_add_nc_u64 s[16:17], s[4:5], s[16:17]
	v_lshlrev_b64_e32 v[1:2], 2, v[1:2]
	s_wait_alu 0xfffe
	s_delay_alu instid0(VALU_DEP_1) | instskip(SKIP_1) | instid1(VALU_DEP_2)
	v_add_co_u32 v1, vcc_lo, s16, v1
	s_wait_alu 0xfffd
	v_add_co_ci_u32_e64 v2, null, s17, v2, vcc_lo
	s_lshl_b64 s[16:17], s[2:3], 10
	s_mov_b32 s3, 0
	s_branch .LBB677_19
.LBB677_18:                             ;   in Loop: Header=BB677_19 Depth=1
	s_wait_alu 0xfffe
	s_or_b32 exec_lo, exec_lo, s18
	v_add_co_u32 v1, vcc_lo, v1, s16
	s_wait_alu 0xfffd
	v_add_co_ci_u32_e64 v2, null, s17, v2, vcc_lo
	s_addk_co_i32 s3, 0x100
	s_wait_alu 0xfffe
	s_cmp_ge_i32 s3, s9
	s_cbranch_scc1 .LBB677_21
.LBB677_19:                             ; =>This Inner Loop Header: Depth=1
	s_wait_alu 0xfffe
	v_add_nc_u32_e32 v3, s3, v0
	s_mov_b32 s18, exec_lo
	s_delay_alu instid0(VALU_DEP_1)
	v_cmpx_gt_i32_e64 s9, v3
	s_cbranch_execz .LBB677_18
; %bb.20:                               ;   in Loop: Header=BB677_19 Depth=1
	flat_load_b32 v3, v[1:2]
	s_wait_loadcnt_dscnt 0x0
	v_mul_f32_e32 v3, s11, v3
	flat_store_b32 v[1:2], v3
	s_branch .LBB677_18
.LBB677_21:
	s_mov_b32 s3, 0
.LBB677_22:
	s_wait_alu 0xfffe
	s_and_not1_b32 vcc_lo, exec_lo, s3
	s_wait_alu 0xfffe
	s_cbranch_vccnz .LBB677_64
; %bb.23:
	s_mov_b32 s3, exec_lo
	v_cmpx_gt_i32_e64 s8, v0
	s_cbranch_execz .LBB677_29
; %bb.24:
	s_load_b32 s16, s[0:1], 0x48
	s_wait_kmcnt 0x0
	v_mad_co_i64_i32 v[1:2], null, s16, v0, 0
	s_delay_alu instid0(VALU_DEP_1) | instskip(NEXT) | instid1(VALU_DEP_1)
	v_lshlrev_b64_e32 v[1:2], 1, v[1:2]
	v_add_co_u32 v1, vcc_lo, s14, v1
	s_wait_alu 0xfffd
	s_delay_alu instid0(VALU_DEP_2) | instskip(SKIP_3) | instid1(VALU_DEP_1)
	v_add_co_ci_u32_e64 v2, null, s15, v2, vcc_lo
	flat_load_u16 v1, v[1:2]
	s_wait_loadcnt_dscnt 0x0
	v_lshlrev_b32_e32 v1, 16, v1
	v_mul_f32_e32 v1, s10, v1
	s_delay_alu instid0(VALU_DEP_1) | instskip(NEXT) | instid1(VALU_DEP_1)
	v_and_b32_e32 v2, 0x7f800000, v1
	v_cmp_ne_u32_e32 vcc_lo, 0x7f800000, v2
                                        ; implicit-def: $vgpr2
	s_and_saveexec_b32 s10, vcc_lo
	s_wait_alu 0xfffe
	s_xor_b32 s10, exec_lo, s10
; %bb.25:
	v_bfe_u32 v2, v1, 16, 1
	s_delay_alu instid0(VALU_DEP_1)
	v_add3_u32 v2, v1, v2, 0x7fff
                                        ; implicit-def: $vgpr1
; %bb.26:
	s_wait_alu 0xfffe
	s_and_not1_saveexec_b32 s10, s10
; %bb.27:
	v_and_b32_e32 v2, 0xffff, v1
	v_or_b32_e32 v3, 0x10000, v1
	s_delay_alu instid0(VALU_DEP_2) | instskip(SKIP_1) | instid1(VALU_DEP_2)
	v_cmp_eq_u32_e32 vcc_lo, 0, v2
	s_wait_alu 0xfffd
	v_cndmask_b32_e32 v2, v3, v1, vcc_lo
; %bb.28:
	s_wait_alu 0xfffe
	s_or_b32 exec_lo, exec_lo, s10
	s_delay_alu instid0(VALU_DEP_1)
	v_and_b32_e32 v1, 0xffff0000, v2
	v_lshlrev_b32_e32 v2, 2, v0
	ds_store_b32 v2, v1
.LBB677_29:
	s_wait_alu 0xfffe
	s_or_b32 exec_lo, exec_lo, s3
	s_cmp_lt_i32 s9, 1
	s_wait_storecnt_dscnt 0x0
	s_barrier_signal -1
	s_barrier_wait -1
	global_inv scope:SCOPE_SE
	s_cbranch_scc1 .LBB677_64
; %bb.30:
	s_load_b32 s16, s[0:1], 0x28
	s_lshl_b64 s[0:1], s[6:7], 2
	s_ashr_i32 s3, s2, 31
	s_wait_kmcnt 0x0
	s_add_nc_u64 s[0:1], s[4:5], s[0:1]
	v_mad_co_i64_i32 v[1:2], null, s16, v0, 0
	s_ashr_i32 s17, s16, 31
	s_cmp_neq_f32 s11, 0
	s_cselect_b32 s6, -1, 0
	v_lshlrev_b64_e32 v[1:2], 1, v[1:2]
	s_cmp_gt_i32 s8, 0
	s_cselect_b32 s7, -1, 0
	s_and_b32 s10, s8, 3
	s_cmp_gt_u32 s8, 3
	s_delay_alu instid0(VALU_DEP_1)
	v_add_co_u32 v7, vcc_lo, s12, v1
	s_wait_alu 0xfffd
	v_add_co_ci_u32_e64 v8, null, s13, v2, vcc_lo
	s_cselect_b32 s14, -1, 0
	v_add_co_u32 v1, vcc_lo, v7, 4
	s_and_b32 s8, s8, 0x7ffffffc
	s_wait_alu 0xfffd
	v_add_co_ci_u32_e64 v2, null, 0, v8, vcc_lo
	s_wait_alu 0xfffe
	s_cmp_lg_u32 s10, 0
	s_mov_b32 s13, 0
	s_cselect_b32 s12, -1, 0
	s_lshl_b64 s[4:5], s[16:17], 9
	s_branch .LBB677_33
.LBB677_31:                             ;   in Loop: Header=BB677_33 Depth=1
	v_add_co_u32 v3, vcc_lo, s0, v3
	s_wait_alu 0xfffd
	v_add_co_ci_u32_e64 v4, null, s1, v4, vcc_lo
	flat_store_b32 v[3:4], v9
.LBB677_32:                             ;   in Loop: Header=BB677_33 Depth=1
	s_wait_alu 0xfffe
	s_or_b32 exec_lo, exec_lo, s15
	v_add_co_u32 v1, vcc_lo, v1, s4
	s_wait_alu 0xfffd
	v_add_co_ci_u32_e64 v2, null, s5, v2, vcc_lo
	v_add_co_u32 v7, vcc_lo, v7, s4
	s_wait_alu 0xfffd
	v_add_co_ci_u32_e64 v8, null, s5, v8, vcc_lo
	s_addk_co_i32 s13, 0x100
	s_wait_alu 0xfffe
	s_cmp_ge_i32 s13, s9
	s_cbranch_scc1 .LBB677_64
.LBB677_33:                             ; =>This Loop Header: Depth=1
                                        ;     Child Loop BB677_40 Depth 2
                                        ;     Child Loop BB677_60 Depth 2
	s_wait_alu 0xfffe
	v_add_nc_u32_e32 v3, s13, v0
	s_mov_b32 s15, exec_lo
	s_delay_alu instid0(VALU_DEP_1)
	v_cmpx_gt_i32_e64 s9, v3
	s_cbranch_execz .LBB677_32
; %bb.34:                               ;   in Loop: Header=BB677_33 Depth=1
	v_mad_co_u64_u32 v[4:5], null, v3, s2, 0
	s_and_not1_b32 vcc_lo, exec_lo, s6
	v_mad_co_u64_u32 v[5:6], null, v3, s3, v[5:6]
	s_delay_alu instid0(VALU_DEP_1)
	v_lshlrev_b64_e32 v[3:4], 2, v[4:5]
	s_wait_alu 0xfffe
	s_cbranch_vccnz .LBB677_36
; %bb.35:                               ;   in Loop: Header=BB677_33 Depth=1
	s_delay_alu instid0(VALU_DEP_1) | instskip(SKIP_1) | instid1(VALU_DEP_2)
	v_add_co_u32 v5, vcc_lo, s0, v3
	s_wait_alu 0xfffd
	v_add_co_ci_u32_e64 v6, null, s1, v4, vcc_lo
	flat_load_b32 v5, v[5:6]
	s_wait_loadcnt_dscnt 0x0
	v_mul_f32_e32 v9, s11, v5
	s_and_not1_b32 vcc_lo, exec_lo, s7
	s_wait_alu 0xfffe
	s_cbranch_vccz .LBB677_37
	s_branch .LBB677_31
.LBB677_36:                             ;   in Loop: Header=BB677_33 Depth=1
	v_mov_b32_e32 v9, 0
	s_and_not1_b32 vcc_lo, exec_lo, s7
	s_wait_alu 0xfffe
	s_cbranch_vccnz .LBB677_31
.LBB677_37:                             ;   in Loop: Header=BB677_33 Depth=1
	s_and_not1_b32 vcc_lo, exec_lo, s14
	s_mov_b32 s16, 0
	s_wait_alu 0xfffe
	s_cbranch_vccnz .LBB677_57
; %bb.38:                               ;   in Loop: Header=BB677_33 Depth=1
	v_dual_mov_b32 v6, v2 :: v_dual_mov_b32 v5, v1
	s_mov_b32 s17, 0
	s_branch .LBB677_40
.LBB677_39:                             ;   in Loop: Header=BB677_40 Depth=2
	s_wait_alu 0xfffe
	s_or_b32 exec_lo, exec_lo, s18
	v_and_b32_e32 v11, 0xffff0000, v11
	v_and_b32_e32 v10, 0xffff0000, v10
	v_add_co_u32 v5, vcc_lo, v5, 8
	s_wait_alu 0xfffd
	v_add_co_ci_u32_e64 v6, null, 0, v6, vcc_lo
	s_delay_alu instid0(VALU_DEP_3)
	v_dual_add_f32 v9, v9, v10 :: v_dual_and_b32 v10, 0xffff0000, v12
	s_add_co_i32 s17, s17, 4
	s_add_co_i32 s16, s16, 16
	s_wait_alu 0xfffe
	s_cmp_eq_u32 s8, s17
	v_add_f32_e32 v9, v9, v11
	v_and_b32_e32 v11, 0xffff0000, v13
	s_delay_alu instid0(VALU_DEP_2) | instskip(NEXT) | instid1(VALU_DEP_1)
	v_add_f32_e32 v9, v9, v10
	v_add_f32_e32 v9, v9, v11
	s_cbranch_scc1 .LBB677_56
.LBB677_40:                             ;   Parent Loop BB677_33 Depth=1
                                        ; =>  This Inner Loop Header: Depth=2
	flat_load_u16 v10, v[5:6] offset:-4
	s_wait_loadcnt_dscnt 0x0
	v_dual_mov_b32 v11, s16 :: v_dual_lshlrev_b32 v10, 16, v10
	ds_load_b32 v11, v11
	s_wait_dscnt 0x0
	v_mul_f32_e32 v11, v11, v10
	s_delay_alu instid0(VALU_DEP_1) | instskip(NEXT) | instid1(VALU_DEP_1)
	v_and_b32_e32 v10, 0x7f800000, v11
	v_cmp_ne_u32_e32 vcc_lo, 0x7f800000, v10
                                        ; implicit-def: $vgpr10
	s_and_saveexec_b32 s18, vcc_lo
	s_wait_alu 0xfffe
	s_xor_b32 s18, exec_lo, s18
; %bb.41:                               ;   in Loop: Header=BB677_40 Depth=2
	v_bfe_u32 v10, v11, 16, 1
	s_delay_alu instid0(VALU_DEP_1)
	v_add3_u32 v10, v11, v10, 0x7fff
                                        ; implicit-def: $vgpr11
; %bb.42:                               ;   in Loop: Header=BB677_40 Depth=2
	s_wait_alu 0xfffe
	s_and_not1_saveexec_b32 s18, s18
; %bb.43:                               ;   in Loop: Header=BB677_40 Depth=2
	v_and_b32_e32 v10, 0xffff, v11
	v_or_b32_e32 v12, 0x10000, v11
	s_delay_alu instid0(VALU_DEP_2) | instskip(SKIP_1) | instid1(VALU_DEP_2)
	v_cmp_eq_u32_e32 vcc_lo, 0, v10
	s_wait_alu 0xfffd
	v_cndmask_b32_e32 v10, v12, v11, vcc_lo
; %bb.44:                               ;   in Loop: Header=BB677_40 Depth=2
	s_wait_alu 0xfffe
	s_or_b32 exec_lo, exec_lo, s18
	flat_load_u16 v11, v[5:6] offset:-2
	s_wait_loadcnt_dscnt 0x0
	v_dual_mov_b32 v12, s16 :: v_dual_lshlrev_b32 v11, 16, v11
	ds_load_b32 v12, v12 offset:4
	s_wait_dscnt 0x0
	v_mul_f32_e32 v12, v12, v11
	s_delay_alu instid0(VALU_DEP_1) | instskip(NEXT) | instid1(VALU_DEP_1)
	v_and_b32_e32 v11, 0x7f800000, v12
	v_cmp_ne_u32_e32 vcc_lo, 0x7f800000, v11
                                        ; implicit-def: $vgpr11
	s_and_saveexec_b32 s18, vcc_lo
	s_wait_alu 0xfffe
	s_xor_b32 s18, exec_lo, s18
; %bb.45:                               ;   in Loop: Header=BB677_40 Depth=2
	v_bfe_u32 v11, v12, 16, 1
	s_delay_alu instid0(VALU_DEP_1)
	v_add3_u32 v11, v12, v11, 0x7fff
                                        ; implicit-def: $vgpr12
; %bb.46:                               ;   in Loop: Header=BB677_40 Depth=2
	s_wait_alu 0xfffe
	s_and_not1_saveexec_b32 s18, s18
; %bb.47:                               ;   in Loop: Header=BB677_40 Depth=2
	v_and_b32_e32 v11, 0xffff, v12
	v_or_b32_e32 v13, 0x10000, v12
	s_delay_alu instid0(VALU_DEP_2) | instskip(SKIP_1) | instid1(VALU_DEP_2)
	v_cmp_eq_u32_e32 vcc_lo, 0, v11
	s_wait_alu 0xfffd
	v_cndmask_b32_e32 v11, v13, v12, vcc_lo
; %bb.48:                               ;   in Loop: Header=BB677_40 Depth=2
	s_wait_alu 0xfffe
	s_or_b32 exec_lo, exec_lo, s18
	flat_load_u16 v12, v[5:6]
	s_wait_loadcnt_dscnt 0x0
	v_dual_mov_b32 v13, s16 :: v_dual_lshlrev_b32 v12, 16, v12
	ds_load_b32 v13, v13 offset:8
	s_wait_dscnt 0x0
	v_mul_f32_e32 v13, v13, v12
	s_delay_alu instid0(VALU_DEP_1) | instskip(NEXT) | instid1(VALU_DEP_1)
	v_and_b32_e32 v12, 0x7f800000, v13
	v_cmp_ne_u32_e32 vcc_lo, 0x7f800000, v12
                                        ; implicit-def: $vgpr12
	s_and_saveexec_b32 s18, vcc_lo
	s_wait_alu 0xfffe
	s_xor_b32 s18, exec_lo, s18
; %bb.49:                               ;   in Loop: Header=BB677_40 Depth=2
	v_bfe_u32 v12, v13, 16, 1
	s_delay_alu instid0(VALU_DEP_1)
	v_add3_u32 v12, v13, v12, 0x7fff
                                        ; implicit-def: $vgpr13
; %bb.50:                               ;   in Loop: Header=BB677_40 Depth=2
	s_wait_alu 0xfffe
	s_and_not1_saveexec_b32 s18, s18
; %bb.51:                               ;   in Loop: Header=BB677_40 Depth=2
	v_and_b32_e32 v12, 0xffff, v13
	v_or_b32_e32 v14, 0x10000, v13
	s_delay_alu instid0(VALU_DEP_2) | instskip(SKIP_1) | instid1(VALU_DEP_2)
	v_cmp_eq_u32_e32 vcc_lo, 0, v12
	s_wait_alu 0xfffd
	v_cndmask_b32_e32 v12, v14, v13, vcc_lo
; %bb.52:                               ;   in Loop: Header=BB677_40 Depth=2
	s_wait_alu 0xfffe
	s_or_b32 exec_lo, exec_lo, s18
	flat_load_u16 v13, v[5:6] offset:2
	s_wait_loadcnt_dscnt 0x0
	v_dual_mov_b32 v14, s16 :: v_dual_lshlrev_b32 v13, 16, v13
	ds_load_b32 v14, v14 offset:12
	s_wait_dscnt 0x0
	v_mul_f32_e32 v14, v14, v13
	s_delay_alu instid0(VALU_DEP_1) | instskip(NEXT) | instid1(VALU_DEP_1)
	v_and_b32_e32 v13, 0x7f800000, v14
	v_cmp_ne_u32_e32 vcc_lo, 0x7f800000, v13
                                        ; implicit-def: $vgpr13
	s_and_saveexec_b32 s18, vcc_lo
	s_wait_alu 0xfffe
	s_xor_b32 s18, exec_lo, s18
; %bb.53:                               ;   in Loop: Header=BB677_40 Depth=2
	v_bfe_u32 v13, v14, 16, 1
	s_delay_alu instid0(VALU_DEP_1)
	v_add3_u32 v13, v14, v13, 0x7fff
                                        ; implicit-def: $vgpr14
; %bb.54:                               ;   in Loop: Header=BB677_40 Depth=2
	s_wait_alu 0xfffe
	s_and_not1_saveexec_b32 s18, s18
	s_cbranch_execz .LBB677_39
; %bb.55:                               ;   in Loop: Header=BB677_40 Depth=2
	v_and_b32_e32 v13, 0xffff, v14
	v_or_b32_e32 v15, 0x10000, v14
	s_delay_alu instid0(VALU_DEP_2) | instskip(SKIP_1) | instid1(VALU_DEP_2)
	v_cmp_eq_u32_e32 vcc_lo, 0, v13
	s_wait_alu 0xfffd
	v_cndmask_b32_e32 v13, v15, v14, vcc_lo
	s_branch .LBB677_39
.LBB677_56:                             ;   in Loop: Header=BB677_33 Depth=1
	s_mov_b32 s16, s8
.LBB677_57:                             ;   in Loop: Header=BB677_33 Depth=1
	s_and_not1_b32 vcc_lo, exec_lo, s12
	s_wait_alu 0xfffe
	s_cbranch_vccnz .LBB677_31
; %bb.58:                               ;   in Loop: Header=BB677_33 Depth=1
	s_lshl_b32 s17, s16, 1
	s_lshl_b32 s16, s16, 2
	s_wait_alu 0xfffe
	v_add_co_u32 v5, vcc_lo, v7, s17
	s_wait_alu 0xfffd
	v_add_co_ci_u32_e64 v6, null, 0, v8, vcc_lo
	s_mov_b32 s17, s10
	s_branch .LBB677_60
.LBB677_59:                             ;   in Loop: Header=BB677_60 Depth=2
	s_wait_alu 0xfffe
	s_or_b32 exec_lo, exec_lo, s18
	s_delay_alu instid0(VALU_DEP_1) | instskip(SKIP_3) | instid1(VALU_DEP_3)
	v_and_b32_e32 v10, 0xffff0000, v11
	v_add_co_u32 v5, vcc_lo, v5, 2
	s_wait_alu 0xfffd
	v_add_co_ci_u32_e64 v6, null, 0, v6, vcc_lo
	v_add_f32_e32 v9, v9, v10
	s_add_co_i32 s17, s17, -1
	s_add_co_i32 s16, s16, 4
	s_wait_alu 0xfffe
	s_cmp_lg_u32 s17, 0
	s_cbranch_scc0 .LBB677_31
.LBB677_60:                             ;   Parent Loop BB677_33 Depth=1
                                        ; =>  This Inner Loop Header: Depth=2
	flat_load_u16 v10, v[5:6]
	s_wait_loadcnt_dscnt 0x0
	v_dual_mov_b32 v11, s16 :: v_dual_lshlrev_b32 v10, 16, v10
	ds_load_b32 v11, v11
	s_wait_dscnt 0x0
	v_mul_f32_e32 v10, v11, v10
	s_delay_alu instid0(VALU_DEP_1) | instskip(NEXT) | instid1(VALU_DEP_1)
	v_and_b32_e32 v11, 0x7f800000, v10
	v_cmp_ne_u32_e32 vcc_lo, 0x7f800000, v11
                                        ; implicit-def: $vgpr11
	s_and_saveexec_b32 s18, vcc_lo
	s_wait_alu 0xfffe
	s_xor_b32 s18, exec_lo, s18
; %bb.61:                               ;   in Loop: Header=BB677_60 Depth=2
	v_bfe_u32 v11, v10, 16, 1
	s_delay_alu instid0(VALU_DEP_1)
	v_add3_u32 v11, v10, v11, 0x7fff
                                        ; implicit-def: $vgpr10
; %bb.62:                               ;   in Loop: Header=BB677_60 Depth=2
	s_wait_alu 0xfffe
	s_and_not1_saveexec_b32 s18, s18
	s_cbranch_execz .LBB677_59
; %bb.63:                               ;   in Loop: Header=BB677_60 Depth=2
	v_and_b32_e32 v11, 0xffff, v10
	v_or_b32_e32 v12, 0x10000, v10
	s_delay_alu instid0(VALU_DEP_2) | instskip(SKIP_1) | instid1(VALU_DEP_2)
	v_cmp_eq_u32_e32 vcc_lo, 0, v11
	s_wait_alu 0xfffd
	v_cndmask_b32_e32 v11, v12, v10, vcc_lo
	s_branch .LBB677_59
.LBB677_64:
	s_endpgm
	.section	.rodata,"a",@progbits
	.p2align	6, 0x0
	.amdhsa_kernel _ZL22rocblas_gemvtsm_kernelILb0ELi256EPK16rocblas_bfloat16fKPfEviiT2_lPKT1_lilS8_lilS5_lPT3_lil
		.amdhsa_group_segment_fixed_size 256
		.amdhsa_private_segment_fixed_size 0
		.amdhsa_kernarg_size 136
		.amdhsa_user_sgpr_count 2
		.amdhsa_user_sgpr_dispatch_ptr 0
		.amdhsa_user_sgpr_queue_ptr 0
		.amdhsa_user_sgpr_kernarg_segment_ptr 1
		.amdhsa_user_sgpr_dispatch_id 0
		.amdhsa_user_sgpr_private_segment_size 0
		.amdhsa_wavefront_size32 1
		.amdhsa_uses_dynamic_stack 0
		.amdhsa_enable_private_segment 0
		.amdhsa_system_sgpr_workgroup_id_x 1
		.amdhsa_system_sgpr_workgroup_id_y 0
		.amdhsa_system_sgpr_workgroup_id_z 0
		.amdhsa_system_sgpr_workgroup_info 0
		.amdhsa_system_vgpr_workitem_id 0
		.amdhsa_next_free_vgpr 16
		.amdhsa_next_free_sgpr 24
		.amdhsa_reserve_vcc 1
		.amdhsa_float_round_mode_32 0
		.amdhsa_float_round_mode_16_64 0
		.amdhsa_float_denorm_mode_32 3
		.amdhsa_float_denorm_mode_16_64 3
		.amdhsa_fp16_overflow 0
		.amdhsa_workgroup_processor_mode 1
		.amdhsa_memory_ordered 1
		.amdhsa_forward_progress 1
		.amdhsa_inst_pref_size 19
		.amdhsa_round_robin_scheduling 0
		.amdhsa_exception_fp_ieee_invalid_op 0
		.amdhsa_exception_fp_denorm_src 0
		.amdhsa_exception_fp_ieee_div_zero 0
		.amdhsa_exception_fp_ieee_overflow 0
		.amdhsa_exception_fp_ieee_underflow 0
		.amdhsa_exception_fp_ieee_inexact 0
		.amdhsa_exception_int_div_zero 0
	.end_amdhsa_kernel
	.section	.text._ZL22rocblas_gemvtsm_kernelILb0ELi256EPK16rocblas_bfloat16fKPfEviiT2_lPKT1_lilS8_lilS5_lPT3_lil,"axG",@progbits,_ZL22rocblas_gemvtsm_kernelILb0ELi256EPK16rocblas_bfloat16fKPfEviiT2_lPKT1_lilS8_lilS5_lPT3_lil,comdat
.Lfunc_end677:
	.size	_ZL22rocblas_gemvtsm_kernelILb0ELi256EPK16rocblas_bfloat16fKPfEviiT2_lPKT1_lilS8_lilS5_lPT3_lil, .Lfunc_end677-_ZL22rocblas_gemvtsm_kernelILb0ELi256EPK16rocblas_bfloat16fKPfEviiT2_lPKT1_lilS8_lilS5_lPT3_lil
                                        ; -- End function
	.set _ZL22rocblas_gemvtsm_kernelILb0ELi256EPK16rocblas_bfloat16fKPfEviiT2_lPKT1_lilS8_lilS5_lPT3_lil.num_vgpr, 16
	.set _ZL22rocblas_gemvtsm_kernelILb0ELi256EPK16rocblas_bfloat16fKPfEviiT2_lPKT1_lilS8_lilS5_lPT3_lil.num_agpr, 0
	.set _ZL22rocblas_gemvtsm_kernelILb0ELi256EPK16rocblas_bfloat16fKPfEviiT2_lPKT1_lilS8_lilS5_lPT3_lil.numbered_sgpr, 24
	.set _ZL22rocblas_gemvtsm_kernelILb0ELi256EPK16rocblas_bfloat16fKPfEviiT2_lPKT1_lilS8_lilS5_lPT3_lil.num_named_barrier, 0
	.set _ZL22rocblas_gemvtsm_kernelILb0ELi256EPK16rocblas_bfloat16fKPfEviiT2_lPKT1_lilS8_lilS5_lPT3_lil.private_seg_size, 0
	.set _ZL22rocblas_gemvtsm_kernelILb0ELi256EPK16rocblas_bfloat16fKPfEviiT2_lPKT1_lilS8_lilS5_lPT3_lil.uses_vcc, 1
	.set _ZL22rocblas_gemvtsm_kernelILb0ELi256EPK16rocblas_bfloat16fKPfEviiT2_lPKT1_lilS8_lilS5_lPT3_lil.uses_flat_scratch, 0
	.set _ZL22rocblas_gemvtsm_kernelILb0ELi256EPK16rocblas_bfloat16fKPfEviiT2_lPKT1_lilS8_lilS5_lPT3_lil.has_dyn_sized_stack, 0
	.set _ZL22rocblas_gemvtsm_kernelILb0ELi256EPK16rocblas_bfloat16fKPfEviiT2_lPKT1_lilS8_lilS5_lPT3_lil.has_recursion, 0
	.set _ZL22rocblas_gemvtsm_kernelILb0ELi256EPK16rocblas_bfloat16fKPfEviiT2_lPKT1_lilS8_lilS5_lPT3_lil.has_indirect_call, 0
	.section	.AMDGPU.csdata,"",@progbits
; Kernel info:
; codeLenInByte = 2316
; TotalNumSgprs: 26
; NumVgprs: 16
; ScratchSize: 0
; MemoryBound: 0
; FloatMode: 240
; IeeeMode: 1
; LDSByteSize: 256 bytes/workgroup (compile time only)
; SGPRBlocks: 0
; VGPRBlocks: 1
; NumSGPRsForWavesPerEU: 26
; NumVGPRsForWavesPerEU: 16
; Occupancy: 16
; WaveLimiterHint : 1
; COMPUTE_PGM_RSRC2:SCRATCH_EN: 0
; COMPUTE_PGM_RSRC2:USER_SGPR: 2
; COMPUTE_PGM_RSRC2:TRAP_HANDLER: 0
; COMPUTE_PGM_RSRC2:TGID_X_EN: 1
; COMPUTE_PGM_RSRC2:TGID_Y_EN: 0
; COMPUTE_PGM_RSRC2:TGID_Z_EN: 0
; COMPUTE_PGM_RSRC2:TIDIG_COMP_CNT: 0
	.section	.text._ZL32rocblas_gemvt_warp_reduce_kernelILb0ELi256EiPK16rocblas_bfloat16PKfKPfEviiT3_lPKT2_lT1_lSA_lSB_lS7_lPT4_lSB_li,"axG",@progbits,_ZL32rocblas_gemvt_warp_reduce_kernelILb0ELi256EiPK16rocblas_bfloat16PKfKPfEviiT3_lPKT2_lT1_lSA_lSB_lS7_lPT4_lSB_li,comdat
	.globl	_ZL32rocblas_gemvt_warp_reduce_kernelILb0ELi256EiPK16rocblas_bfloat16PKfKPfEviiT3_lPKT2_lT1_lSA_lSB_lS7_lPT4_lSB_li ; -- Begin function _ZL32rocblas_gemvt_warp_reduce_kernelILb0ELi256EiPK16rocblas_bfloat16PKfKPfEviiT3_lPKT2_lT1_lSA_lSB_lS7_lPT4_lSB_li
	.p2align	8
	.type	_ZL32rocblas_gemvt_warp_reduce_kernelILb0ELi256EiPK16rocblas_bfloat16PKfKPfEviiT3_lPKT2_lT1_lSA_lSB_lS7_lPT4_lSB_li,@function
_ZL32rocblas_gemvt_warp_reduce_kernelILb0ELi256EiPK16rocblas_bfloat16PKfKPfEviiT3_lPKT2_lT1_lSA_lSB_lS7_lPT4_lSB_li: ; @_ZL32rocblas_gemvt_warp_reduce_kernelILb0ELi256EiPK16rocblas_bfloat16PKfKPfEviiT3_lPKT2_lT1_lSA_lSB_lS7_lPT4_lSB_li
; %bb.0:
	s_load_b32 s33, s[0:1], 0x88
	s_lshr_b32 s28, ttmp7, 16
	s_wait_kmcnt 0x0
	s_cmp_ge_u32 s28, s33
	s_cbranch_scc1 .LBB678_46
; %bb.1:
	s_clause 0x6
	s_load_b32 s5, s[0:1], 0x0
	s_load_b256 s[8:15], s[0:1], 0x8
	s_load_b32 s4, s[0:1], 0x78
	s_load_b32 s7, s[0:1], 0x28
	s_load_b128 s[24:27], s[0:1], 0x38
	s_load_b32 s31, s[0:1], 0x48
	s_load_b256 s[16:23], s[0:1], 0x58
	v_lshrrev_b32_e32 v2, 3, v0
	v_and_b32_e32 v1, 31, v0
	v_mov_b32_e32 v11, 0
	v_mbcnt_lo_u32_b32 v15, -1, 0
	v_cmp_eq_u32_e64 s0, 0, v0
	v_and_b32_e32 v13, 28, v2
	v_lshlrev_b32_e32 v12, 2, v1
	v_cmp_gt_u32_e64 s1, 32, v0
	v_cmp_gt_u32_e64 s2, 8, v0
	v_lshl_or_b32 v17, v15, 2, 64
	s_mov_b32 s29, 0
	s_wait_kmcnt 0x0
	s_ashr_i32 s3, s5, 31
	v_cmp_gt_i32_e32 vcc_lo, s5, v0
	s_lshr_b32 s3, s3, 24
	s_mul_i32 s36, s7, ttmp9
	s_add_co_i32 s6, s5, s3
	v_cmp_eq_u32_e64 s3, 0, v1
	s_and_b32 s30, s6, 0xffffff00
	v_cndmask_b32_e32 v3, 0, v0, vcc_lo
	v_or_b32_e32 v2, s30, v0
	v_mul_lo_u32 v14, v0, s31
	s_mul_i32 s6, s4, ttmp9
	v_cmp_gt_i32_e64 s4, s30, v0
	v_lshlrev_b32_e32 v16, 1, v3
	v_mul_lo_u32 v1, s31, v2
	v_cmp_gt_i32_e64 s5, s5, v2
	s_lshl_b32 s40, s31, 8
	s_ashr_i32 s7, s6, 31
	s_ashr_i32 s37, s36, 31
	;; [unrolled: 1-line block ×3, first 2 shown]
	s_lshl_b64 s[14:15], s[14:15], 1
	s_lshl_b64 s[26:27], s[26:27], 1
	v_ashrrev_i32_e32 v2, 31, v1
	s_lshl_b64 s[22:23], s[22:23], 2
	s_lshl_b64 s[34:35], s[6:7], 2
	s_lshl_b64 s[36:37], s[36:37], 1
	s_wait_alu 0xfffe
	s_lshl_b64 s[38:39], s[30:31], 1
	v_lshlrev_b64_e32 v[1:2], 1, v[1:2]
	s_branch .LBB678_4
.LBB678_2:                              ;   in Loop: Header=BB678_4 Depth=1
	s_wait_alu 0xfffe
	s_or_b32 exec_lo, exec_lo, s6
.LBB678_3:                              ;   in Loop: Header=BB678_4 Depth=1
	s_add_co_i32 s28, s28, 0x10000
	s_delay_alu instid0(SALU_CYCLE_1)
	s_cmp_lt_u32 s28, s33
	s_cbranch_scc0 .LBB678_46
.LBB678_4:                              ; =>This Loop Header: Depth=1
                                        ;     Child Loop BB678_28 Depth 2
	s_mul_u64 s[6:7], s[10:11], s[28:29]
	s_mul_u64 s[42:43], s[18:19], s[28:29]
	s_wait_alu 0xfffe
	s_lshl_b64 s[6:7], s[6:7], 2
	s_lshl_b64 s[42:43], s[42:43], 2
	s_wait_alu 0xfffe
	s_add_nc_u64 s[6:7], s[8:9], s[6:7]
	s_add_nc_u64 s[42:43], s[16:17], s[42:43]
	s_clause 0x1
	global_load_b32 v18, v11, s[6:7]
	global_load_b32 v3, v11, s[42:43]
	s_wait_loadcnt 0x1
	v_cmp_eq_f32_e64 s6, 0, v18
	s_wait_loadcnt 0x0
	v_cmp_eq_f32_e32 vcc_lo, 1.0, v3
	v_readfirstlane_b32 s31, v3
	s_wait_alu 0xfffe
	s_and_b32 s7, s6, vcc_lo
	s_wait_alu 0xfffe
	s_and_b32 vcc_lo, exec_lo, s7
	s_wait_alu 0xfffe
	s_cbranch_vccnz .LBB678_3
; %bb.5:                                ;   in Loop: Header=BB678_4 Depth=1
	v_mov_b32_e32 v3, 0
	s_wait_dscnt 0x0
	v_dual_mov_b32 v4, 0 :: v_dual_mov_b32 v5, 0
	v_cmp_neq_f32_e64 s7, 0, v18
	v_mov_b32_e32 v6, 0
	s_and_b32 vcc_lo, exec_lo, s6
	s_wait_alu 0xfffe
	s_cbranch_vccnz .LBB678_7
; %bb.6:                                ;   in Loop: Header=BB678_4 Depth=1
	s_lshl_b64 s[42:43], s[28:29], 3
	s_delay_alu instid0(SALU_CYCLE_1)
	s_add_nc_u64 s[42:43], s[12:13], s[42:43]
	global_load_b64 v[5:6], v11, s[42:43]
	s_wait_loadcnt 0x0
	v_add_co_u32 v5, vcc_lo, v5, s14
	s_wait_alu 0xfffd
	v_add_co_ci_u32_e64 v6, null, s15, v6, vcc_lo
.LBB678_7:                              ;   in Loop: Header=BB678_4 Depth=1
	s_and_not1_b32 vcc_lo, exec_lo, s7
	s_wait_alu 0xfffe
	s_cbranch_vccnz .LBB678_9
; %bb.8:                                ;   in Loop: Header=BB678_4 Depth=1
	s_lshl_b64 s[42:43], s[28:29], 3
	s_delay_alu instid0(SALU_CYCLE_1)
	s_add_nc_u64 s[42:43], s[24:25], s[42:43]
	global_load_b64 v[3:4], v11, s[42:43]
	s_wait_loadcnt 0x0
	v_add_co_u32 v3, vcc_lo, v3, s26
	s_wait_alu 0xfffd
	v_add_co_ci_u32_e64 v4, null, s27, v4, vcc_lo
.LBB678_9:                              ;   in Loop: Header=BB678_4 Depth=1
	s_lshl_b64 s[42:43], s[28:29], 3
	s_delay_alu instid0(SALU_CYCLE_1)
	s_add_nc_u64 s[42:43], s[20:21], s[42:43]
	global_load_b64 v[7:8], v11, s[42:43]
	s_wait_loadcnt 0x0
	v_add_co_u32 v19, vcc_lo, v7, s22
	s_wait_alu 0xfffd
	v_add_co_ci_u32_e64 v20, null, s23, v8, vcc_lo
	s_and_not1_b32 vcc_lo, exec_lo, s6
	s_wait_alu 0xfffe
	s_cbranch_vccnz .LBB678_13
; %bb.10:                               ;   in Loop: Header=BB678_4 Depth=1
	s_mov_b32 s6, 0
	s_mov_b32 s7, 0
                                        ; implicit-def: $vgpr7
	s_and_saveexec_b32 s41, s0
	s_cbranch_execz .LBB678_14
; %bb.11:                               ;   in Loop: Header=BB678_4 Depth=1
	s_cmp_eq_f32 s31, 0
	s_cbranch_scc1 .LBB678_15
; %bb.12:                               ;   in Loop: Header=BB678_4 Depth=1
	v_add_co_u32 v7, vcc_lo, v19, s34
	s_wait_alu 0xfffd
	v_add_co_ci_u32_e64 v8, null, s35, v20, vcc_lo
	flat_load_b32 v7, v[7:8]
	s_wait_loadcnt_dscnt 0x0
	v_mul_f32_e32 v7, s31, v7
	s_branch .LBB678_16
.LBB678_13:                             ;   in Loop: Header=BB678_4 Depth=1
	s_mov_b32 s7, 0
                                        ; implicit-def: $vgpr7
	s_cbranch_execnz .LBB678_17
	s_branch .LBB678_38
.LBB678_14:                             ;   in Loop: Header=BB678_4 Depth=1
	s_wait_alu 0xfffe
	s_or_b32 exec_lo, exec_lo, s41
	s_delay_alu instid0(SALU_CYCLE_1)
	s_and_b32 vcc_lo, exec_lo, s6
	s_wait_alu 0xfffe
	s_cbranch_vccnz .LBB678_17
	s_branch .LBB678_38
.LBB678_15:                             ;   in Loop: Header=BB678_4 Depth=1
	v_mov_b32_e32 v7, 0
.LBB678_16:                             ;   in Loop: Header=BB678_4 Depth=1
	s_mov_b32 s7, exec_lo
	s_wait_alu 0xfffe
	s_or_b32 exec_lo, exec_lo, s41
	s_delay_alu instid0(SALU_CYCLE_1)
	s_and_b32 vcc_lo, exec_lo, s6
	s_wait_alu 0xfffe
	s_cbranch_vccz .LBB678_38
.LBB678_17:                             ;   in Loop: Header=BB678_4 Depth=1
	v_add_co_u32 v5, vcc_lo, v5, v16
	s_wait_alu 0xfffd
	v_add_co_ci_u32_e64 v6, null, 0, v6, vcc_lo
	v_mov_b32_e32 v21, 0
	s_delay_alu instid0(VALU_DEP_3) | instskip(SKIP_1) | instid1(VALU_DEP_3)
	v_add_co_u32 v5, vcc_lo, v5, s36
	s_wait_alu 0xfffd
	v_add_co_ci_u32_e64 v6, null, s37, v6, vcc_lo
	s_and_saveexec_b32 s41, s4
	s_cbranch_execnz .LBB678_26
; %bb.18:                               ;   in Loop: Header=BB678_4 Depth=1
	s_wait_alu 0xfffe
	s_or_b32 exec_lo, exec_lo, s41
	s_and_saveexec_b32 s6, s5
	s_cbranch_execnz .LBB678_41
.LBB678_19:                             ;   in Loop: Header=BB678_4 Depth=1
	s_wait_alu 0xfffe
	s_or_b32 exec_lo, exec_lo, s6
	s_and_saveexec_b32 s6, s1
.LBB678_20:                             ;   in Loop: Header=BB678_4 Depth=1
	ds_store_b32 v12, v11
.LBB678_21:                             ;   in Loop: Header=BB678_4 Depth=1
	s_wait_alu 0xfffe
	s_or_b32 exec_lo, exec_lo, s6
	ds_bpermute_b32 v3, v17, v21
	v_cmp_gt_u32_e32 vcc_lo, 24, v15
	s_wait_dscnt 0x0
	s_barrier_signal -1
	s_barrier_wait -1
	global_inv scope:SCOPE_SE
	s_wait_alu 0xfffd
	v_cndmask_b32_e64 v4, 0, 8, vcc_lo
	v_cmp_gt_u32_e32 vcc_lo, 28, v15
	s_delay_alu instid0(VALU_DEP_2)
	v_add_lshl_u32 v4, v4, v15, 2
	v_add_f32_e32 v5, v21, v3
	s_wait_alu 0xfffd
	v_cndmask_b32_e64 v3, 0, 4, vcc_lo
	v_cmp_gt_u32_e32 vcc_lo, 30, v15
	ds_bpermute_b32 v4, v4, v5
	v_add_lshl_u32 v3, v3, v15, 2
	s_wait_dscnt 0x0
	v_add_f32_e32 v5, v5, v4
	s_wait_alu 0xfffd
	v_cndmask_b32_e64 v4, 0, 2, vcc_lo
	v_cmp_ne_u32_e32 vcc_lo, 31, v15
	ds_bpermute_b32 v6, v3, v5
	v_add_lshl_u32 v4, v4, v15, 2
	s_wait_alu 0xfffd
	v_add_co_ci_u32_e64 v7, null, 0, v15, vcc_lo
	s_wait_dscnt 0x0
	v_add_f32_e32 v5, v5, v6
	ds_bpermute_b32 v6, v4, v5
	s_wait_dscnt 0x0
	v_dual_add_f32 v6, v5, v6 :: v_dual_lshlrev_b32 v5, 2, v7
	ds_bpermute_b32 v7, v5, v6
	s_and_saveexec_b32 s6, s3
	s_cbranch_execz .LBB678_23
; %bb.22:                               ;   in Loop: Header=BB678_4 Depth=1
	s_wait_dscnt 0x0
	v_add_f32_e32 v6, v6, v7
	ds_store_b32 v13, v6
.LBB678_23:                             ;   in Loop: Header=BB678_4 Depth=1
	s_wait_alu 0xfffe
	s_or_b32 exec_lo, exec_lo, s6
	v_mov_b32_e32 v6, 0
	s_wait_loadcnt_dscnt 0x0
	s_barrier_signal -1
	s_barrier_wait -1
	global_inv scope:SCOPE_SE
	s_and_saveexec_b32 s6, s2
	s_cbranch_execnz .LBB678_32
; %bb.24:                               ;   in Loop: Header=BB678_4 Depth=1
	s_wait_alu 0xfffe
	s_or_b32 exec_lo, exec_lo, s6
	s_and_saveexec_b32 s6, s1
	s_cbranch_execnz .LBB678_33
.LBB678_25:                             ;   in Loop: Header=BB678_4 Depth=1
	s_wait_alu 0xfffe
	s_or_b32 exec_lo, exec_lo, s6
                                        ; implicit-def: $vgpr7
	s_and_saveexec_b32 s6, s0
	s_cbranch_execnz .LBB678_34
	s_branch .LBB678_37
.LBB678_26:                             ;   in Loop: Header=BB678_4 Depth=1
	v_dual_mov_b32 v21, 0 :: v_dual_mov_b32 v10, v6
	v_dual_mov_b32 v7, v14 :: v_dual_mov_b32 v22, v0
	v_mov_b32_e32 v9, v5
	s_mov_b32 s42, 0
	s_branch .LBB678_28
.LBB678_27:                             ;   in Loop: Header=BB678_28 Depth=2
	s_wait_alu 0xfffe
	s_or_b32 exec_lo, exec_lo, s6
	s_delay_alu instid0(VALU_DEP_1)
	v_and_b32_e32 v8, 0xffff0000, v23
	v_add_nc_u32_e32 v22, 0x100, v22
	v_add_co_u32 v9, s6, 0x200, v9
	s_wait_alu 0xf1ff
	v_add_co_ci_u32_e64 v10, null, 0, v10, s6
	v_add_f32_e32 v21, v21, v8
	v_cmp_le_i32_e32 vcc_lo, s30, v22
	v_add_nc_u32_e32 v7, s40, v7
	s_or_b32 s42, vcc_lo, s42
	s_delay_alu instid0(SALU_CYCLE_1)
	s_and_not1_b32 exec_lo, exec_lo, s42
	s_cbranch_execz .LBB678_40
.LBB678_28:                             ;   Parent Loop BB678_4 Depth=1
                                        ; =>  This Inner Loop Header: Depth=2
	s_delay_alu instid0(VALU_DEP_1) | instskip(NEXT) | instid1(VALU_DEP_1)
	v_ashrrev_i32_e32 v8, 31, v7
	v_lshlrev_b64_e32 v[23:24], 1, v[7:8]
	s_delay_alu instid0(VALU_DEP_1) | instskip(SKIP_1) | instid1(VALU_DEP_2)
	v_add_co_u32 v23, vcc_lo, v3, v23
	s_wait_alu 0xfffd
	v_add_co_ci_u32_e64 v24, null, v4, v24, vcc_lo
	flat_load_u16 v8, v[9:10]
	flat_load_u16 v23, v[23:24]
	s_wait_loadcnt_dscnt 0x101
	v_lshlrev_b32_e32 v8, 16, v8
	s_wait_loadcnt_dscnt 0x0
	v_lshlrev_b32_e32 v23, 16, v23
	s_delay_alu instid0(VALU_DEP_1) | instskip(NEXT) | instid1(VALU_DEP_1)
	v_mul_f32_e32 v8, v8, v23
	v_and_b32_e32 v23, 0x7f800000, v8
	s_delay_alu instid0(VALU_DEP_1)
	v_cmp_ne_u32_e32 vcc_lo, 0x7f800000, v23
                                        ; implicit-def: $vgpr23
	s_and_saveexec_b32 s6, vcc_lo
	s_wait_alu 0xfffe
	s_xor_b32 s6, exec_lo, s6
; %bb.29:                               ;   in Loop: Header=BB678_28 Depth=2
	v_bfe_u32 v23, v8, 16, 1
	s_delay_alu instid0(VALU_DEP_1)
	v_add3_u32 v23, v8, v23, 0x7fff
                                        ; implicit-def: $vgpr8
; %bb.30:                               ;   in Loop: Header=BB678_28 Depth=2
	s_wait_alu 0xfffe
	s_and_not1_saveexec_b32 s6, s6
	s_cbranch_execz .LBB678_27
; %bb.31:                               ;   in Loop: Header=BB678_28 Depth=2
	v_and_b32_e32 v23, 0xffff, v8
	v_or_b32_e32 v24, 0x10000, v8
	s_delay_alu instid0(VALU_DEP_2) | instskip(SKIP_1) | instid1(VALU_DEP_2)
	v_cmp_eq_u32_e32 vcc_lo, 0, v23
	s_wait_alu 0xfffd
	v_cndmask_b32_e32 v23, v24, v8, vcc_lo
	s_branch .LBB678_27
.LBB678_32:                             ;   in Loop: Header=BB678_4 Depth=1
	ds_load_b32 v6, v12
	s_wait_alu 0xfffe
	s_or_b32 exec_lo, exec_lo, s6
	s_and_saveexec_b32 s6, s1
	s_cbranch_execz .LBB678_25
.LBB678_33:                             ;   in Loop: Header=BB678_4 Depth=1
	s_wait_dscnt 0x0
	ds_bpermute_b32 v3, v3, v6
	s_wait_dscnt 0x0
	v_add_f32_e32 v3, v6, v3
	ds_bpermute_b32 v4, v4, v3
	s_wait_dscnt 0x0
	v_add_f32_e32 v3, v3, v4
	;; [unrolled: 3-line block ×3, first 2 shown]
	s_wait_alu 0xfffe
	s_or_b32 exec_lo, exec_lo, s6
                                        ; implicit-def: $vgpr7
	s_and_saveexec_b32 s6, s0
	s_cbranch_execz .LBB678_37
.LBB678_34:                             ;   in Loop: Header=BB678_4 Depth=1
	s_wait_dscnt 0x0
	v_mul_f32_e32 v7, v18, v6
	s_cmp_eq_f32 s31, 0
	s_cbranch_scc1 .LBB678_36
; %bb.35:                               ;   in Loop: Header=BB678_4 Depth=1
	v_add_co_u32 v3, vcc_lo, v19, s34
	s_wait_alu 0xfffd
	v_add_co_ci_u32_e64 v4, null, s35, v20, vcc_lo
	flat_load_b32 v3, v[3:4]
	s_wait_loadcnt_dscnt 0x0
	v_fmac_f32_e32 v7, s31, v3
.LBB678_36:                             ;   in Loop: Header=BB678_4 Depth=1
	s_or_b32 s7, s7, exec_lo
.LBB678_37:                             ;   in Loop: Header=BB678_4 Depth=1
	s_wait_alu 0xfffe
	s_or_b32 exec_lo, exec_lo, s6
.LBB678_38:                             ;   in Loop: Header=BB678_4 Depth=1
	s_wait_alu 0xfffe
	s_and_saveexec_b32 s6, s7
	s_cbranch_execz .LBB678_2
; %bb.39:                               ;   in Loop: Header=BB678_4 Depth=1
	v_add_co_u32 v3, vcc_lo, v19, s34
	s_wait_alu 0xfffd
	v_add_co_ci_u32_e64 v4, null, s35, v20, vcc_lo
	flat_store_b32 v[3:4], v7
	s_branch .LBB678_2
.LBB678_40:                             ;   in Loop: Header=BB678_4 Depth=1
	s_or_b32 exec_lo, exec_lo, s42
	s_delay_alu instid0(SALU_CYCLE_1)
	s_or_b32 exec_lo, exec_lo, s41
	s_and_saveexec_b32 s6, s5
	s_cbranch_execz .LBB678_19
.LBB678_41:                             ;   in Loop: Header=BB678_4 Depth=1
	v_add_co_u32 v3, vcc_lo, v3, v1
	s_wait_alu 0xfffd
	v_add_co_ci_u32_e64 v4, null, v4, v2, vcc_lo
	v_add_co_u32 v5, vcc_lo, v5, s38
	s_wait_alu 0xfffd
	v_add_co_ci_u32_e64 v6, null, s39, v6, vcc_lo
	flat_load_u16 v3, v[3:4]
	flat_load_u16 v4, v[5:6]
	s_wait_loadcnt_dscnt 0x101
	v_lshlrev_b32_e32 v3, 16, v3
	s_wait_loadcnt_dscnt 0x0
	v_lshlrev_b32_e32 v4, 16, v4
	s_delay_alu instid0(VALU_DEP_1) | instskip(NEXT) | instid1(VALU_DEP_1)
	v_mul_f32_e32 v3, v4, v3
	v_and_b32_e32 v4, 0x7f800000, v3
	s_delay_alu instid0(VALU_DEP_1)
	v_cmp_ne_u32_e32 vcc_lo, 0x7f800000, v4
                                        ; implicit-def: $vgpr4
	s_and_saveexec_b32 s41, vcc_lo
	s_wait_alu 0xfffe
	s_xor_b32 s41, exec_lo, s41
; %bb.42:                               ;   in Loop: Header=BB678_4 Depth=1
	v_bfe_u32 v4, v3, 16, 1
	s_delay_alu instid0(VALU_DEP_1)
	v_add3_u32 v4, v3, v4, 0x7fff
                                        ; implicit-def: $vgpr3
; %bb.43:                               ;   in Loop: Header=BB678_4 Depth=1
	s_wait_alu 0xfffe
	s_and_not1_saveexec_b32 s41, s41
; %bb.44:                               ;   in Loop: Header=BB678_4 Depth=1
	v_and_b32_e32 v4, 0xffff, v3
	v_or_b32_e32 v5, 0x10000, v3
	s_delay_alu instid0(VALU_DEP_2) | instskip(SKIP_1) | instid1(VALU_DEP_2)
	v_cmp_eq_u32_e32 vcc_lo, 0, v4
	s_wait_alu 0xfffd
	v_cndmask_b32_e32 v4, v5, v3, vcc_lo
; %bb.45:                               ;   in Loop: Header=BB678_4 Depth=1
	s_wait_alu 0xfffe
	s_or_b32 exec_lo, exec_lo, s41
	s_delay_alu instid0(VALU_DEP_1) | instskip(NEXT) | instid1(VALU_DEP_1)
	v_and_b32_e32 v3, 0xffff0000, v4
	v_add_f32_e32 v21, v21, v3
	s_or_b32 exec_lo, exec_lo, s6
	s_and_saveexec_b32 s6, s1
	s_cbranch_execnz .LBB678_20
	s_branch .LBB678_21
.LBB678_46:
	s_endpgm
	.section	.rodata,"a",@progbits
	.p2align	6, 0x0
	.amdhsa_kernel _ZL32rocblas_gemvt_warp_reduce_kernelILb0ELi256EiPK16rocblas_bfloat16PKfKPfEviiT3_lPKT2_lT1_lSA_lSB_lS7_lPT4_lSB_li
		.amdhsa_group_segment_fixed_size 128
		.amdhsa_private_segment_fixed_size 0
		.amdhsa_kernarg_size 140
		.amdhsa_user_sgpr_count 2
		.amdhsa_user_sgpr_dispatch_ptr 0
		.amdhsa_user_sgpr_queue_ptr 0
		.amdhsa_user_sgpr_kernarg_segment_ptr 1
		.amdhsa_user_sgpr_dispatch_id 0
		.amdhsa_user_sgpr_private_segment_size 0
		.amdhsa_wavefront_size32 1
		.amdhsa_uses_dynamic_stack 0
		.amdhsa_enable_private_segment 0
		.amdhsa_system_sgpr_workgroup_id_x 1
		.amdhsa_system_sgpr_workgroup_id_y 0
		.amdhsa_system_sgpr_workgroup_id_z 1
		.amdhsa_system_sgpr_workgroup_info 0
		.amdhsa_system_vgpr_workitem_id 0
		.amdhsa_next_free_vgpr 25
		.amdhsa_next_free_sgpr 44
		.amdhsa_reserve_vcc 1
		.amdhsa_float_round_mode_32 0
		.amdhsa_float_round_mode_16_64 0
		.amdhsa_float_denorm_mode_32 3
		.amdhsa_float_denorm_mode_16_64 3
		.amdhsa_fp16_overflow 0
		.amdhsa_workgroup_processor_mode 1
		.amdhsa_memory_ordered 1
		.amdhsa_forward_progress 1
		.amdhsa_inst_pref_size 15
		.amdhsa_round_robin_scheduling 0
		.amdhsa_exception_fp_ieee_invalid_op 0
		.amdhsa_exception_fp_denorm_src 0
		.amdhsa_exception_fp_ieee_div_zero 0
		.amdhsa_exception_fp_ieee_overflow 0
		.amdhsa_exception_fp_ieee_underflow 0
		.amdhsa_exception_fp_ieee_inexact 0
		.amdhsa_exception_int_div_zero 0
	.end_amdhsa_kernel
	.section	.text._ZL32rocblas_gemvt_warp_reduce_kernelILb0ELi256EiPK16rocblas_bfloat16PKfKPfEviiT3_lPKT2_lT1_lSA_lSB_lS7_lPT4_lSB_li,"axG",@progbits,_ZL32rocblas_gemvt_warp_reduce_kernelILb0ELi256EiPK16rocblas_bfloat16PKfKPfEviiT3_lPKT2_lT1_lSA_lSB_lS7_lPT4_lSB_li,comdat
.Lfunc_end678:
	.size	_ZL32rocblas_gemvt_warp_reduce_kernelILb0ELi256EiPK16rocblas_bfloat16PKfKPfEviiT3_lPKT2_lT1_lSA_lSB_lS7_lPT4_lSB_li, .Lfunc_end678-_ZL32rocblas_gemvt_warp_reduce_kernelILb0ELi256EiPK16rocblas_bfloat16PKfKPfEviiT3_lPKT2_lT1_lSA_lSB_lS7_lPT4_lSB_li
                                        ; -- End function
	.set _ZL32rocblas_gemvt_warp_reduce_kernelILb0ELi256EiPK16rocblas_bfloat16PKfKPfEviiT3_lPKT2_lT1_lSA_lSB_lS7_lPT4_lSB_li.num_vgpr, 25
	.set _ZL32rocblas_gemvt_warp_reduce_kernelILb0ELi256EiPK16rocblas_bfloat16PKfKPfEviiT3_lPKT2_lT1_lSA_lSB_lS7_lPT4_lSB_li.num_agpr, 0
	.set _ZL32rocblas_gemvt_warp_reduce_kernelILb0ELi256EiPK16rocblas_bfloat16PKfKPfEviiT3_lPKT2_lT1_lSA_lSB_lS7_lPT4_lSB_li.numbered_sgpr, 44
	.set _ZL32rocblas_gemvt_warp_reduce_kernelILb0ELi256EiPK16rocblas_bfloat16PKfKPfEviiT3_lPKT2_lT1_lSA_lSB_lS7_lPT4_lSB_li.num_named_barrier, 0
	.set _ZL32rocblas_gemvt_warp_reduce_kernelILb0ELi256EiPK16rocblas_bfloat16PKfKPfEviiT3_lPKT2_lT1_lSA_lSB_lS7_lPT4_lSB_li.private_seg_size, 0
	.set _ZL32rocblas_gemvt_warp_reduce_kernelILb0ELi256EiPK16rocblas_bfloat16PKfKPfEviiT3_lPKT2_lT1_lSA_lSB_lS7_lPT4_lSB_li.uses_vcc, 1
	.set _ZL32rocblas_gemvt_warp_reduce_kernelILb0ELi256EiPK16rocblas_bfloat16PKfKPfEviiT3_lPKT2_lT1_lSA_lSB_lS7_lPT4_lSB_li.uses_flat_scratch, 0
	.set _ZL32rocblas_gemvt_warp_reduce_kernelILb0ELi256EiPK16rocblas_bfloat16PKfKPfEviiT3_lPKT2_lT1_lSA_lSB_lS7_lPT4_lSB_li.has_dyn_sized_stack, 0
	.set _ZL32rocblas_gemvt_warp_reduce_kernelILb0ELi256EiPK16rocblas_bfloat16PKfKPfEviiT3_lPKT2_lT1_lSA_lSB_lS7_lPT4_lSB_li.has_recursion, 0
	.set _ZL32rocblas_gemvt_warp_reduce_kernelILb0ELi256EiPK16rocblas_bfloat16PKfKPfEviiT3_lPKT2_lT1_lSA_lSB_lS7_lPT4_lSB_li.has_indirect_call, 0
	.section	.AMDGPU.csdata,"",@progbits
; Kernel info:
; codeLenInByte = 1920
; TotalNumSgprs: 46
; NumVgprs: 25
; ScratchSize: 0
; MemoryBound: 0
; FloatMode: 240
; IeeeMode: 1
; LDSByteSize: 128 bytes/workgroup (compile time only)
; SGPRBlocks: 0
; VGPRBlocks: 3
; NumSGPRsForWavesPerEU: 46
; NumVGPRsForWavesPerEU: 25
; Occupancy: 16
; WaveLimiterHint : 1
; COMPUTE_PGM_RSRC2:SCRATCH_EN: 0
; COMPUTE_PGM_RSRC2:USER_SGPR: 2
; COMPUTE_PGM_RSRC2:TRAP_HANDLER: 0
; COMPUTE_PGM_RSRC2:TGID_X_EN: 1
; COMPUTE_PGM_RSRC2:TGID_Y_EN: 0
; COMPUTE_PGM_RSRC2:TGID_Z_EN: 1
; COMPUTE_PGM_RSRC2:TIDIG_COMP_CNT: 0
	.section	.text._ZL32rocblas_gemvt_warp_reduce_kernelILb0ELi256ElPK16rocblas_bfloat16PKfKPfEviiT3_lPKT2_lT1_lSA_lSB_lS7_lPT4_lSB_li,"axG",@progbits,_ZL32rocblas_gemvt_warp_reduce_kernelILb0ELi256ElPK16rocblas_bfloat16PKfKPfEviiT3_lPKT2_lT1_lSA_lSB_lS7_lPT4_lSB_li,comdat
	.globl	_ZL32rocblas_gemvt_warp_reduce_kernelILb0ELi256ElPK16rocblas_bfloat16PKfKPfEviiT3_lPKT2_lT1_lSA_lSB_lS7_lPT4_lSB_li ; -- Begin function _ZL32rocblas_gemvt_warp_reduce_kernelILb0ELi256ElPK16rocblas_bfloat16PKfKPfEviiT3_lPKT2_lT1_lSA_lSB_lS7_lPT4_lSB_li
	.p2align	8
	.type	_ZL32rocblas_gemvt_warp_reduce_kernelILb0ELi256ElPK16rocblas_bfloat16PKfKPfEviiT3_lPKT2_lT1_lSA_lSB_lS7_lPT4_lSB_li,@function
_ZL32rocblas_gemvt_warp_reduce_kernelILb0ELi256ElPK16rocblas_bfloat16PKfKPfEviiT3_lPKT2_lT1_lSA_lSB_lS7_lPT4_lSB_li: ; @_ZL32rocblas_gemvt_warp_reduce_kernelILb0ELi256ElPK16rocblas_bfloat16PKfKPfEviiT3_lPKT2_lT1_lSA_lSB_lS7_lPT4_lSB_li
; %bb.0:
	s_load_b32 s33, s[0:1], 0x88
	s_lshr_b32 s28, ttmp7, 16
	s_wait_kmcnt 0x0
	s_cmp_ge_u32 s28, s33
	s_cbranch_scc1 .LBB679_46
; %bb.1:
	s_clause 0x6
	s_load_b32 s40, s[0:1], 0x0
	s_load_b64 s[6:7], s[0:1], 0x48
	s_load_b256 s[8:15], s[0:1], 0x8
	s_load_b64 s[34:35], s[0:1], 0x28
	s_load_b128 s[24:27], s[0:1], 0x38
	s_load_b64 s[36:37], s[0:1], 0x78
	s_load_b256 s[16:23], s[0:1], 0x58
	v_and_b32_e32 v3, 31, v0
	v_lshrrev_b32_e32 v4, 3, v0
	v_mov_b32_e32 v13, 0
	s_mov_b32 s4, ttmp9
	s_ashr_i32 s5, ttmp9, 31
	v_mbcnt_lo_u32_b32 v14, -1, 0
	v_and_b32_e32 v16, 28, v4
	v_cmp_eq_u32_e64 s0, 0, v0
	v_cmp_gt_u32_e64 s1, 32, v0
	v_cmp_gt_u32_e64 s2, 8, v0
	v_lshl_or_b32 v18, v14, 2, 64
	s_mov_b32 s29, 0
	s_wait_kmcnt 0x0
	s_ashr_i32 s3, s40, 31
	v_mad_co_u64_u32 v[1:2], null, s6, v0, 0
	s_lshr_b32 s30, s3, 24
	v_cmp_eq_u32_e64 s3, 0, v3
	s_add_co_i32 s30, s40, s30
	v_cmp_gt_i32_e32 vcc_lo, s40, v0
	s_and_b32 s30, s30, 0xffffff00
	v_lshlrev_b32_e32 v15, 2, v3
	v_or_b32_e32 v5, s30, v0
	v_mad_co_u64_u32 v[2:3], null, s7, v0, v[2:3]
	s_ashr_i32 s31, s30, 31
	s_mul_u64 s[36:37], s[36:37], s[4:5]
	v_mul_lo_u32 v7, s7, v5
	v_mad_co_u64_u32 v[3:4], null, s6, v5, 0
	s_mul_u64 s[38:39], s[34:35], s[4:5]
	s_wait_alu 0xfffe
	s_mul_i32 s5, s6, s31
	v_cndmask_b32_e32 v6, 0, v0, vcc_lo
	v_lshlrev_b64_e32 v[1:2], 1, v[1:2]
	v_cmp_gt_i32_e64 s4, s30, v0
	s_lshl_b64 s[34:35], s[6:7], 9
	v_add3_u32 v4, v4, s5, v7
	v_cmp_gt_i32_e64 s5, s40, v5
	v_lshlrev_b32_e32 v17, 1, v6
	s_lshl_b64 s[14:15], s[14:15], 1
	s_lshl_b64 s[26:27], s[26:27], 1
	v_lshlrev_b64_e32 v[3:4], 1, v[3:4]
	s_lshl_b64 s[22:23], s[22:23], 2
	s_lshl_b64 s[36:37], s[36:37], 2
	;; [unrolled: 1-line block ×4, first 2 shown]
	s_branch .LBB679_4
.LBB679_2:                              ;   in Loop: Header=BB679_4 Depth=1
	s_wait_alu 0xfffe
	s_or_b32 exec_lo, exec_lo, s6
.LBB679_3:                              ;   in Loop: Header=BB679_4 Depth=1
	s_add_co_i32 s28, s28, 0x10000
	s_delay_alu instid0(SALU_CYCLE_1)
	s_cmp_lt_u32 s28, s33
	s_cbranch_scc0 .LBB679_46
.LBB679_4:                              ; =>This Loop Header: Depth=1
                                        ;     Child Loop BB679_28 Depth 2
	s_mul_u64 s[6:7], s[10:11], s[28:29]
	s_mul_u64 s[42:43], s[18:19], s[28:29]
	s_wait_alu 0xfffe
	s_lshl_b64 s[6:7], s[6:7], 2
	s_lshl_b64 s[42:43], s[42:43], 2
	s_wait_alu 0xfffe
	s_add_nc_u64 s[6:7], s[8:9], s[6:7]
	s_add_nc_u64 s[42:43], s[16:17], s[42:43]
	s_clause 0x1
	global_load_b32 v19, v13, s[6:7]
	global_load_b32 v5, v13, s[42:43]
	s_wait_loadcnt 0x1
	v_cmp_eq_f32_e64 s6, 0, v19
	s_wait_loadcnt 0x0
	v_cmp_eq_f32_e32 vcc_lo, 1.0, v5
	v_readfirstlane_b32 s31, v5
	s_wait_alu 0xfffe
	s_and_b32 s7, s6, vcc_lo
	s_wait_alu 0xfffe
	s_and_b32 vcc_lo, exec_lo, s7
	s_wait_alu 0xfffe
	s_cbranch_vccnz .LBB679_3
; %bb.5:                                ;   in Loop: Header=BB679_4 Depth=1
	v_mov_b32_e32 v5, 0
	s_wait_dscnt 0x0
	v_dual_mov_b32 v6, 0 :: v_dual_mov_b32 v7, 0
	v_cmp_neq_f32_e64 s7, 0, v19
	v_mov_b32_e32 v8, 0
	s_and_b32 vcc_lo, exec_lo, s6
	s_wait_alu 0xfffe
	s_cbranch_vccnz .LBB679_7
; %bb.6:                                ;   in Loop: Header=BB679_4 Depth=1
	s_lshl_b64 s[42:43], s[28:29], 3
	s_delay_alu instid0(SALU_CYCLE_1)
	s_add_nc_u64 s[42:43], s[12:13], s[42:43]
	global_load_b64 v[7:8], v13, s[42:43]
	s_wait_loadcnt 0x0
	v_add_co_u32 v7, vcc_lo, v7, s14
	s_wait_alu 0xfffd
	v_add_co_ci_u32_e64 v8, null, s15, v8, vcc_lo
.LBB679_7:                              ;   in Loop: Header=BB679_4 Depth=1
	s_and_not1_b32 vcc_lo, exec_lo, s7
	s_wait_alu 0xfffe
	s_cbranch_vccnz .LBB679_9
; %bb.8:                                ;   in Loop: Header=BB679_4 Depth=1
	s_lshl_b64 s[42:43], s[28:29], 3
	s_delay_alu instid0(SALU_CYCLE_1)
	s_add_nc_u64 s[42:43], s[24:25], s[42:43]
	global_load_b64 v[5:6], v13, s[42:43]
	s_wait_loadcnt 0x0
	v_add_co_u32 v5, vcc_lo, v5, s26
	s_wait_alu 0xfffd
	v_add_co_ci_u32_e64 v6, null, s27, v6, vcc_lo
.LBB679_9:                              ;   in Loop: Header=BB679_4 Depth=1
	s_lshl_b64 s[42:43], s[28:29], 3
	s_delay_alu instid0(SALU_CYCLE_1)
	s_add_nc_u64 s[42:43], s[20:21], s[42:43]
	global_load_b64 v[9:10], v13, s[42:43]
	s_wait_loadcnt 0x0
	v_add_co_u32 v20, vcc_lo, v9, s22
	s_wait_alu 0xfffd
	v_add_co_ci_u32_e64 v21, null, s23, v10, vcc_lo
	s_and_not1_b32 vcc_lo, exec_lo, s6
	s_wait_alu 0xfffe
	s_cbranch_vccnz .LBB679_13
; %bb.10:                               ;   in Loop: Header=BB679_4 Depth=1
	s_mov_b32 s6, 0
	s_mov_b32 s7, 0
                                        ; implicit-def: $vgpr9
	s_and_saveexec_b32 s42, s0
	s_cbranch_execz .LBB679_14
; %bb.11:                               ;   in Loop: Header=BB679_4 Depth=1
	s_cmp_eq_f32 s31, 0
	s_cbranch_scc1 .LBB679_15
; %bb.12:                               ;   in Loop: Header=BB679_4 Depth=1
	v_add_co_u32 v9, vcc_lo, v20, s36
	s_wait_alu 0xfffd
	v_add_co_ci_u32_e64 v10, null, s37, v21, vcc_lo
	flat_load_b32 v9, v[9:10]
	s_wait_loadcnt_dscnt 0x0
	v_mul_f32_e32 v9, s31, v9
	s_branch .LBB679_16
.LBB679_13:                             ;   in Loop: Header=BB679_4 Depth=1
	s_mov_b32 s7, 0
                                        ; implicit-def: $vgpr9
	s_cbranch_execnz .LBB679_17
	s_branch .LBB679_38
.LBB679_14:                             ;   in Loop: Header=BB679_4 Depth=1
	s_or_b32 exec_lo, exec_lo, s42
	s_wait_alu 0xfffe
	s_and_b32 vcc_lo, exec_lo, s6
	s_wait_alu 0xfffe
	s_cbranch_vccnz .LBB679_17
	s_branch .LBB679_38
.LBB679_15:                             ;   in Loop: Header=BB679_4 Depth=1
	v_mov_b32_e32 v9, 0
.LBB679_16:                             ;   in Loop: Header=BB679_4 Depth=1
	s_mov_b32 s7, exec_lo
	s_or_b32 exec_lo, exec_lo, s42
	s_wait_alu 0xfffe
	s_and_b32 vcc_lo, exec_lo, s6
	s_wait_alu 0xfffe
	s_cbranch_vccz .LBB679_38
.LBB679_17:                             ;   in Loop: Header=BB679_4 Depth=1
	v_add_co_u32 v7, vcc_lo, v7, v17
	s_wait_alu 0xfffd
	v_add_co_ci_u32_e64 v8, null, 0, v8, vcc_lo
	v_mov_b32_e32 v22, 0
	s_delay_alu instid0(VALU_DEP_3) | instskip(SKIP_1) | instid1(VALU_DEP_3)
	v_add_co_u32 v7, vcc_lo, v7, s38
	s_wait_alu 0xfffd
	v_add_co_ci_u32_e64 v8, null, s39, v8, vcc_lo
	s_and_saveexec_b32 s42, s4
	s_cbranch_execnz .LBB679_26
; %bb.18:                               ;   in Loop: Header=BB679_4 Depth=1
	s_or_b32 exec_lo, exec_lo, s42
	s_and_saveexec_b32 s6, s5
	s_cbranch_execnz .LBB679_41
.LBB679_19:                             ;   in Loop: Header=BB679_4 Depth=1
	s_wait_alu 0xfffe
	s_or_b32 exec_lo, exec_lo, s6
	s_and_saveexec_b32 s6, s1
.LBB679_20:                             ;   in Loop: Header=BB679_4 Depth=1
	ds_store_b32 v15, v13
.LBB679_21:                             ;   in Loop: Header=BB679_4 Depth=1
	s_wait_alu 0xfffe
	s_or_b32 exec_lo, exec_lo, s6
	ds_bpermute_b32 v5, v18, v22
	v_cmp_gt_u32_e32 vcc_lo, 24, v14
	s_wait_dscnt 0x0
	s_barrier_signal -1
	s_barrier_wait -1
	global_inv scope:SCOPE_SE
	s_wait_alu 0xfffd
	v_cndmask_b32_e64 v6, 0, 8, vcc_lo
	v_cmp_gt_u32_e32 vcc_lo, 28, v14
	s_delay_alu instid0(VALU_DEP_2)
	v_add_lshl_u32 v6, v6, v14, 2
	v_add_f32_e32 v7, v22, v5
	s_wait_alu 0xfffd
	v_cndmask_b32_e64 v5, 0, 4, vcc_lo
	v_cmp_gt_u32_e32 vcc_lo, 30, v14
	ds_bpermute_b32 v6, v6, v7
	v_add_lshl_u32 v5, v5, v14, 2
	s_wait_dscnt 0x0
	v_add_f32_e32 v7, v7, v6
	s_wait_alu 0xfffd
	v_cndmask_b32_e64 v6, 0, 2, vcc_lo
	v_cmp_ne_u32_e32 vcc_lo, 31, v14
	ds_bpermute_b32 v8, v5, v7
	v_add_lshl_u32 v6, v6, v14, 2
	s_wait_alu 0xfffd
	v_add_co_ci_u32_e64 v9, null, 0, v14, vcc_lo
	s_wait_dscnt 0x0
	v_add_f32_e32 v7, v7, v8
	ds_bpermute_b32 v8, v6, v7
	s_wait_dscnt 0x0
	v_dual_add_f32 v8, v7, v8 :: v_dual_lshlrev_b32 v7, 2, v9
	ds_bpermute_b32 v9, v7, v8
	s_and_saveexec_b32 s6, s3
	s_cbranch_execz .LBB679_23
; %bb.22:                               ;   in Loop: Header=BB679_4 Depth=1
	s_wait_dscnt 0x0
	v_add_f32_e32 v8, v8, v9
	ds_store_b32 v16, v8
.LBB679_23:                             ;   in Loop: Header=BB679_4 Depth=1
	s_wait_alu 0xfffe
	s_or_b32 exec_lo, exec_lo, s6
	v_mov_b32_e32 v8, 0
	s_wait_loadcnt_dscnt 0x0
	s_barrier_signal -1
	s_barrier_wait -1
	global_inv scope:SCOPE_SE
	s_and_saveexec_b32 s6, s2
	s_cbranch_execnz .LBB679_32
; %bb.24:                               ;   in Loop: Header=BB679_4 Depth=1
	s_wait_alu 0xfffe
	s_or_b32 exec_lo, exec_lo, s6
	s_and_saveexec_b32 s6, s1
	s_cbranch_execnz .LBB679_33
.LBB679_25:                             ;   in Loop: Header=BB679_4 Depth=1
	s_wait_alu 0xfffe
	s_or_b32 exec_lo, exec_lo, s6
                                        ; implicit-def: $vgpr9
	s_and_saveexec_b32 s6, s0
	s_cbranch_execnz .LBB679_34
	s_branch .LBB679_37
.LBB679_26:                             ;   in Loop: Header=BB679_4 Depth=1
	v_add_co_u32 v9, vcc_lo, v5, v1
	v_dual_mov_b32 v12, v8 :: v_dual_mov_b32 v23, v0
	s_wait_alu 0xfffd
	v_add_co_ci_u32_e64 v10, null, v6, v2, vcc_lo
	v_dual_mov_b32 v22, 0 :: v_dual_mov_b32 v11, v7
	s_mov_b32 s43, 0
	s_branch .LBB679_28
.LBB679_27:                             ;   in Loop: Header=BB679_28 Depth=2
	s_wait_alu 0xfffe
	s_or_b32 exec_lo, exec_lo, s6
	s_delay_alu instid0(VALU_DEP_1)
	v_and_b32_e32 v24, 0xffff0000, v25
	v_add_nc_u32_e32 v23, 0x100, v23
	v_add_co_u32 v11, vcc_lo, 0x200, v11
	s_wait_alu 0xfffd
	v_add_co_ci_u32_e64 v12, null, 0, v12, vcc_lo
	v_add_f32_e32 v22, v22, v24
	v_cmp_le_i32_e32 vcc_lo, s30, v23
	v_add_co_u32 v9, s6, v9, s34
	s_wait_alu 0xf1ff
	v_add_co_ci_u32_e64 v10, null, s35, v10, s6
	s_or_b32 s43, vcc_lo, s43
	s_delay_alu instid0(SALU_CYCLE_1)
	s_and_not1_b32 exec_lo, exec_lo, s43
	s_cbranch_execz .LBB679_40
.LBB679_28:                             ;   Parent Loop BB679_4 Depth=1
                                        ; =>  This Inner Loop Header: Depth=2
	flat_load_u16 v24, v[9:10]
	flat_load_u16 v25, v[11:12]
	s_wait_loadcnt_dscnt 0x101
	v_lshlrev_b32_e32 v24, 16, v24
	s_wait_loadcnt_dscnt 0x0
	v_lshlrev_b32_e32 v25, 16, v25
	s_delay_alu instid0(VALU_DEP_1) | instskip(NEXT) | instid1(VALU_DEP_1)
	v_mul_f32_e32 v24, v25, v24
	v_and_b32_e32 v25, 0x7f800000, v24
	s_delay_alu instid0(VALU_DEP_1)
	v_cmp_ne_u32_e32 vcc_lo, 0x7f800000, v25
                                        ; implicit-def: $vgpr25
	s_and_saveexec_b32 s6, vcc_lo
	s_wait_alu 0xfffe
	s_xor_b32 s6, exec_lo, s6
; %bb.29:                               ;   in Loop: Header=BB679_28 Depth=2
	v_bfe_u32 v25, v24, 16, 1
	s_delay_alu instid0(VALU_DEP_1)
	v_add3_u32 v25, v24, v25, 0x7fff
                                        ; implicit-def: $vgpr24
; %bb.30:                               ;   in Loop: Header=BB679_28 Depth=2
	s_wait_alu 0xfffe
	s_and_not1_saveexec_b32 s6, s6
	s_cbranch_execz .LBB679_27
; %bb.31:                               ;   in Loop: Header=BB679_28 Depth=2
	v_and_b32_e32 v25, 0xffff, v24
	v_or_b32_e32 v26, 0x10000, v24
	s_delay_alu instid0(VALU_DEP_2) | instskip(SKIP_1) | instid1(VALU_DEP_2)
	v_cmp_eq_u32_e32 vcc_lo, 0, v25
	s_wait_alu 0xfffd
	v_cndmask_b32_e32 v25, v26, v24, vcc_lo
	s_branch .LBB679_27
.LBB679_32:                             ;   in Loop: Header=BB679_4 Depth=1
	ds_load_b32 v8, v15
	s_wait_alu 0xfffe
	s_or_b32 exec_lo, exec_lo, s6
	s_and_saveexec_b32 s6, s1
	s_cbranch_execz .LBB679_25
.LBB679_33:                             ;   in Loop: Header=BB679_4 Depth=1
	s_wait_dscnt 0x0
	ds_bpermute_b32 v5, v5, v8
	s_wait_dscnt 0x0
	v_add_f32_e32 v5, v8, v5
	ds_bpermute_b32 v6, v6, v5
	s_wait_dscnt 0x0
	v_add_f32_e32 v5, v5, v6
	;; [unrolled: 3-line block ×3, first 2 shown]
	s_wait_alu 0xfffe
	s_or_b32 exec_lo, exec_lo, s6
                                        ; implicit-def: $vgpr9
	s_and_saveexec_b32 s6, s0
	s_cbranch_execz .LBB679_37
.LBB679_34:                             ;   in Loop: Header=BB679_4 Depth=1
	s_wait_dscnt 0x0
	v_mul_f32_e32 v9, v19, v8
	s_cmp_eq_f32 s31, 0
	s_cbranch_scc1 .LBB679_36
; %bb.35:                               ;   in Loop: Header=BB679_4 Depth=1
	v_add_co_u32 v5, vcc_lo, v20, s36
	s_wait_alu 0xfffd
	v_add_co_ci_u32_e64 v6, null, s37, v21, vcc_lo
	flat_load_b32 v5, v[5:6]
	s_wait_loadcnt_dscnt 0x0
	v_fmac_f32_e32 v9, s31, v5
.LBB679_36:                             ;   in Loop: Header=BB679_4 Depth=1
	s_or_b32 s7, s7, exec_lo
.LBB679_37:                             ;   in Loop: Header=BB679_4 Depth=1
	s_wait_alu 0xfffe
	s_or_b32 exec_lo, exec_lo, s6
.LBB679_38:                             ;   in Loop: Header=BB679_4 Depth=1
	s_wait_alu 0xfffe
	s_and_saveexec_b32 s6, s7
	s_cbranch_execz .LBB679_2
; %bb.39:                               ;   in Loop: Header=BB679_4 Depth=1
	v_add_co_u32 v5, vcc_lo, v20, s36
	s_wait_alu 0xfffd
	v_add_co_ci_u32_e64 v6, null, s37, v21, vcc_lo
	flat_store_b32 v[5:6], v9
	s_branch .LBB679_2
.LBB679_40:                             ;   in Loop: Header=BB679_4 Depth=1
	s_or_b32 exec_lo, exec_lo, s43
	s_delay_alu instid0(SALU_CYCLE_1)
	s_or_b32 exec_lo, exec_lo, s42
	s_and_saveexec_b32 s6, s5
	s_cbranch_execz .LBB679_19
.LBB679_41:                             ;   in Loop: Header=BB679_4 Depth=1
	v_add_co_u32 v5, vcc_lo, v5, v3
	s_wait_alu 0xfffd
	v_add_co_ci_u32_e64 v6, null, v6, v4, vcc_lo
	v_add_co_u32 v7, vcc_lo, v7, s40
	s_wait_alu 0xfffd
	v_add_co_ci_u32_e64 v8, null, s41, v8, vcc_lo
	flat_load_u16 v5, v[5:6]
	flat_load_u16 v6, v[7:8]
	s_wait_loadcnt_dscnt 0x101
	v_lshlrev_b32_e32 v5, 16, v5
	s_wait_loadcnt_dscnt 0x0
	v_lshlrev_b32_e32 v6, 16, v6
	s_delay_alu instid0(VALU_DEP_1) | instskip(NEXT) | instid1(VALU_DEP_1)
	v_mul_f32_e32 v5, v6, v5
	v_and_b32_e32 v6, 0x7f800000, v5
	s_delay_alu instid0(VALU_DEP_1) | instskip(SKIP_1) | instid1(SALU_CYCLE_1)
	v_cmp_ne_u32_e32 vcc_lo, 0x7f800000, v6
                                        ; implicit-def: $vgpr6
	s_and_saveexec_b32 s42, vcc_lo
	s_xor_b32 s42, exec_lo, s42
; %bb.42:                               ;   in Loop: Header=BB679_4 Depth=1
	v_bfe_u32 v6, v5, 16, 1
	s_delay_alu instid0(VALU_DEP_1)
	v_add3_u32 v6, v5, v6, 0x7fff
                                        ; implicit-def: $vgpr5
; %bb.43:                               ;   in Loop: Header=BB679_4 Depth=1
	s_and_not1_saveexec_b32 s42, s42
; %bb.44:                               ;   in Loop: Header=BB679_4 Depth=1
	v_and_b32_e32 v6, 0xffff, v5
	v_or_b32_e32 v7, 0x10000, v5
	s_delay_alu instid0(VALU_DEP_2) | instskip(SKIP_1) | instid1(VALU_DEP_2)
	v_cmp_eq_u32_e32 vcc_lo, 0, v6
	s_wait_alu 0xfffd
	v_cndmask_b32_e32 v6, v7, v5, vcc_lo
; %bb.45:                               ;   in Loop: Header=BB679_4 Depth=1
	s_or_b32 exec_lo, exec_lo, s42
	s_delay_alu instid0(VALU_DEP_1) | instskip(NEXT) | instid1(VALU_DEP_1)
	v_and_b32_e32 v5, 0xffff0000, v6
	v_add_f32_e32 v22, v22, v5
	s_wait_alu 0xfffe
	s_or_b32 exec_lo, exec_lo, s6
	s_and_saveexec_b32 s6, s1
	s_cbranch_execnz .LBB679_20
	s_branch .LBB679_21
.LBB679_46:
	s_endpgm
	.section	.rodata,"a",@progbits
	.p2align	6, 0x0
	.amdhsa_kernel _ZL32rocblas_gemvt_warp_reduce_kernelILb0ELi256ElPK16rocblas_bfloat16PKfKPfEviiT3_lPKT2_lT1_lSA_lSB_lS7_lPT4_lSB_li
		.amdhsa_group_segment_fixed_size 128
		.amdhsa_private_segment_fixed_size 0
		.amdhsa_kernarg_size 140
		.amdhsa_user_sgpr_count 2
		.amdhsa_user_sgpr_dispatch_ptr 0
		.amdhsa_user_sgpr_queue_ptr 0
		.amdhsa_user_sgpr_kernarg_segment_ptr 1
		.amdhsa_user_sgpr_dispatch_id 0
		.amdhsa_user_sgpr_private_segment_size 0
		.amdhsa_wavefront_size32 1
		.amdhsa_uses_dynamic_stack 0
		.amdhsa_enable_private_segment 0
		.amdhsa_system_sgpr_workgroup_id_x 1
		.amdhsa_system_sgpr_workgroup_id_y 0
		.amdhsa_system_sgpr_workgroup_id_z 1
		.amdhsa_system_sgpr_workgroup_info 0
		.amdhsa_system_vgpr_workitem_id 0
		.amdhsa_next_free_vgpr 27
		.amdhsa_next_free_sgpr 44
		.amdhsa_reserve_vcc 1
		.amdhsa_float_round_mode_32 0
		.amdhsa_float_round_mode_16_64 0
		.amdhsa_float_denorm_mode_32 3
		.amdhsa_float_denorm_mode_16_64 3
		.amdhsa_fp16_overflow 0
		.amdhsa_workgroup_processor_mode 1
		.amdhsa_memory_ordered 1
		.amdhsa_forward_progress 1
		.amdhsa_inst_pref_size 16
		.amdhsa_round_robin_scheduling 0
		.amdhsa_exception_fp_ieee_invalid_op 0
		.amdhsa_exception_fp_denorm_src 0
		.amdhsa_exception_fp_ieee_div_zero 0
		.amdhsa_exception_fp_ieee_overflow 0
		.amdhsa_exception_fp_ieee_underflow 0
		.amdhsa_exception_fp_ieee_inexact 0
		.amdhsa_exception_int_div_zero 0
	.end_amdhsa_kernel
	.section	.text._ZL32rocblas_gemvt_warp_reduce_kernelILb0ELi256ElPK16rocblas_bfloat16PKfKPfEviiT3_lPKT2_lT1_lSA_lSB_lS7_lPT4_lSB_li,"axG",@progbits,_ZL32rocblas_gemvt_warp_reduce_kernelILb0ELi256ElPK16rocblas_bfloat16PKfKPfEviiT3_lPKT2_lT1_lSA_lSB_lS7_lPT4_lSB_li,comdat
.Lfunc_end679:
	.size	_ZL32rocblas_gemvt_warp_reduce_kernelILb0ELi256ElPK16rocblas_bfloat16PKfKPfEviiT3_lPKT2_lT1_lSA_lSB_lS7_lPT4_lSB_li, .Lfunc_end679-_ZL32rocblas_gemvt_warp_reduce_kernelILb0ELi256ElPK16rocblas_bfloat16PKfKPfEviiT3_lPKT2_lT1_lSA_lSB_lS7_lPT4_lSB_li
                                        ; -- End function
	.set _ZL32rocblas_gemvt_warp_reduce_kernelILb0ELi256ElPK16rocblas_bfloat16PKfKPfEviiT3_lPKT2_lT1_lSA_lSB_lS7_lPT4_lSB_li.num_vgpr, 27
	.set _ZL32rocblas_gemvt_warp_reduce_kernelILb0ELi256ElPK16rocblas_bfloat16PKfKPfEviiT3_lPKT2_lT1_lSA_lSB_lS7_lPT4_lSB_li.num_agpr, 0
	.set _ZL32rocblas_gemvt_warp_reduce_kernelILb0ELi256ElPK16rocblas_bfloat16PKfKPfEviiT3_lPKT2_lT1_lSA_lSB_lS7_lPT4_lSB_li.numbered_sgpr, 44
	.set _ZL32rocblas_gemvt_warp_reduce_kernelILb0ELi256ElPK16rocblas_bfloat16PKfKPfEviiT3_lPKT2_lT1_lSA_lSB_lS7_lPT4_lSB_li.num_named_barrier, 0
	.set _ZL32rocblas_gemvt_warp_reduce_kernelILb0ELi256ElPK16rocblas_bfloat16PKfKPfEviiT3_lPKT2_lT1_lSA_lSB_lS7_lPT4_lSB_li.private_seg_size, 0
	.set _ZL32rocblas_gemvt_warp_reduce_kernelILb0ELi256ElPK16rocblas_bfloat16PKfKPfEviiT3_lPKT2_lT1_lSA_lSB_lS7_lPT4_lSB_li.uses_vcc, 1
	.set _ZL32rocblas_gemvt_warp_reduce_kernelILb0ELi256ElPK16rocblas_bfloat16PKfKPfEviiT3_lPKT2_lT1_lSA_lSB_lS7_lPT4_lSB_li.uses_flat_scratch, 0
	.set _ZL32rocblas_gemvt_warp_reduce_kernelILb0ELi256ElPK16rocblas_bfloat16PKfKPfEviiT3_lPKT2_lT1_lSA_lSB_lS7_lPT4_lSB_li.has_dyn_sized_stack, 0
	.set _ZL32rocblas_gemvt_warp_reduce_kernelILb0ELi256ElPK16rocblas_bfloat16PKfKPfEviiT3_lPKT2_lT1_lSA_lSB_lS7_lPT4_lSB_li.has_recursion, 0
	.set _ZL32rocblas_gemvt_warp_reduce_kernelILb0ELi256ElPK16rocblas_bfloat16PKfKPfEviiT3_lPKT2_lT1_lSA_lSB_lS7_lPT4_lSB_li.has_indirect_call, 0
	.section	.AMDGPU.csdata,"",@progbits
; Kernel info:
; codeLenInByte = 1924
; TotalNumSgprs: 46
; NumVgprs: 27
; ScratchSize: 0
; MemoryBound: 0
; FloatMode: 240
; IeeeMode: 1
; LDSByteSize: 128 bytes/workgroup (compile time only)
; SGPRBlocks: 0
; VGPRBlocks: 3
; NumSGPRsForWavesPerEU: 46
; NumVGPRsForWavesPerEU: 27
; Occupancy: 16
; WaveLimiterHint : 1
; COMPUTE_PGM_RSRC2:SCRATCH_EN: 0
; COMPUTE_PGM_RSRC2:USER_SGPR: 2
; COMPUTE_PGM_RSRC2:TRAP_HANDLER: 0
; COMPUTE_PGM_RSRC2:TGID_X_EN: 1
; COMPUTE_PGM_RSRC2:TGID_Y_EN: 0
; COMPUTE_PGM_RSRC2:TGID_Z_EN: 1
; COMPUTE_PGM_RSRC2:TIDIG_COMP_CNT: 0
	.section	.text._ZL32rocblas_gemvt_warp_reduce_kernelILb0ELi256EiPK16rocblas_bfloat16fKPfEviiT3_lPKT2_lT1_lS8_lS9_lS5_lPT4_lS9_li,"axG",@progbits,_ZL32rocblas_gemvt_warp_reduce_kernelILb0ELi256EiPK16rocblas_bfloat16fKPfEviiT3_lPKT2_lT1_lS8_lS9_lS5_lPT4_lS9_li,comdat
	.globl	_ZL32rocblas_gemvt_warp_reduce_kernelILb0ELi256EiPK16rocblas_bfloat16fKPfEviiT3_lPKT2_lT1_lS8_lS9_lS5_lPT4_lS9_li ; -- Begin function _ZL32rocblas_gemvt_warp_reduce_kernelILb0ELi256EiPK16rocblas_bfloat16fKPfEviiT3_lPKT2_lT1_lS8_lS9_lS5_lPT4_lS9_li
	.p2align	8
	.type	_ZL32rocblas_gemvt_warp_reduce_kernelILb0ELi256EiPK16rocblas_bfloat16fKPfEviiT3_lPKT2_lT1_lS8_lS9_lS5_lPT4_lS9_li,@function
_ZL32rocblas_gemvt_warp_reduce_kernelILb0ELi256EiPK16rocblas_bfloat16fKPfEviiT3_lPKT2_lT1_lS8_lS9_lS5_lPT4_lS9_li: ; @_ZL32rocblas_gemvt_warp_reduce_kernelILb0ELi256EiPK16rocblas_bfloat16fKPfEviiT3_lPKT2_lT1_lS8_lS9_lS5_lPT4_lS9_li
; %bb.0:
	s_load_b32 s7, s[0:1], 0x88
	s_lshr_b32 s20, ttmp7, 16
	s_wait_kmcnt 0x0
	s_cmp_ge_u32 s20, s7
	s_cbranch_scc1 .LBB680_49
; %bb.1:
	s_clause 0x8
	s_load_b32 s30, s[0:1], 0x8
	s_load_b32 s31, s[0:1], 0x58
	s_load_b128 s[8:11], s[0:1], 0x18
	s_load_b32 s4, s[0:1], 0x28
	s_load_b32 s5, s[0:1], 0x0
	s_load_b128 s[12:15], s[0:1], 0x38
	s_load_b32 s6, s[0:1], 0x48
	s_load_b128 s[16:19], s[0:1], 0x68
	s_load_b32 s22, s[0:1], 0x78
	v_lshrrev_b32_e32 v2, 3, v0
	v_mov_b32_e32 v11, 0
	v_and_b32_e32 v1, 31, v0
	v_mbcnt_lo_u32_b32 v16, -1, 0
	v_cmp_eq_u32_e64 s0, 0, v0
	v_and_b32_e32 v14, 28, v2
	v_cmp_gt_u32_e64 s1, 32, v0
	v_lshlrev_b32_e32 v13, 2, v1
	v_lshl_or_b32 v18, v16, 2, 64
	s_mov_b32 s21, 0
	s_wait_kmcnt 0x0
	s_cmp_eq_f32 s30, 0
	v_cmp_gt_i32_e32 vcc_lo, s5, v0
	s_mul_i32 s26, s4, ttmp9
	s_cselect_b32 s33, -1, 0
	s_cmp_neq_f32 s31, 1.0
	s_mul_i32 s24, s22, ttmp9
	v_cndmask_b32_e32 v3, 0, v0, vcc_lo
	v_mul_lo_u32 v15, v0, s6
	s_cselect_b32 s2, -1, 0
	s_cmp_neq_f32 s30, 0
	s_delay_alu instid0(VALU_DEP_2) | instskip(SKIP_1) | instid1(SALU_CYCLE_1)
	v_lshlrev_b32_e32 v17, 1, v3
	s_cselect_b32 s3, -1, 0
	s_or_b32 s34, s3, s2
	s_cmp_neq_f32 s31, 0
	v_cndmask_b32_e64 v12, 0, 1, s3
	v_cmp_eq_u32_e64 s3, 0, v1
	v_cmp_gt_u32_e64 s2, 8, v0
	s_cselect_b32 s35, -1, 0
	s_ashr_i32 s23, s5, 31
	s_ashr_i32 s25, s24, 31
	s_lshr_b32 s23, s23, 24
	s_ashr_i32 s27, s26, 31
	s_add_co_i32 s23, s5, s23
	s_lshl_b32 s36, s6, 8
	s_and_b32 s22, s23, 0xffffff00
	s_lshl_b64 s[10:11], s[10:11], 1
	v_or_b32_e32 v2, s22, v0
	v_cmp_gt_i32_e64 s4, s22, v0
	s_ashr_i32 s23, s22, 31
	s_lshl_b64 s[14:15], s[14:15], 1
	s_lshl_b64 s[18:19], s[18:19], 2
	v_mul_lo_u32 v1, s6, v2
	v_cmp_gt_i32_e64 s5, s5, v2
	s_lshl_b64 s[24:25], s[24:25], 2
	s_lshl_b64 s[26:27], s[26:27], 1
	s_wait_alu 0xfffe
	s_lshl_b64 s[28:29], s[22:23], 1
	v_ashrrev_i32_e32 v2, 31, v1
	s_delay_alu instid0(VALU_DEP_1)
	v_lshlrev_b64_e32 v[1:2], 1, v[1:2]
	s_branch .LBB680_4
.LBB680_2:                              ;   in Loop: Header=BB680_4 Depth=1
	s_wait_alu 0xfffe
	s_or_b32 exec_lo, exec_lo, s6
.LBB680_3:                              ;   in Loop: Header=BB680_4 Depth=1
	s_add_co_i32 s20, s20, 0x10000
	s_delay_alu instid0(SALU_CYCLE_1)
	s_cmp_lt_u32 s20, s7
	s_cbranch_scc0 .LBB680_49
.LBB680_4:                              ; =>This Loop Header: Depth=1
                                        ;     Child Loop BB680_31 Depth 2
	s_and_not1_b32 vcc_lo, exec_lo, s34
	s_wait_alu 0xfffe
	s_cbranch_vccnz .LBB680_3
; %bb.5:                                ;   in Loop: Header=BB680_4 Depth=1
	s_and_not1_b32 vcc_lo, exec_lo, s33
	s_wait_alu 0xfffe
	s_cbranch_vccnz .LBB680_7
; %bb.6:                                ;   in Loop: Header=BB680_4 Depth=1
	s_mov_b32 s6, 0
	s_branch .LBB680_8
.LBB680_7:                              ;   in Loop: Header=BB680_4 Depth=1
	s_mov_b32 s6, -1
.LBB680_8:                              ;   in Loop: Header=BB680_4 Depth=1
	v_mov_b32_e32 v3, 0
	s_wait_dscnt 0x0
	v_dual_mov_b32 v4, 0 :: v_dual_mov_b32 v5, 0
	v_mov_b32_e32 v6, 0
	s_wait_alu 0xfffe
	s_and_not1_b32 vcc_lo, exec_lo, s6
	s_wait_alu 0xfffe
	s_cbranch_vccnz .LBB680_10
; %bb.9:                                ;   in Loop: Header=BB680_4 Depth=1
	s_lshl_b64 s[38:39], s[20:21], 3
	s_delay_alu instid0(SALU_CYCLE_1)
	s_add_nc_u64 s[38:39], s[8:9], s[38:39]
	global_load_b64 v[5:6], v11, s[38:39]
	s_wait_loadcnt 0x0
	v_add_co_u32 v5, vcc_lo, v5, s10
	s_wait_alu 0xfffd
	v_add_co_ci_u32_e64 v6, null, s11, v6, vcc_lo
.LBB680_10:                             ;   in Loop: Header=BB680_4 Depth=1
	v_cmp_ne_u32_e32 vcc_lo, 1, v12
	s_cbranch_vccnz .LBB680_12
; %bb.11:                               ;   in Loop: Header=BB680_4 Depth=1
	s_lshl_b64 s[38:39], s[20:21], 3
	s_delay_alu instid0(SALU_CYCLE_1)
	s_add_nc_u64 s[38:39], s[12:13], s[38:39]
	global_load_b64 v[3:4], v11, s[38:39]
	s_wait_loadcnt 0x0
	v_add_co_u32 v3, vcc_lo, v3, s14
	s_wait_alu 0xfffd
	v_add_co_ci_u32_e64 v4, null, s15, v4, vcc_lo
.LBB680_12:                             ;   in Loop: Header=BB680_4 Depth=1
	s_lshl_b64 s[38:39], s[20:21], 3
	s_delay_alu instid0(SALU_CYCLE_1)
	s_add_nc_u64 s[38:39], s[16:17], s[38:39]
	global_load_b64 v[7:8], v11, s[38:39]
	s_wait_loadcnt 0x0
	v_add_co_u32 v19, vcc_lo, v7, s18
	s_wait_alu 0xfffd
	v_add_co_ci_u32_e64 v20, null, s19, v8, vcc_lo
	s_and_not1_b32 vcc_lo, exec_lo, s33
	s_wait_alu 0xfffe
	s_cbranch_vccnz .LBB680_16
; %bb.13:                               ;   in Loop: Header=BB680_4 Depth=1
	s_mov_b32 s6, 0
	s_mov_b32 s23, 0
                                        ; implicit-def: $vgpr7
	s_and_saveexec_b32 s37, s0
	s_cbranch_execz .LBB680_17
; %bb.14:                               ;   in Loop: Header=BB680_4 Depth=1
	s_and_not1_b32 vcc_lo, exec_lo, s35
	s_wait_alu 0xfffe
	s_cbranch_vccnz .LBB680_18
; %bb.15:                               ;   in Loop: Header=BB680_4 Depth=1
	v_add_co_u32 v7, vcc_lo, v19, s24
	s_wait_alu 0xfffd
	v_add_co_ci_u32_e64 v8, null, s25, v20, vcc_lo
	flat_load_b32 v7, v[7:8]
	s_wait_loadcnt_dscnt 0x0
	v_mul_f32_e32 v7, s31, v7
	s_branch .LBB680_19
.LBB680_16:                             ;   in Loop: Header=BB680_4 Depth=1
	s_mov_b32 s23, 0
                                        ; implicit-def: $vgpr7
	s_cbranch_execnz .LBB680_20
	s_branch .LBB680_41
.LBB680_17:                             ;   in Loop: Header=BB680_4 Depth=1
	s_wait_alu 0xfffe
	s_or_b32 exec_lo, exec_lo, s37
	s_delay_alu instid0(SALU_CYCLE_1)
	s_and_b32 vcc_lo, exec_lo, s6
	s_wait_alu 0xfffe
	s_cbranch_vccnz .LBB680_20
	s_branch .LBB680_41
.LBB680_18:                             ;   in Loop: Header=BB680_4 Depth=1
	v_mov_b32_e32 v7, 0
.LBB680_19:                             ;   in Loop: Header=BB680_4 Depth=1
	s_mov_b32 s23, exec_lo
	s_or_b32 exec_lo, exec_lo, s37
	s_delay_alu instid0(SALU_CYCLE_1)
	s_and_b32 vcc_lo, exec_lo, s6
	s_wait_alu 0xfffe
	s_cbranch_vccz .LBB680_41
.LBB680_20:                             ;   in Loop: Header=BB680_4 Depth=1
	v_add_co_u32 v5, vcc_lo, v5, v17
	s_wait_alu 0xfffd
	v_add_co_ci_u32_e64 v6, null, 0, v6, vcc_lo
	v_mov_b32_e32 v21, 0
	s_delay_alu instid0(VALU_DEP_3) | instskip(SKIP_1) | instid1(VALU_DEP_3)
	v_add_co_u32 v5, vcc_lo, v5, s26
	s_wait_alu 0xfffd
	v_add_co_ci_u32_e64 v6, null, s27, v6, vcc_lo
	s_and_saveexec_b32 s37, s4
	s_cbranch_execnz .LBB680_29
; %bb.21:                               ;   in Loop: Header=BB680_4 Depth=1
	s_wait_alu 0xfffe
	s_or_b32 exec_lo, exec_lo, s37
	s_and_saveexec_b32 s6, s5
	s_cbranch_execnz .LBB680_44
.LBB680_22:                             ;   in Loop: Header=BB680_4 Depth=1
	s_wait_alu 0xfffe
	s_or_b32 exec_lo, exec_lo, s6
	s_and_saveexec_b32 s6, s1
.LBB680_23:                             ;   in Loop: Header=BB680_4 Depth=1
	ds_store_b32 v13, v11
.LBB680_24:                             ;   in Loop: Header=BB680_4 Depth=1
	s_wait_alu 0xfffe
	s_or_b32 exec_lo, exec_lo, s6
	ds_bpermute_b32 v3, v18, v21
	v_cmp_gt_u32_e32 vcc_lo, 24, v16
	s_wait_dscnt 0x0
	s_barrier_signal -1
	s_barrier_wait -1
	global_inv scope:SCOPE_SE
	s_wait_alu 0xfffd
	v_cndmask_b32_e64 v4, 0, 8, vcc_lo
	v_cmp_gt_u32_e32 vcc_lo, 28, v16
	s_delay_alu instid0(VALU_DEP_2)
	v_add_lshl_u32 v4, v4, v16, 2
	v_add_f32_e32 v5, v21, v3
	s_wait_alu 0xfffd
	v_cndmask_b32_e64 v3, 0, 4, vcc_lo
	v_cmp_gt_u32_e32 vcc_lo, 30, v16
	ds_bpermute_b32 v4, v4, v5
	v_add_lshl_u32 v3, v3, v16, 2
	s_wait_dscnt 0x0
	v_add_f32_e32 v5, v5, v4
	s_wait_alu 0xfffd
	v_cndmask_b32_e64 v4, 0, 2, vcc_lo
	v_cmp_ne_u32_e32 vcc_lo, 31, v16
	ds_bpermute_b32 v6, v3, v5
	v_add_lshl_u32 v4, v4, v16, 2
	s_wait_alu 0xfffd
	v_add_co_ci_u32_e64 v7, null, 0, v16, vcc_lo
	s_wait_dscnt 0x0
	v_add_f32_e32 v5, v5, v6
	ds_bpermute_b32 v6, v4, v5
	s_wait_dscnt 0x0
	v_dual_add_f32 v6, v5, v6 :: v_dual_lshlrev_b32 v5, 2, v7
	ds_bpermute_b32 v7, v5, v6
	s_and_saveexec_b32 s6, s3
	s_cbranch_execz .LBB680_26
; %bb.25:                               ;   in Loop: Header=BB680_4 Depth=1
	s_wait_dscnt 0x0
	v_add_f32_e32 v6, v6, v7
	ds_store_b32 v14, v6
.LBB680_26:                             ;   in Loop: Header=BB680_4 Depth=1
	s_wait_alu 0xfffe
	s_or_b32 exec_lo, exec_lo, s6
	v_mov_b32_e32 v6, 0
	s_wait_loadcnt_dscnt 0x0
	s_barrier_signal -1
	s_barrier_wait -1
	global_inv scope:SCOPE_SE
	s_and_saveexec_b32 s6, s2
	s_cbranch_execnz .LBB680_35
; %bb.27:                               ;   in Loop: Header=BB680_4 Depth=1
	s_wait_alu 0xfffe
	s_or_b32 exec_lo, exec_lo, s6
	s_and_saveexec_b32 s6, s1
	s_cbranch_execnz .LBB680_36
.LBB680_28:                             ;   in Loop: Header=BB680_4 Depth=1
	s_wait_alu 0xfffe
	s_or_b32 exec_lo, exec_lo, s6
                                        ; implicit-def: $vgpr7
	s_and_saveexec_b32 s6, s0
	s_cbranch_execnz .LBB680_37
	s_branch .LBB680_40
.LBB680_29:                             ;   in Loop: Header=BB680_4 Depth=1
	v_dual_mov_b32 v21, 0 :: v_dual_mov_b32 v10, v6
	v_dual_mov_b32 v7, v15 :: v_dual_mov_b32 v22, v0
	v_mov_b32_e32 v9, v5
	s_mov_b32 s38, 0
	s_branch .LBB680_31
.LBB680_30:                             ;   in Loop: Header=BB680_31 Depth=2
	s_wait_alu 0xfffe
	s_or_b32 exec_lo, exec_lo, s6
	s_delay_alu instid0(VALU_DEP_1)
	v_and_b32_e32 v8, 0xffff0000, v23
	v_add_nc_u32_e32 v22, 0x100, v22
	v_add_co_u32 v9, s6, 0x200, v9
	s_wait_alu 0xf1ff
	v_add_co_ci_u32_e64 v10, null, 0, v10, s6
	v_add_f32_e32 v21, v21, v8
	v_cmp_le_i32_e32 vcc_lo, s22, v22
	v_add_nc_u32_e32 v7, s36, v7
	s_or_b32 s38, vcc_lo, s38
	s_delay_alu instid0(SALU_CYCLE_1)
	s_and_not1_b32 exec_lo, exec_lo, s38
	s_cbranch_execz .LBB680_43
.LBB680_31:                             ;   Parent Loop BB680_4 Depth=1
                                        ; =>  This Inner Loop Header: Depth=2
	s_delay_alu instid0(VALU_DEP_1) | instskip(NEXT) | instid1(VALU_DEP_1)
	v_ashrrev_i32_e32 v8, 31, v7
	v_lshlrev_b64_e32 v[23:24], 1, v[7:8]
	s_delay_alu instid0(VALU_DEP_1) | instskip(SKIP_1) | instid1(VALU_DEP_2)
	v_add_co_u32 v23, vcc_lo, v3, v23
	s_wait_alu 0xfffd
	v_add_co_ci_u32_e64 v24, null, v4, v24, vcc_lo
	flat_load_u16 v8, v[9:10]
	flat_load_u16 v23, v[23:24]
	s_wait_loadcnt_dscnt 0x101
	v_lshlrev_b32_e32 v8, 16, v8
	s_wait_loadcnt_dscnt 0x0
	v_lshlrev_b32_e32 v23, 16, v23
	s_delay_alu instid0(VALU_DEP_1) | instskip(NEXT) | instid1(VALU_DEP_1)
	v_mul_f32_e32 v8, v8, v23
	v_and_b32_e32 v23, 0x7f800000, v8
	s_delay_alu instid0(VALU_DEP_1)
	v_cmp_ne_u32_e32 vcc_lo, 0x7f800000, v23
                                        ; implicit-def: $vgpr23
	s_and_saveexec_b32 s6, vcc_lo
	s_wait_alu 0xfffe
	s_xor_b32 s6, exec_lo, s6
; %bb.32:                               ;   in Loop: Header=BB680_31 Depth=2
	v_bfe_u32 v23, v8, 16, 1
	s_delay_alu instid0(VALU_DEP_1)
	v_add3_u32 v23, v8, v23, 0x7fff
                                        ; implicit-def: $vgpr8
; %bb.33:                               ;   in Loop: Header=BB680_31 Depth=2
	s_wait_alu 0xfffe
	s_and_not1_saveexec_b32 s6, s6
	s_cbranch_execz .LBB680_30
; %bb.34:                               ;   in Loop: Header=BB680_31 Depth=2
	v_and_b32_e32 v23, 0xffff, v8
	v_or_b32_e32 v24, 0x10000, v8
	s_delay_alu instid0(VALU_DEP_2) | instskip(SKIP_1) | instid1(VALU_DEP_2)
	v_cmp_eq_u32_e32 vcc_lo, 0, v23
	s_wait_alu 0xfffd
	v_cndmask_b32_e32 v23, v24, v8, vcc_lo
	s_branch .LBB680_30
.LBB680_35:                             ;   in Loop: Header=BB680_4 Depth=1
	ds_load_b32 v6, v13
	s_wait_alu 0xfffe
	s_or_b32 exec_lo, exec_lo, s6
	s_and_saveexec_b32 s6, s1
	s_cbranch_execz .LBB680_28
.LBB680_36:                             ;   in Loop: Header=BB680_4 Depth=1
	s_wait_dscnt 0x0
	ds_bpermute_b32 v3, v3, v6
	s_wait_dscnt 0x0
	v_add_f32_e32 v3, v6, v3
	ds_bpermute_b32 v4, v4, v3
	s_wait_dscnt 0x0
	v_add_f32_e32 v3, v3, v4
	ds_bpermute_b32 v4, v5, v3
	s_wait_dscnt 0x0
	v_add_f32_e32 v6, v3, v4
	s_wait_alu 0xfffe
	s_or_b32 exec_lo, exec_lo, s6
                                        ; implicit-def: $vgpr7
	s_and_saveexec_b32 s6, s0
	s_cbranch_execz .LBB680_40
.LBB680_37:                             ;   in Loop: Header=BB680_4 Depth=1
	s_wait_dscnt 0x0
	v_mul_f32_e32 v7, s30, v6
	s_and_not1_b32 vcc_lo, exec_lo, s35
	s_wait_alu 0xfffe
	s_cbranch_vccnz .LBB680_39
; %bb.38:                               ;   in Loop: Header=BB680_4 Depth=1
	v_add_co_u32 v3, vcc_lo, v19, s24
	s_wait_alu 0xfffd
	v_add_co_ci_u32_e64 v4, null, s25, v20, vcc_lo
	flat_load_b32 v3, v[3:4]
	s_wait_loadcnt_dscnt 0x0
	v_fmac_f32_e32 v7, s31, v3
.LBB680_39:                             ;   in Loop: Header=BB680_4 Depth=1
	s_or_b32 s23, s23, exec_lo
.LBB680_40:                             ;   in Loop: Header=BB680_4 Depth=1
	s_wait_alu 0xfffe
	s_or_b32 exec_lo, exec_lo, s6
.LBB680_41:                             ;   in Loop: Header=BB680_4 Depth=1
	s_wait_alu 0xfffe
	s_and_saveexec_b32 s6, s23
	s_cbranch_execz .LBB680_2
; %bb.42:                               ;   in Loop: Header=BB680_4 Depth=1
	v_add_co_u32 v3, vcc_lo, v19, s24
	s_wait_alu 0xfffd
	v_add_co_ci_u32_e64 v4, null, s25, v20, vcc_lo
	flat_store_b32 v[3:4], v7
	s_branch .LBB680_2
.LBB680_43:                             ;   in Loop: Header=BB680_4 Depth=1
	s_or_b32 exec_lo, exec_lo, s38
	s_delay_alu instid0(SALU_CYCLE_1)
	s_or_b32 exec_lo, exec_lo, s37
	s_and_saveexec_b32 s6, s5
	s_cbranch_execz .LBB680_22
.LBB680_44:                             ;   in Loop: Header=BB680_4 Depth=1
	v_add_co_u32 v3, vcc_lo, v3, v1
	s_wait_alu 0xfffd
	v_add_co_ci_u32_e64 v4, null, v4, v2, vcc_lo
	v_add_co_u32 v5, vcc_lo, v5, s28
	s_wait_alu 0xfffd
	v_add_co_ci_u32_e64 v6, null, s29, v6, vcc_lo
	flat_load_u16 v3, v[3:4]
	flat_load_u16 v4, v[5:6]
	s_wait_loadcnt_dscnt 0x101
	v_lshlrev_b32_e32 v3, 16, v3
	s_wait_loadcnt_dscnt 0x0
	v_lshlrev_b32_e32 v4, 16, v4
	s_delay_alu instid0(VALU_DEP_1) | instskip(NEXT) | instid1(VALU_DEP_1)
	v_mul_f32_e32 v3, v4, v3
	v_and_b32_e32 v4, 0x7f800000, v3
	s_delay_alu instid0(VALU_DEP_1)
	v_cmp_ne_u32_e32 vcc_lo, 0x7f800000, v4
                                        ; implicit-def: $vgpr4
	s_and_saveexec_b32 s37, vcc_lo
	s_wait_alu 0xfffe
	s_xor_b32 s37, exec_lo, s37
; %bb.45:                               ;   in Loop: Header=BB680_4 Depth=1
	v_bfe_u32 v4, v3, 16, 1
	s_delay_alu instid0(VALU_DEP_1)
	v_add3_u32 v4, v3, v4, 0x7fff
                                        ; implicit-def: $vgpr3
; %bb.46:                               ;   in Loop: Header=BB680_4 Depth=1
	s_wait_alu 0xfffe
	s_and_not1_saveexec_b32 s37, s37
; %bb.47:                               ;   in Loop: Header=BB680_4 Depth=1
	v_and_b32_e32 v4, 0xffff, v3
	v_or_b32_e32 v5, 0x10000, v3
	s_delay_alu instid0(VALU_DEP_2) | instskip(SKIP_1) | instid1(VALU_DEP_2)
	v_cmp_eq_u32_e32 vcc_lo, 0, v4
	s_wait_alu 0xfffd
	v_cndmask_b32_e32 v4, v5, v3, vcc_lo
; %bb.48:                               ;   in Loop: Header=BB680_4 Depth=1
	s_wait_alu 0xfffe
	s_or_b32 exec_lo, exec_lo, s37
	s_delay_alu instid0(VALU_DEP_1) | instskip(NEXT) | instid1(VALU_DEP_1)
	v_and_b32_e32 v3, 0xffff0000, v4
	v_add_f32_e32 v21, v21, v3
	s_or_b32 exec_lo, exec_lo, s6
	s_and_saveexec_b32 s6, s1
	s_cbranch_execnz .LBB680_23
	s_branch .LBB680_24
.LBB680_49:
	s_endpgm
	.section	.rodata,"a",@progbits
	.p2align	6, 0x0
	.amdhsa_kernel _ZL32rocblas_gemvt_warp_reduce_kernelILb0ELi256EiPK16rocblas_bfloat16fKPfEviiT3_lPKT2_lT1_lS8_lS9_lS5_lPT4_lS9_li
		.amdhsa_group_segment_fixed_size 128
		.amdhsa_private_segment_fixed_size 0
		.amdhsa_kernarg_size 140
		.amdhsa_user_sgpr_count 2
		.amdhsa_user_sgpr_dispatch_ptr 0
		.amdhsa_user_sgpr_queue_ptr 0
		.amdhsa_user_sgpr_kernarg_segment_ptr 1
		.amdhsa_user_sgpr_dispatch_id 0
		.amdhsa_user_sgpr_private_segment_size 0
		.amdhsa_wavefront_size32 1
		.amdhsa_uses_dynamic_stack 0
		.amdhsa_enable_private_segment 0
		.amdhsa_system_sgpr_workgroup_id_x 1
		.amdhsa_system_sgpr_workgroup_id_y 0
		.amdhsa_system_sgpr_workgroup_id_z 1
		.amdhsa_system_sgpr_workgroup_info 0
		.amdhsa_system_vgpr_workitem_id 0
		.amdhsa_next_free_vgpr 25
		.amdhsa_next_free_sgpr 40
		.amdhsa_reserve_vcc 1
		.amdhsa_float_round_mode_32 0
		.amdhsa_float_round_mode_16_64 0
		.amdhsa_float_denorm_mode_32 3
		.amdhsa_float_denorm_mode_16_64 3
		.amdhsa_fp16_overflow 0
		.amdhsa_workgroup_processor_mode 1
		.amdhsa_memory_ordered 1
		.amdhsa_forward_progress 1
		.amdhsa_inst_pref_size 15
		.amdhsa_round_robin_scheduling 0
		.amdhsa_exception_fp_ieee_invalid_op 0
		.amdhsa_exception_fp_denorm_src 0
		.amdhsa_exception_fp_ieee_div_zero 0
		.amdhsa_exception_fp_ieee_overflow 0
		.amdhsa_exception_fp_ieee_underflow 0
		.amdhsa_exception_fp_ieee_inexact 0
		.amdhsa_exception_int_div_zero 0
	.end_amdhsa_kernel
	.section	.text._ZL32rocblas_gemvt_warp_reduce_kernelILb0ELi256EiPK16rocblas_bfloat16fKPfEviiT3_lPKT2_lT1_lS8_lS9_lS5_lPT4_lS9_li,"axG",@progbits,_ZL32rocblas_gemvt_warp_reduce_kernelILb0ELi256EiPK16rocblas_bfloat16fKPfEviiT3_lPKT2_lT1_lS8_lS9_lS5_lPT4_lS9_li,comdat
.Lfunc_end680:
	.size	_ZL32rocblas_gemvt_warp_reduce_kernelILb0ELi256EiPK16rocblas_bfloat16fKPfEviiT3_lPKT2_lT1_lS8_lS9_lS5_lPT4_lS9_li, .Lfunc_end680-_ZL32rocblas_gemvt_warp_reduce_kernelILb0ELi256EiPK16rocblas_bfloat16fKPfEviiT3_lPKT2_lT1_lS8_lS9_lS5_lPT4_lS9_li
                                        ; -- End function
	.set _ZL32rocblas_gemvt_warp_reduce_kernelILb0ELi256EiPK16rocblas_bfloat16fKPfEviiT3_lPKT2_lT1_lS8_lS9_lS5_lPT4_lS9_li.num_vgpr, 25
	.set _ZL32rocblas_gemvt_warp_reduce_kernelILb0ELi256EiPK16rocblas_bfloat16fKPfEviiT3_lPKT2_lT1_lS8_lS9_lS5_lPT4_lS9_li.num_agpr, 0
	.set _ZL32rocblas_gemvt_warp_reduce_kernelILb0ELi256EiPK16rocblas_bfloat16fKPfEviiT3_lPKT2_lT1_lS8_lS9_lS5_lPT4_lS9_li.numbered_sgpr, 40
	.set _ZL32rocblas_gemvt_warp_reduce_kernelILb0ELi256EiPK16rocblas_bfloat16fKPfEviiT3_lPKT2_lT1_lS8_lS9_lS5_lPT4_lS9_li.num_named_barrier, 0
	.set _ZL32rocblas_gemvt_warp_reduce_kernelILb0ELi256EiPK16rocblas_bfloat16fKPfEviiT3_lPKT2_lT1_lS8_lS9_lS5_lPT4_lS9_li.private_seg_size, 0
	.set _ZL32rocblas_gemvt_warp_reduce_kernelILb0ELi256EiPK16rocblas_bfloat16fKPfEviiT3_lPKT2_lT1_lS8_lS9_lS5_lPT4_lS9_li.uses_vcc, 1
	.set _ZL32rocblas_gemvt_warp_reduce_kernelILb0ELi256EiPK16rocblas_bfloat16fKPfEviiT3_lPKT2_lT1_lS8_lS9_lS5_lPT4_lS9_li.uses_flat_scratch, 0
	.set _ZL32rocblas_gemvt_warp_reduce_kernelILb0ELi256EiPK16rocblas_bfloat16fKPfEviiT3_lPKT2_lT1_lS8_lS9_lS5_lPT4_lS9_li.has_dyn_sized_stack, 0
	.set _ZL32rocblas_gemvt_warp_reduce_kernelILb0ELi256EiPK16rocblas_bfloat16fKPfEviiT3_lPKT2_lT1_lS8_lS9_lS5_lPT4_lS9_li.has_recursion, 0
	.set _ZL32rocblas_gemvt_warp_reduce_kernelILb0ELi256EiPK16rocblas_bfloat16fKPfEviiT3_lPKT2_lT1_lS8_lS9_lS5_lPT4_lS9_li.has_indirect_call, 0
	.section	.AMDGPU.csdata,"",@progbits
; Kernel info:
; codeLenInByte = 1912
; TotalNumSgprs: 42
; NumVgprs: 25
; ScratchSize: 0
; MemoryBound: 0
; FloatMode: 240
; IeeeMode: 1
; LDSByteSize: 128 bytes/workgroup (compile time only)
; SGPRBlocks: 0
; VGPRBlocks: 3
; NumSGPRsForWavesPerEU: 42
; NumVGPRsForWavesPerEU: 25
; Occupancy: 16
; WaveLimiterHint : 1
; COMPUTE_PGM_RSRC2:SCRATCH_EN: 0
; COMPUTE_PGM_RSRC2:USER_SGPR: 2
; COMPUTE_PGM_RSRC2:TRAP_HANDLER: 0
; COMPUTE_PGM_RSRC2:TGID_X_EN: 1
; COMPUTE_PGM_RSRC2:TGID_Y_EN: 0
; COMPUTE_PGM_RSRC2:TGID_Z_EN: 1
; COMPUTE_PGM_RSRC2:TIDIG_COMP_CNT: 0
	.section	.text._ZL32rocblas_gemvt_warp_reduce_kernelILb0ELi256ElPK16rocblas_bfloat16fKPfEviiT3_lPKT2_lT1_lS8_lS9_lS5_lPT4_lS9_li,"axG",@progbits,_ZL32rocblas_gemvt_warp_reduce_kernelILb0ELi256ElPK16rocblas_bfloat16fKPfEviiT3_lPKT2_lT1_lS8_lS9_lS5_lPT4_lS9_li,comdat
	.globl	_ZL32rocblas_gemvt_warp_reduce_kernelILb0ELi256ElPK16rocblas_bfloat16fKPfEviiT3_lPKT2_lT1_lS8_lS9_lS5_lPT4_lS9_li ; -- Begin function _ZL32rocblas_gemvt_warp_reduce_kernelILb0ELi256ElPK16rocblas_bfloat16fKPfEviiT3_lPKT2_lT1_lS8_lS9_lS5_lPT4_lS9_li
	.p2align	8
	.type	_ZL32rocblas_gemvt_warp_reduce_kernelILb0ELi256ElPK16rocblas_bfloat16fKPfEviiT3_lPKT2_lT1_lS8_lS9_lS5_lPT4_lS9_li,@function
_ZL32rocblas_gemvt_warp_reduce_kernelILb0ELi256ElPK16rocblas_bfloat16fKPfEviiT3_lPKT2_lT1_lS8_lS9_lS5_lPT4_lS9_li: ; @_ZL32rocblas_gemvt_warp_reduce_kernelILb0ELi256ElPK16rocblas_bfloat16fKPfEviiT3_lPKT2_lT1_lS8_lS9_lS5_lPT4_lS9_li
; %bb.0:
	s_load_b32 s7, s[0:1], 0x88
	s_lshr_b32 s20, ttmp7, 16
	s_wait_kmcnt 0x0
	s_cmp_ge_u32 s20, s7
	s_cbranch_scc1 .LBB681_49
; %bb.1:
	s_clause 0x8
	s_load_b32 s33, s[0:1], 0x8
	s_load_b32 s34, s[0:1], 0x58
	s_load_b64 s[26:27], s[0:1], 0x48
	s_load_b128 s[8:11], s[0:1], 0x38
	s_load_b32 s6, s[0:1], 0x0
	s_load_b128 s[12:15], s[0:1], 0x18
	s_load_b64 s[28:29], s[0:1], 0x28
	s_load_b64 s[30:31], s[0:1], 0x78
	s_load_b128 s[16:19], s[0:1], 0x68
	v_and_b32_e32 v3, 31, v0
	v_lshrrev_b32_e32 v4, 3, v0
	v_mov_b32_e32 v13, 0
	v_mbcnt_lo_u32_b32 v17, -1, 0
	s_mov_b32 s4, ttmp9
	v_lshlrev_b32_e32 v14, 2, v3
	v_and_b32_e32 v16, 28, v4
	v_cmp_eq_u32_e64 s0, 0, v0
	v_cmp_gt_u32_e64 s1, 32, v0
	v_cmp_gt_u32_e64 s2, 8, v0
	v_lshl_or_b32 v19, v17, 2, 64
	s_wait_kmcnt 0x0
	s_cmp_eq_f32 s33, 0
	s_mov_b32 s21, 0
	v_mad_co_u64_u32 v[1:2], null, s26, v0, 0
	s_cselect_b32 s35, -1, 0
	s_cmp_neq_f32 s34, 1.0
	v_cmp_gt_i32_e32 vcc_lo, s6, v0
	s_cselect_b32 s3, -1, 0
	s_cmp_neq_f32 s33, 0
	v_cndmask_b32_e32 v5, 0, v0, vcc_lo
	s_cselect_b32 s5, -1, 0
	s_delay_alu instid0(SALU_CYCLE_1)
	s_or_b32 s36, s5, s3
	s_cmp_neq_f32 s34, 0
	v_cndmask_b32_e64 v15, 0, 1, s5
	v_cmp_eq_u32_e64 s3, 0, v3
	v_mad_co_u64_u32 v[2:3], null, s27, v0, v[2:3]
	s_cselect_b32 s37, -1, 0
	s_ashr_i32 s5, s6, 31
	s_lshl_b64 s[24:25], s[26:27], 9
	s_wait_alu 0xfffe
	s_lshr_b32 s5, s5, 24
	v_lshlrev_b32_e32 v18, 1, v5
	s_wait_alu 0xfffe
	s_add_co_i32 s5, s6, s5
	v_lshlrev_b64_e32 v[1:2], 1, v[1:2]
	s_wait_alu 0xfffe
	s_and_b32 s22, s5, 0xffffff00
	s_ashr_i32 s5, ttmp9, 31
	v_or_b32_e32 v6, s22, v0
	s_ashr_i32 s23, s22, 31
	s_wait_alu 0xfffe
	s_mul_u64 s[30:31], s[30:31], s[4:5]
	s_mul_u64 s[28:29], s[28:29], s[4:5]
	v_cmp_gt_i32_e64 s4, s22, v0
	v_mul_lo_u32 v7, s27, v6
	v_mad_co_u64_u32 v[3:4], null, s26, v6, 0
	s_mul_i32 s26, s26, s23
	v_cmp_gt_i32_e64 s5, s6, v6
	s_lshl_b64 s[14:15], s[14:15], 1
	s_lshl_b64 s[10:11], s[10:11], 1
	;; [unrolled: 1-line block ×4, first 2 shown]
	s_wait_alu 0xfffe
	v_add3_u32 v4, v4, s26, v7
	s_lshl_b64 s[26:27], s[30:31], 2
	s_lshl_b64 s[30:31], s[22:23], 1
	s_delay_alu instid0(VALU_DEP_1)
	v_lshlrev_b64_e32 v[3:4], 1, v[3:4]
	s_branch .LBB681_4
.LBB681_2:                              ;   in Loop: Header=BB681_4 Depth=1
	s_wait_alu 0xfffe
	s_or_b32 exec_lo, exec_lo, s6
.LBB681_3:                              ;   in Loop: Header=BB681_4 Depth=1
	s_add_co_i32 s20, s20, 0x10000
	s_delay_alu instid0(SALU_CYCLE_1)
	s_cmp_lt_u32 s20, s7
	s_cbranch_scc0 .LBB681_49
.LBB681_4:                              ; =>This Loop Header: Depth=1
                                        ;     Child Loop BB681_31 Depth 2
	s_and_not1_b32 vcc_lo, exec_lo, s36
	s_wait_alu 0xfffe
	s_cbranch_vccnz .LBB681_3
; %bb.5:                                ;   in Loop: Header=BB681_4 Depth=1
	s_and_not1_b32 vcc_lo, exec_lo, s35
	s_wait_alu 0xfffe
	s_cbranch_vccnz .LBB681_7
; %bb.6:                                ;   in Loop: Header=BB681_4 Depth=1
	s_mov_b32 s6, 0
	s_branch .LBB681_8
.LBB681_7:                              ;   in Loop: Header=BB681_4 Depth=1
	s_mov_b32 s6, -1
.LBB681_8:                              ;   in Loop: Header=BB681_4 Depth=1
	v_mov_b32_e32 v5, 0
	s_wait_dscnt 0x0
	v_dual_mov_b32 v6, 0 :: v_dual_mov_b32 v7, 0
	v_mov_b32_e32 v8, 0
	s_wait_alu 0xfffe
	s_and_not1_b32 vcc_lo, exec_lo, s6
	s_wait_alu 0xfffe
	s_cbranch_vccnz .LBB681_10
; %bb.9:                                ;   in Loop: Header=BB681_4 Depth=1
	s_lshl_b64 s[38:39], s[20:21], 3
	s_delay_alu instid0(SALU_CYCLE_1)
	s_add_nc_u64 s[38:39], s[12:13], s[38:39]
	global_load_b64 v[7:8], v13, s[38:39]
	s_wait_loadcnt 0x0
	v_add_co_u32 v7, vcc_lo, v7, s14
	s_wait_alu 0xfffd
	v_add_co_ci_u32_e64 v8, null, s15, v8, vcc_lo
.LBB681_10:                             ;   in Loop: Header=BB681_4 Depth=1
	v_cmp_ne_u32_e32 vcc_lo, 1, v15
	s_cbranch_vccnz .LBB681_12
; %bb.11:                               ;   in Loop: Header=BB681_4 Depth=1
	s_lshl_b64 s[38:39], s[20:21], 3
	s_delay_alu instid0(SALU_CYCLE_1)
	s_add_nc_u64 s[38:39], s[8:9], s[38:39]
	global_load_b64 v[5:6], v13, s[38:39]
	s_wait_loadcnt 0x0
	v_add_co_u32 v5, vcc_lo, v5, s10
	s_wait_alu 0xfffd
	v_add_co_ci_u32_e64 v6, null, s11, v6, vcc_lo
.LBB681_12:                             ;   in Loop: Header=BB681_4 Depth=1
	s_lshl_b64 s[38:39], s[20:21], 3
	s_delay_alu instid0(SALU_CYCLE_1)
	s_add_nc_u64 s[38:39], s[16:17], s[38:39]
	global_load_b64 v[9:10], v13, s[38:39]
	s_wait_loadcnt 0x0
	v_add_co_u32 v20, vcc_lo, v9, s18
	s_wait_alu 0xfffd
	v_add_co_ci_u32_e64 v21, null, s19, v10, vcc_lo
	s_and_not1_b32 vcc_lo, exec_lo, s35
	s_wait_alu 0xfffe
	s_cbranch_vccnz .LBB681_16
; %bb.13:                               ;   in Loop: Header=BB681_4 Depth=1
	s_mov_b32 s6, 0
	s_mov_b32 s23, 0
                                        ; implicit-def: $vgpr9
	s_and_saveexec_b32 s38, s0
	s_cbranch_execz .LBB681_17
; %bb.14:                               ;   in Loop: Header=BB681_4 Depth=1
	s_and_not1_b32 vcc_lo, exec_lo, s37
	s_wait_alu 0xfffe
	s_cbranch_vccnz .LBB681_18
; %bb.15:                               ;   in Loop: Header=BB681_4 Depth=1
	v_add_co_u32 v9, vcc_lo, v20, s26
	s_wait_alu 0xfffd
	v_add_co_ci_u32_e64 v10, null, s27, v21, vcc_lo
	flat_load_b32 v9, v[9:10]
	s_wait_loadcnt_dscnt 0x0
	v_mul_f32_e32 v9, s34, v9
	s_branch .LBB681_19
.LBB681_16:                             ;   in Loop: Header=BB681_4 Depth=1
	s_mov_b32 s23, 0
                                        ; implicit-def: $vgpr9
	s_cbranch_execnz .LBB681_20
	s_branch .LBB681_41
.LBB681_17:                             ;   in Loop: Header=BB681_4 Depth=1
	s_or_b32 exec_lo, exec_lo, s38
	s_wait_alu 0xfffe
	s_and_b32 vcc_lo, exec_lo, s6
	s_wait_alu 0xfffe
	s_cbranch_vccnz .LBB681_20
	s_branch .LBB681_41
.LBB681_18:                             ;   in Loop: Header=BB681_4 Depth=1
	v_mov_b32_e32 v9, 0
.LBB681_19:                             ;   in Loop: Header=BB681_4 Depth=1
	s_mov_b32 s23, exec_lo
	s_or_b32 exec_lo, exec_lo, s38
	s_delay_alu instid0(SALU_CYCLE_1)
	s_and_b32 vcc_lo, exec_lo, s6
	s_wait_alu 0xfffe
	s_cbranch_vccz .LBB681_41
.LBB681_20:                             ;   in Loop: Header=BB681_4 Depth=1
	v_add_co_u32 v7, vcc_lo, v7, v18
	s_wait_alu 0xfffd
	v_add_co_ci_u32_e64 v8, null, 0, v8, vcc_lo
	v_mov_b32_e32 v22, 0
	s_delay_alu instid0(VALU_DEP_3) | instskip(SKIP_1) | instid1(VALU_DEP_3)
	v_add_co_u32 v7, vcc_lo, v7, s28
	s_wait_alu 0xfffd
	v_add_co_ci_u32_e64 v8, null, s29, v8, vcc_lo
	s_and_saveexec_b32 s38, s4
	s_cbranch_execnz .LBB681_29
; %bb.21:                               ;   in Loop: Header=BB681_4 Depth=1
	s_or_b32 exec_lo, exec_lo, s38
	s_and_saveexec_b32 s6, s5
	s_cbranch_execnz .LBB681_44
.LBB681_22:                             ;   in Loop: Header=BB681_4 Depth=1
	s_wait_alu 0xfffe
	s_or_b32 exec_lo, exec_lo, s6
	s_and_saveexec_b32 s6, s1
.LBB681_23:                             ;   in Loop: Header=BB681_4 Depth=1
	ds_store_b32 v14, v13
.LBB681_24:                             ;   in Loop: Header=BB681_4 Depth=1
	s_wait_alu 0xfffe
	s_or_b32 exec_lo, exec_lo, s6
	ds_bpermute_b32 v5, v19, v22
	v_cmp_gt_u32_e32 vcc_lo, 24, v17
	s_wait_dscnt 0x0
	s_barrier_signal -1
	s_barrier_wait -1
	global_inv scope:SCOPE_SE
	s_wait_alu 0xfffd
	v_cndmask_b32_e64 v6, 0, 8, vcc_lo
	v_cmp_gt_u32_e32 vcc_lo, 28, v17
	s_delay_alu instid0(VALU_DEP_2)
	v_add_lshl_u32 v6, v6, v17, 2
	v_add_f32_e32 v7, v22, v5
	s_wait_alu 0xfffd
	v_cndmask_b32_e64 v5, 0, 4, vcc_lo
	v_cmp_gt_u32_e32 vcc_lo, 30, v17
	ds_bpermute_b32 v6, v6, v7
	v_add_lshl_u32 v5, v5, v17, 2
	s_wait_dscnt 0x0
	v_add_f32_e32 v7, v7, v6
	s_wait_alu 0xfffd
	v_cndmask_b32_e64 v6, 0, 2, vcc_lo
	v_cmp_ne_u32_e32 vcc_lo, 31, v17
	ds_bpermute_b32 v8, v5, v7
	v_add_lshl_u32 v6, v6, v17, 2
	s_wait_alu 0xfffd
	v_add_co_ci_u32_e64 v9, null, 0, v17, vcc_lo
	s_wait_dscnt 0x0
	v_add_f32_e32 v7, v7, v8
	ds_bpermute_b32 v8, v6, v7
	s_wait_dscnt 0x0
	v_dual_add_f32 v8, v7, v8 :: v_dual_lshlrev_b32 v7, 2, v9
	ds_bpermute_b32 v9, v7, v8
	s_and_saveexec_b32 s6, s3
	s_cbranch_execz .LBB681_26
; %bb.25:                               ;   in Loop: Header=BB681_4 Depth=1
	s_wait_dscnt 0x0
	v_add_f32_e32 v8, v8, v9
	ds_store_b32 v16, v8
.LBB681_26:                             ;   in Loop: Header=BB681_4 Depth=1
	s_wait_alu 0xfffe
	s_or_b32 exec_lo, exec_lo, s6
	v_mov_b32_e32 v8, 0
	s_wait_loadcnt_dscnt 0x0
	s_barrier_signal -1
	s_barrier_wait -1
	global_inv scope:SCOPE_SE
	s_and_saveexec_b32 s6, s2
	s_cbranch_execnz .LBB681_35
; %bb.27:                               ;   in Loop: Header=BB681_4 Depth=1
	s_wait_alu 0xfffe
	s_or_b32 exec_lo, exec_lo, s6
	s_and_saveexec_b32 s6, s1
	s_cbranch_execnz .LBB681_36
.LBB681_28:                             ;   in Loop: Header=BB681_4 Depth=1
	s_wait_alu 0xfffe
	s_or_b32 exec_lo, exec_lo, s6
                                        ; implicit-def: $vgpr9
	s_and_saveexec_b32 s6, s0
	s_cbranch_execnz .LBB681_37
	s_branch .LBB681_40
.LBB681_29:                             ;   in Loop: Header=BB681_4 Depth=1
	v_add_co_u32 v9, vcc_lo, v5, v1
	v_dual_mov_b32 v12, v8 :: v_dual_mov_b32 v23, v0
	s_wait_alu 0xfffd
	v_add_co_ci_u32_e64 v10, null, v6, v2, vcc_lo
	v_dual_mov_b32 v22, 0 :: v_dual_mov_b32 v11, v7
	s_mov_b32 s39, 0
	s_branch .LBB681_31
.LBB681_30:                             ;   in Loop: Header=BB681_31 Depth=2
	s_wait_alu 0xfffe
	s_or_b32 exec_lo, exec_lo, s6
	s_delay_alu instid0(VALU_DEP_1)
	v_and_b32_e32 v24, 0xffff0000, v25
	v_add_nc_u32_e32 v23, 0x100, v23
	v_add_co_u32 v11, vcc_lo, 0x200, v11
	s_wait_alu 0xfffd
	v_add_co_ci_u32_e64 v12, null, 0, v12, vcc_lo
	v_add_f32_e32 v22, v22, v24
	v_cmp_le_i32_e32 vcc_lo, s22, v23
	v_add_co_u32 v9, s6, v9, s24
	s_wait_alu 0xf1ff
	v_add_co_ci_u32_e64 v10, null, s25, v10, s6
	s_or_b32 s39, vcc_lo, s39
	s_delay_alu instid0(SALU_CYCLE_1)
	s_and_not1_b32 exec_lo, exec_lo, s39
	s_cbranch_execz .LBB681_43
.LBB681_31:                             ;   Parent Loop BB681_4 Depth=1
                                        ; =>  This Inner Loop Header: Depth=2
	flat_load_u16 v24, v[9:10]
	flat_load_u16 v25, v[11:12]
	s_wait_loadcnt_dscnt 0x101
	v_lshlrev_b32_e32 v24, 16, v24
	s_wait_loadcnt_dscnt 0x0
	v_lshlrev_b32_e32 v25, 16, v25
	s_delay_alu instid0(VALU_DEP_1) | instskip(NEXT) | instid1(VALU_DEP_1)
	v_mul_f32_e32 v24, v25, v24
	v_and_b32_e32 v25, 0x7f800000, v24
	s_delay_alu instid0(VALU_DEP_1)
	v_cmp_ne_u32_e32 vcc_lo, 0x7f800000, v25
                                        ; implicit-def: $vgpr25
	s_and_saveexec_b32 s6, vcc_lo
	s_wait_alu 0xfffe
	s_xor_b32 s6, exec_lo, s6
; %bb.32:                               ;   in Loop: Header=BB681_31 Depth=2
	v_bfe_u32 v25, v24, 16, 1
	s_delay_alu instid0(VALU_DEP_1)
	v_add3_u32 v25, v24, v25, 0x7fff
                                        ; implicit-def: $vgpr24
; %bb.33:                               ;   in Loop: Header=BB681_31 Depth=2
	s_wait_alu 0xfffe
	s_and_not1_saveexec_b32 s6, s6
	s_cbranch_execz .LBB681_30
; %bb.34:                               ;   in Loop: Header=BB681_31 Depth=2
	v_and_b32_e32 v25, 0xffff, v24
	v_or_b32_e32 v26, 0x10000, v24
	s_delay_alu instid0(VALU_DEP_2) | instskip(SKIP_1) | instid1(VALU_DEP_2)
	v_cmp_eq_u32_e32 vcc_lo, 0, v25
	s_wait_alu 0xfffd
	v_cndmask_b32_e32 v25, v26, v24, vcc_lo
	s_branch .LBB681_30
.LBB681_35:                             ;   in Loop: Header=BB681_4 Depth=1
	ds_load_b32 v8, v14
	s_wait_alu 0xfffe
	s_or_b32 exec_lo, exec_lo, s6
	s_and_saveexec_b32 s6, s1
	s_cbranch_execz .LBB681_28
.LBB681_36:                             ;   in Loop: Header=BB681_4 Depth=1
	s_wait_dscnt 0x0
	ds_bpermute_b32 v5, v5, v8
	s_wait_dscnt 0x0
	v_add_f32_e32 v5, v8, v5
	ds_bpermute_b32 v6, v6, v5
	s_wait_dscnt 0x0
	v_add_f32_e32 v5, v5, v6
	;; [unrolled: 3-line block ×3, first 2 shown]
	s_wait_alu 0xfffe
	s_or_b32 exec_lo, exec_lo, s6
                                        ; implicit-def: $vgpr9
	s_and_saveexec_b32 s6, s0
	s_cbranch_execz .LBB681_40
.LBB681_37:                             ;   in Loop: Header=BB681_4 Depth=1
	s_wait_dscnt 0x0
	v_mul_f32_e32 v9, s33, v8
	s_and_not1_b32 vcc_lo, exec_lo, s37
	s_wait_alu 0xfffe
	s_cbranch_vccnz .LBB681_39
; %bb.38:                               ;   in Loop: Header=BB681_4 Depth=1
	v_add_co_u32 v5, vcc_lo, v20, s26
	s_wait_alu 0xfffd
	v_add_co_ci_u32_e64 v6, null, s27, v21, vcc_lo
	flat_load_b32 v5, v[5:6]
	s_wait_loadcnt_dscnt 0x0
	v_fmac_f32_e32 v9, s34, v5
.LBB681_39:                             ;   in Loop: Header=BB681_4 Depth=1
	s_or_b32 s23, s23, exec_lo
.LBB681_40:                             ;   in Loop: Header=BB681_4 Depth=1
	s_wait_alu 0xfffe
	s_or_b32 exec_lo, exec_lo, s6
.LBB681_41:                             ;   in Loop: Header=BB681_4 Depth=1
	s_wait_alu 0xfffe
	s_and_saveexec_b32 s6, s23
	s_cbranch_execz .LBB681_2
; %bb.42:                               ;   in Loop: Header=BB681_4 Depth=1
	v_add_co_u32 v5, vcc_lo, v20, s26
	s_wait_alu 0xfffd
	v_add_co_ci_u32_e64 v6, null, s27, v21, vcc_lo
	flat_store_b32 v[5:6], v9
	s_branch .LBB681_2
.LBB681_43:                             ;   in Loop: Header=BB681_4 Depth=1
	s_or_b32 exec_lo, exec_lo, s39
	s_delay_alu instid0(SALU_CYCLE_1)
	s_or_b32 exec_lo, exec_lo, s38
	s_and_saveexec_b32 s6, s5
	s_cbranch_execz .LBB681_22
.LBB681_44:                             ;   in Loop: Header=BB681_4 Depth=1
	v_add_co_u32 v5, vcc_lo, v5, v3
	s_wait_alu 0xfffd
	v_add_co_ci_u32_e64 v6, null, v6, v4, vcc_lo
	v_add_co_u32 v7, vcc_lo, v7, s30
	s_wait_alu 0xfffd
	v_add_co_ci_u32_e64 v8, null, s31, v8, vcc_lo
	flat_load_u16 v5, v[5:6]
	flat_load_u16 v6, v[7:8]
	s_wait_loadcnt_dscnt 0x101
	v_lshlrev_b32_e32 v5, 16, v5
	s_wait_loadcnt_dscnt 0x0
	v_lshlrev_b32_e32 v6, 16, v6
	s_delay_alu instid0(VALU_DEP_1) | instskip(NEXT) | instid1(VALU_DEP_1)
	v_mul_f32_e32 v5, v6, v5
	v_and_b32_e32 v6, 0x7f800000, v5
	s_delay_alu instid0(VALU_DEP_1) | instskip(SKIP_1) | instid1(SALU_CYCLE_1)
	v_cmp_ne_u32_e32 vcc_lo, 0x7f800000, v6
                                        ; implicit-def: $vgpr6
	s_and_saveexec_b32 s38, vcc_lo
	s_xor_b32 s38, exec_lo, s38
; %bb.45:                               ;   in Loop: Header=BB681_4 Depth=1
	v_bfe_u32 v6, v5, 16, 1
	s_delay_alu instid0(VALU_DEP_1)
	v_add3_u32 v6, v5, v6, 0x7fff
                                        ; implicit-def: $vgpr5
; %bb.46:                               ;   in Loop: Header=BB681_4 Depth=1
	s_and_not1_saveexec_b32 s38, s38
; %bb.47:                               ;   in Loop: Header=BB681_4 Depth=1
	v_and_b32_e32 v6, 0xffff, v5
	v_or_b32_e32 v7, 0x10000, v5
	s_delay_alu instid0(VALU_DEP_2) | instskip(SKIP_1) | instid1(VALU_DEP_2)
	v_cmp_eq_u32_e32 vcc_lo, 0, v6
	s_wait_alu 0xfffd
	v_cndmask_b32_e32 v6, v7, v5, vcc_lo
; %bb.48:                               ;   in Loop: Header=BB681_4 Depth=1
	s_or_b32 exec_lo, exec_lo, s38
	s_delay_alu instid0(VALU_DEP_1) | instskip(NEXT) | instid1(VALU_DEP_1)
	v_and_b32_e32 v5, 0xffff0000, v6
	v_add_f32_e32 v22, v22, v5
	s_wait_alu 0xfffe
	s_or_b32 exec_lo, exec_lo, s6
	s_and_saveexec_b32 s6, s1
	s_cbranch_execnz .LBB681_23
	s_branch .LBB681_24
.LBB681_49:
	s_endpgm
	.section	.rodata,"a",@progbits
	.p2align	6, 0x0
	.amdhsa_kernel _ZL32rocblas_gemvt_warp_reduce_kernelILb0ELi256ElPK16rocblas_bfloat16fKPfEviiT3_lPKT2_lT1_lS8_lS9_lS5_lPT4_lS9_li
		.amdhsa_group_segment_fixed_size 128
		.amdhsa_private_segment_fixed_size 0
		.amdhsa_kernarg_size 140
		.amdhsa_user_sgpr_count 2
		.amdhsa_user_sgpr_dispatch_ptr 0
		.amdhsa_user_sgpr_queue_ptr 0
		.amdhsa_user_sgpr_kernarg_segment_ptr 1
		.amdhsa_user_sgpr_dispatch_id 0
		.amdhsa_user_sgpr_private_segment_size 0
		.amdhsa_wavefront_size32 1
		.amdhsa_uses_dynamic_stack 0
		.amdhsa_enable_private_segment 0
		.amdhsa_system_sgpr_workgroup_id_x 1
		.amdhsa_system_sgpr_workgroup_id_y 0
		.amdhsa_system_sgpr_workgroup_id_z 1
		.amdhsa_system_sgpr_workgroup_info 0
		.amdhsa_system_vgpr_workitem_id 0
		.amdhsa_next_free_vgpr 27
		.amdhsa_next_free_sgpr 40
		.amdhsa_reserve_vcc 1
		.amdhsa_float_round_mode_32 0
		.amdhsa_float_round_mode_16_64 0
		.amdhsa_float_denorm_mode_32 3
		.amdhsa_float_denorm_mode_16_64 3
		.amdhsa_fp16_overflow 0
		.amdhsa_workgroup_processor_mode 1
		.amdhsa_memory_ordered 1
		.amdhsa_forward_progress 1
		.amdhsa_inst_pref_size 16
		.amdhsa_round_robin_scheduling 0
		.amdhsa_exception_fp_ieee_invalid_op 0
		.amdhsa_exception_fp_denorm_src 0
		.amdhsa_exception_fp_ieee_div_zero 0
		.amdhsa_exception_fp_ieee_overflow 0
		.amdhsa_exception_fp_ieee_underflow 0
		.amdhsa_exception_fp_ieee_inexact 0
		.amdhsa_exception_int_div_zero 0
	.end_amdhsa_kernel
	.section	.text._ZL32rocblas_gemvt_warp_reduce_kernelILb0ELi256ElPK16rocblas_bfloat16fKPfEviiT3_lPKT2_lT1_lS8_lS9_lS5_lPT4_lS9_li,"axG",@progbits,_ZL32rocblas_gemvt_warp_reduce_kernelILb0ELi256ElPK16rocblas_bfloat16fKPfEviiT3_lPKT2_lT1_lS8_lS9_lS5_lPT4_lS9_li,comdat
.Lfunc_end681:
	.size	_ZL32rocblas_gemvt_warp_reduce_kernelILb0ELi256ElPK16rocblas_bfloat16fKPfEviiT3_lPKT2_lT1_lS8_lS9_lS5_lPT4_lS9_li, .Lfunc_end681-_ZL32rocblas_gemvt_warp_reduce_kernelILb0ELi256ElPK16rocblas_bfloat16fKPfEviiT3_lPKT2_lT1_lS8_lS9_lS5_lPT4_lS9_li
                                        ; -- End function
	.set _ZL32rocblas_gemvt_warp_reduce_kernelILb0ELi256ElPK16rocblas_bfloat16fKPfEviiT3_lPKT2_lT1_lS8_lS9_lS5_lPT4_lS9_li.num_vgpr, 27
	.set _ZL32rocblas_gemvt_warp_reduce_kernelILb0ELi256ElPK16rocblas_bfloat16fKPfEviiT3_lPKT2_lT1_lS8_lS9_lS5_lPT4_lS9_li.num_agpr, 0
	.set _ZL32rocblas_gemvt_warp_reduce_kernelILb0ELi256ElPK16rocblas_bfloat16fKPfEviiT3_lPKT2_lT1_lS8_lS9_lS5_lPT4_lS9_li.numbered_sgpr, 40
	.set _ZL32rocblas_gemvt_warp_reduce_kernelILb0ELi256ElPK16rocblas_bfloat16fKPfEviiT3_lPKT2_lT1_lS8_lS9_lS5_lPT4_lS9_li.num_named_barrier, 0
	.set _ZL32rocblas_gemvt_warp_reduce_kernelILb0ELi256ElPK16rocblas_bfloat16fKPfEviiT3_lPKT2_lT1_lS8_lS9_lS5_lPT4_lS9_li.private_seg_size, 0
	.set _ZL32rocblas_gemvt_warp_reduce_kernelILb0ELi256ElPK16rocblas_bfloat16fKPfEviiT3_lPKT2_lT1_lS8_lS9_lS5_lPT4_lS9_li.uses_vcc, 1
	.set _ZL32rocblas_gemvt_warp_reduce_kernelILb0ELi256ElPK16rocblas_bfloat16fKPfEviiT3_lPKT2_lT1_lS8_lS9_lS5_lPT4_lS9_li.uses_flat_scratch, 0
	.set _ZL32rocblas_gemvt_warp_reduce_kernelILb0ELi256ElPK16rocblas_bfloat16fKPfEviiT3_lPKT2_lT1_lS8_lS9_lS5_lPT4_lS9_li.has_dyn_sized_stack, 0
	.set _ZL32rocblas_gemvt_warp_reduce_kernelILb0ELi256ElPK16rocblas_bfloat16fKPfEviiT3_lPKT2_lT1_lS8_lS9_lS5_lPT4_lS9_li.has_recursion, 0
	.set _ZL32rocblas_gemvt_warp_reduce_kernelILb0ELi256ElPK16rocblas_bfloat16fKPfEviiT3_lPKT2_lT1_lS8_lS9_lS5_lPT4_lS9_li.has_indirect_call, 0
	.section	.AMDGPU.csdata,"",@progbits
; Kernel info:
; codeLenInByte = 1936
; TotalNumSgprs: 42
; NumVgprs: 27
; ScratchSize: 0
; MemoryBound: 0
; FloatMode: 240
; IeeeMode: 1
; LDSByteSize: 128 bytes/workgroup (compile time only)
; SGPRBlocks: 0
; VGPRBlocks: 3
; NumSGPRsForWavesPerEU: 42
; NumVGPRsForWavesPerEU: 27
; Occupancy: 16
; WaveLimiterHint : 1
; COMPUTE_PGM_RSRC2:SCRATCH_EN: 0
; COMPUTE_PGM_RSRC2:USER_SGPR: 2
; COMPUTE_PGM_RSRC2:TRAP_HANDLER: 0
; COMPUTE_PGM_RSRC2:TGID_X_EN: 1
; COMPUTE_PGM_RSRC2:TGID_Y_EN: 0
; COMPUTE_PGM_RSRC2:TGID_Z_EN: 1
; COMPUTE_PGM_RSRC2:TIDIG_COMP_CNT: 0
	.section	.text._ZL20rocblas_gemvt_kernelILb0ELi256EPK16rocblas_bfloat16PKfKPfEviiT2_lPKT1_lilSA_lilS7_lPT3_lili,"axG",@progbits,_ZL20rocblas_gemvt_kernelILb0ELi256EPK16rocblas_bfloat16PKfKPfEviiT2_lPKT1_lilSA_lilS7_lPT3_lili,comdat
	.globl	_ZL20rocblas_gemvt_kernelILb0ELi256EPK16rocblas_bfloat16PKfKPfEviiT2_lPKT1_lilSA_lilS7_lPT3_lili ; -- Begin function _ZL20rocblas_gemvt_kernelILb0ELi256EPK16rocblas_bfloat16PKfKPfEviiT2_lPKT1_lilSA_lilS7_lPT3_lili
	.p2align	8
	.type	_ZL20rocblas_gemvt_kernelILb0ELi256EPK16rocblas_bfloat16PKfKPfEviiT2_lPKT1_lilSA_lilS7_lPT3_lili,@function
_ZL20rocblas_gemvt_kernelILb0ELi256EPK16rocblas_bfloat16PKfKPfEviiT2_lPKT1_lilSA_lilS7_lPT3_lili: ; @_ZL20rocblas_gemvt_kernelILb0ELi256EPK16rocblas_bfloat16PKfKPfEviiT2_lPKT1_lilSA_lilS7_lPT3_lili
; %bb.0:
	s_load_b32 s11, s[0:1], 0x88
	s_lshr_b32 s34, ttmp7, 16
	s_wait_kmcnt 0x0
	s_cmp_ge_u32 s34, s11
	s_cbranch_scc1 .LBB682_53
; %bb.1:
	s_clause 0x6
	s_load_b32 s4, s[0:1], 0x28
	s_load_b32 s38, s[0:1], 0x48
	;; [unrolled: 1-line block ×4, first 2 shown]
	s_load_b128 s[28:31], s[0:1], 0x38
	s_load_b256 s[12:19], s[0:1], 0x8
	s_load_b256 s[20:27], s[0:1], 0x58
	s_mov_b32 s2, ttmp9
	s_ashr_i32 s3, ttmp9, 31
	v_cmp_eq_u32_e64 s0, 0, v0
	v_dual_mov_b32 v12, 0 :: v_dual_lshlrev_b32 v13, 2, v0
	v_cmp_gt_u32_e64 s1, 0x80, v0
	s_mov_b32 s35, 0
	s_wait_kmcnt 0x0
	s_ashr_i32 s5, s4, 31
	v_mad_co_i64_i32 v[1:2], null, s38, v0, 0
	s_ashr_i32 s9, s8, 31
	s_ashr_i32 s7, s6, 31
	s_lshr_b32 s9, s9, 24
	v_cmp_gt_i32_e32 vcc_lo, s8, v0
	s_add_co_i32 s9, s8, s9
	s_mul_u64 s[40:41], s[6:7], s[2:3]
	s_wait_alu 0xfffe
	s_and_b32 s36, s9, 0xffffff00
	s_mul_u64 s[42:43], s[4:5], s[2:3]
	v_or_b32_e32 v3, s36, v0
	v_cndmask_b32_e32 v5, 0, v0, vcc_lo
	s_ashr_i32 s39, s38, 31
	s_cmp_gt_i32 s8, 0xff
	v_cmp_gt_u32_e64 s3, 64, v0
	v_cmp_gt_i32_e64 s2, s8, v3
	v_mad_co_i64_i32 v[3:4], null, s38, v3, 0
	v_cmp_gt_u32_e64 s4, 32, v0
	v_cmp_gt_u32_e64 s5, 16, v0
	;; [unrolled: 1-line block ×5, first 2 shown]
	v_lshlrev_b64_e32 v[0:1], 1, v[1:2]
	v_lshlrev_b64_e32 v[2:3], 1, v[3:4]
	v_lshlrev_b32_e32 v14, 1, v5
	s_cselect_b32 s33, -1, 0
	s_ashr_i32 s37, s36, 31
	s_wait_alu 0xfffe
	s_lshl_b64 s[38:39], s[38:39], 9
	s_lshl_b64 s[18:19], s[18:19], 1
	;; [unrolled: 1-line block ×7, first 2 shown]
	s_branch .LBB682_4
.LBB682_2:                              ;   in Loop: Header=BB682_4 Depth=1
	s_or_b32 exec_lo, exec_lo, s10
.LBB682_3:                              ;   in Loop: Header=BB682_4 Depth=1
	s_add_co_i32 s34, s34, 0x10000
	s_delay_alu instid0(SALU_CYCLE_1)
	s_cmp_lt_u32 s34, s11
	s_cbranch_scc0 .LBB682_53
.LBB682_4:                              ; =>This Loop Header: Depth=1
                                        ;     Child Loop BB682_20 Depth 2
	s_mul_u64 s[46:47], s[14:15], s[34:35]
	s_mul_u64 s[48:49], s[22:23], s[34:35]
	s_lshl_b64 s[46:47], s[46:47], 2
	s_lshl_b64 s[48:49], s[48:49], 2
	s_add_nc_u64 s[46:47], s[12:13], s[46:47]
	s_add_nc_u64 s[48:49], s[20:21], s[48:49]
	s_clause 0x1
	global_load_b32 v15, v12, s[46:47]
	global_load_b32 v4, v12, s[48:49]
	s_wait_loadcnt 0x1
	v_cmp_eq_f32_e64 s9, 0, v15
	s_wait_loadcnt 0x0
	v_cmp_eq_f32_e32 vcc_lo, 1.0, v4
	v_readfirstlane_b32 s37, v4
	s_and_b32 s10, s9, vcc_lo
	s_delay_alu instid0(SALU_CYCLE_1)
	s_and_b32 vcc_lo, exec_lo, s10
	s_wait_alu 0xfffe
	s_cbranch_vccnz .LBB682_3
; %bb.5:                                ;   in Loop: Header=BB682_4 Depth=1
	v_mov_b32_e32 v4, 0
	v_dual_mov_b32 v5, 0 :: v_dual_mov_b32 v6, 0
	v_cmp_neq_f32_e64 s10, 0, v15
	v_mov_b32_e32 v7, 0
	s_and_b32 vcc_lo, exec_lo, s9
	s_wait_alu 0xfffe
	s_cbranch_vccnz .LBB682_7
; %bb.6:                                ;   in Loop: Header=BB682_4 Depth=1
	s_lshl_b64 s[46:47], s[34:35], 3
	s_delay_alu instid0(SALU_CYCLE_1)
	s_add_nc_u64 s[46:47], s[16:17], s[46:47]
	global_load_b64 v[6:7], v12, s[46:47]
	s_wait_loadcnt 0x0
	v_add_co_u32 v6, vcc_lo, v6, s18
	s_wait_alu 0xfffd
	v_add_co_ci_u32_e64 v7, null, s19, v7, vcc_lo
.LBB682_7:                              ;   in Loop: Header=BB682_4 Depth=1
	s_and_not1_b32 vcc_lo, exec_lo, s10
	s_wait_alu 0xfffe
	s_cbranch_vccnz .LBB682_9
; %bb.8:                                ;   in Loop: Header=BB682_4 Depth=1
	s_lshl_b64 s[46:47], s[34:35], 3
	s_delay_alu instid0(SALU_CYCLE_1)
	s_add_nc_u64 s[46:47], s[28:29], s[46:47]
	global_load_b64 v[4:5], v12, s[46:47]
	s_wait_loadcnt 0x0
	v_add_co_u32 v4, vcc_lo, v4, s30
	s_wait_alu 0xfffd
	v_add_co_ci_u32_e64 v5, null, s31, v5, vcc_lo
.LBB682_9:                              ;   in Loop: Header=BB682_4 Depth=1
	s_lshl_b64 s[46:47], s[34:35], 3
	s_delay_alu instid0(SALU_CYCLE_1)
	s_add_nc_u64 s[46:47], s[24:25], s[46:47]
	global_load_b64 v[8:9], v12, s[46:47]
	s_wait_loadcnt 0x0
	v_add_co_u32 v16, vcc_lo, v8, s26
	s_wait_alu 0xfffd
	v_add_co_ci_u32_e64 v17, null, s27, v9, vcc_lo
	s_and_not1_b32 vcc_lo, exec_lo, s9
	s_wait_alu 0xfffe
	s_cbranch_vccnz .LBB682_13
; %bb.10:                               ;   in Loop: Header=BB682_4 Depth=1
	s_mov_b32 s10, 0
	s_mov_b32 s9, 0
                                        ; implicit-def: $vgpr8
	s_and_saveexec_b32 s46, s0
	s_cbranch_execz .LBB682_14
; %bb.11:                               ;   in Loop: Header=BB682_4 Depth=1
	s_cmp_eq_f32 s37, 0
	s_cbranch_scc1 .LBB682_15
; %bb.12:                               ;   in Loop: Header=BB682_4 Depth=1
	v_add_co_u32 v8, vcc_lo, v16, s40
	s_wait_alu 0xfffd
	v_add_co_ci_u32_e64 v9, null, s41, v17, vcc_lo
	flat_load_b32 v8, v[8:9]
	s_wait_loadcnt_dscnt 0x0
	v_mul_f32_e32 v8, s37, v8
	s_branch .LBB682_16
.LBB682_13:                             ;   in Loop: Header=BB682_4 Depth=1
	s_mov_b32 s9, 0
                                        ; implicit-def: $vgpr8
	s_cbranch_execnz .LBB682_17
	s_branch .LBB682_51
.LBB682_14:                             ;   in Loop: Header=BB682_4 Depth=1
	s_or_b32 exec_lo, exec_lo, s46
	s_delay_alu instid0(SALU_CYCLE_1)
	s_and_b32 vcc_lo, exec_lo, s10
	s_wait_alu 0xfffe
	s_cbranch_vccnz .LBB682_17
	s_branch .LBB682_51
.LBB682_15:                             ;   in Loop: Header=BB682_4 Depth=1
	v_mov_b32_e32 v8, 0
.LBB682_16:                             ;   in Loop: Header=BB682_4 Depth=1
	s_mov_b32 s9, exec_lo
	s_or_b32 exec_lo, exec_lo, s46
	s_delay_alu instid0(SALU_CYCLE_1)
	s_and_b32 vcc_lo, exec_lo, s10
	s_wait_alu 0xfffe
	s_cbranch_vccz .LBB682_51
.LBB682_17:                             ;   in Loop: Header=BB682_4 Depth=1
	v_add_co_u32 v6, vcc_lo, v6, v14
	s_wait_alu 0xfffd
	v_add_co_ci_u32_e64 v7, null, 0, v7, vcc_lo
	v_mov_b32_e32 v18, 0
	s_delay_alu instid0(VALU_DEP_3) | instskip(SKIP_1) | instid1(VALU_DEP_3)
	v_add_co_u32 v6, vcc_lo, v6, s42
	s_wait_alu 0xfffd
	v_add_co_ci_u32_e64 v7, null, s43, v7, vcc_lo
	s_and_not1_b32 vcc_lo, exec_lo, s33
	s_wait_alu 0xfffe
	s_cbranch_vccnz .LBB682_24
; %bb.18:                               ;   in Loop: Header=BB682_4 Depth=1
	v_add_co_u32 v8, vcc_lo, v4, v0
	v_dual_mov_b32 v18, 0 :: v_dual_mov_b32 v11, v7
	s_wait_alu 0xfffd
	v_add_co_ci_u32_e64 v9, null, v5, v1, vcc_lo
	v_mov_b32_e32 v10, v6
	s_mov_b32 s10, 0
	s_branch .LBB682_20
.LBB682_19:                             ;   in Loop: Header=BB682_20 Depth=2
	s_or_b32 exec_lo, exec_lo, s46
	s_delay_alu instid0(VALU_DEP_1)
	v_and_b32_e32 v19, 0xffff0000, v20
	v_add_co_u32 v8, vcc_lo, v8, s38
	s_wait_alu 0xfffd
	v_add_co_ci_u32_e64 v9, null, s39, v9, vcc_lo
	v_add_co_u32 v10, vcc_lo, 0x200, v10
	v_add_f32_e32 v18, v18, v19
	s_wait_alu 0xfffd
	v_add_co_ci_u32_e64 v11, null, 0, v11, vcc_lo
	s_addk_co_i32 s10, 0x100
	s_delay_alu instid0(SALU_CYCLE_1)
	s_cmp_ge_i32 s10, s36
	s_cbranch_scc1 .LBB682_24
.LBB682_20:                             ;   Parent Loop BB682_4 Depth=1
                                        ; =>  This Inner Loop Header: Depth=2
	flat_load_u16 v19, v[8:9]
	flat_load_u16 v20, v[10:11]
	s_wait_loadcnt_dscnt 0x101
	v_lshlrev_b32_e32 v19, 16, v19
	s_wait_loadcnt_dscnt 0x0
	v_lshlrev_b32_e32 v20, 16, v20
	s_delay_alu instid0(VALU_DEP_1) | instskip(NEXT) | instid1(VALU_DEP_1)
	v_mul_f32_e32 v19, v20, v19
	v_and_b32_e32 v20, 0x7f800000, v19
	s_delay_alu instid0(VALU_DEP_1) | instskip(SKIP_1) | instid1(SALU_CYCLE_1)
	v_cmp_ne_u32_e32 vcc_lo, 0x7f800000, v20
                                        ; implicit-def: $vgpr20
	s_and_saveexec_b32 s46, vcc_lo
	s_xor_b32 s46, exec_lo, s46
; %bb.21:                               ;   in Loop: Header=BB682_20 Depth=2
	v_bfe_u32 v20, v19, 16, 1
	s_delay_alu instid0(VALU_DEP_1)
	v_add3_u32 v20, v19, v20, 0x7fff
                                        ; implicit-def: $vgpr19
; %bb.22:                               ;   in Loop: Header=BB682_20 Depth=2
	s_and_not1_saveexec_b32 s46, s46
	s_cbranch_execz .LBB682_19
; %bb.23:                               ;   in Loop: Header=BB682_20 Depth=2
	v_and_b32_e32 v20, 0xffff, v19
	v_or_b32_e32 v21, 0x10000, v19
	s_delay_alu instid0(VALU_DEP_2) | instskip(SKIP_1) | instid1(VALU_DEP_2)
	v_cmp_eq_u32_e32 vcc_lo, 0, v20
	s_wait_alu 0xfffd
	v_cndmask_b32_e32 v20, v21, v19, vcc_lo
	s_branch .LBB682_19
.LBB682_24:                             ;   in Loop: Header=BB682_4 Depth=1
	s_and_saveexec_b32 s10, s2
	s_cbranch_execz .LBB682_30
; %bb.25:                               ;   in Loop: Header=BB682_4 Depth=1
	v_add_co_u32 v4, vcc_lo, v4, v2
	s_wait_alu 0xfffd
	v_add_co_ci_u32_e64 v5, null, v5, v3, vcc_lo
	v_add_co_u32 v6, vcc_lo, v6, s44
	s_wait_alu 0xfffd
	v_add_co_ci_u32_e64 v7, null, s45, v7, vcc_lo
	flat_load_u16 v4, v[4:5]
	flat_load_u16 v5, v[6:7]
	s_wait_loadcnt_dscnt 0x101
	v_lshlrev_b32_e32 v4, 16, v4
	s_wait_loadcnt_dscnt 0x0
	v_lshlrev_b32_e32 v5, 16, v5
	s_delay_alu instid0(VALU_DEP_1) | instskip(NEXT) | instid1(VALU_DEP_1)
	v_mul_f32_e32 v4, v5, v4
	v_and_b32_e32 v5, 0x7f800000, v4
	s_delay_alu instid0(VALU_DEP_1) | instskip(SKIP_1) | instid1(SALU_CYCLE_1)
	v_cmp_ne_u32_e32 vcc_lo, 0x7f800000, v5
                                        ; implicit-def: $vgpr5
	s_and_saveexec_b32 s46, vcc_lo
	s_xor_b32 s46, exec_lo, s46
; %bb.26:                               ;   in Loop: Header=BB682_4 Depth=1
	v_bfe_u32 v5, v4, 16, 1
	s_delay_alu instid0(VALU_DEP_1)
	v_add3_u32 v5, v4, v5, 0x7fff
                                        ; implicit-def: $vgpr4
; %bb.27:                               ;   in Loop: Header=BB682_4 Depth=1
	s_and_not1_saveexec_b32 s46, s46
; %bb.28:                               ;   in Loop: Header=BB682_4 Depth=1
	v_and_b32_e32 v5, 0xffff, v4
	v_or_b32_e32 v6, 0x10000, v4
	s_delay_alu instid0(VALU_DEP_2) | instskip(SKIP_1) | instid1(VALU_DEP_2)
	v_cmp_eq_u32_e32 vcc_lo, 0, v5
	s_wait_alu 0xfffd
	v_cndmask_b32_e32 v5, v6, v4, vcc_lo
; %bb.29:                               ;   in Loop: Header=BB682_4 Depth=1
	s_or_b32 exec_lo, exec_lo, s46
	s_delay_alu instid0(VALU_DEP_1) | instskip(NEXT) | instid1(VALU_DEP_1)
	v_and_b32_e32 v4, 0xffff0000, v5
	v_add_f32_e32 v18, v18, v4
.LBB682_30:                             ;   in Loop: Header=BB682_4 Depth=1
	s_or_b32 exec_lo, exec_lo, s10
	ds_store_b32 v13, v18
	s_wait_dscnt 0x0
	s_barrier_signal -1
	s_barrier_wait -1
	global_inv scope:SCOPE_SE
	s_and_saveexec_b32 s10, s1
	s_cbranch_execz .LBB682_32
; %bb.31:                               ;   in Loop: Header=BB682_4 Depth=1
	ds_load_2addr_stride64_b32 v[4:5], v13 offset1:2
	s_wait_dscnt 0x0
	v_add_f32_e32 v4, v5, v4
	ds_store_b32 v13, v4
.LBB682_32:                             ;   in Loop: Header=BB682_4 Depth=1
	s_or_b32 exec_lo, exec_lo, s10
	s_wait_loadcnt_dscnt 0x0
	s_barrier_signal -1
	s_barrier_wait -1
	global_inv scope:SCOPE_SE
	s_and_saveexec_b32 s10, s3
	s_cbranch_execz .LBB682_34
; %bb.33:                               ;   in Loop: Header=BB682_4 Depth=1
	ds_load_2addr_stride64_b32 v[4:5], v13 offset1:1
	s_wait_dscnt 0x0
	v_add_f32_e32 v4, v5, v4
	ds_store_b32 v13, v4
.LBB682_34:                             ;   in Loop: Header=BB682_4 Depth=1
	s_or_b32 exec_lo, exec_lo, s10
	s_wait_loadcnt_dscnt 0x0
	s_barrier_signal -1
	s_barrier_wait -1
	global_inv scope:SCOPE_SE
	s_and_saveexec_b32 s10, s4
	s_cbranch_execz .LBB682_36
; %bb.35:                               ;   in Loop: Header=BB682_4 Depth=1
	ds_load_2addr_b32 v[4:5], v13 offset1:32
	s_wait_dscnt 0x0
	v_add_f32_e32 v4, v5, v4
	ds_store_b32 v13, v4
.LBB682_36:                             ;   in Loop: Header=BB682_4 Depth=1
	s_or_b32 exec_lo, exec_lo, s10
	s_wait_loadcnt_dscnt 0x0
	s_barrier_signal -1
	s_barrier_wait -1
	global_inv scope:SCOPE_SE
	s_and_saveexec_b32 s10, s5
	s_cbranch_execz .LBB682_38
; %bb.37:                               ;   in Loop: Header=BB682_4 Depth=1
	ds_load_2addr_b32 v[4:5], v13 offset1:16
	s_wait_dscnt 0x0
	v_add_f32_e32 v4, v5, v4
	ds_store_b32 v13, v4
.LBB682_38:                             ;   in Loop: Header=BB682_4 Depth=1
	s_or_b32 exec_lo, exec_lo, s10
	s_wait_loadcnt_dscnt 0x0
	s_barrier_signal -1
	s_barrier_wait -1
	global_inv scope:SCOPE_SE
	s_and_saveexec_b32 s10, s6
	s_cbranch_execz .LBB682_40
; %bb.39:                               ;   in Loop: Header=BB682_4 Depth=1
	ds_load_2addr_b32 v[4:5], v13 offset1:8
	s_wait_dscnt 0x0
	v_add_f32_e32 v4, v5, v4
	ds_store_b32 v13, v4
.LBB682_40:                             ;   in Loop: Header=BB682_4 Depth=1
	s_or_b32 exec_lo, exec_lo, s10
	s_wait_loadcnt_dscnt 0x0
	s_barrier_signal -1
	s_barrier_wait -1
	global_inv scope:SCOPE_SE
	s_and_saveexec_b32 s10, s7
	s_cbranch_execz .LBB682_42
; %bb.41:                               ;   in Loop: Header=BB682_4 Depth=1
	ds_load_2addr_b32 v[4:5], v13 offset1:4
	s_wait_dscnt 0x0
	v_add_f32_e32 v4, v5, v4
	ds_store_b32 v13, v4
.LBB682_42:                             ;   in Loop: Header=BB682_4 Depth=1
	s_or_b32 exec_lo, exec_lo, s10
	s_wait_loadcnt_dscnt 0x0
	s_barrier_signal -1
	s_barrier_wait -1
	global_inv scope:SCOPE_SE
	s_and_saveexec_b32 s10, s8
	s_cbranch_execz .LBB682_44
; %bb.43:                               ;   in Loop: Header=BB682_4 Depth=1
	ds_load_2addr_b32 v[4:5], v13 offset1:2
	s_wait_dscnt 0x0
	v_add_f32_e32 v4, v5, v4
	ds_store_b32 v13, v4
.LBB682_44:                             ;   in Loop: Header=BB682_4 Depth=1
	s_or_b32 exec_lo, exec_lo, s10
	s_wait_loadcnt_dscnt 0x0
	s_barrier_signal -1
	s_barrier_wait -1
	global_inv scope:SCOPE_SE
	s_and_saveexec_b32 s10, s0
	s_cbranch_execz .LBB682_46
; %bb.45:                               ;   in Loop: Header=BB682_4 Depth=1
	ds_load_b64 v[4:5], v12
	s_wait_dscnt 0x0
	v_add_f32_e32 v4, v5, v4
	ds_store_b32 v12, v4
.LBB682_46:                             ;   in Loop: Header=BB682_4 Depth=1
	s_or_b32 exec_lo, exec_lo, s10
	s_wait_loadcnt_dscnt 0x0
	s_barrier_signal -1
	s_barrier_wait -1
	global_inv scope:SCOPE_SE
                                        ; implicit-def: $vgpr8
	s_and_saveexec_b32 s10, s0
	s_cbranch_execz .LBB682_50
; %bb.47:                               ;   in Loop: Header=BB682_4 Depth=1
	ds_load_b32 v4, v12
	s_cmp_eq_f32 s37, 0
	s_wait_dscnt 0x0
	v_mul_f32_e32 v8, v15, v4
	s_cbranch_scc1 .LBB682_49
; %bb.48:                               ;   in Loop: Header=BB682_4 Depth=1
	v_add_co_u32 v4, vcc_lo, v16, s40
	s_wait_alu 0xfffd
	v_add_co_ci_u32_e64 v5, null, s41, v17, vcc_lo
	flat_load_b32 v4, v[4:5]
	s_wait_loadcnt_dscnt 0x0
	v_fmac_f32_e32 v8, s37, v4
.LBB682_49:                             ;   in Loop: Header=BB682_4 Depth=1
	s_or_b32 s9, s9, exec_lo
.LBB682_50:                             ;   in Loop: Header=BB682_4 Depth=1
	s_or_b32 exec_lo, exec_lo, s10
.LBB682_51:                             ;   in Loop: Header=BB682_4 Depth=1
	s_wait_alu 0xfffe
	s_and_saveexec_b32 s10, s9
	s_cbranch_execz .LBB682_2
; %bb.52:                               ;   in Loop: Header=BB682_4 Depth=1
	v_add_co_u32 v4, vcc_lo, v16, s40
	s_wait_alu 0xfffd
	v_add_co_ci_u32_e64 v5, null, s41, v17, vcc_lo
	flat_store_b32 v[4:5], v8
	s_branch .LBB682_2
.LBB682_53:
	s_endpgm
	.section	.rodata,"a",@progbits
	.p2align	6, 0x0
	.amdhsa_kernel _ZL20rocblas_gemvt_kernelILb0ELi256EPK16rocblas_bfloat16PKfKPfEviiT2_lPKT1_lilSA_lilS7_lPT3_lili
		.amdhsa_group_segment_fixed_size 1024
		.amdhsa_private_segment_fixed_size 0
		.amdhsa_kernarg_size 140
		.amdhsa_user_sgpr_count 2
		.amdhsa_user_sgpr_dispatch_ptr 0
		.amdhsa_user_sgpr_queue_ptr 0
		.amdhsa_user_sgpr_kernarg_segment_ptr 1
		.amdhsa_user_sgpr_dispatch_id 0
		.amdhsa_user_sgpr_private_segment_size 0
		.amdhsa_wavefront_size32 1
		.amdhsa_uses_dynamic_stack 0
		.amdhsa_enable_private_segment 0
		.amdhsa_system_sgpr_workgroup_id_x 1
		.amdhsa_system_sgpr_workgroup_id_y 0
		.amdhsa_system_sgpr_workgroup_id_z 1
		.amdhsa_system_sgpr_workgroup_info 0
		.amdhsa_system_vgpr_workitem_id 0
		.amdhsa_next_free_vgpr 22
		.amdhsa_next_free_sgpr 50
		.amdhsa_reserve_vcc 1
		.amdhsa_float_round_mode_32 0
		.amdhsa_float_round_mode_16_64 0
		.amdhsa_float_denorm_mode_32 3
		.amdhsa_float_denorm_mode_16_64 3
		.amdhsa_fp16_overflow 0
		.amdhsa_workgroup_processor_mode 1
		.amdhsa_memory_ordered 1
		.amdhsa_forward_progress 1
		.amdhsa_inst_pref_size 16
		.amdhsa_round_robin_scheduling 0
		.amdhsa_exception_fp_ieee_invalid_op 0
		.amdhsa_exception_fp_denorm_src 0
		.amdhsa_exception_fp_ieee_div_zero 0
		.amdhsa_exception_fp_ieee_overflow 0
		.amdhsa_exception_fp_ieee_underflow 0
		.amdhsa_exception_fp_ieee_inexact 0
		.amdhsa_exception_int_div_zero 0
	.end_amdhsa_kernel
	.section	.text._ZL20rocblas_gemvt_kernelILb0ELi256EPK16rocblas_bfloat16PKfKPfEviiT2_lPKT1_lilSA_lilS7_lPT3_lili,"axG",@progbits,_ZL20rocblas_gemvt_kernelILb0ELi256EPK16rocblas_bfloat16PKfKPfEviiT2_lPKT1_lilSA_lilS7_lPT3_lili,comdat
.Lfunc_end682:
	.size	_ZL20rocblas_gemvt_kernelILb0ELi256EPK16rocblas_bfloat16PKfKPfEviiT2_lPKT1_lilSA_lilS7_lPT3_lili, .Lfunc_end682-_ZL20rocblas_gemvt_kernelILb0ELi256EPK16rocblas_bfloat16PKfKPfEviiT2_lPKT1_lilSA_lilS7_lPT3_lili
                                        ; -- End function
	.set _ZL20rocblas_gemvt_kernelILb0ELi256EPK16rocblas_bfloat16PKfKPfEviiT2_lPKT1_lilSA_lilS7_lPT3_lili.num_vgpr, 22
	.set _ZL20rocblas_gemvt_kernelILb0ELi256EPK16rocblas_bfloat16PKfKPfEviiT2_lPKT1_lilSA_lilS7_lPT3_lili.num_agpr, 0
	.set _ZL20rocblas_gemvt_kernelILb0ELi256EPK16rocblas_bfloat16PKfKPfEviiT2_lPKT1_lilSA_lilS7_lPT3_lili.numbered_sgpr, 50
	.set _ZL20rocblas_gemvt_kernelILb0ELi256EPK16rocblas_bfloat16PKfKPfEviiT2_lPKT1_lilSA_lilS7_lPT3_lili.num_named_barrier, 0
	.set _ZL20rocblas_gemvt_kernelILb0ELi256EPK16rocblas_bfloat16PKfKPfEviiT2_lPKT1_lilSA_lilS7_lPT3_lili.private_seg_size, 0
	.set _ZL20rocblas_gemvt_kernelILb0ELi256EPK16rocblas_bfloat16PKfKPfEviiT2_lPKT1_lilSA_lilS7_lPT3_lili.uses_vcc, 1
	.set _ZL20rocblas_gemvt_kernelILb0ELi256EPK16rocblas_bfloat16PKfKPfEviiT2_lPKT1_lilSA_lilS7_lPT3_lili.uses_flat_scratch, 0
	.set _ZL20rocblas_gemvt_kernelILb0ELi256EPK16rocblas_bfloat16PKfKPfEviiT2_lPKT1_lilSA_lilS7_lPT3_lili.has_dyn_sized_stack, 0
	.set _ZL20rocblas_gemvt_kernelILb0ELi256EPK16rocblas_bfloat16PKfKPfEviiT2_lPKT1_lilSA_lilS7_lPT3_lili.has_recursion, 0
	.set _ZL20rocblas_gemvt_kernelILb0ELi256EPK16rocblas_bfloat16PKfKPfEviiT2_lPKT1_lilSA_lilS7_lPT3_lili.has_indirect_call, 0
	.section	.AMDGPU.csdata,"",@progbits
; Kernel info:
; codeLenInByte = 1952
; TotalNumSgprs: 52
; NumVgprs: 22
; ScratchSize: 0
; MemoryBound: 0
; FloatMode: 240
; IeeeMode: 1
; LDSByteSize: 1024 bytes/workgroup (compile time only)
; SGPRBlocks: 0
; VGPRBlocks: 2
; NumSGPRsForWavesPerEU: 52
; NumVGPRsForWavesPerEU: 22
; Occupancy: 16
; WaveLimiterHint : 1
; COMPUTE_PGM_RSRC2:SCRATCH_EN: 0
; COMPUTE_PGM_RSRC2:USER_SGPR: 2
; COMPUTE_PGM_RSRC2:TRAP_HANDLER: 0
; COMPUTE_PGM_RSRC2:TGID_X_EN: 1
; COMPUTE_PGM_RSRC2:TGID_Y_EN: 0
; COMPUTE_PGM_RSRC2:TGID_Z_EN: 1
; COMPUTE_PGM_RSRC2:TIDIG_COMP_CNT: 0
	.section	.text._ZL20rocblas_gemvt_kernelILb0ELi256EPK16rocblas_bfloat16fKPfEviiT2_lPKT1_lilS8_lilS5_lPT3_lili,"axG",@progbits,_ZL20rocblas_gemvt_kernelILb0ELi256EPK16rocblas_bfloat16fKPfEviiT2_lPKT1_lilS8_lilS5_lPT3_lili,comdat
	.globl	_ZL20rocblas_gemvt_kernelILb0ELi256EPK16rocblas_bfloat16fKPfEviiT2_lPKT1_lilS8_lilS5_lPT3_lili ; -- Begin function _ZL20rocblas_gemvt_kernelILb0ELi256EPK16rocblas_bfloat16fKPfEviiT2_lPKT1_lilS8_lilS5_lPT3_lili
	.p2align	8
	.type	_ZL20rocblas_gemvt_kernelILb0ELi256EPK16rocblas_bfloat16fKPfEviiT2_lPKT1_lilS8_lilS5_lPT3_lili,@function
_ZL20rocblas_gemvt_kernelILb0ELi256EPK16rocblas_bfloat16fKPfEviiT2_lPKT1_lilS8_lilS5_lPT3_lili: ; @_ZL20rocblas_gemvt_kernelILb0ELi256EPK16rocblas_bfloat16fKPfEviiT2_lPKT1_lilS8_lilS5_lPT3_lili
; %bb.0:
	s_load_b32 s33, s[0:1], 0x88
	s_lshr_b32 s10, ttmp7, 16
	s_wait_kmcnt 0x0
	s_cmp_ge_u32 s10, s33
	s_cbranch_scc1 .LBB683_56
; %bb.1:
	s_clause 0x8
	s_load_b32 s26, s[0:1], 0x28
	s_load_b32 s28, s[0:1], 0x48
	;; [unrolled: 1-line block ×6, first 2 shown]
	s_load_b128 s[12:15], s[0:1], 0x18
	s_load_b128 s[16:19], s[0:1], 0x38
	;; [unrolled: 1-line block ×3, first 2 shown]
	v_cmp_eq_u32_e64 s0, 0, v0
	v_dual_mov_b32 v13, 0 :: v_dual_lshlrev_b32 v14, 2, v0
	v_cmp_gt_u32_e64 s1, 0x80, v0
	v_cmp_gt_u32_e64 s2, 64, v0
	;; [unrolled: 1-line block ×5, first 2 shown]
	s_mov_b32 s8, ttmp9
	s_mov_b32 s11, 0
	s_wait_kmcnt 0x0
	s_ashr_i32 s27, s26, 31
	s_ashr_i32 s29, s28, 31
	s_ashr_i32 s31, s30, 31
	s_cmp_eq_f32 s36, 0
	v_mad_co_i64_i32 v[1:2], null, s28, v0, 0
	v_cmp_gt_i32_e32 vcc_lo, s41, v0
	s_cselect_b32 s38, -1, 0
	s_cmp_neq_f32 s37, 1.0
	v_cndmask_b32_e32 v5, 0, v0, vcc_lo
	s_cselect_b32 s6, -1, 0
	s_cmp_neq_f32 s36, 0
	s_delay_alu instid0(VALU_DEP_3) | instskip(SKIP_1) | instid1(SALU_CYCLE_1)
	v_lshlrev_b64_e32 v[1:2], 1, v[1:2]
	s_cselect_b32 s7, -1, 0
	s_or_b32 s39, s7, s6
	s_cmp_neq_f32 s37, 0
	v_cndmask_b32_e64 v15, 0, 1, s7
	v_cmp_gt_u32_e64 s6, 4, v0
	v_cmp_gt_u32_e64 s7, 2, v0
	s_cselect_b32 s40, -1, 0
	s_ashr_i32 s9, s41, 31
	s_delay_alu instid0(SALU_CYCLE_1) | instskip(NEXT) | instid1(SALU_CYCLE_1)
	s_lshr_b32 s9, s9, 24
	s_add_co_i32 s24, s41, s9
	s_ashr_i32 s9, ttmp9, 31
	s_and_b32 s24, s24, 0xffffff00
	s_cmp_gt_i32 s41, 0xff
	v_or_b32_e32 v0, s24, v0
	s_mul_u64 s[30:31], s[30:31], s[8:9]
	s_mul_u64 s[34:35], s[26:27], s[8:9]
	s_cselect_b32 s9, -1, 0
	s_ashr_i32 s25, s24, 31
	v_mad_co_i64_i32 v[3:4], null, s28, v0, 0
	v_cmp_gt_i32_e64 s8, s41, v0
	v_lshlrev_b32_e32 v0, 1, v5
	s_lshl_b64 s[26:27], s[28:29], 9
	s_lshl_b64 s[14:15], s[14:15], 1
	;; [unrolled: 1-line block ×4, first 2 shown]
	v_lshlrev_b64_e32 v[3:4], 1, v[3:4]
	s_lshl_b64 s[28:29], s[30:31], 2
	s_lshl_b64 s[30:31], s[34:35], 1
	s_wait_alu 0xfffe
	s_lshl_b64 s[34:35], s[24:25], 1
	s_branch .LBB683_4
.LBB683_2:                              ;   in Loop: Header=BB683_4 Depth=1
	s_wait_alu 0xfffe
	s_or_b32 exec_lo, exec_lo, s41
.LBB683_3:                              ;   in Loop: Header=BB683_4 Depth=1
	s_add_co_i32 s10, s10, 0x10000
	s_delay_alu instid0(SALU_CYCLE_1)
	s_cmp_lt_u32 s10, s33
	s_cbranch_scc0 .LBB683_56
.LBB683_4:                              ; =>This Loop Header: Depth=1
                                        ;     Child Loop BB683_23 Depth 2
	s_and_not1_b32 vcc_lo, exec_lo, s39
	s_wait_alu 0xfffe
	s_cbranch_vccnz .LBB683_3
; %bb.5:                                ;   in Loop: Header=BB683_4 Depth=1
	s_and_not1_b32 vcc_lo, exec_lo, s38
	s_wait_alu 0xfffe
	s_cbranch_vccnz .LBB683_7
; %bb.6:                                ;   in Loop: Header=BB683_4 Depth=1
	s_mov_b32 s25, 0
	s_branch .LBB683_8
.LBB683_7:                              ;   in Loop: Header=BB683_4 Depth=1
	s_mov_b32 s25, -1
.LBB683_8:                              ;   in Loop: Header=BB683_4 Depth=1
	v_mov_b32_e32 v5, 0
	v_dual_mov_b32 v6, 0 :: v_dual_mov_b32 v7, 0
	v_mov_b32_e32 v8, 0
	s_wait_alu 0xfffe
	s_and_not1_b32 vcc_lo, exec_lo, s25
	s_wait_alu 0xfffe
	s_cbranch_vccnz .LBB683_10
; %bb.9:                                ;   in Loop: Header=BB683_4 Depth=1
	s_lshl_b64 s[42:43], s[10:11], 3
	s_delay_alu instid0(SALU_CYCLE_1)
	s_add_nc_u64 s[42:43], s[12:13], s[42:43]
	global_load_b64 v[7:8], v13, s[42:43]
	s_wait_loadcnt 0x0
	v_add_co_u32 v7, vcc_lo, v7, s14
	s_wait_alu 0xfffd
	v_add_co_ci_u32_e64 v8, null, s15, v8, vcc_lo
.LBB683_10:                             ;   in Loop: Header=BB683_4 Depth=1
	v_cmp_ne_u32_e32 vcc_lo, 1, v15
	s_cbranch_vccnz .LBB683_12
; %bb.11:                               ;   in Loop: Header=BB683_4 Depth=1
	s_lshl_b64 s[42:43], s[10:11], 3
	s_delay_alu instid0(SALU_CYCLE_1)
	s_add_nc_u64 s[42:43], s[16:17], s[42:43]
	global_load_b64 v[5:6], v13, s[42:43]
	s_wait_loadcnt 0x0
	v_add_co_u32 v5, vcc_lo, v5, s18
	s_wait_alu 0xfffd
	v_add_co_ci_u32_e64 v6, null, s19, v6, vcc_lo
.LBB683_12:                             ;   in Loop: Header=BB683_4 Depth=1
	s_lshl_b64 s[42:43], s[10:11], 3
	s_delay_alu instid0(SALU_CYCLE_1)
	s_add_nc_u64 s[42:43], s[20:21], s[42:43]
	global_load_b64 v[9:10], v13, s[42:43]
	s_wait_loadcnt 0x0
	v_add_co_u32 v16, vcc_lo, v9, s22
	s_wait_alu 0xfffd
	v_add_co_ci_u32_e64 v17, null, s23, v10, vcc_lo
	s_and_not1_b32 vcc_lo, exec_lo, s38
	s_wait_alu 0xfffe
	s_cbranch_vccnz .LBB683_16
; %bb.13:                               ;   in Loop: Header=BB683_4 Depth=1
	s_mov_b32 s41, 0
	s_mov_b32 s25, 0
                                        ; implicit-def: $vgpr9
	s_and_saveexec_b32 s42, s0
	s_cbranch_execz .LBB683_17
; %bb.14:                               ;   in Loop: Header=BB683_4 Depth=1
	s_and_not1_b32 vcc_lo, exec_lo, s40
	s_wait_alu 0xfffe
	s_cbranch_vccnz .LBB683_18
; %bb.15:                               ;   in Loop: Header=BB683_4 Depth=1
	v_add_co_u32 v9, vcc_lo, v16, s28
	s_wait_alu 0xfffd
	v_add_co_ci_u32_e64 v10, null, s29, v17, vcc_lo
	flat_load_b32 v9, v[9:10]
	s_wait_loadcnt_dscnt 0x0
	v_mul_f32_e32 v9, s37, v9
	s_branch .LBB683_19
.LBB683_16:                             ;   in Loop: Header=BB683_4 Depth=1
	s_mov_b32 s25, 0
                                        ; implicit-def: $vgpr9
	s_cbranch_execnz .LBB683_20
	s_branch .LBB683_54
.LBB683_17:                             ;   in Loop: Header=BB683_4 Depth=1
	s_or_b32 exec_lo, exec_lo, s42
	s_wait_alu 0xfffe
	s_and_b32 vcc_lo, exec_lo, s41
	s_wait_alu 0xfffe
	s_cbranch_vccnz .LBB683_20
	s_branch .LBB683_54
.LBB683_18:                             ;   in Loop: Header=BB683_4 Depth=1
	v_mov_b32_e32 v9, 0
.LBB683_19:                             ;   in Loop: Header=BB683_4 Depth=1
	s_mov_b32 s25, exec_lo
	s_or_b32 exec_lo, exec_lo, s42
	s_delay_alu instid0(SALU_CYCLE_1)
	s_and_b32 vcc_lo, exec_lo, s41
	s_wait_alu 0xfffe
	s_cbranch_vccz .LBB683_54
.LBB683_20:                             ;   in Loop: Header=BB683_4 Depth=1
	v_add_co_u32 v7, vcc_lo, v7, v0
	s_wait_alu 0xfffd
	v_add_co_ci_u32_e64 v8, null, 0, v8, vcc_lo
	v_mov_b32_e32 v18, 0
	s_delay_alu instid0(VALU_DEP_3) | instskip(SKIP_1) | instid1(VALU_DEP_3)
	v_add_co_u32 v7, vcc_lo, v7, s30
	s_wait_alu 0xfffd
	v_add_co_ci_u32_e64 v8, null, s31, v8, vcc_lo
	s_and_not1_b32 vcc_lo, exec_lo, s9
	s_wait_alu 0xfffe
	s_cbranch_vccnz .LBB683_27
; %bb.21:                               ;   in Loop: Header=BB683_4 Depth=1
	v_add_co_u32 v9, vcc_lo, v5, v1
	v_mov_b32_e32 v12, v8
	s_wait_alu 0xfffd
	v_add_co_ci_u32_e64 v10, null, v6, v2, vcc_lo
	v_dual_mov_b32 v18, 0 :: v_dual_mov_b32 v11, v7
	s_mov_b32 s41, 0
	s_branch .LBB683_23
.LBB683_22:                             ;   in Loop: Header=BB683_23 Depth=2
	s_or_b32 exec_lo, exec_lo, s42
	s_delay_alu instid0(VALU_DEP_1)
	v_and_b32_e32 v19, 0xffff0000, v20
	v_add_co_u32 v9, vcc_lo, v9, s26
	s_wait_alu 0xfffd
	v_add_co_ci_u32_e64 v10, null, s27, v10, vcc_lo
	v_add_co_u32 v11, vcc_lo, 0x200, v11
	v_add_f32_e32 v18, v18, v19
	s_wait_alu 0xfffd
	v_add_co_ci_u32_e64 v12, null, 0, v12, vcc_lo
	s_wait_alu 0xfffe
	s_addk_co_i32 s41, 0x100
	s_wait_alu 0xfffe
	s_cmp_ge_i32 s41, s24
	s_cbranch_scc1 .LBB683_27
.LBB683_23:                             ;   Parent Loop BB683_4 Depth=1
                                        ; =>  This Inner Loop Header: Depth=2
	flat_load_u16 v19, v[9:10]
	flat_load_u16 v20, v[11:12]
	s_wait_loadcnt_dscnt 0x101
	v_lshlrev_b32_e32 v19, 16, v19
	s_wait_loadcnt_dscnt 0x0
	v_lshlrev_b32_e32 v20, 16, v20
	s_delay_alu instid0(VALU_DEP_1) | instskip(NEXT) | instid1(VALU_DEP_1)
	v_mul_f32_e32 v19, v20, v19
	v_and_b32_e32 v20, 0x7f800000, v19
	s_delay_alu instid0(VALU_DEP_1) | instskip(SKIP_1) | instid1(SALU_CYCLE_1)
	v_cmp_ne_u32_e32 vcc_lo, 0x7f800000, v20
                                        ; implicit-def: $vgpr20
	s_and_saveexec_b32 s42, vcc_lo
	s_xor_b32 s42, exec_lo, s42
; %bb.24:                               ;   in Loop: Header=BB683_23 Depth=2
	v_bfe_u32 v20, v19, 16, 1
	s_delay_alu instid0(VALU_DEP_1)
	v_add3_u32 v20, v19, v20, 0x7fff
                                        ; implicit-def: $vgpr19
; %bb.25:                               ;   in Loop: Header=BB683_23 Depth=2
	s_and_not1_saveexec_b32 s42, s42
	s_cbranch_execz .LBB683_22
; %bb.26:                               ;   in Loop: Header=BB683_23 Depth=2
	v_and_b32_e32 v20, 0xffff, v19
	v_or_b32_e32 v21, 0x10000, v19
	s_delay_alu instid0(VALU_DEP_2) | instskip(SKIP_1) | instid1(VALU_DEP_2)
	v_cmp_eq_u32_e32 vcc_lo, 0, v20
	s_wait_alu 0xfffd
	v_cndmask_b32_e32 v20, v21, v19, vcc_lo
	s_branch .LBB683_22
.LBB683_27:                             ;   in Loop: Header=BB683_4 Depth=1
	s_and_saveexec_b32 s41, s8
	s_cbranch_execz .LBB683_33
; %bb.28:                               ;   in Loop: Header=BB683_4 Depth=1
	v_add_co_u32 v5, vcc_lo, v5, v3
	s_wait_alu 0xfffd
	v_add_co_ci_u32_e64 v6, null, v6, v4, vcc_lo
	v_add_co_u32 v7, vcc_lo, v7, s34
	s_wait_alu 0xfffd
	v_add_co_ci_u32_e64 v8, null, s35, v8, vcc_lo
	flat_load_u16 v5, v[5:6]
	flat_load_u16 v6, v[7:8]
	s_wait_loadcnt_dscnt 0x101
	v_lshlrev_b32_e32 v5, 16, v5
	s_wait_loadcnt_dscnt 0x0
	v_lshlrev_b32_e32 v6, 16, v6
	s_delay_alu instid0(VALU_DEP_1) | instskip(NEXT) | instid1(VALU_DEP_1)
	v_mul_f32_e32 v5, v6, v5
	v_and_b32_e32 v6, 0x7f800000, v5
	s_delay_alu instid0(VALU_DEP_1) | instskip(SKIP_1) | instid1(SALU_CYCLE_1)
	v_cmp_ne_u32_e32 vcc_lo, 0x7f800000, v6
                                        ; implicit-def: $vgpr6
	s_and_saveexec_b32 s42, vcc_lo
	s_xor_b32 s42, exec_lo, s42
; %bb.29:                               ;   in Loop: Header=BB683_4 Depth=1
	v_bfe_u32 v6, v5, 16, 1
	s_delay_alu instid0(VALU_DEP_1)
	v_add3_u32 v6, v5, v6, 0x7fff
                                        ; implicit-def: $vgpr5
; %bb.30:                               ;   in Loop: Header=BB683_4 Depth=1
	s_and_not1_saveexec_b32 s42, s42
; %bb.31:                               ;   in Loop: Header=BB683_4 Depth=1
	v_and_b32_e32 v6, 0xffff, v5
	v_or_b32_e32 v7, 0x10000, v5
	s_delay_alu instid0(VALU_DEP_2) | instskip(SKIP_1) | instid1(VALU_DEP_2)
	v_cmp_eq_u32_e32 vcc_lo, 0, v6
	s_wait_alu 0xfffd
	v_cndmask_b32_e32 v6, v7, v5, vcc_lo
; %bb.32:                               ;   in Loop: Header=BB683_4 Depth=1
	s_or_b32 exec_lo, exec_lo, s42
	s_delay_alu instid0(VALU_DEP_1) | instskip(NEXT) | instid1(VALU_DEP_1)
	v_and_b32_e32 v5, 0xffff0000, v6
	v_add_f32_e32 v18, v18, v5
.LBB683_33:                             ;   in Loop: Header=BB683_4 Depth=1
	s_wait_alu 0xfffe
	s_or_b32 exec_lo, exec_lo, s41
	ds_store_b32 v14, v18
	s_wait_dscnt 0x0
	s_barrier_signal -1
	s_barrier_wait -1
	global_inv scope:SCOPE_SE
	s_and_saveexec_b32 s41, s1
	s_cbranch_execz .LBB683_35
; %bb.34:                               ;   in Loop: Header=BB683_4 Depth=1
	ds_load_2addr_stride64_b32 v[5:6], v14 offset1:2
	s_wait_dscnt 0x0
	v_add_f32_e32 v5, v6, v5
	ds_store_b32 v14, v5
.LBB683_35:                             ;   in Loop: Header=BB683_4 Depth=1
	s_wait_alu 0xfffe
	s_or_b32 exec_lo, exec_lo, s41
	s_wait_loadcnt_dscnt 0x0
	s_barrier_signal -1
	s_barrier_wait -1
	global_inv scope:SCOPE_SE
	s_and_saveexec_b32 s41, s2
	s_cbranch_execz .LBB683_37
; %bb.36:                               ;   in Loop: Header=BB683_4 Depth=1
	ds_load_2addr_stride64_b32 v[5:6], v14 offset1:1
	s_wait_dscnt 0x0
	v_add_f32_e32 v5, v6, v5
	ds_store_b32 v14, v5
.LBB683_37:                             ;   in Loop: Header=BB683_4 Depth=1
	s_wait_alu 0xfffe
	s_or_b32 exec_lo, exec_lo, s41
	s_wait_loadcnt_dscnt 0x0
	s_barrier_signal -1
	s_barrier_wait -1
	global_inv scope:SCOPE_SE
	s_and_saveexec_b32 s41, s3
	s_cbranch_execz .LBB683_39
; %bb.38:                               ;   in Loop: Header=BB683_4 Depth=1
	ds_load_2addr_b32 v[5:6], v14 offset1:32
	s_wait_dscnt 0x0
	v_add_f32_e32 v5, v6, v5
	ds_store_b32 v14, v5
.LBB683_39:                             ;   in Loop: Header=BB683_4 Depth=1
	s_wait_alu 0xfffe
	s_or_b32 exec_lo, exec_lo, s41
	s_wait_loadcnt_dscnt 0x0
	s_barrier_signal -1
	s_barrier_wait -1
	global_inv scope:SCOPE_SE
	s_and_saveexec_b32 s41, s4
	s_cbranch_execz .LBB683_41
; %bb.40:                               ;   in Loop: Header=BB683_4 Depth=1
	ds_load_2addr_b32 v[5:6], v14 offset1:16
	s_wait_dscnt 0x0
	v_add_f32_e32 v5, v6, v5
	ds_store_b32 v14, v5
.LBB683_41:                             ;   in Loop: Header=BB683_4 Depth=1
	s_wait_alu 0xfffe
	s_or_b32 exec_lo, exec_lo, s41
	s_wait_loadcnt_dscnt 0x0
	s_barrier_signal -1
	s_barrier_wait -1
	global_inv scope:SCOPE_SE
	s_and_saveexec_b32 s41, s5
	s_cbranch_execz .LBB683_43
; %bb.42:                               ;   in Loop: Header=BB683_4 Depth=1
	ds_load_2addr_b32 v[5:6], v14 offset1:8
	s_wait_dscnt 0x0
	v_add_f32_e32 v5, v6, v5
	ds_store_b32 v14, v5
.LBB683_43:                             ;   in Loop: Header=BB683_4 Depth=1
	s_wait_alu 0xfffe
	s_or_b32 exec_lo, exec_lo, s41
	s_wait_loadcnt_dscnt 0x0
	s_barrier_signal -1
	s_barrier_wait -1
	global_inv scope:SCOPE_SE
	s_and_saveexec_b32 s41, s6
	s_cbranch_execz .LBB683_45
; %bb.44:                               ;   in Loop: Header=BB683_4 Depth=1
	ds_load_2addr_b32 v[5:6], v14 offset1:4
	s_wait_dscnt 0x0
	v_add_f32_e32 v5, v6, v5
	ds_store_b32 v14, v5
.LBB683_45:                             ;   in Loop: Header=BB683_4 Depth=1
	s_wait_alu 0xfffe
	s_or_b32 exec_lo, exec_lo, s41
	s_wait_loadcnt_dscnt 0x0
	s_barrier_signal -1
	s_barrier_wait -1
	global_inv scope:SCOPE_SE
	s_and_saveexec_b32 s41, s7
	s_cbranch_execz .LBB683_47
; %bb.46:                               ;   in Loop: Header=BB683_4 Depth=1
	ds_load_2addr_b32 v[5:6], v14 offset1:2
	s_wait_dscnt 0x0
	v_add_f32_e32 v5, v6, v5
	ds_store_b32 v14, v5
.LBB683_47:                             ;   in Loop: Header=BB683_4 Depth=1
	s_wait_alu 0xfffe
	s_or_b32 exec_lo, exec_lo, s41
	s_wait_loadcnt_dscnt 0x0
	s_barrier_signal -1
	s_barrier_wait -1
	global_inv scope:SCOPE_SE
	s_and_saveexec_b32 s41, s0
	s_cbranch_execz .LBB683_49
; %bb.48:                               ;   in Loop: Header=BB683_4 Depth=1
	ds_load_b64 v[5:6], v13
	s_wait_dscnt 0x0
	v_add_f32_e32 v5, v6, v5
	ds_store_b32 v13, v5
.LBB683_49:                             ;   in Loop: Header=BB683_4 Depth=1
	s_wait_alu 0xfffe
	s_or_b32 exec_lo, exec_lo, s41
	s_wait_loadcnt_dscnt 0x0
	s_barrier_signal -1
	s_barrier_wait -1
	global_inv scope:SCOPE_SE
                                        ; implicit-def: $vgpr9
	s_and_saveexec_b32 s41, s0
	s_cbranch_execz .LBB683_53
; %bb.50:                               ;   in Loop: Header=BB683_4 Depth=1
	ds_load_b32 v5, v13
	s_and_not1_b32 vcc_lo, exec_lo, s40
	s_wait_dscnt 0x0
	v_mul_f32_e32 v9, s36, v5
	s_wait_alu 0xfffe
	s_cbranch_vccnz .LBB683_52
; %bb.51:                               ;   in Loop: Header=BB683_4 Depth=1
	v_add_co_u32 v5, vcc_lo, v16, s28
	s_wait_alu 0xfffd
	v_add_co_ci_u32_e64 v6, null, s29, v17, vcc_lo
	flat_load_b32 v5, v[5:6]
	s_wait_loadcnt_dscnt 0x0
	v_fmac_f32_e32 v9, s37, v5
.LBB683_52:                             ;   in Loop: Header=BB683_4 Depth=1
	s_or_b32 s25, s25, exec_lo
.LBB683_53:                             ;   in Loop: Header=BB683_4 Depth=1
	s_wait_alu 0xfffe
	s_or_b32 exec_lo, exec_lo, s41
.LBB683_54:                             ;   in Loop: Header=BB683_4 Depth=1
	s_wait_alu 0xfffe
	s_and_saveexec_b32 s41, s25
	s_cbranch_execz .LBB683_2
; %bb.55:                               ;   in Loop: Header=BB683_4 Depth=1
	v_add_co_u32 v5, vcc_lo, v16, s28
	s_wait_alu 0xfffd
	v_add_co_ci_u32_e64 v6, null, s29, v17, vcc_lo
	flat_store_b32 v[5:6], v9
	s_branch .LBB683_2
.LBB683_56:
	s_endpgm
	.section	.rodata,"a",@progbits
	.p2align	6, 0x0
	.amdhsa_kernel _ZL20rocblas_gemvt_kernelILb0ELi256EPK16rocblas_bfloat16fKPfEviiT2_lPKT1_lilS8_lilS5_lPT3_lili
		.amdhsa_group_segment_fixed_size 1024
		.amdhsa_private_segment_fixed_size 0
		.amdhsa_kernarg_size 140
		.amdhsa_user_sgpr_count 2
		.amdhsa_user_sgpr_dispatch_ptr 0
		.amdhsa_user_sgpr_queue_ptr 0
		.amdhsa_user_sgpr_kernarg_segment_ptr 1
		.amdhsa_user_sgpr_dispatch_id 0
		.amdhsa_user_sgpr_private_segment_size 0
		.amdhsa_wavefront_size32 1
		.amdhsa_uses_dynamic_stack 0
		.amdhsa_enable_private_segment 0
		.amdhsa_system_sgpr_workgroup_id_x 1
		.amdhsa_system_sgpr_workgroup_id_y 0
		.amdhsa_system_sgpr_workgroup_id_z 1
		.amdhsa_system_sgpr_workgroup_info 0
		.amdhsa_system_vgpr_workitem_id 0
		.amdhsa_next_free_vgpr 22
		.amdhsa_next_free_sgpr 44
		.amdhsa_reserve_vcc 1
		.amdhsa_float_round_mode_32 0
		.amdhsa_float_round_mode_16_64 0
		.amdhsa_float_denorm_mode_32 3
		.amdhsa_float_denorm_mode_16_64 3
		.amdhsa_fp16_overflow 0
		.amdhsa_workgroup_processor_mode 1
		.amdhsa_memory_ordered 1
		.amdhsa_forward_progress 1
		.amdhsa_inst_pref_size 16
		.amdhsa_round_robin_scheduling 0
		.amdhsa_exception_fp_ieee_invalid_op 0
		.amdhsa_exception_fp_denorm_src 0
		.amdhsa_exception_fp_ieee_div_zero 0
		.amdhsa_exception_fp_ieee_overflow 0
		.amdhsa_exception_fp_ieee_underflow 0
		.amdhsa_exception_fp_ieee_inexact 0
		.amdhsa_exception_int_div_zero 0
	.end_amdhsa_kernel
	.section	.text._ZL20rocblas_gemvt_kernelILb0ELi256EPK16rocblas_bfloat16fKPfEviiT2_lPKT1_lilS8_lilS5_lPT3_lili,"axG",@progbits,_ZL20rocblas_gemvt_kernelILb0ELi256EPK16rocblas_bfloat16fKPfEviiT2_lPKT1_lilS8_lilS5_lPT3_lili,comdat
.Lfunc_end683:
	.size	_ZL20rocblas_gemvt_kernelILb0ELi256EPK16rocblas_bfloat16fKPfEviiT2_lPKT1_lilS8_lilS5_lPT3_lili, .Lfunc_end683-_ZL20rocblas_gemvt_kernelILb0ELi256EPK16rocblas_bfloat16fKPfEviiT2_lPKT1_lilS8_lilS5_lPT3_lili
                                        ; -- End function
	.set _ZL20rocblas_gemvt_kernelILb0ELi256EPK16rocblas_bfloat16fKPfEviiT2_lPKT1_lilS8_lilS5_lPT3_lili.num_vgpr, 22
	.set _ZL20rocblas_gemvt_kernelILb0ELi256EPK16rocblas_bfloat16fKPfEviiT2_lPKT1_lilS8_lilS5_lPT3_lili.num_agpr, 0
	.set _ZL20rocblas_gemvt_kernelILb0ELi256EPK16rocblas_bfloat16fKPfEviiT2_lPKT1_lilS8_lilS5_lPT3_lili.numbered_sgpr, 44
	.set _ZL20rocblas_gemvt_kernelILb0ELi256EPK16rocblas_bfloat16fKPfEviiT2_lPKT1_lilS8_lilS5_lPT3_lili.num_named_barrier, 0
	.set _ZL20rocblas_gemvt_kernelILb0ELi256EPK16rocblas_bfloat16fKPfEviiT2_lPKT1_lilS8_lilS5_lPT3_lili.private_seg_size, 0
	.set _ZL20rocblas_gemvt_kernelILb0ELi256EPK16rocblas_bfloat16fKPfEviiT2_lPKT1_lilS8_lilS5_lPT3_lili.uses_vcc, 1
	.set _ZL20rocblas_gemvt_kernelILb0ELi256EPK16rocblas_bfloat16fKPfEviiT2_lPKT1_lilS8_lilS5_lPT3_lili.uses_flat_scratch, 0
	.set _ZL20rocblas_gemvt_kernelILb0ELi256EPK16rocblas_bfloat16fKPfEviiT2_lPKT1_lilS8_lilS5_lPT3_lili.has_dyn_sized_stack, 0
	.set _ZL20rocblas_gemvt_kernelILb0ELi256EPK16rocblas_bfloat16fKPfEviiT2_lPKT1_lilS8_lilS5_lPT3_lili.has_recursion, 0
	.set _ZL20rocblas_gemvt_kernelILb0ELi256EPK16rocblas_bfloat16fKPfEviiT2_lPKT1_lilS8_lilS5_lPT3_lili.has_indirect_call, 0
	.section	.AMDGPU.csdata,"",@progbits
; Kernel info:
; codeLenInByte = 2004
; TotalNumSgprs: 46
; NumVgprs: 22
; ScratchSize: 0
; MemoryBound: 0
; FloatMode: 240
; IeeeMode: 1
; LDSByteSize: 1024 bytes/workgroup (compile time only)
; SGPRBlocks: 0
; VGPRBlocks: 2
; NumSGPRsForWavesPerEU: 46
; NumVGPRsForWavesPerEU: 22
; Occupancy: 16
; WaveLimiterHint : 1
; COMPUTE_PGM_RSRC2:SCRATCH_EN: 0
; COMPUTE_PGM_RSRC2:USER_SGPR: 2
; COMPUTE_PGM_RSRC2:TRAP_HANDLER: 0
; COMPUTE_PGM_RSRC2:TGID_X_EN: 1
; COMPUTE_PGM_RSRC2:TGID_Y_EN: 0
; COMPUTE_PGM_RSRC2:TGID_Z_EN: 1
; COMPUTE_PGM_RSRC2:TIDIG_COMP_CNT: 0
	.section	.text._ZL32rocblas_gemvt_warp_reduce_kernelILb0ELi1024EiPK16rocblas_bfloat16PKfKPfEviiT3_lPKT2_lT1_lSA_lSB_lS7_lPT4_lSB_li,"axG",@progbits,_ZL32rocblas_gemvt_warp_reduce_kernelILb0ELi1024EiPK16rocblas_bfloat16PKfKPfEviiT3_lPKT2_lT1_lSA_lSB_lS7_lPT4_lSB_li,comdat
	.globl	_ZL32rocblas_gemvt_warp_reduce_kernelILb0ELi1024EiPK16rocblas_bfloat16PKfKPfEviiT3_lPKT2_lT1_lSA_lSB_lS7_lPT4_lSB_li ; -- Begin function _ZL32rocblas_gemvt_warp_reduce_kernelILb0ELi1024EiPK16rocblas_bfloat16PKfKPfEviiT3_lPKT2_lT1_lSA_lSB_lS7_lPT4_lSB_li
	.p2align	8
	.type	_ZL32rocblas_gemvt_warp_reduce_kernelILb0ELi1024EiPK16rocblas_bfloat16PKfKPfEviiT3_lPKT2_lT1_lSA_lSB_lS7_lPT4_lSB_li,@function
_ZL32rocblas_gemvt_warp_reduce_kernelILb0ELi1024EiPK16rocblas_bfloat16PKfKPfEviiT3_lPKT2_lT1_lSA_lSB_lS7_lPT4_lSB_li: ; @_ZL32rocblas_gemvt_warp_reduce_kernelILb0ELi1024EiPK16rocblas_bfloat16PKfKPfEviiT3_lPKT2_lT1_lSA_lSB_lS7_lPT4_lSB_li
; %bb.0:
	s_load_b32 s7, s[0:1], 0x88
	s_lshr_b32 s28, ttmp7, 16
	s_wait_kmcnt 0x0
	s_cmp_ge_u32 s28, s7
	s_cbranch_scc1 .LBB684_46
; %bb.1:
	s_clause 0x6
	s_load_b32 s4, s[0:1], 0x0
	s_load_b32 s3, s[0:1], 0x78
	s_load_b256 s[8:15], s[0:1], 0x8
	s_load_b32 s5, s[0:1], 0x28
	s_load_b128 s[24:27], s[0:1], 0x38
	s_load_b32 s6, s[0:1], 0x48
	s_load_b256 s[16:23], s[0:1], 0x58
	v_lshrrev_b32_e32 v2, 3, v0
	v_and_b32_e32 v1, 31, v0
	v_mov_b32_e32 v11, 0
	v_mbcnt_lo_u32_b32 v15, -1, 0
	v_cmp_eq_u32_e64 s0, 0, v0
	v_and_b32_e32 v13, 0x7c, v2
	v_lshlrev_b32_e32 v12, 2, v1
	v_cmp_gt_u32_e64 s1, 32, v0
	v_lshl_or_b32 v17, v15, 2, 64
	s_mov_b32 s29, 0
	s_wait_kmcnt 0x0
	s_ashr_i32 s2, s4, 31
	v_cmp_gt_i32_e32 vcc_lo, s4, v0
	s_lshr_b32 s2, s2, 22
	s_mul_i32 s34, s3, ttmp9
	s_add_co_i32 s30, s4, s2
	v_cmp_eq_u32_e64 s2, 0, v1
	s_and_b32 s30, s30, 0xfffffc00
	v_cndmask_b32_e32 v3, 0, v0, vcc_lo
	v_or_b32_e32 v2, s30, v0
	v_mul_lo_u32 v14, v0, s6
	s_mul_i32 s36, s5, ttmp9
	v_cmp_gt_i32_e64 s3, s30, v0
	v_lshlrev_b32_e32 v16, 1, v3
	v_mul_lo_u32 v1, s6, v2
	v_cmp_gt_i32_e64 s4, s4, v2
	s_ashr_i32 s35, s34, 31
	s_ashr_i32 s37, s36, 31
	;; [unrolled: 1-line block ×3, first 2 shown]
	s_lshl_b32 s33, s6, 10
	s_lshl_b64 s[14:15], s[14:15], 1
	s_lshl_b64 s[26:27], s[26:27], 1
	v_ashrrev_i32_e32 v2, 31, v1
	s_lshl_b64 s[22:23], s[22:23], 2
	s_lshl_b64 s[34:35], s[34:35], 2
	;; [unrolled: 1-line block ×3, first 2 shown]
	s_wait_alu 0xfffe
	s_lshl_b64 s[38:39], s[30:31], 1
	v_lshlrev_b64_e32 v[1:2], 1, v[1:2]
	s_branch .LBB684_4
.LBB684_2:                              ;   in Loop: Header=BB684_4 Depth=1
	s_wait_alu 0xfffe
	s_or_b32 exec_lo, exec_lo, s5
.LBB684_3:                              ;   in Loop: Header=BB684_4 Depth=1
	s_add_co_i32 s28, s28, 0x10000
	s_delay_alu instid0(SALU_CYCLE_1)
	s_cmp_lt_u32 s28, s7
	s_cbranch_scc0 .LBB684_46
.LBB684_4:                              ; =>This Loop Header: Depth=1
                                        ;     Child Loop BB684_28 Depth 2
	s_mul_u64 s[40:41], s[10:11], s[28:29]
	s_mul_u64 s[42:43], s[18:19], s[28:29]
	s_lshl_b64 s[40:41], s[40:41], 2
	s_lshl_b64 s[42:43], s[42:43], 2
	s_add_nc_u64 s[40:41], s[8:9], s[40:41]
	s_add_nc_u64 s[42:43], s[16:17], s[42:43]
	s_clause 0x1
	global_load_b32 v18, v11, s[40:41]
	global_load_b32 v3, v11, s[42:43]
	s_wait_loadcnt 0x1
	v_cmp_eq_f32_e64 s5, 0, v18
	s_wait_loadcnt 0x0
	v_cmp_eq_f32_e32 vcc_lo, 1.0, v3
	v_readfirstlane_b32 s31, v3
	s_and_b32 s6, s5, vcc_lo
	s_wait_alu 0xfffe
	s_and_b32 vcc_lo, exec_lo, s6
	s_wait_alu 0xfffe
	s_cbranch_vccnz .LBB684_3
; %bb.5:                                ;   in Loop: Header=BB684_4 Depth=1
	v_mov_b32_e32 v3, 0
	v_dual_mov_b32 v4, 0 :: v_dual_mov_b32 v5, 0
	v_cmp_neq_f32_e64 s6, 0, v18
	v_mov_b32_e32 v6, 0
	s_and_b32 vcc_lo, exec_lo, s5
	s_wait_alu 0xfffe
	s_cbranch_vccnz .LBB684_7
; %bb.6:                                ;   in Loop: Header=BB684_4 Depth=1
	s_lshl_b64 s[40:41], s[28:29], 3
	s_delay_alu instid0(SALU_CYCLE_1)
	s_add_nc_u64 s[40:41], s[12:13], s[40:41]
	global_load_b64 v[5:6], v11, s[40:41]
	s_wait_loadcnt 0x0
	v_add_co_u32 v5, vcc_lo, v5, s14
	s_wait_alu 0xfffd
	v_add_co_ci_u32_e64 v6, null, s15, v6, vcc_lo
.LBB684_7:                              ;   in Loop: Header=BB684_4 Depth=1
	s_and_not1_b32 vcc_lo, exec_lo, s6
	s_wait_alu 0xfffe
	s_cbranch_vccnz .LBB684_9
; %bb.8:                                ;   in Loop: Header=BB684_4 Depth=1
	s_lshl_b64 s[40:41], s[28:29], 3
	s_delay_alu instid0(SALU_CYCLE_1)
	s_add_nc_u64 s[40:41], s[24:25], s[40:41]
	global_load_b64 v[3:4], v11, s[40:41]
	s_wait_loadcnt 0x0
	v_add_co_u32 v3, vcc_lo, v3, s26
	s_wait_alu 0xfffd
	v_add_co_ci_u32_e64 v4, null, s27, v4, vcc_lo
.LBB684_9:                              ;   in Loop: Header=BB684_4 Depth=1
	s_lshl_b64 s[40:41], s[28:29], 3
	s_delay_alu instid0(SALU_CYCLE_1)
	s_add_nc_u64 s[40:41], s[20:21], s[40:41]
	s_wait_dscnt 0x0
	global_load_b64 v[7:8], v11, s[40:41]
	s_wait_loadcnt 0x0
	v_add_co_u32 v19, vcc_lo, v7, s22
	s_wait_alu 0xfffd
	v_add_co_ci_u32_e64 v20, null, s23, v8, vcc_lo
	s_and_not1_b32 vcc_lo, exec_lo, s5
	s_wait_alu 0xfffe
	s_cbranch_vccnz .LBB684_13
; %bb.10:                               ;   in Loop: Header=BB684_4 Depth=1
	s_mov_b32 s5, 0
	s_mov_b32 s6, 0
                                        ; implicit-def: $vgpr7
	s_and_saveexec_b32 s40, s0
	s_cbranch_execz .LBB684_14
; %bb.11:                               ;   in Loop: Header=BB684_4 Depth=1
	s_cmp_eq_f32 s31, 0
	s_cbranch_scc1 .LBB684_15
; %bb.12:                               ;   in Loop: Header=BB684_4 Depth=1
	v_add_co_u32 v7, vcc_lo, v19, s34
	s_wait_alu 0xfffd
	v_add_co_ci_u32_e64 v8, null, s35, v20, vcc_lo
	flat_load_b32 v7, v[7:8]
	s_wait_loadcnt_dscnt 0x0
	v_mul_f32_e32 v7, s31, v7
	s_branch .LBB684_16
.LBB684_13:                             ;   in Loop: Header=BB684_4 Depth=1
	s_mov_b32 s6, 0
                                        ; implicit-def: $vgpr7
	s_cbranch_execnz .LBB684_17
	s_branch .LBB684_38
.LBB684_14:                             ;   in Loop: Header=BB684_4 Depth=1
	s_or_b32 exec_lo, exec_lo, s40
	s_wait_alu 0xfffe
	s_and_b32 vcc_lo, exec_lo, s5
	s_wait_alu 0xfffe
	s_cbranch_vccnz .LBB684_17
	s_branch .LBB684_38
.LBB684_15:                             ;   in Loop: Header=BB684_4 Depth=1
	v_mov_b32_e32 v7, 0
.LBB684_16:                             ;   in Loop: Header=BB684_4 Depth=1
	s_mov_b32 s6, exec_lo
	s_or_b32 exec_lo, exec_lo, s40
	s_wait_alu 0xfffe
	s_and_b32 vcc_lo, exec_lo, s5
	s_wait_alu 0xfffe
	s_cbranch_vccz .LBB684_38
.LBB684_17:                             ;   in Loop: Header=BB684_4 Depth=1
	v_add_co_u32 v5, vcc_lo, v5, v16
	s_wait_alu 0xfffd
	v_add_co_ci_u32_e64 v6, null, 0, v6, vcc_lo
	v_mov_b32_e32 v21, 0
	s_delay_alu instid0(VALU_DEP_3) | instskip(SKIP_1) | instid1(VALU_DEP_3)
	v_add_co_u32 v5, vcc_lo, v5, s36
	s_wait_alu 0xfffd
	v_add_co_ci_u32_e64 v6, null, s37, v6, vcc_lo
	s_and_saveexec_b32 s40, s3
	s_cbranch_execnz .LBB684_26
; %bb.18:                               ;   in Loop: Header=BB684_4 Depth=1
	s_or_b32 exec_lo, exec_lo, s40
	s_and_saveexec_b32 s5, s4
	s_cbranch_execnz .LBB684_41
.LBB684_19:                             ;   in Loop: Header=BB684_4 Depth=1
	s_wait_alu 0xfffe
	s_or_b32 exec_lo, exec_lo, s5
	s_and_saveexec_b32 s5, s1
.LBB684_20:                             ;   in Loop: Header=BB684_4 Depth=1
	ds_store_b32 v12, v11
.LBB684_21:                             ;   in Loop: Header=BB684_4 Depth=1
	s_wait_alu 0xfffe
	s_or_b32 exec_lo, exec_lo, s5
	ds_bpermute_b32 v4, v17, v21
	v_cmp_gt_u32_e32 vcc_lo, 24, v15
	s_wait_dscnt 0x0
	s_barrier_signal -1
	s_barrier_wait -1
	global_inv scope:SCOPE_SE
	s_wait_alu 0xfffd
	v_cndmask_b32_e64 v3, 0, 8, vcc_lo
	v_cmp_gt_u32_e32 vcc_lo, 28, v15
	s_delay_alu instid0(VALU_DEP_2)
	v_add_lshl_u32 v3, v3, v15, 2
	v_add_f32_e32 v5, v21, v4
	s_wait_alu 0xfffd
	v_cndmask_b32_e64 v4, 0, 4, vcc_lo
	v_cmp_gt_u32_e32 vcc_lo, 30, v15
	ds_bpermute_b32 v6, v3, v5
	v_add_lshl_u32 v4, v4, v15, 2
	s_wait_dscnt 0x0
	v_add_f32_e32 v6, v5, v6
	s_wait_alu 0xfffd
	v_cndmask_b32_e64 v5, 0, 2, vcc_lo
	v_cmp_ne_u32_e32 vcc_lo, 31, v15
	ds_bpermute_b32 v7, v4, v6
	v_add_lshl_u32 v5, v5, v15, 2
	s_wait_alu 0xfffd
	v_add_co_ci_u32_e64 v8, null, 0, v15, vcc_lo
	s_wait_dscnt 0x0
	v_add_f32_e32 v6, v6, v7
	ds_bpermute_b32 v7, v5, v6
	s_wait_dscnt 0x0
	v_dual_add_f32 v7, v6, v7 :: v_dual_lshlrev_b32 v6, 2, v8
	ds_bpermute_b32 v8, v6, v7
	s_and_saveexec_b32 s5, s2
	s_cbranch_execz .LBB684_23
; %bb.22:                               ;   in Loop: Header=BB684_4 Depth=1
	s_wait_dscnt 0x0
	v_add_f32_e32 v7, v7, v8
	ds_store_b32 v13, v7
.LBB684_23:                             ;   in Loop: Header=BB684_4 Depth=1
	s_wait_alu 0xfffe
	s_or_b32 exec_lo, exec_lo, s5
	s_wait_dscnt 0x0
	v_mov_b32_e32 v8, 0
	s_wait_loadcnt 0x0
	s_barrier_signal -1
	s_barrier_wait -1
	global_inv scope:SCOPE_SE
	s_and_saveexec_b32 s5, s1
	s_cbranch_execnz .LBB684_32
; %bb.24:                               ;   in Loop: Header=BB684_4 Depth=1
	s_wait_alu 0xfffe
	s_or_b32 exec_lo, exec_lo, s5
	s_and_saveexec_b32 s5, s1
	s_cbranch_execnz .LBB684_33
.LBB684_25:                             ;   in Loop: Header=BB684_4 Depth=1
	s_wait_alu 0xfffe
	s_or_b32 exec_lo, exec_lo, s5
                                        ; implicit-def: $vgpr7
	s_and_saveexec_b32 s5, s0
	s_cbranch_execnz .LBB684_34
	s_branch .LBB684_37
.LBB684_26:                             ;   in Loop: Header=BB684_4 Depth=1
	v_dual_mov_b32 v21, 0 :: v_dual_mov_b32 v8, v6
	v_dual_mov_b32 v7, v5 :: v_dual_mov_b32 v22, v0
	v_mov_b32_e32 v9, v14
	s_mov_b32 s41, 0
	s_branch .LBB684_28
.LBB684_27:                             ;   in Loop: Header=BB684_28 Depth=2
	s_wait_alu 0xfffe
	s_or_b32 exec_lo, exec_lo, s5
	v_add_nc_u32_e32 v22, 0x400, v22
	v_and_b32_e32 v10, 0xffff0000, v23
	v_add_co_u32 v7, s5, 0x800, v7
	v_add_nc_u32_e32 v9, s33, v9
	s_delay_alu instid0(VALU_DEP_4) | instskip(NEXT) | instid1(VALU_DEP_4)
	v_cmp_le_i32_e32 vcc_lo, s30, v22
	v_add_f32_e32 v21, v21, v10
	s_wait_alu 0xf1ff
	v_add_co_ci_u32_e64 v8, null, 0, v8, s5
	s_or_b32 s41, vcc_lo, s41
	s_delay_alu instid0(SALU_CYCLE_1)
	s_and_not1_b32 exec_lo, exec_lo, s41
	s_cbranch_execz .LBB684_40
.LBB684_28:                             ;   Parent Loop BB684_4 Depth=1
                                        ; =>  This Inner Loop Header: Depth=2
	s_delay_alu instid0(VALU_DEP_1) | instskip(NEXT) | instid1(VALU_DEP_1)
	v_ashrrev_i32_e32 v10, 31, v9
	v_lshlrev_b64_e32 v[23:24], 1, v[9:10]
	s_delay_alu instid0(VALU_DEP_1) | instskip(SKIP_1) | instid1(VALU_DEP_2)
	v_add_co_u32 v23, vcc_lo, v3, v23
	s_wait_alu 0xfffd
	v_add_co_ci_u32_e64 v24, null, v4, v24, vcc_lo
	flat_load_u16 v10, v[7:8]
	flat_load_u16 v23, v[23:24]
	s_wait_loadcnt_dscnt 0x101
	v_lshlrev_b32_e32 v10, 16, v10
	s_wait_loadcnt_dscnt 0x0
	v_lshlrev_b32_e32 v23, 16, v23
	s_delay_alu instid0(VALU_DEP_1) | instskip(NEXT) | instid1(VALU_DEP_1)
	v_mul_f32_e32 v10, v10, v23
	v_and_b32_e32 v23, 0x7f800000, v10
	s_delay_alu instid0(VALU_DEP_1)
	v_cmp_ne_u32_e32 vcc_lo, 0x7f800000, v23
                                        ; implicit-def: $vgpr23
	s_and_saveexec_b32 s5, vcc_lo
	s_wait_alu 0xfffe
	s_xor_b32 s5, exec_lo, s5
; %bb.29:                               ;   in Loop: Header=BB684_28 Depth=2
	v_bfe_u32 v23, v10, 16, 1
	s_delay_alu instid0(VALU_DEP_1)
	v_add3_u32 v23, v10, v23, 0x7fff
                                        ; implicit-def: $vgpr10
; %bb.30:                               ;   in Loop: Header=BB684_28 Depth=2
	s_wait_alu 0xfffe
	s_and_not1_saveexec_b32 s5, s5
	s_cbranch_execz .LBB684_27
; %bb.31:                               ;   in Loop: Header=BB684_28 Depth=2
	v_and_b32_e32 v23, 0xffff, v10
	v_or_b32_e32 v24, 0x10000, v10
	s_delay_alu instid0(VALU_DEP_2) | instskip(SKIP_1) | instid1(VALU_DEP_2)
	v_cmp_eq_u32_e32 vcc_lo, 0, v23
	s_wait_alu 0xfffd
	v_cndmask_b32_e32 v23, v24, v10, vcc_lo
	s_branch .LBB684_27
.LBB684_32:                             ;   in Loop: Header=BB684_4 Depth=1
	ds_load_b32 v8, v12
	s_wait_alu 0xfffe
	s_or_b32 exec_lo, exec_lo, s5
	s_and_saveexec_b32 s5, s1
	s_cbranch_execz .LBB684_25
.LBB684_33:                             ;   in Loop: Header=BB684_4 Depth=1
	s_wait_dscnt 0x0
	ds_bpermute_b32 v7, v17, v8
	s_wait_dscnt 0x0
	v_add_f32_e32 v7, v8, v7
	ds_bpermute_b32 v3, v3, v7
	s_wait_dscnt 0x0
	v_add_f32_e32 v3, v7, v3
	;; [unrolled: 3-line block ×5, first 2 shown]
	s_wait_alu 0xfffe
	s_or_b32 exec_lo, exec_lo, s5
                                        ; implicit-def: $vgpr7
	s_and_saveexec_b32 s5, s0
	s_cbranch_execz .LBB684_37
.LBB684_34:                             ;   in Loop: Header=BB684_4 Depth=1
	s_wait_dscnt 0x0
	v_mul_f32_e32 v7, v18, v8
	s_cmp_eq_f32 s31, 0
	s_cbranch_scc1 .LBB684_36
; %bb.35:                               ;   in Loop: Header=BB684_4 Depth=1
	v_add_co_u32 v3, vcc_lo, v19, s34
	s_wait_alu 0xfffd
	v_add_co_ci_u32_e64 v4, null, s35, v20, vcc_lo
	flat_load_b32 v3, v[3:4]
	s_wait_loadcnt_dscnt 0x0
	v_fmac_f32_e32 v7, s31, v3
.LBB684_36:                             ;   in Loop: Header=BB684_4 Depth=1
	s_or_b32 s6, s6, exec_lo
.LBB684_37:                             ;   in Loop: Header=BB684_4 Depth=1
	s_wait_alu 0xfffe
	s_or_b32 exec_lo, exec_lo, s5
.LBB684_38:                             ;   in Loop: Header=BB684_4 Depth=1
	s_wait_alu 0xfffe
	s_and_saveexec_b32 s5, s6
	s_cbranch_execz .LBB684_2
; %bb.39:                               ;   in Loop: Header=BB684_4 Depth=1
	v_add_co_u32 v3, vcc_lo, v19, s34
	s_wait_alu 0xfffd
	v_add_co_ci_u32_e64 v4, null, s35, v20, vcc_lo
	flat_store_b32 v[3:4], v7
	s_branch .LBB684_2
.LBB684_40:                             ;   in Loop: Header=BB684_4 Depth=1
	s_or_b32 exec_lo, exec_lo, s41
	s_delay_alu instid0(SALU_CYCLE_1)
	s_or_b32 exec_lo, exec_lo, s40
	s_and_saveexec_b32 s5, s4
	s_cbranch_execz .LBB684_19
.LBB684_41:                             ;   in Loop: Header=BB684_4 Depth=1
	v_add_co_u32 v3, vcc_lo, v3, v1
	s_wait_alu 0xfffd
	v_add_co_ci_u32_e64 v4, null, v4, v2, vcc_lo
	v_add_co_u32 v5, vcc_lo, v5, s38
	s_wait_alu 0xfffd
	v_add_co_ci_u32_e64 v6, null, s39, v6, vcc_lo
	flat_load_u16 v3, v[3:4]
	flat_load_u16 v4, v[5:6]
	s_wait_loadcnt_dscnt 0x101
	v_lshlrev_b32_e32 v3, 16, v3
	s_wait_loadcnt_dscnt 0x0
	v_lshlrev_b32_e32 v4, 16, v4
	s_delay_alu instid0(VALU_DEP_1) | instskip(NEXT) | instid1(VALU_DEP_1)
	v_mul_f32_e32 v3, v4, v3
	v_and_b32_e32 v4, 0x7f800000, v3
	s_delay_alu instid0(VALU_DEP_1) | instskip(SKIP_1) | instid1(SALU_CYCLE_1)
	v_cmp_ne_u32_e32 vcc_lo, 0x7f800000, v4
                                        ; implicit-def: $vgpr4
	s_and_saveexec_b32 s40, vcc_lo
	s_xor_b32 s40, exec_lo, s40
; %bb.42:                               ;   in Loop: Header=BB684_4 Depth=1
	v_bfe_u32 v4, v3, 16, 1
	s_delay_alu instid0(VALU_DEP_1)
	v_add3_u32 v4, v3, v4, 0x7fff
                                        ; implicit-def: $vgpr3
; %bb.43:                               ;   in Loop: Header=BB684_4 Depth=1
	s_and_not1_saveexec_b32 s40, s40
; %bb.44:                               ;   in Loop: Header=BB684_4 Depth=1
	v_and_b32_e32 v4, 0xffff, v3
	v_or_b32_e32 v5, 0x10000, v3
	s_delay_alu instid0(VALU_DEP_2) | instskip(SKIP_1) | instid1(VALU_DEP_2)
	v_cmp_eq_u32_e32 vcc_lo, 0, v4
	s_wait_alu 0xfffd
	v_cndmask_b32_e32 v4, v5, v3, vcc_lo
; %bb.45:                               ;   in Loop: Header=BB684_4 Depth=1
	s_or_b32 exec_lo, exec_lo, s40
	s_delay_alu instid0(VALU_DEP_1) | instskip(NEXT) | instid1(VALU_DEP_1)
	v_and_b32_e32 v3, 0xffff0000, v4
	v_add_f32_e32 v21, v21, v3
	s_wait_alu 0xfffe
	s_or_b32 exec_lo, exec_lo, s5
	s_and_saveexec_b32 s5, s1
	s_cbranch_execnz .LBB684_20
	s_branch .LBB684_21
.LBB684_46:
	s_endpgm
	.section	.rodata,"a",@progbits
	.p2align	6, 0x0
	.amdhsa_kernel _ZL32rocblas_gemvt_warp_reduce_kernelILb0ELi1024EiPK16rocblas_bfloat16PKfKPfEviiT3_lPKT2_lT1_lSA_lSB_lS7_lPT4_lSB_li
		.amdhsa_group_segment_fixed_size 128
		.amdhsa_private_segment_fixed_size 0
		.amdhsa_kernarg_size 140
		.amdhsa_user_sgpr_count 2
		.amdhsa_user_sgpr_dispatch_ptr 0
		.amdhsa_user_sgpr_queue_ptr 0
		.amdhsa_user_sgpr_kernarg_segment_ptr 1
		.amdhsa_user_sgpr_dispatch_id 0
		.amdhsa_user_sgpr_private_segment_size 0
		.amdhsa_wavefront_size32 1
		.amdhsa_uses_dynamic_stack 0
		.amdhsa_enable_private_segment 0
		.amdhsa_system_sgpr_workgroup_id_x 1
		.amdhsa_system_sgpr_workgroup_id_y 0
		.amdhsa_system_sgpr_workgroup_id_z 1
		.amdhsa_system_sgpr_workgroup_info 0
		.amdhsa_system_vgpr_workitem_id 0
		.amdhsa_next_free_vgpr 25
		.amdhsa_next_free_sgpr 44
		.amdhsa_reserve_vcc 1
		.amdhsa_float_round_mode_32 0
		.amdhsa_float_round_mode_16_64 0
		.amdhsa_float_denorm_mode_32 3
		.amdhsa_float_denorm_mode_16_64 3
		.amdhsa_fp16_overflow 0
		.amdhsa_workgroup_processor_mode 1
		.amdhsa_memory_ordered 1
		.amdhsa_forward_progress 1
		.amdhsa_inst_pref_size 15
		.amdhsa_round_robin_scheduling 0
		.amdhsa_exception_fp_ieee_invalid_op 0
		.amdhsa_exception_fp_denorm_src 0
		.amdhsa_exception_fp_ieee_div_zero 0
		.amdhsa_exception_fp_ieee_overflow 0
		.amdhsa_exception_fp_ieee_underflow 0
		.amdhsa_exception_fp_ieee_inexact 0
		.amdhsa_exception_int_div_zero 0
	.end_amdhsa_kernel
	.section	.text._ZL32rocblas_gemvt_warp_reduce_kernelILb0ELi1024EiPK16rocblas_bfloat16PKfKPfEviiT3_lPKT2_lT1_lSA_lSB_lS7_lPT4_lSB_li,"axG",@progbits,_ZL32rocblas_gemvt_warp_reduce_kernelILb0ELi1024EiPK16rocblas_bfloat16PKfKPfEviiT3_lPKT2_lT1_lSA_lSB_lS7_lPT4_lSB_li,comdat
.Lfunc_end684:
	.size	_ZL32rocblas_gemvt_warp_reduce_kernelILb0ELi1024EiPK16rocblas_bfloat16PKfKPfEviiT3_lPKT2_lT1_lSA_lSB_lS7_lPT4_lSB_li, .Lfunc_end684-_ZL32rocblas_gemvt_warp_reduce_kernelILb0ELi1024EiPK16rocblas_bfloat16PKfKPfEviiT3_lPKT2_lT1_lSA_lSB_lS7_lPT4_lSB_li
                                        ; -- End function
	.set _ZL32rocblas_gemvt_warp_reduce_kernelILb0ELi1024EiPK16rocblas_bfloat16PKfKPfEviiT3_lPKT2_lT1_lSA_lSB_lS7_lPT4_lSB_li.num_vgpr, 25
	.set _ZL32rocblas_gemvt_warp_reduce_kernelILb0ELi1024EiPK16rocblas_bfloat16PKfKPfEviiT3_lPKT2_lT1_lSA_lSB_lS7_lPT4_lSB_li.num_agpr, 0
	.set _ZL32rocblas_gemvt_warp_reduce_kernelILb0ELi1024EiPK16rocblas_bfloat16PKfKPfEviiT3_lPKT2_lT1_lSA_lSB_lS7_lPT4_lSB_li.numbered_sgpr, 44
	.set _ZL32rocblas_gemvt_warp_reduce_kernelILb0ELi1024EiPK16rocblas_bfloat16PKfKPfEviiT3_lPKT2_lT1_lSA_lSB_lS7_lPT4_lSB_li.num_named_barrier, 0
	.set _ZL32rocblas_gemvt_warp_reduce_kernelILb0ELi1024EiPK16rocblas_bfloat16PKfKPfEviiT3_lPKT2_lT1_lSA_lSB_lS7_lPT4_lSB_li.private_seg_size, 0
	.set _ZL32rocblas_gemvt_warp_reduce_kernelILb0ELi1024EiPK16rocblas_bfloat16PKfKPfEviiT3_lPKT2_lT1_lSA_lSB_lS7_lPT4_lSB_li.uses_vcc, 1
	.set _ZL32rocblas_gemvt_warp_reduce_kernelILb0ELi1024EiPK16rocblas_bfloat16PKfKPfEviiT3_lPKT2_lT1_lSA_lSB_lS7_lPT4_lSB_li.uses_flat_scratch, 0
	.set _ZL32rocblas_gemvt_warp_reduce_kernelILb0ELi1024EiPK16rocblas_bfloat16PKfKPfEviiT3_lPKT2_lT1_lSA_lSB_lS7_lPT4_lSB_li.has_dyn_sized_stack, 0
	.set _ZL32rocblas_gemvt_warp_reduce_kernelILb0ELi1024EiPK16rocblas_bfloat16PKfKPfEviiT3_lPKT2_lT1_lSA_lSB_lS7_lPT4_lSB_li.has_recursion, 0
	.set _ZL32rocblas_gemvt_warp_reduce_kernelILb0ELi1024EiPK16rocblas_bfloat16PKfKPfEviiT3_lPKT2_lT1_lSA_lSB_lS7_lPT4_lSB_li.has_indirect_call, 0
	.section	.AMDGPU.csdata,"",@progbits
; Kernel info:
; codeLenInByte = 1920
; TotalNumSgprs: 46
; NumVgprs: 25
; ScratchSize: 0
; MemoryBound: 0
; FloatMode: 240
; IeeeMode: 1
; LDSByteSize: 128 bytes/workgroup (compile time only)
; SGPRBlocks: 0
; VGPRBlocks: 3
; NumSGPRsForWavesPerEU: 46
; NumVGPRsForWavesPerEU: 25
; Occupancy: 16
; WaveLimiterHint : 1
; COMPUTE_PGM_RSRC2:SCRATCH_EN: 0
; COMPUTE_PGM_RSRC2:USER_SGPR: 2
; COMPUTE_PGM_RSRC2:TRAP_HANDLER: 0
; COMPUTE_PGM_RSRC2:TGID_X_EN: 1
; COMPUTE_PGM_RSRC2:TGID_Y_EN: 0
; COMPUTE_PGM_RSRC2:TGID_Z_EN: 1
; COMPUTE_PGM_RSRC2:TIDIG_COMP_CNT: 0
	.section	.text._ZL32rocblas_gemvt_warp_reduce_kernelILb0ELi1024ElPK16rocblas_bfloat16PKfKPfEviiT3_lPKT2_lT1_lSA_lSB_lS7_lPT4_lSB_li,"axG",@progbits,_ZL32rocblas_gemvt_warp_reduce_kernelILb0ELi1024ElPK16rocblas_bfloat16PKfKPfEviiT3_lPKT2_lT1_lSA_lSB_lS7_lPT4_lSB_li,comdat
	.globl	_ZL32rocblas_gemvt_warp_reduce_kernelILb0ELi1024ElPK16rocblas_bfloat16PKfKPfEviiT3_lPKT2_lT1_lSA_lSB_lS7_lPT4_lSB_li ; -- Begin function _ZL32rocblas_gemvt_warp_reduce_kernelILb0ELi1024ElPK16rocblas_bfloat16PKfKPfEviiT3_lPKT2_lT1_lSA_lSB_lS7_lPT4_lSB_li
	.p2align	8
	.type	_ZL32rocblas_gemvt_warp_reduce_kernelILb0ELi1024ElPK16rocblas_bfloat16PKfKPfEviiT3_lPKT2_lT1_lSA_lSB_lS7_lPT4_lSB_li,@function
_ZL32rocblas_gemvt_warp_reduce_kernelILb0ELi1024ElPK16rocblas_bfloat16PKfKPfEviiT3_lPKT2_lT1_lSA_lSB_lS7_lPT4_lSB_li: ; @_ZL32rocblas_gemvt_warp_reduce_kernelILb0ELi1024ElPK16rocblas_bfloat16PKfKPfEviiT3_lPKT2_lT1_lSA_lSB_lS7_lPT4_lSB_li
; %bb.0:
	s_load_b32 s7, s[0:1], 0x88
	s_lshr_b32 s28, ttmp7, 16
	s_wait_kmcnt 0x0
	s_cmp_ge_u32 s28, s7
	s_cbranch_scc1 .LBB685_46
; %bb.1:
	s_clause 0x6
	s_load_b32 s6, s[0:1], 0x0
	s_load_b64 s[36:37], s[0:1], 0x48
	s_load_b256 s[8:15], s[0:1], 0x8
	s_load_b64 s[34:35], s[0:1], 0x78
	s_load_b64 s[38:39], s[0:1], 0x28
	s_load_b128 s[24:27], s[0:1], 0x38
	s_load_b256 s[16:23], s[0:1], 0x58
	v_and_b32_e32 v3, 31, v0
	v_lshrrev_b32_e32 v4, 3, v0
	v_mov_b32_e32 v13, 0
	v_mbcnt_lo_u32_b32 v14, -1, 0
	s_mov_b32 s4, ttmp9
	s_ashr_i32 s5, ttmp9, 31
	v_and_b32_e32 v16, 0x7c, v4
	v_cmp_eq_u32_e64 s0, 0, v0
	v_cmp_gt_u32_e64 s1, 32, v0
	v_lshl_or_b32 v18, v14, 2, 64
	s_mov_b32 s29, 0
	s_wait_kmcnt 0x0
	s_ashr_i32 s2, s6, 31
	v_mad_co_u64_u32 v[1:2], null, s36, v0, 0
	s_lshr_b32 s3, s2, 22
	v_cmp_eq_u32_e64 s2, 0, v3
	s_add_co_i32 s3, s6, s3
	v_cmp_gt_i32_e32 vcc_lo, s6, v0
	s_and_b32 s30, s3, 0xfffffc00
	v_lshlrev_b32_e32 v15, 2, v3
	v_or_b32_e32 v5, s30, v0
	v_mad_co_u64_u32 v[2:3], null, s37, v0, v[2:3]
	s_ashr_i32 s31, s30, 31
	v_cndmask_b32_e32 v6, 0, v0, vcc_lo
	v_mul_lo_u32 v7, s37, v5
	v_mad_co_u64_u32 v[3:4], null, s36, v5, 0
	s_wait_alu 0xfffe
	s_mul_i32 s3, s36, s31
	v_lshlrev_b64_e32 v[1:2], 1, v[1:2]
	s_mul_u64 s[40:41], s[34:35], s[4:5]
	s_mul_u64 s[38:39], s[38:39], s[4:5]
	v_cmp_gt_i32_e64 s4, s6, v5
	v_lshlrev_b32_e32 v17, 1, v6
	v_add3_u32 v4, v4, s3, v7
	v_cmp_gt_i32_e64 s3, s30, v0
	s_lshl_b64 s[34:35], s[36:37], 11
	s_lshl_b64 s[14:15], s[14:15], 1
	;; [unrolled: 1-line block ×3, first 2 shown]
	v_lshlrev_b64_e32 v[3:4], 1, v[3:4]
	s_lshl_b64 s[22:23], s[22:23], 2
	s_lshl_b64 s[36:37], s[40:41], 2
	s_lshl_b64 s[38:39], s[38:39], 1
	s_lshl_b64 s[40:41], s[30:31], 1
	s_branch .LBB685_4
.LBB685_2:                              ;   in Loop: Header=BB685_4 Depth=1
	s_wait_alu 0xfffe
	s_or_b32 exec_lo, exec_lo, s5
.LBB685_3:                              ;   in Loop: Header=BB685_4 Depth=1
	s_add_co_i32 s28, s28, 0x10000
	s_delay_alu instid0(SALU_CYCLE_1)
	s_cmp_lt_u32 s28, s7
	s_cbranch_scc0 .LBB685_46
.LBB685_4:                              ; =>This Loop Header: Depth=1
                                        ;     Child Loop BB685_28 Depth 2
	s_mul_u64 s[42:43], s[10:11], s[28:29]
	s_mul_u64 s[44:45], s[18:19], s[28:29]
	s_lshl_b64 s[42:43], s[42:43], 2
	s_lshl_b64 s[44:45], s[44:45], 2
	s_add_nc_u64 s[42:43], s[8:9], s[42:43]
	s_add_nc_u64 s[44:45], s[16:17], s[44:45]
	s_clause 0x1
	global_load_b32 v19, v13, s[42:43]
	global_load_b32 v5, v13, s[44:45]
	s_wait_loadcnt 0x1
	v_cmp_eq_f32_e64 s5, 0, v19
	s_wait_loadcnt 0x0
	v_cmp_eq_f32_e32 vcc_lo, 1.0, v5
	v_readfirstlane_b32 s31, v5
	s_and_b32 s6, s5, vcc_lo
	s_wait_alu 0xfffe
	s_and_b32 vcc_lo, exec_lo, s6
	s_wait_alu 0xfffe
	s_cbranch_vccnz .LBB685_3
; %bb.5:                                ;   in Loop: Header=BB685_4 Depth=1
	v_mov_b32_e32 v5, 0
	v_dual_mov_b32 v6, 0 :: v_dual_mov_b32 v7, 0
	v_cmp_neq_f32_e64 s6, 0, v19
	v_mov_b32_e32 v8, 0
	s_and_b32 vcc_lo, exec_lo, s5
	s_wait_alu 0xfffe
	s_cbranch_vccnz .LBB685_7
; %bb.6:                                ;   in Loop: Header=BB685_4 Depth=1
	s_lshl_b64 s[42:43], s[28:29], 3
	s_delay_alu instid0(SALU_CYCLE_1)
	s_add_nc_u64 s[42:43], s[12:13], s[42:43]
	global_load_b64 v[7:8], v13, s[42:43]
	s_wait_loadcnt 0x0
	v_add_co_u32 v7, vcc_lo, v7, s14
	s_wait_alu 0xfffd
	v_add_co_ci_u32_e64 v8, null, s15, v8, vcc_lo
.LBB685_7:                              ;   in Loop: Header=BB685_4 Depth=1
	s_and_not1_b32 vcc_lo, exec_lo, s6
	s_wait_alu 0xfffe
	s_cbranch_vccnz .LBB685_9
; %bb.8:                                ;   in Loop: Header=BB685_4 Depth=1
	s_lshl_b64 s[42:43], s[28:29], 3
	s_delay_alu instid0(SALU_CYCLE_1)
	s_add_nc_u64 s[42:43], s[24:25], s[42:43]
	global_load_b64 v[5:6], v13, s[42:43]
	s_wait_loadcnt 0x0
	v_add_co_u32 v5, vcc_lo, v5, s26
	s_wait_alu 0xfffd
	v_add_co_ci_u32_e64 v6, null, s27, v6, vcc_lo
.LBB685_9:                              ;   in Loop: Header=BB685_4 Depth=1
	s_lshl_b64 s[42:43], s[28:29], 3
	s_delay_alu instid0(SALU_CYCLE_1)
	s_add_nc_u64 s[42:43], s[20:21], s[42:43]
	s_wait_dscnt 0x0
	global_load_b64 v[9:10], v13, s[42:43]
	s_wait_loadcnt 0x0
	v_add_co_u32 v20, vcc_lo, v9, s22
	s_wait_alu 0xfffd
	v_add_co_ci_u32_e64 v21, null, s23, v10, vcc_lo
	s_and_not1_b32 vcc_lo, exec_lo, s5
	s_wait_alu 0xfffe
	s_cbranch_vccnz .LBB685_13
; %bb.10:                               ;   in Loop: Header=BB685_4 Depth=1
	s_mov_b32 s5, 0
	s_mov_b32 s6, 0
                                        ; implicit-def: $vgpr9
	s_and_saveexec_b32 s33, s0
	s_cbranch_execz .LBB685_14
; %bb.11:                               ;   in Loop: Header=BB685_4 Depth=1
	s_cmp_eq_f32 s31, 0
	s_cbranch_scc1 .LBB685_15
; %bb.12:                               ;   in Loop: Header=BB685_4 Depth=1
	v_add_co_u32 v9, vcc_lo, v20, s36
	s_wait_alu 0xfffd
	v_add_co_ci_u32_e64 v10, null, s37, v21, vcc_lo
	flat_load_b32 v9, v[9:10]
	s_wait_loadcnt_dscnt 0x0
	v_mul_f32_e32 v9, s31, v9
	s_branch .LBB685_16
.LBB685_13:                             ;   in Loop: Header=BB685_4 Depth=1
	s_mov_b32 s6, 0
                                        ; implicit-def: $vgpr9
	s_cbranch_execnz .LBB685_17
	s_branch .LBB685_38
.LBB685_14:                             ;   in Loop: Header=BB685_4 Depth=1
	s_or_b32 exec_lo, exec_lo, s33
	s_wait_alu 0xfffe
	s_and_b32 vcc_lo, exec_lo, s5
	s_wait_alu 0xfffe
	s_cbranch_vccnz .LBB685_17
	s_branch .LBB685_38
.LBB685_15:                             ;   in Loop: Header=BB685_4 Depth=1
	v_mov_b32_e32 v9, 0
.LBB685_16:                             ;   in Loop: Header=BB685_4 Depth=1
	s_mov_b32 s6, exec_lo
	s_or_b32 exec_lo, exec_lo, s33
	s_wait_alu 0xfffe
	s_and_b32 vcc_lo, exec_lo, s5
	s_wait_alu 0xfffe
	s_cbranch_vccz .LBB685_38
.LBB685_17:                             ;   in Loop: Header=BB685_4 Depth=1
	v_add_co_u32 v7, vcc_lo, v7, v17
	s_wait_alu 0xfffd
	v_add_co_ci_u32_e64 v8, null, 0, v8, vcc_lo
	v_mov_b32_e32 v22, 0
	s_delay_alu instid0(VALU_DEP_3) | instskip(SKIP_1) | instid1(VALU_DEP_3)
	v_add_co_u32 v7, vcc_lo, v7, s38
	s_wait_alu 0xfffd
	v_add_co_ci_u32_e64 v8, null, s39, v8, vcc_lo
	s_and_saveexec_b32 s33, s3
	s_cbranch_execnz .LBB685_26
; %bb.18:                               ;   in Loop: Header=BB685_4 Depth=1
	s_or_b32 exec_lo, exec_lo, s33
	s_and_saveexec_b32 s5, s4
	s_cbranch_execnz .LBB685_41
.LBB685_19:                             ;   in Loop: Header=BB685_4 Depth=1
	s_wait_alu 0xfffe
	s_or_b32 exec_lo, exec_lo, s5
	s_and_saveexec_b32 s5, s1
.LBB685_20:                             ;   in Loop: Header=BB685_4 Depth=1
	ds_store_b32 v15, v13
.LBB685_21:                             ;   in Loop: Header=BB685_4 Depth=1
	s_wait_alu 0xfffe
	s_or_b32 exec_lo, exec_lo, s5
	ds_bpermute_b32 v6, v18, v22
	v_cmp_gt_u32_e32 vcc_lo, 24, v14
	s_wait_dscnt 0x0
	s_barrier_signal -1
	s_barrier_wait -1
	global_inv scope:SCOPE_SE
	s_wait_alu 0xfffd
	v_cndmask_b32_e64 v5, 0, 8, vcc_lo
	v_cmp_gt_u32_e32 vcc_lo, 28, v14
	s_delay_alu instid0(VALU_DEP_2)
	v_add_lshl_u32 v5, v5, v14, 2
	v_add_f32_e32 v7, v22, v6
	s_wait_alu 0xfffd
	v_cndmask_b32_e64 v6, 0, 4, vcc_lo
	v_cmp_gt_u32_e32 vcc_lo, 30, v14
	ds_bpermute_b32 v8, v5, v7
	v_add_lshl_u32 v6, v6, v14, 2
	s_wait_dscnt 0x0
	v_add_f32_e32 v8, v7, v8
	s_wait_alu 0xfffd
	v_cndmask_b32_e64 v7, 0, 2, vcc_lo
	v_cmp_ne_u32_e32 vcc_lo, 31, v14
	ds_bpermute_b32 v9, v6, v8
	v_add_lshl_u32 v7, v7, v14, 2
	s_wait_alu 0xfffd
	v_add_co_ci_u32_e64 v10, null, 0, v14, vcc_lo
	s_wait_dscnt 0x0
	v_add_f32_e32 v8, v8, v9
	ds_bpermute_b32 v9, v7, v8
	s_wait_dscnt 0x0
	v_dual_add_f32 v9, v8, v9 :: v_dual_lshlrev_b32 v8, 2, v10
	ds_bpermute_b32 v10, v8, v9
	s_and_saveexec_b32 s5, s2
	s_cbranch_execz .LBB685_23
; %bb.22:                               ;   in Loop: Header=BB685_4 Depth=1
	s_wait_dscnt 0x0
	v_add_f32_e32 v9, v9, v10
	ds_store_b32 v16, v9
.LBB685_23:                             ;   in Loop: Header=BB685_4 Depth=1
	s_wait_alu 0xfffe
	s_or_b32 exec_lo, exec_lo, s5
	s_wait_dscnt 0x0
	v_mov_b32_e32 v10, 0
	s_wait_loadcnt 0x0
	s_barrier_signal -1
	s_barrier_wait -1
	global_inv scope:SCOPE_SE
	s_and_saveexec_b32 s5, s1
	s_cbranch_execnz .LBB685_32
; %bb.24:                               ;   in Loop: Header=BB685_4 Depth=1
	s_wait_alu 0xfffe
	s_or_b32 exec_lo, exec_lo, s5
	s_and_saveexec_b32 s5, s1
	s_cbranch_execnz .LBB685_33
.LBB685_25:                             ;   in Loop: Header=BB685_4 Depth=1
	s_wait_alu 0xfffe
	s_or_b32 exec_lo, exec_lo, s5
                                        ; implicit-def: $vgpr9
	s_and_saveexec_b32 s5, s0
	s_cbranch_execnz .LBB685_34
	s_branch .LBB685_37
.LBB685_26:                             ;   in Loop: Header=BB685_4 Depth=1
	v_add_co_u32 v9, vcc_lo, v5, v1
	v_dual_mov_b32 v12, v8 :: v_dual_mov_b32 v23, v0
	s_wait_alu 0xfffd
	v_add_co_ci_u32_e64 v10, null, v6, v2, vcc_lo
	v_dual_mov_b32 v22, 0 :: v_dual_mov_b32 v11, v7
	s_mov_b32 s42, 0
	s_branch .LBB685_28
.LBB685_27:                             ;   in Loop: Header=BB685_28 Depth=2
	s_wait_alu 0xfffe
	s_or_b32 exec_lo, exec_lo, s5
	s_delay_alu instid0(VALU_DEP_1)
	v_and_b32_e32 v24, 0xffff0000, v25
	v_add_nc_u32_e32 v23, 0x400, v23
	v_add_co_u32 v11, vcc_lo, 0x800, v11
	s_wait_alu 0xfffd
	v_add_co_ci_u32_e64 v12, null, 0, v12, vcc_lo
	v_add_f32_e32 v22, v22, v24
	v_cmp_le_i32_e32 vcc_lo, s30, v23
	v_add_co_u32 v9, s5, v9, s34
	s_wait_alu 0xf1ff
	v_add_co_ci_u32_e64 v10, null, s35, v10, s5
	s_or_b32 s42, vcc_lo, s42
	s_delay_alu instid0(SALU_CYCLE_1)
	s_and_not1_b32 exec_lo, exec_lo, s42
	s_cbranch_execz .LBB685_40
.LBB685_28:                             ;   Parent Loop BB685_4 Depth=1
                                        ; =>  This Inner Loop Header: Depth=2
	flat_load_u16 v24, v[9:10]
	flat_load_u16 v25, v[11:12]
	s_wait_loadcnt_dscnt 0x101
	v_lshlrev_b32_e32 v24, 16, v24
	s_wait_loadcnt_dscnt 0x0
	v_lshlrev_b32_e32 v25, 16, v25
	s_delay_alu instid0(VALU_DEP_1) | instskip(NEXT) | instid1(VALU_DEP_1)
	v_mul_f32_e32 v24, v25, v24
	v_and_b32_e32 v25, 0x7f800000, v24
	s_delay_alu instid0(VALU_DEP_1)
	v_cmp_ne_u32_e32 vcc_lo, 0x7f800000, v25
                                        ; implicit-def: $vgpr25
	s_and_saveexec_b32 s5, vcc_lo
	s_wait_alu 0xfffe
	s_xor_b32 s5, exec_lo, s5
; %bb.29:                               ;   in Loop: Header=BB685_28 Depth=2
	v_bfe_u32 v25, v24, 16, 1
	s_delay_alu instid0(VALU_DEP_1)
	v_add3_u32 v25, v24, v25, 0x7fff
                                        ; implicit-def: $vgpr24
; %bb.30:                               ;   in Loop: Header=BB685_28 Depth=2
	s_wait_alu 0xfffe
	s_and_not1_saveexec_b32 s5, s5
	s_cbranch_execz .LBB685_27
; %bb.31:                               ;   in Loop: Header=BB685_28 Depth=2
	v_and_b32_e32 v25, 0xffff, v24
	v_or_b32_e32 v26, 0x10000, v24
	s_delay_alu instid0(VALU_DEP_2) | instskip(SKIP_1) | instid1(VALU_DEP_2)
	v_cmp_eq_u32_e32 vcc_lo, 0, v25
	s_wait_alu 0xfffd
	v_cndmask_b32_e32 v25, v26, v24, vcc_lo
	s_branch .LBB685_27
.LBB685_32:                             ;   in Loop: Header=BB685_4 Depth=1
	ds_load_b32 v10, v15
	s_wait_alu 0xfffe
	s_or_b32 exec_lo, exec_lo, s5
	s_and_saveexec_b32 s5, s1
	s_cbranch_execz .LBB685_25
.LBB685_33:                             ;   in Loop: Header=BB685_4 Depth=1
	s_wait_dscnt 0x0
	ds_bpermute_b32 v9, v18, v10
	s_wait_dscnt 0x0
	v_add_f32_e32 v9, v10, v9
	ds_bpermute_b32 v5, v5, v9
	s_wait_dscnt 0x0
	v_add_f32_e32 v5, v9, v5
	;; [unrolled: 3-line block ×5, first 2 shown]
	s_wait_alu 0xfffe
	s_or_b32 exec_lo, exec_lo, s5
                                        ; implicit-def: $vgpr9
	s_and_saveexec_b32 s5, s0
	s_cbranch_execz .LBB685_37
.LBB685_34:                             ;   in Loop: Header=BB685_4 Depth=1
	s_wait_dscnt 0x0
	v_mul_f32_e32 v9, v19, v10
	s_cmp_eq_f32 s31, 0
	s_cbranch_scc1 .LBB685_36
; %bb.35:                               ;   in Loop: Header=BB685_4 Depth=1
	v_add_co_u32 v5, vcc_lo, v20, s36
	s_wait_alu 0xfffd
	v_add_co_ci_u32_e64 v6, null, s37, v21, vcc_lo
	flat_load_b32 v5, v[5:6]
	s_wait_loadcnt_dscnt 0x0
	v_fmac_f32_e32 v9, s31, v5
.LBB685_36:                             ;   in Loop: Header=BB685_4 Depth=1
	s_wait_alu 0xfffe
	s_or_b32 s6, s6, exec_lo
.LBB685_37:                             ;   in Loop: Header=BB685_4 Depth=1
	s_wait_alu 0xfffe
	s_or_b32 exec_lo, exec_lo, s5
.LBB685_38:                             ;   in Loop: Header=BB685_4 Depth=1
	s_wait_alu 0xfffe
	s_and_saveexec_b32 s5, s6
	s_cbranch_execz .LBB685_2
; %bb.39:                               ;   in Loop: Header=BB685_4 Depth=1
	v_add_co_u32 v5, vcc_lo, v20, s36
	s_wait_alu 0xfffd
	v_add_co_ci_u32_e64 v6, null, s37, v21, vcc_lo
	flat_store_b32 v[5:6], v9
	s_branch .LBB685_2
.LBB685_40:                             ;   in Loop: Header=BB685_4 Depth=1
	s_or_b32 exec_lo, exec_lo, s42
	s_delay_alu instid0(SALU_CYCLE_1)
	s_or_b32 exec_lo, exec_lo, s33
	s_and_saveexec_b32 s5, s4
	s_cbranch_execz .LBB685_19
.LBB685_41:                             ;   in Loop: Header=BB685_4 Depth=1
	v_add_co_u32 v5, vcc_lo, v5, v3
	s_wait_alu 0xfffd
	v_add_co_ci_u32_e64 v6, null, v6, v4, vcc_lo
	v_add_co_u32 v7, vcc_lo, v7, s40
	s_wait_alu 0xfffd
	v_add_co_ci_u32_e64 v8, null, s41, v8, vcc_lo
	flat_load_u16 v5, v[5:6]
	flat_load_u16 v6, v[7:8]
	s_wait_loadcnt_dscnt 0x101
	v_lshlrev_b32_e32 v5, 16, v5
	s_wait_loadcnt_dscnt 0x0
	v_lshlrev_b32_e32 v6, 16, v6
	s_delay_alu instid0(VALU_DEP_1) | instskip(NEXT) | instid1(VALU_DEP_1)
	v_mul_f32_e32 v5, v6, v5
	v_and_b32_e32 v6, 0x7f800000, v5
	s_delay_alu instid0(VALU_DEP_1) | instskip(SKIP_1) | instid1(SALU_CYCLE_1)
	v_cmp_ne_u32_e32 vcc_lo, 0x7f800000, v6
                                        ; implicit-def: $vgpr6
	s_and_saveexec_b32 s33, vcc_lo
	s_xor_b32 s33, exec_lo, s33
; %bb.42:                               ;   in Loop: Header=BB685_4 Depth=1
	v_bfe_u32 v6, v5, 16, 1
	s_delay_alu instid0(VALU_DEP_1)
	v_add3_u32 v6, v5, v6, 0x7fff
                                        ; implicit-def: $vgpr5
; %bb.43:                               ;   in Loop: Header=BB685_4 Depth=1
	s_and_not1_saveexec_b32 s33, s33
; %bb.44:                               ;   in Loop: Header=BB685_4 Depth=1
	v_and_b32_e32 v6, 0xffff, v5
	v_or_b32_e32 v7, 0x10000, v5
	s_delay_alu instid0(VALU_DEP_2) | instskip(SKIP_1) | instid1(VALU_DEP_2)
	v_cmp_eq_u32_e32 vcc_lo, 0, v6
	s_wait_alu 0xfffd
	v_cndmask_b32_e32 v6, v7, v5, vcc_lo
; %bb.45:                               ;   in Loop: Header=BB685_4 Depth=1
	s_or_b32 exec_lo, exec_lo, s33
	s_delay_alu instid0(VALU_DEP_1) | instskip(NEXT) | instid1(VALU_DEP_1)
	v_and_b32_e32 v5, 0xffff0000, v6
	v_add_f32_e32 v22, v22, v5
	s_wait_alu 0xfffe
	s_or_b32 exec_lo, exec_lo, s5
	s_and_saveexec_b32 s5, s1
	s_cbranch_execnz .LBB685_20
	s_branch .LBB685_21
.LBB685_46:
	s_endpgm
	.section	.rodata,"a",@progbits
	.p2align	6, 0x0
	.amdhsa_kernel _ZL32rocblas_gemvt_warp_reduce_kernelILb0ELi1024ElPK16rocblas_bfloat16PKfKPfEviiT3_lPKT2_lT1_lSA_lSB_lS7_lPT4_lSB_li
		.amdhsa_group_segment_fixed_size 128
		.amdhsa_private_segment_fixed_size 0
		.amdhsa_kernarg_size 140
		.amdhsa_user_sgpr_count 2
		.amdhsa_user_sgpr_dispatch_ptr 0
		.amdhsa_user_sgpr_queue_ptr 0
		.amdhsa_user_sgpr_kernarg_segment_ptr 1
		.amdhsa_user_sgpr_dispatch_id 0
		.amdhsa_user_sgpr_private_segment_size 0
		.amdhsa_wavefront_size32 1
		.amdhsa_uses_dynamic_stack 0
		.amdhsa_enable_private_segment 0
		.amdhsa_system_sgpr_workgroup_id_x 1
		.amdhsa_system_sgpr_workgroup_id_y 0
		.amdhsa_system_sgpr_workgroup_id_z 1
		.amdhsa_system_sgpr_workgroup_info 0
		.amdhsa_system_vgpr_workitem_id 0
		.amdhsa_next_free_vgpr 27
		.amdhsa_next_free_sgpr 46
		.amdhsa_reserve_vcc 1
		.amdhsa_float_round_mode_32 0
		.amdhsa_float_round_mode_16_64 0
		.amdhsa_float_denorm_mode_32 3
		.amdhsa_float_denorm_mode_16_64 3
		.amdhsa_fp16_overflow 0
		.amdhsa_workgroup_processor_mode 1
		.amdhsa_memory_ordered 1
		.amdhsa_forward_progress 1
		.amdhsa_inst_pref_size 16
		.amdhsa_round_robin_scheduling 0
		.amdhsa_exception_fp_ieee_invalid_op 0
		.amdhsa_exception_fp_denorm_src 0
		.amdhsa_exception_fp_ieee_div_zero 0
		.amdhsa_exception_fp_ieee_overflow 0
		.amdhsa_exception_fp_ieee_underflow 0
		.amdhsa_exception_fp_ieee_inexact 0
		.amdhsa_exception_int_div_zero 0
	.end_amdhsa_kernel
	.section	.text._ZL32rocblas_gemvt_warp_reduce_kernelILb0ELi1024ElPK16rocblas_bfloat16PKfKPfEviiT3_lPKT2_lT1_lSA_lSB_lS7_lPT4_lSB_li,"axG",@progbits,_ZL32rocblas_gemvt_warp_reduce_kernelILb0ELi1024ElPK16rocblas_bfloat16PKfKPfEviiT3_lPKT2_lT1_lSA_lSB_lS7_lPT4_lSB_li,comdat
.Lfunc_end685:
	.size	_ZL32rocblas_gemvt_warp_reduce_kernelILb0ELi1024ElPK16rocblas_bfloat16PKfKPfEviiT3_lPKT2_lT1_lSA_lSB_lS7_lPT4_lSB_li, .Lfunc_end685-_ZL32rocblas_gemvt_warp_reduce_kernelILb0ELi1024ElPK16rocblas_bfloat16PKfKPfEviiT3_lPKT2_lT1_lSA_lSB_lS7_lPT4_lSB_li
                                        ; -- End function
	.set _ZL32rocblas_gemvt_warp_reduce_kernelILb0ELi1024ElPK16rocblas_bfloat16PKfKPfEviiT3_lPKT2_lT1_lSA_lSB_lS7_lPT4_lSB_li.num_vgpr, 27
	.set _ZL32rocblas_gemvt_warp_reduce_kernelILb0ELi1024ElPK16rocblas_bfloat16PKfKPfEviiT3_lPKT2_lT1_lSA_lSB_lS7_lPT4_lSB_li.num_agpr, 0
	.set _ZL32rocblas_gemvt_warp_reduce_kernelILb0ELi1024ElPK16rocblas_bfloat16PKfKPfEviiT3_lPKT2_lT1_lSA_lSB_lS7_lPT4_lSB_li.numbered_sgpr, 46
	.set _ZL32rocblas_gemvt_warp_reduce_kernelILb0ELi1024ElPK16rocblas_bfloat16PKfKPfEviiT3_lPKT2_lT1_lSA_lSB_lS7_lPT4_lSB_li.num_named_barrier, 0
	.set _ZL32rocblas_gemvt_warp_reduce_kernelILb0ELi1024ElPK16rocblas_bfloat16PKfKPfEviiT3_lPKT2_lT1_lSA_lSB_lS7_lPT4_lSB_li.private_seg_size, 0
	.set _ZL32rocblas_gemvt_warp_reduce_kernelILb0ELi1024ElPK16rocblas_bfloat16PKfKPfEviiT3_lPKT2_lT1_lSA_lSB_lS7_lPT4_lSB_li.uses_vcc, 1
	.set _ZL32rocblas_gemvt_warp_reduce_kernelILb0ELi1024ElPK16rocblas_bfloat16PKfKPfEviiT3_lPKT2_lT1_lSA_lSB_lS7_lPT4_lSB_li.uses_flat_scratch, 0
	.set _ZL32rocblas_gemvt_warp_reduce_kernelILb0ELi1024ElPK16rocblas_bfloat16PKfKPfEviiT3_lPKT2_lT1_lSA_lSB_lS7_lPT4_lSB_li.has_dyn_sized_stack, 0
	.set _ZL32rocblas_gemvt_warp_reduce_kernelILb0ELi1024ElPK16rocblas_bfloat16PKfKPfEviiT3_lPKT2_lT1_lSA_lSB_lS7_lPT4_lSB_li.has_recursion, 0
	.set _ZL32rocblas_gemvt_warp_reduce_kernelILb0ELi1024ElPK16rocblas_bfloat16PKfKPfEviiT3_lPKT2_lT1_lSA_lSB_lS7_lPT4_lSB_li.has_indirect_call, 0
	.section	.AMDGPU.csdata,"",@progbits
; Kernel info:
; codeLenInByte = 1948
; TotalNumSgprs: 48
; NumVgprs: 27
; ScratchSize: 0
; MemoryBound: 0
; FloatMode: 240
; IeeeMode: 1
; LDSByteSize: 128 bytes/workgroup (compile time only)
; SGPRBlocks: 0
; VGPRBlocks: 3
; NumSGPRsForWavesPerEU: 48
; NumVGPRsForWavesPerEU: 27
; Occupancy: 16
; WaveLimiterHint : 1
; COMPUTE_PGM_RSRC2:SCRATCH_EN: 0
; COMPUTE_PGM_RSRC2:USER_SGPR: 2
; COMPUTE_PGM_RSRC2:TRAP_HANDLER: 0
; COMPUTE_PGM_RSRC2:TGID_X_EN: 1
; COMPUTE_PGM_RSRC2:TGID_Y_EN: 0
; COMPUTE_PGM_RSRC2:TGID_Z_EN: 1
; COMPUTE_PGM_RSRC2:TIDIG_COMP_CNT: 0
	.section	.text._ZL32rocblas_gemvt_warp_reduce_kernelILb0ELi1024EiPK16rocblas_bfloat16fKPfEviiT3_lPKT2_lT1_lS8_lS9_lS5_lPT4_lS9_li,"axG",@progbits,_ZL32rocblas_gemvt_warp_reduce_kernelILb0ELi1024EiPK16rocblas_bfloat16fKPfEviiT3_lPKT2_lT1_lS8_lS9_lS5_lPT4_lS9_li,comdat
	.globl	_ZL32rocblas_gemvt_warp_reduce_kernelILb0ELi1024EiPK16rocblas_bfloat16fKPfEviiT3_lPKT2_lT1_lS8_lS9_lS5_lPT4_lS9_li ; -- Begin function _ZL32rocblas_gemvt_warp_reduce_kernelILb0ELi1024EiPK16rocblas_bfloat16fKPfEviiT3_lPKT2_lT1_lS8_lS9_lS5_lPT4_lS9_li
	.p2align	8
	.type	_ZL32rocblas_gemvt_warp_reduce_kernelILb0ELi1024EiPK16rocblas_bfloat16fKPfEviiT3_lPKT2_lT1_lS8_lS9_lS5_lPT4_lS9_li,@function
_ZL32rocblas_gemvt_warp_reduce_kernelILb0ELi1024EiPK16rocblas_bfloat16fKPfEviiT3_lPKT2_lT1_lS8_lS9_lS5_lPT4_lS9_li: ; @_ZL32rocblas_gemvt_warp_reduce_kernelILb0ELi1024EiPK16rocblas_bfloat16fKPfEviiT3_lPKT2_lT1_lS8_lS9_lS5_lPT4_lS9_li
; %bb.0:
	s_load_b32 s28, s[0:1], 0x88
	s_lshr_b32 s6, ttmp7, 16
	s_wait_kmcnt 0x0
	s_cmp_ge_u32 s6, s28
	s_cbranch_scc1 .LBB686_49
; %bb.1:
	s_clause 0x8
	s_load_b32 s29, s[0:1], 0x8
	s_load_b32 s30, s[0:1], 0x58
	s_load_b128 s[8:11], s[0:1], 0x18
	s_load_b32 s3, s[0:1], 0x28
	s_load_b32 s4, s[0:1], 0x0
	s_load_b128 s[12:15], s[0:1], 0x38
	s_load_b32 s5, s[0:1], 0x48
	s_load_b128 s[16:19], s[0:1], 0x68
	s_load_b32 s20, s[0:1], 0x78
	v_lshrrev_b32_e32 v2, 3, v0
	v_mov_b32_e32 v11, 0
	v_and_b32_e32 v1, 31, v0
	v_mbcnt_lo_u32_b32 v16, -1, 0
	v_cmp_eq_u32_e64 s0, 0, v0
	v_and_b32_e32 v14, 0x7c, v2
	s_mov_b32 s7, 0
	v_lshlrev_b32_e32 v13, 2, v1
	v_lshl_or_b32 v18, v16, 2, 64
	s_wait_kmcnt 0x0
	s_cmp_eq_f32 s29, 0
	v_cmp_gt_i32_e32 vcc_lo, s4, v0
	s_mul_i32 s24, s3, ttmp9
	s_cselect_b32 s31, -1, 0
	s_cmp_neq_f32 s30, 1.0
	s_mul_i32 s22, s20, ttmp9
	v_cndmask_b32_e32 v3, 0, v0, vcc_lo
	v_mul_lo_u32 v15, v0, s5
	s_cselect_b32 s1, -1, 0
	s_cmp_neq_f32 s29, 0
	s_delay_alu instid0(VALU_DEP_2) | instskip(SKIP_1) | instid1(SALU_CYCLE_1)
	v_lshlrev_b32_e32 v17, 1, v3
	s_cselect_b32 s2, -1, 0
	s_or_b32 s33, s2, s1
	s_cmp_neq_f32 s30, 0
	v_cndmask_b32_e64 v12, 0, 1, s2
	v_cmp_eq_u32_e64 s2, 0, v1
	v_cmp_gt_u32_e64 s1, 32, v0
	s_cselect_b32 s34, -1, 0
	s_ashr_i32 s21, s4, 31
	s_ashr_i32 s23, s22, 31
	s_lshr_b32 s21, s21, 22
	s_ashr_i32 s25, s24, 31
	s_add_co_i32 s21, s4, s21
	s_lshl_b32 s35, s5, 10
	s_and_b32 s20, s21, 0xfffffc00
	s_lshl_b64 s[10:11], s[10:11], 1
	v_or_b32_e32 v2, s20, v0
	v_cmp_gt_i32_e64 s3, s20, v0
	s_ashr_i32 s21, s20, 31
	s_lshl_b64 s[14:15], s[14:15], 1
	s_lshl_b64 s[18:19], s[18:19], 2
	v_mul_lo_u32 v1, s5, v2
	v_cmp_gt_i32_e64 s4, s4, v2
	s_lshl_b64 s[22:23], s[22:23], 2
	s_lshl_b64 s[24:25], s[24:25], 1
	s_wait_alu 0xfffe
	s_lshl_b64 s[26:27], s[20:21], 1
	v_ashrrev_i32_e32 v2, 31, v1
	s_delay_alu instid0(VALU_DEP_1)
	v_lshlrev_b64_e32 v[1:2], 1, v[1:2]
	s_branch .LBB686_4
.LBB686_2:                              ;   in Loop: Header=BB686_4 Depth=1
	s_wait_alu 0xfffe
	s_or_b32 exec_lo, exec_lo, s5
.LBB686_3:                              ;   in Loop: Header=BB686_4 Depth=1
	s_add_co_i32 s6, s6, 0x10000
	s_delay_alu instid0(SALU_CYCLE_1)
	s_cmp_lt_u32 s6, s28
	s_cbranch_scc0 .LBB686_49
.LBB686_4:                              ; =>This Loop Header: Depth=1
                                        ;     Child Loop BB686_31 Depth 2
	s_and_not1_b32 vcc_lo, exec_lo, s33
	s_wait_alu 0xfffe
	s_cbranch_vccnz .LBB686_3
; %bb.5:                                ;   in Loop: Header=BB686_4 Depth=1
	s_and_not1_b32 vcc_lo, exec_lo, s31
	s_wait_alu 0xfffe
	s_cbranch_vccnz .LBB686_7
; %bb.6:                                ;   in Loop: Header=BB686_4 Depth=1
	s_mov_b32 s5, 0
	s_branch .LBB686_8
.LBB686_7:                              ;   in Loop: Header=BB686_4 Depth=1
	s_mov_b32 s5, -1
.LBB686_8:                              ;   in Loop: Header=BB686_4 Depth=1
	v_mov_b32_e32 v3, 0
	v_dual_mov_b32 v4, 0 :: v_dual_mov_b32 v5, 0
	v_mov_b32_e32 v6, 0
	s_wait_alu 0xfffe
	s_and_not1_b32 vcc_lo, exec_lo, s5
	s_wait_alu 0xfffe
	s_cbranch_vccnz .LBB686_10
; %bb.9:                                ;   in Loop: Header=BB686_4 Depth=1
	s_lshl_b64 s[36:37], s[6:7], 3
	s_delay_alu instid0(SALU_CYCLE_1)
	s_add_nc_u64 s[36:37], s[8:9], s[36:37]
	global_load_b64 v[5:6], v11, s[36:37]
	s_wait_loadcnt 0x0
	v_add_co_u32 v5, vcc_lo, v5, s10
	s_wait_alu 0xfffd
	v_add_co_ci_u32_e64 v6, null, s11, v6, vcc_lo
.LBB686_10:                             ;   in Loop: Header=BB686_4 Depth=1
	v_cmp_ne_u32_e32 vcc_lo, 1, v12
	s_cbranch_vccnz .LBB686_12
; %bb.11:                               ;   in Loop: Header=BB686_4 Depth=1
	s_lshl_b64 s[36:37], s[6:7], 3
	s_delay_alu instid0(SALU_CYCLE_1)
	s_add_nc_u64 s[36:37], s[12:13], s[36:37]
	global_load_b64 v[3:4], v11, s[36:37]
	s_wait_loadcnt 0x0
	v_add_co_u32 v3, vcc_lo, v3, s14
	s_wait_alu 0xfffd
	v_add_co_ci_u32_e64 v4, null, s15, v4, vcc_lo
.LBB686_12:                             ;   in Loop: Header=BB686_4 Depth=1
	s_lshl_b64 s[36:37], s[6:7], 3
	s_delay_alu instid0(SALU_CYCLE_1)
	s_add_nc_u64 s[36:37], s[16:17], s[36:37]
	s_wait_dscnt 0x0
	global_load_b64 v[7:8], v11, s[36:37]
	s_wait_loadcnt 0x0
	v_add_co_u32 v19, vcc_lo, v7, s18
	s_wait_alu 0xfffd
	v_add_co_ci_u32_e64 v20, null, s19, v8, vcc_lo
	s_and_not1_b32 vcc_lo, exec_lo, s31
	s_wait_alu 0xfffe
	s_cbranch_vccnz .LBB686_16
; %bb.13:                               ;   in Loop: Header=BB686_4 Depth=1
	s_mov_b32 s5, 0
	s_mov_b32 s21, 0
                                        ; implicit-def: $vgpr7
	s_and_saveexec_b32 s36, s0
	s_cbranch_execz .LBB686_17
; %bb.14:                               ;   in Loop: Header=BB686_4 Depth=1
	s_and_not1_b32 vcc_lo, exec_lo, s34
	s_wait_alu 0xfffe
	s_cbranch_vccnz .LBB686_18
; %bb.15:                               ;   in Loop: Header=BB686_4 Depth=1
	v_add_co_u32 v7, vcc_lo, v19, s22
	s_wait_alu 0xfffd
	v_add_co_ci_u32_e64 v8, null, s23, v20, vcc_lo
	flat_load_b32 v7, v[7:8]
	s_wait_loadcnt_dscnt 0x0
	v_mul_f32_e32 v7, s30, v7
	s_branch .LBB686_19
.LBB686_16:                             ;   in Loop: Header=BB686_4 Depth=1
	s_mov_b32 s21, 0
                                        ; implicit-def: $vgpr7
	s_cbranch_execnz .LBB686_20
	s_branch .LBB686_41
.LBB686_17:                             ;   in Loop: Header=BB686_4 Depth=1
	s_or_b32 exec_lo, exec_lo, s36
	s_wait_alu 0xfffe
	s_and_b32 vcc_lo, exec_lo, s5
	s_wait_alu 0xfffe
	s_cbranch_vccnz .LBB686_20
	s_branch .LBB686_41
.LBB686_18:                             ;   in Loop: Header=BB686_4 Depth=1
	v_mov_b32_e32 v7, 0
.LBB686_19:                             ;   in Loop: Header=BB686_4 Depth=1
	s_mov_b32 s21, exec_lo
	s_or_b32 exec_lo, exec_lo, s36
	s_delay_alu instid0(SALU_CYCLE_1)
	s_and_b32 vcc_lo, exec_lo, s5
	s_wait_alu 0xfffe
	s_cbranch_vccz .LBB686_41
.LBB686_20:                             ;   in Loop: Header=BB686_4 Depth=1
	v_add_co_u32 v5, vcc_lo, v5, v17
	s_wait_alu 0xfffd
	v_add_co_ci_u32_e64 v6, null, 0, v6, vcc_lo
	v_mov_b32_e32 v21, 0
	s_delay_alu instid0(VALU_DEP_3) | instskip(SKIP_1) | instid1(VALU_DEP_3)
	v_add_co_u32 v5, vcc_lo, v5, s24
	s_wait_alu 0xfffd
	v_add_co_ci_u32_e64 v6, null, s25, v6, vcc_lo
	s_and_saveexec_b32 s36, s3
	s_cbranch_execnz .LBB686_29
; %bb.21:                               ;   in Loop: Header=BB686_4 Depth=1
	s_or_b32 exec_lo, exec_lo, s36
	s_and_saveexec_b32 s5, s4
	s_cbranch_execnz .LBB686_44
.LBB686_22:                             ;   in Loop: Header=BB686_4 Depth=1
	s_wait_alu 0xfffe
	s_or_b32 exec_lo, exec_lo, s5
	s_and_saveexec_b32 s5, s1
.LBB686_23:                             ;   in Loop: Header=BB686_4 Depth=1
	ds_store_b32 v13, v11
.LBB686_24:                             ;   in Loop: Header=BB686_4 Depth=1
	s_wait_alu 0xfffe
	s_or_b32 exec_lo, exec_lo, s5
	ds_bpermute_b32 v4, v18, v21
	v_cmp_gt_u32_e32 vcc_lo, 24, v16
	s_wait_dscnt 0x0
	s_barrier_signal -1
	s_barrier_wait -1
	global_inv scope:SCOPE_SE
	s_wait_alu 0xfffd
	v_cndmask_b32_e64 v3, 0, 8, vcc_lo
	v_cmp_gt_u32_e32 vcc_lo, 28, v16
	s_delay_alu instid0(VALU_DEP_2)
	v_add_lshl_u32 v3, v3, v16, 2
	v_add_f32_e32 v5, v21, v4
	s_wait_alu 0xfffd
	v_cndmask_b32_e64 v4, 0, 4, vcc_lo
	v_cmp_gt_u32_e32 vcc_lo, 30, v16
	ds_bpermute_b32 v6, v3, v5
	v_add_lshl_u32 v4, v4, v16, 2
	s_wait_dscnt 0x0
	v_add_f32_e32 v6, v5, v6
	s_wait_alu 0xfffd
	v_cndmask_b32_e64 v5, 0, 2, vcc_lo
	v_cmp_ne_u32_e32 vcc_lo, 31, v16
	ds_bpermute_b32 v7, v4, v6
	v_add_lshl_u32 v5, v5, v16, 2
	s_wait_alu 0xfffd
	v_add_co_ci_u32_e64 v8, null, 0, v16, vcc_lo
	s_wait_dscnt 0x0
	v_add_f32_e32 v6, v6, v7
	ds_bpermute_b32 v7, v5, v6
	s_wait_dscnt 0x0
	v_dual_add_f32 v7, v6, v7 :: v_dual_lshlrev_b32 v6, 2, v8
	ds_bpermute_b32 v8, v6, v7
	s_and_saveexec_b32 s5, s2
	s_cbranch_execz .LBB686_26
; %bb.25:                               ;   in Loop: Header=BB686_4 Depth=1
	s_wait_dscnt 0x0
	v_add_f32_e32 v7, v7, v8
	ds_store_b32 v14, v7
.LBB686_26:                             ;   in Loop: Header=BB686_4 Depth=1
	s_wait_alu 0xfffe
	s_or_b32 exec_lo, exec_lo, s5
	s_wait_dscnt 0x0
	v_mov_b32_e32 v8, 0
	s_wait_loadcnt 0x0
	s_barrier_signal -1
	s_barrier_wait -1
	global_inv scope:SCOPE_SE
	s_and_saveexec_b32 s5, s1
	s_cbranch_execnz .LBB686_35
; %bb.27:                               ;   in Loop: Header=BB686_4 Depth=1
	s_wait_alu 0xfffe
	s_or_b32 exec_lo, exec_lo, s5
	s_and_saveexec_b32 s5, s1
	s_cbranch_execnz .LBB686_36
.LBB686_28:                             ;   in Loop: Header=BB686_4 Depth=1
	s_wait_alu 0xfffe
	s_or_b32 exec_lo, exec_lo, s5
                                        ; implicit-def: $vgpr7
	s_and_saveexec_b32 s5, s0
	s_cbranch_execnz .LBB686_37
	s_branch .LBB686_40
.LBB686_29:                             ;   in Loop: Header=BB686_4 Depth=1
	v_dual_mov_b32 v21, 0 :: v_dual_mov_b32 v8, v6
	v_dual_mov_b32 v7, v5 :: v_dual_mov_b32 v22, v0
	v_mov_b32_e32 v9, v15
	s_mov_b32 s37, 0
	s_branch .LBB686_31
.LBB686_30:                             ;   in Loop: Header=BB686_31 Depth=2
	s_wait_alu 0xfffe
	s_or_b32 exec_lo, exec_lo, s5
	v_add_nc_u32_e32 v22, 0x400, v22
	v_and_b32_e32 v10, 0xffff0000, v23
	v_add_co_u32 v7, s5, 0x800, v7
	v_add_nc_u32_e32 v9, s35, v9
	s_delay_alu instid0(VALU_DEP_4) | instskip(NEXT) | instid1(VALU_DEP_4)
	v_cmp_le_i32_e32 vcc_lo, s20, v22
	v_add_f32_e32 v21, v21, v10
	s_wait_alu 0xf1ff
	v_add_co_ci_u32_e64 v8, null, 0, v8, s5
	s_or_b32 s37, vcc_lo, s37
	s_delay_alu instid0(SALU_CYCLE_1)
	s_and_not1_b32 exec_lo, exec_lo, s37
	s_cbranch_execz .LBB686_43
.LBB686_31:                             ;   Parent Loop BB686_4 Depth=1
                                        ; =>  This Inner Loop Header: Depth=2
	s_delay_alu instid0(VALU_DEP_1) | instskip(NEXT) | instid1(VALU_DEP_1)
	v_ashrrev_i32_e32 v10, 31, v9
	v_lshlrev_b64_e32 v[23:24], 1, v[9:10]
	s_delay_alu instid0(VALU_DEP_1) | instskip(SKIP_1) | instid1(VALU_DEP_2)
	v_add_co_u32 v23, vcc_lo, v3, v23
	s_wait_alu 0xfffd
	v_add_co_ci_u32_e64 v24, null, v4, v24, vcc_lo
	flat_load_u16 v10, v[7:8]
	flat_load_u16 v23, v[23:24]
	s_wait_loadcnt_dscnt 0x101
	v_lshlrev_b32_e32 v10, 16, v10
	s_wait_loadcnt_dscnt 0x0
	v_lshlrev_b32_e32 v23, 16, v23
	s_delay_alu instid0(VALU_DEP_1) | instskip(NEXT) | instid1(VALU_DEP_1)
	v_mul_f32_e32 v10, v10, v23
	v_and_b32_e32 v23, 0x7f800000, v10
	s_delay_alu instid0(VALU_DEP_1)
	v_cmp_ne_u32_e32 vcc_lo, 0x7f800000, v23
                                        ; implicit-def: $vgpr23
	s_and_saveexec_b32 s5, vcc_lo
	s_wait_alu 0xfffe
	s_xor_b32 s5, exec_lo, s5
; %bb.32:                               ;   in Loop: Header=BB686_31 Depth=2
	v_bfe_u32 v23, v10, 16, 1
	s_delay_alu instid0(VALU_DEP_1)
	v_add3_u32 v23, v10, v23, 0x7fff
                                        ; implicit-def: $vgpr10
; %bb.33:                               ;   in Loop: Header=BB686_31 Depth=2
	s_wait_alu 0xfffe
	s_and_not1_saveexec_b32 s5, s5
	s_cbranch_execz .LBB686_30
; %bb.34:                               ;   in Loop: Header=BB686_31 Depth=2
	v_and_b32_e32 v23, 0xffff, v10
	v_or_b32_e32 v24, 0x10000, v10
	s_delay_alu instid0(VALU_DEP_2) | instskip(SKIP_1) | instid1(VALU_DEP_2)
	v_cmp_eq_u32_e32 vcc_lo, 0, v23
	s_wait_alu 0xfffd
	v_cndmask_b32_e32 v23, v24, v10, vcc_lo
	s_branch .LBB686_30
.LBB686_35:                             ;   in Loop: Header=BB686_4 Depth=1
	ds_load_b32 v8, v13
	s_wait_alu 0xfffe
	s_or_b32 exec_lo, exec_lo, s5
	s_and_saveexec_b32 s5, s1
	s_cbranch_execz .LBB686_28
.LBB686_36:                             ;   in Loop: Header=BB686_4 Depth=1
	s_wait_dscnt 0x0
	ds_bpermute_b32 v7, v18, v8
	s_wait_dscnt 0x0
	v_add_f32_e32 v7, v8, v7
	ds_bpermute_b32 v3, v3, v7
	s_wait_dscnt 0x0
	v_add_f32_e32 v3, v7, v3
	;; [unrolled: 3-line block ×5, first 2 shown]
	s_wait_alu 0xfffe
	s_or_b32 exec_lo, exec_lo, s5
                                        ; implicit-def: $vgpr7
	s_and_saveexec_b32 s5, s0
	s_cbranch_execz .LBB686_40
.LBB686_37:                             ;   in Loop: Header=BB686_4 Depth=1
	s_wait_dscnt 0x0
	v_mul_f32_e32 v7, s29, v8
	s_and_not1_b32 vcc_lo, exec_lo, s34
	s_wait_alu 0xfffe
	s_cbranch_vccnz .LBB686_39
; %bb.38:                               ;   in Loop: Header=BB686_4 Depth=1
	v_add_co_u32 v3, vcc_lo, v19, s22
	s_wait_alu 0xfffd
	v_add_co_ci_u32_e64 v4, null, s23, v20, vcc_lo
	flat_load_b32 v3, v[3:4]
	s_wait_loadcnt_dscnt 0x0
	v_fmac_f32_e32 v7, s30, v3
.LBB686_39:                             ;   in Loop: Header=BB686_4 Depth=1
	s_or_b32 s21, s21, exec_lo
.LBB686_40:                             ;   in Loop: Header=BB686_4 Depth=1
	s_wait_alu 0xfffe
	s_or_b32 exec_lo, exec_lo, s5
.LBB686_41:                             ;   in Loop: Header=BB686_4 Depth=1
	s_wait_alu 0xfffe
	s_and_saveexec_b32 s5, s21
	s_cbranch_execz .LBB686_2
; %bb.42:                               ;   in Loop: Header=BB686_4 Depth=1
	v_add_co_u32 v3, vcc_lo, v19, s22
	s_wait_alu 0xfffd
	v_add_co_ci_u32_e64 v4, null, s23, v20, vcc_lo
	flat_store_b32 v[3:4], v7
	s_branch .LBB686_2
.LBB686_43:                             ;   in Loop: Header=BB686_4 Depth=1
	s_or_b32 exec_lo, exec_lo, s37
	s_delay_alu instid0(SALU_CYCLE_1)
	s_or_b32 exec_lo, exec_lo, s36
	s_and_saveexec_b32 s5, s4
	s_cbranch_execz .LBB686_22
.LBB686_44:                             ;   in Loop: Header=BB686_4 Depth=1
	v_add_co_u32 v3, vcc_lo, v3, v1
	s_wait_alu 0xfffd
	v_add_co_ci_u32_e64 v4, null, v4, v2, vcc_lo
	v_add_co_u32 v5, vcc_lo, v5, s26
	s_wait_alu 0xfffd
	v_add_co_ci_u32_e64 v6, null, s27, v6, vcc_lo
	flat_load_u16 v3, v[3:4]
	flat_load_u16 v4, v[5:6]
	s_wait_loadcnt_dscnt 0x101
	v_lshlrev_b32_e32 v3, 16, v3
	s_wait_loadcnt_dscnt 0x0
	v_lshlrev_b32_e32 v4, 16, v4
	s_delay_alu instid0(VALU_DEP_1) | instskip(NEXT) | instid1(VALU_DEP_1)
	v_mul_f32_e32 v3, v4, v3
	v_and_b32_e32 v4, 0x7f800000, v3
	s_delay_alu instid0(VALU_DEP_1) | instskip(SKIP_1) | instid1(SALU_CYCLE_1)
	v_cmp_ne_u32_e32 vcc_lo, 0x7f800000, v4
                                        ; implicit-def: $vgpr4
	s_and_saveexec_b32 s36, vcc_lo
	s_xor_b32 s36, exec_lo, s36
; %bb.45:                               ;   in Loop: Header=BB686_4 Depth=1
	v_bfe_u32 v4, v3, 16, 1
	s_delay_alu instid0(VALU_DEP_1)
	v_add3_u32 v4, v3, v4, 0x7fff
                                        ; implicit-def: $vgpr3
; %bb.46:                               ;   in Loop: Header=BB686_4 Depth=1
	s_and_not1_saveexec_b32 s36, s36
; %bb.47:                               ;   in Loop: Header=BB686_4 Depth=1
	v_and_b32_e32 v4, 0xffff, v3
	v_or_b32_e32 v5, 0x10000, v3
	s_delay_alu instid0(VALU_DEP_2) | instskip(SKIP_1) | instid1(VALU_DEP_2)
	v_cmp_eq_u32_e32 vcc_lo, 0, v4
	s_wait_alu 0xfffd
	v_cndmask_b32_e32 v4, v5, v3, vcc_lo
; %bb.48:                               ;   in Loop: Header=BB686_4 Depth=1
	s_or_b32 exec_lo, exec_lo, s36
	s_delay_alu instid0(VALU_DEP_1) | instskip(NEXT) | instid1(VALU_DEP_1)
	v_and_b32_e32 v3, 0xffff0000, v4
	v_add_f32_e32 v21, v21, v3
	s_wait_alu 0xfffe
	s_or_b32 exec_lo, exec_lo, s5
	s_and_saveexec_b32 s5, s1
	s_cbranch_execnz .LBB686_23
	s_branch .LBB686_24
.LBB686_49:
	s_endpgm
	.section	.rodata,"a",@progbits
	.p2align	6, 0x0
	.amdhsa_kernel _ZL32rocblas_gemvt_warp_reduce_kernelILb0ELi1024EiPK16rocblas_bfloat16fKPfEviiT3_lPKT2_lT1_lS8_lS9_lS5_lPT4_lS9_li
		.amdhsa_group_segment_fixed_size 128
		.amdhsa_private_segment_fixed_size 0
		.amdhsa_kernarg_size 140
		.amdhsa_user_sgpr_count 2
		.amdhsa_user_sgpr_dispatch_ptr 0
		.amdhsa_user_sgpr_queue_ptr 0
		.amdhsa_user_sgpr_kernarg_segment_ptr 1
		.amdhsa_user_sgpr_dispatch_id 0
		.amdhsa_user_sgpr_private_segment_size 0
		.amdhsa_wavefront_size32 1
		.amdhsa_uses_dynamic_stack 0
		.amdhsa_enable_private_segment 0
		.amdhsa_system_sgpr_workgroup_id_x 1
		.amdhsa_system_sgpr_workgroup_id_y 0
		.amdhsa_system_sgpr_workgroup_id_z 1
		.amdhsa_system_sgpr_workgroup_info 0
		.amdhsa_system_vgpr_workitem_id 0
		.amdhsa_next_free_vgpr 25
		.amdhsa_next_free_sgpr 38
		.amdhsa_reserve_vcc 1
		.amdhsa_float_round_mode_32 0
		.amdhsa_float_round_mode_16_64 0
		.amdhsa_float_denorm_mode_32 3
		.amdhsa_float_denorm_mode_16_64 3
		.amdhsa_fp16_overflow 0
		.amdhsa_workgroup_processor_mode 1
		.amdhsa_memory_ordered 1
		.amdhsa_forward_progress 1
		.amdhsa_inst_pref_size 16
		.amdhsa_round_robin_scheduling 0
		.amdhsa_exception_fp_ieee_invalid_op 0
		.amdhsa_exception_fp_denorm_src 0
		.amdhsa_exception_fp_ieee_div_zero 0
		.amdhsa_exception_fp_ieee_overflow 0
		.amdhsa_exception_fp_ieee_underflow 0
		.amdhsa_exception_fp_ieee_inexact 0
		.amdhsa_exception_int_div_zero 0
	.end_amdhsa_kernel
	.section	.text._ZL32rocblas_gemvt_warp_reduce_kernelILb0ELi1024EiPK16rocblas_bfloat16fKPfEviiT3_lPKT2_lT1_lS8_lS9_lS5_lPT4_lS9_li,"axG",@progbits,_ZL32rocblas_gemvt_warp_reduce_kernelILb0ELi1024EiPK16rocblas_bfloat16fKPfEviiT3_lPKT2_lT1_lS8_lS9_lS5_lPT4_lS9_li,comdat
.Lfunc_end686:
	.size	_ZL32rocblas_gemvt_warp_reduce_kernelILb0ELi1024EiPK16rocblas_bfloat16fKPfEviiT3_lPKT2_lT1_lS8_lS9_lS5_lPT4_lS9_li, .Lfunc_end686-_ZL32rocblas_gemvt_warp_reduce_kernelILb0ELi1024EiPK16rocblas_bfloat16fKPfEviiT3_lPKT2_lT1_lS8_lS9_lS5_lPT4_lS9_li
                                        ; -- End function
	.set _ZL32rocblas_gemvt_warp_reduce_kernelILb0ELi1024EiPK16rocblas_bfloat16fKPfEviiT3_lPKT2_lT1_lS8_lS9_lS5_lPT4_lS9_li.num_vgpr, 25
	.set _ZL32rocblas_gemvt_warp_reduce_kernelILb0ELi1024EiPK16rocblas_bfloat16fKPfEviiT3_lPKT2_lT1_lS8_lS9_lS5_lPT4_lS9_li.num_agpr, 0
	.set _ZL32rocblas_gemvt_warp_reduce_kernelILb0ELi1024EiPK16rocblas_bfloat16fKPfEviiT3_lPKT2_lT1_lS8_lS9_lS5_lPT4_lS9_li.numbered_sgpr, 38
	.set _ZL32rocblas_gemvt_warp_reduce_kernelILb0ELi1024EiPK16rocblas_bfloat16fKPfEviiT3_lPKT2_lT1_lS8_lS9_lS5_lPT4_lS9_li.num_named_barrier, 0
	.set _ZL32rocblas_gemvt_warp_reduce_kernelILb0ELi1024EiPK16rocblas_bfloat16fKPfEviiT3_lPKT2_lT1_lS8_lS9_lS5_lPT4_lS9_li.private_seg_size, 0
	.set _ZL32rocblas_gemvt_warp_reduce_kernelILb0ELi1024EiPK16rocblas_bfloat16fKPfEviiT3_lPKT2_lT1_lS8_lS9_lS5_lPT4_lS9_li.uses_vcc, 1
	.set _ZL32rocblas_gemvt_warp_reduce_kernelILb0ELi1024EiPK16rocblas_bfloat16fKPfEviiT3_lPKT2_lT1_lS8_lS9_lS5_lPT4_lS9_li.uses_flat_scratch, 0
	.set _ZL32rocblas_gemvt_warp_reduce_kernelILb0ELi1024EiPK16rocblas_bfloat16fKPfEviiT3_lPKT2_lT1_lS8_lS9_lS5_lPT4_lS9_li.has_dyn_sized_stack, 0
	.set _ZL32rocblas_gemvt_warp_reduce_kernelILb0ELi1024EiPK16rocblas_bfloat16fKPfEviiT3_lPKT2_lT1_lS8_lS9_lS5_lPT4_lS9_li.has_recursion, 0
	.set _ZL32rocblas_gemvt_warp_reduce_kernelILb0ELi1024EiPK16rocblas_bfloat16fKPfEviiT3_lPKT2_lT1_lS8_lS9_lS5_lPT4_lS9_li.has_indirect_call, 0
	.section	.AMDGPU.csdata,"",@progbits
; Kernel info:
; codeLenInByte = 1928
; TotalNumSgprs: 40
; NumVgprs: 25
; ScratchSize: 0
; MemoryBound: 0
; FloatMode: 240
; IeeeMode: 1
; LDSByteSize: 128 bytes/workgroup (compile time only)
; SGPRBlocks: 0
; VGPRBlocks: 3
; NumSGPRsForWavesPerEU: 40
; NumVGPRsForWavesPerEU: 25
; Occupancy: 16
; WaveLimiterHint : 1
; COMPUTE_PGM_RSRC2:SCRATCH_EN: 0
; COMPUTE_PGM_RSRC2:USER_SGPR: 2
; COMPUTE_PGM_RSRC2:TRAP_HANDLER: 0
; COMPUTE_PGM_RSRC2:TGID_X_EN: 1
; COMPUTE_PGM_RSRC2:TGID_Y_EN: 0
; COMPUTE_PGM_RSRC2:TGID_Z_EN: 1
; COMPUTE_PGM_RSRC2:TIDIG_COMP_CNT: 0
	.section	.text._ZL32rocblas_gemvt_warp_reduce_kernelILb0ELi1024ElPK16rocblas_bfloat16fKPfEviiT3_lPKT2_lT1_lS8_lS9_lS5_lPT4_lS9_li,"axG",@progbits,_ZL32rocblas_gemvt_warp_reduce_kernelILb0ELi1024ElPK16rocblas_bfloat16fKPfEviiT3_lPKT2_lT1_lS8_lS9_lS5_lPT4_lS9_li,comdat
	.globl	_ZL32rocblas_gemvt_warp_reduce_kernelILb0ELi1024ElPK16rocblas_bfloat16fKPfEviiT3_lPKT2_lT1_lS8_lS9_lS5_lPT4_lS9_li ; -- Begin function _ZL32rocblas_gemvt_warp_reduce_kernelILb0ELi1024ElPK16rocblas_bfloat16fKPfEviiT3_lPKT2_lT1_lS8_lS9_lS5_lPT4_lS9_li
	.p2align	8
	.type	_ZL32rocblas_gemvt_warp_reduce_kernelILb0ELi1024ElPK16rocblas_bfloat16fKPfEviiT3_lPKT2_lT1_lS8_lS9_lS5_lPT4_lS9_li,@function
_ZL32rocblas_gemvt_warp_reduce_kernelILb0ELi1024ElPK16rocblas_bfloat16fKPfEviiT3_lPKT2_lT1_lS8_lS9_lS5_lPT4_lS9_li: ; @_ZL32rocblas_gemvt_warp_reduce_kernelILb0ELi1024ElPK16rocblas_bfloat16fKPfEviiT3_lPKT2_lT1_lS8_lS9_lS5_lPT4_lS9_li
; %bb.0:
	s_load_b32 s30, s[0:1], 0x88
	s_lshr_b32 s6, ttmp7, 16
	s_wait_kmcnt 0x0
	s_cmp_ge_u32 s6, s30
	s_cbranch_scc1 .LBB687_49
; %bb.1:
	s_clause 0x8
	s_load_b32 s31, s[0:1], 0x8
	s_load_b32 s33, s[0:1], 0x58
	s_load_b64 s[24:25], s[0:1], 0x48
	s_load_b128 s[8:11], s[0:1], 0x38
	s_load_b32 s37, s[0:1], 0x0
	s_load_b128 s[12:15], s[0:1], 0x18
	s_load_b64 s[26:27], s[0:1], 0x28
	s_load_b64 s[28:29], s[0:1], 0x78
	s_load_b128 s[16:19], s[0:1], 0x68
	v_and_b32_e32 v3, 31, v0
	v_lshrrev_b32_e32 v4, 3, v0
	v_mov_b32_e32 v13, 0
	s_mov_b32 s4, ttmp9
	v_mbcnt_lo_u32_b32 v17, -1, 0
	v_lshlrev_b32_e32 v14, 2, v3
	v_and_b32_e32 v16, 0x7c, v4
	v_cmp_eq_u32_e64 s0, 0, v0
	v_cmp_gt_u32_e64 s1, 32, v0
	v_lshl_or_b32 v19, v17, 2, 64
	s_mov_b32 s7, 0
	s_wait_kmcnt 0x0
	s_cmp_eq_f32 s31, 0
	v_mad_co_u64_u32 v[1:2], null, s24, v0, 0
	s_cselect_b32 s34, -1, 0
	s_cmp_neq_f32 s33, 1.0
	v_cmp_gt_i32_e32 vcc_lo, s37, v0
	s_cselect_b32 s2, -1, 0
	s_cmp_neq_f32 s31, 0
	v_cndmask_b32_e32 v5, 0, v0, vcc_lo
	s_cselect_b32 s3, -1, 0
	s_delay_alu instid0(SALU_CYCLE_1)
	s_or_b32 s35, s3, s2
	s_cmp_neq_f32 s33, 0
	v_cndmask_b32_e64 v15, 0, 1, s3
	v_cmp_eq_u32_e64 s2, 0, v3
	v_mad_co_u64_u32 v[2:3], null, s25, v0, v[2:3]
	s_cselect_b32 s36, -1, 0
	s_ashr_i32 s3, s37, 31
	s_ashr_i32 s5, ttmp9, 31
	s_wait_alu 0xfffe
	s_lshr_b32 s3, s3, 22
	s_mul_u64 s[28:29], s[28:29], s[4:5]
	s_wait_alu 0xfffe
	s_add_co_i32 s3, s37, s3
	s_mul_u64 s[26:27], s[26:27], s[4:5]
	s_wait_alu 0xfffe
	s_and_b32 s20, s3, 0xfffffc00
	v_lshlrev_b64_e32 v[1:2], 1, v[1:2]
	v_or_b32_e32 v6, s20, v0
	s_ashr_i32 s21, s20, 31
	v_cmp_gt_i32_e64 s3, s20, v0
	s_wait_alu 0xfffe
	s_mul_i32 s5, s24, s21
	v_lshlrev_b32_e32 v18, 1, v5
	v_mul_lo_u32 v7, s25, v6
	v_mad_co_u64_u32 v[3:4], null, s24, v6, 0
	v_cmp_gt_i32_e64 s4, s37, v6
	s_lshl_b64 s[22:23], s[24:25], 11
	s_lshl_b64 s[14:15], s[14:15], 1
	;; [unrolled: 1-line block ×5, first 2 shown]
	v_add3_u32 v4, v4, s5, v7
	s_lshl_b64 s[26:27], s[26:27], 1
	s_lshl_b64 s[28:29], s[20:21], 1
	s_delay_alu instid0(VALU_DEP_1)
	v_lshlrev_b64_e32 v[3:4], 1, v[3:4]
	s_branch .LBB687_4
.LBB687_2:                              ;   in Loop: Header=BB687_4 Depth=1
	s_wait_alu 0xfffe
	s_or_b32 exec_lo, exec_lo, s5
.LBB687_3:                              ;   in Loop: Header=BB687_4 Depth=1
	s_add_co_i32 s6, s6, 0x10000
	s_delay_alu instid0(SALU_CYCLE_1)
	s_cmp_lt_u32 s6, s30
	s_cbranch_scc0 .LBB687_49
.LBB687_4:                              ; =>This Loop Header: Depth=1
                                        ;     Child Loop BB687_31 Depth 2
	s_and_not1_b32 vcc_lo, exec_lo, s35
	s_wait_alu 0xfffe
	s_cbranch_vccnz .LBB687_3
; %bb.5:                                ;   in Loop: Header=BB687_4 Depth=1
	s_and_not1_b32 vcc_lo, exec_lo, s34
	s_wait_alu 0xfffe
	s_cbranch_vccnz .LBB687_7
; %bb.6:                                ;   in Loop: Header=BB687_4 Depth=1
	s_mov_b32 s5, 0
	s_branch .LBB687_8
.LBB687_7:                              ;   in Loop: Header=BB687_4 Depth=1
	s_mov_b32 s5, -1
.LBB687_8:                              ;   in Loop: Header=BB687_4 Depth=1
	v_mov_b32_e32 v5, 0
	v_dual_mov_b32 v6, 0 :: v_dual_mov_b32 v7, 0
	v_mov_b32_e32 v8, 0
	s_wait_alu 0xfffe
	s_and_not1_b32 vcc_lo, exec_lo, s5
	s_wait_alu 0xfffe
	s_cbranch_vccnz .LBB687_10
; %bb.9:                                ;   in Loop: Header=BB687_4 Depth=1
	s_lshl_b64 s[38:39], s[6:7], 3
	s_delay_alu instid0(SALU_CYCLE_1)
	s_add_nc_u64 s[38:39], s[12:13], s[38:39]
	global_load_b64 v[7:8], v13, s[38:39]
	s_wait_loadcnt 0x0
	v_add_co_u32 v7, vcc_lo, v7, s14
	s_wait_alu 0xfffd
	v_add_co_ci_u32_e64 v8, null, s15, v8, vcc_lo
.LBB687_10:                             ;   in Loop: Header=BB687_4 Depth=1
	v_cmp_ne_u32_e32 vcc_lo, 1, v15
	s_cbranch_vccnz .LBB687_12
; %bb.11:                               ;   in Loop: Header=BB687_4 Depth=1
	s_lshl_b64 s[38:39], s[6:7], 3
	s_delay_alu instid0(SALU_CYCLE_1)
	s_add_nc_u64 s[38:39], s[8:9], s[38:39]
	global_load_b64 v[5:6], v13, s[38:39]
	s_wait_loadcnt 0x0
	v_add_co_u32 v5, vcc_lo, v5, s10
	s_wait_alu 0xfffd
	v_add_co_ci_u32_e64 v6, null, s11, v6, vcc_lo
.LBB687_12:                             ;   in Loop: Header=BB687_4 Depth=1
	s_lshl_b64 s[38:39], s[6:7], 3
	s_delay_alu instid0(SALU_CYCLE_1)
	s_add_nc_u64 s[38:39], s[16:17], s[38:39]
	s_wait_dscnt 0x0
	global_load_b64 v[9:10], v13, s[38:39]
	s_wait_loadcnt 0x0
	v_add_co_u32 v20, vcc_lo, v9, s18
	s_wait_alu 0xfffd
	v_add_co_ci_u32_e64 v21, null, s19, v10, vcc_lo
	s_and_not1_b32 vcc_lo, exec_lo, s34
	s_wait_alu 0xfffe
	s_cbranch_vccnz .LBB687_16
; %bb.13:                               ;   in Loop: Header=BB687_4 Depth=1
	s_mov_b32 s5, 0
	s_mov_b32 s21, 0
                                        ; implicit-def: $vgpr9
	s_and_saveexec_b32 s37, s0
	s_cbranch_execz .LBB687_17
; %bb.14:                               ;   in Loop: Header=BB687_4 Depth=1
	s_and_not1_b32 vcc_lo, exec_lo, s36
	s_wait_alu 0xfffe
	s_cbranch_vccnz .LBB687_18
; %bb.15:                               ;   in Loop: Header=BB687_4 Depth=1
	v_add_co_u32 v9, vcc_lo, v20, s24
	s_wait_alu 0xfffd
	v_add_co_ci_u32_e64 v10, null, s25, v21, vcc_lo
	flat_load_b32 v9, v[9:10]
	s_wait_loadcnt_dscnt 0x0
	v_mul_f32_e32 v9, s33, v9
	s_branch .LBB687_19
.LBB687_16:                             ;   in Loop: Header=BB687_4 Depth=1
	s_mov_b32 s21, 0
                                        ; implicit-def: $vgpr9
	s_cbranch_execnz .LBB687_20
	s_branch .LBB687_41
.LBB687_17:                             ;   in Loop: Header=BB687_4 Depth=1
	s_wait_alu 0xfffe
	s_or_b32 exec_lo, exec_lo, s37
	s_delay_alu instid0(SALU_CYCLE_1)
	s_and_b32 vcc_lo, exec_lo, s5
	s_wait_alu 0xfffe
	s_cbranch_vccnz .LBB687_20
	s_branch .LBB687_41
.LBB687_18:                             ;   in Loop: Header=BB687_4 Depth=1
	v_mov_b32_e32 v9, 0
.LBB687_19:                             ;   in Loop: Header=BB687_4 Depth=1
	s_mov_b32 s21, exec_lo
	s_or_b32 exec_lo, exec_lo, s37
	s_delay_alu instid0(SALU_CYCLE_1)
	s_and_b32 vcc_lo, exec_lo, s5
	s_wait_alu 0xfffe
	s_cbranch_vccz .LBB687_41
.LBB687_20:                             ;   in Loop: Header=BB687_4 Depth=1
	v_add_co_u32 v7, vcc_lo, v7, v18
	s_wait_alu 0xfffd
	v_add_co_ci_u32_e64 v8, null, 0, v8, vcc_lo
	v_mov_b32_e32 v22, 0
	s_delay_alu instid0(VALU_DEP_3) | instskip(SKIP_1) | instid1(VALU_DEP_3)
	v_add_co_u32 v7, vcc_lo, v7, s26
	s_wait_alu 0xfffd
	v_add_co_ci_u32_e64 v8, null, s27, v8, vcc_lo
	s_and_saveexec_b32 s37, s3
	s_cbranch_execnz .LBB687_29
; %bb.21:                               ;   in Loop: Header=BB687_4 Depth=1
	s_wait_alu 0xfffe
	s_or_b32 exec_lo, exec_lo, s37
	s_and_saveexec_b32 s5, s4
	s_cbranch_execnz .LBB687_44
.LBB687_22:                             ;   in Loop: Header=BB687_4 Depth=1
	s_wait_alu 0xfffe
	s_or_b32 exec_lo, exec_lo, s5
	s_and_saveexec_b32 s5, s1
.LBB687_23:                             ;   in Loop: Header=BB687_4 Depth=1
	ds_store_b32 v14, v13
.LBB687_24:                             ;   in Loop: Header=BB687_4 Depth=1
	s_wait_alu 0xfffe
	s_or_b32 exec_lo, exec_lo, s5
	ds_bpermute_b32 v6, v19, v22
	v_cmp_gt_u32_e32 vcc_lo, 24, v17
	s_wait_dscnt 0x0
	s_barrier_signal -1
	s_barrier_wait -1
	global_inv scope:SCOPE_SE
	s_wait_alu 0xfffd
	v_cndmask_b32_e64 v5, 0, 8, vcc_lo
	v_cmp_gt_u32_e32 vcc_lo, 28, v17
	s_delay_alu instid0(VALU_DEP_2)
	v_add_lshl_u32 v5, v5, v17, 2
	v_add_f32_e32 v7, v22, v6
	s_wait_alu 0xfffd
	v_cndmask_b32_e64 v6, 0, 4, vcc_lo
	v_cmp_gt_u32_e32 vcc_lo, 30, v17
	ds_bpermute_b32 v8, v5, v7
	v_add_lshl_u32 v6, v6, v17, 2
	s_wait_dscnt 0x0
	v_add_f32_e32 v8, v7, v8
	s_wait_alu 0xfffd
	v_cndmask_b32_e64 v7, 0, 2, vcc_lo
	v_cmp_ne_u32_e32 vcc_lo, 31, v17
	ds_bpermute_b32 v9, v6, v8
	v_add_lshl_u32 v7, v7, v17, 2
	s_wait_alu 0xfffd
	v_add_co_ci_u32_e64 v10, null, 0, v17, vcc_lo
	s_wait_dscnt 0x0
	v_add_f32_e32 v8, v8, v9
	ds_bpermute_b32 v9, v7, v8
	s_wait_dscnt 0x0
	v_dual_add_f32 v9, v8, v9 :: v_dual_lshlrev_b32 v8, 2, v10
	ds_bpermute_b32 v10, v8, v9
	s_and_saveexec_b32 s5, s2
	s_cbranch_execz .LBB687_26
; %bb.25:                               ;   in Loop: Header=BB687_4 Depth=1
	s_wait_dscnt 0x0
	v_add_f32_e32 v9, v9, v10
	ds_store_b32 v16, v9
.LBB687_26:                             ;   in Loop: Header=BB687_4 Depth=1
	s_wait_alu 0xfffe
	s_or_b32 exec_lo, exec_lo, s5
	s_wait_dscnt 0x0
	v_mov_b32_e32 v10, 0
	s_wait_loadcnt 0x0
	s_barrier_signal -1
	s_barrier_wait -1
	global_inv scope:SCOPE_SE
	s_and_saveexec_b32 s5, s1
	s_cbranch_execnz .LBB687_35
; %bb.27:                               ;   in Loop: Header=BB687_4 Depth=1
	s_wait_alu 0xfffe
	s_or_b32 exec_lo, exec_lo, s5
	s_and_saveexec_b32 s5, s1
	s_cbranch_execnz .LBB687_36
.LBB687_28:                             ;   in Loop: Header=BB687_4 Depth=1
	s_wait_alu 0xfffe
	s_or_b32 exec_lo, exec_lo, s5
                                        ; implicit-def: $vgpr9
	s_and_saveexec_b32 s5, s0
	s_cbranch_execnz .LBB687_37
	s_branch .LBB687_40
.LBB687_29:                             ;   in Loop: Header=BB687_4 Depth=1
	v_add_co_u32 v9, vcc_lo, v5, v1
	v_dual_mov_b32 v12, v8 :: v_dual_mov_b32 v23, v0
	s_wait_alu 0xfffd
	v_add_co_ci_u32_e64 v10, null, v6, v2, vcc_lo
	v_dual_mov_b32 v22, 0 :: v_dual_mov_b32 v11, v7
	s_mov_b32 s38, 0
	s_branch .LBB687_31
.LBB687_30:                             ;   in Loop: Header=BB687_31 Depth=2
	s_wait_alu 0xfffe
	s_or_b32 exec_lo, exec_lo, s5
	s_delay_alu instid0(VALU_DEP_1)
	v_and_b32_e32 v24, 0xffff0000, v25
	v_add_nc_u32_e32 v23, 0x400, v23
	v_add_co_u32 v11, vcc_lo, 0x800, v11
	s_wait_alu 0xfffd
	v_add_co_ci_u32_e64 v12, null, 0, v12, vcc_lo
	v_add_f32_e32 v22, v22, v24
	v_cmp_le_i32_e32 vcc_lo, s20, v23
	v_add_co_u32 v9, s5, v9, s22
	s_wait_alu 0xf1ff
	v_add_co_ci_u32_e64 v10, null, s23, v10, s5
	s_or_b32 s38, vcc_lo, s38
	s_delay_alu instid0(SALU_CYCLE_1)
	s_and_not1_b32 exec_lo, exec_lo, s38
	s_cbranch_execz .LBB687_43
.LBB687_31:                             ;   Parent Loop BB687_4 Depth=1
                                        ; =>  This Inner Loop Header: Depth=2
	flat_load_u16 v24, v[9:10]
	flat_load_u16 v25, v[11:12]
	s_wait_loadcnt_dscnt 0x101
	v_lshlrev_b32_e32 v24, 16, v24
	s_wait_loadcnt_dscnt 0x0
	v_lshlrev_b32_e32 v25, 16, v25
	s_delay_alu instid0(VALU_DEP_1) | instskip(NEXT) | instid1(VALU_DEP_1)
	v_mul_f32_e32 v24, v25, v24
	v_and_b32_e32 v25, 0x7f800000, v24
	s_delay_alu instid0(VALU_DEP_1)
	v_cmp_ne_u32_e32 vcc_lo, 0x7f800000, v25
                                        ; implicit-def: $vgpr25
	s_and_saveexec_b32 s5, vcc_lo
	s_wait_alu 0xfffe
	s_xor_b32 s5, exec_lo, s5
; %bb.32:                               ;   in Loop: Header=BB687_31 Depth=2
	v_bfe_u32 v25, v24, 16, 1
	s_delay_alu instid0(VALU_DEP_1)
	v_add3_u32 v25, v24, v25, 0x7fff
                                        ; implicit-def: $vgpr24
; %bb.33:                               ;   in Loop: Header=BB687_31 Depth=2
	s_wait_alu 0xfffe
	s_and_not1_saveexec_b32 s5, s5
	s_cbranch_execz .LBB687_30
; %bb.34:                               ;   in Loop: Header=BB687_31 Depth=2
	v_and_b32_e32 v25, 0xffff, v24
	v_or_b32_e32 v26, 0x10000, v24
	s_delay_alu instid0(VALU_DEP_2) | instskip(SKIP_1) | instid1(VALU_DEP_2)
	v_cmp_eq_u32_e32 vcc_lo, 0, v25
	s_wait_alu 0xfffd
	v_cndmask_b32_e32 v25, v26, v24, vcc_lo
	s_branch .LBB687_30
.LBB687_35:                             ;   in Loop: Header=BB687_4 Depth=1
	ds_load_b32 v10, v14
	s_wait_alu 0xfffe
	s_or_b32 exec_lo, exec_lo, s5
	s_and_saveexec_b32 s5, s1
	s_cbranch_execz .LBB687_28
.LBB687_36:                             ;   in Loop: Header=BB687_4 Depth=1
	s_wait_dscnt 0x0
	ds_bpermute_b32 v9, v19, v10
	s_wait_dscnt 0x0
	v_add_f32_e32 v9, v10, v9
	ds_bpermute_b32 v5, v5, v9
	s_wait_dscnt 0x0
	v_add_f32_e32 v5, v9, v5
	;; [unrolled: 3-line block ×5, first 2 shown]
	s_wait_alu 0xfffe
	s_or_b32 exec_lo, exec_lo, s5
                                        ; implicit-def: $vgpr9
	s_and_saveexec_b32 s5, s0
	s_cbranch_execz .LBB687_40
.LBB687_37:                             ;   in Loop: Header=BB687_4 Depth=1
	s_wait_dscnt 0x0
	v_mul_f32_e32 v9, s31, v10
	s_and_not1_b32 vcc_lo, exec_lo, s36
	s_wait_alu 0xfffe
	s_cbranch_vccnz .LBB687_39
; %bb.38:                               ;   in Loop: Header=BB687_4 Depth=1
	v_add_co_u32 v5, vcc_lo, v20, s24
	s_wait_alu 0xfffd
	v_add_co_ci_u32_e64 v6, null, s25, v21, vcc_lo
	flat_load_b32 v5, v[5:6]
	s_wait_loadcnt_dscnt 0x0
	v_fmac_f32_e32 v9, s33, v5
.LBB687_39:                             ;   in Loop: Header=BB687_4 Depth=1
	s_or_b32 s21, s21, exec_lo
.LBB687_40:                             ;   in Loop: Header=BB687_4 Depth=1
	s_wait_alu 0xfffe
	s_or_b32 exec_lo, exec_lo, s5
.LBB687_41:                             ;   in Loop: Header=BB687_4 Depth=1
	s_wait_alu 0xfffe
	s_and_saveexec_b32 s5, s21
	s_cbranch_execz .LBB687_2
; %bb.42:                               ;   in Loop: Header=BB687_4 Depth=1
	v_add_co_u32 v5, vcc_lo, v20, s24
	s_wait_alu 0xfffd
	v_add_co_ci_u32_e64 v6, null, s25, v21, vcc_lo
	flat_store_b32 v[5:6], v9
	s_branch .LBB687_2
.LBB687_43:                             ;   in Loop: Header=BB687_4 Depth=1
	s_or_b32 exec_lo, exec_lo, s38
	s_delay_alu instid0(SALU_CYCLE_1)
	s_or_b32 exec_lo, exec_lo, s37
	s_and_saveexec_b32 s5, s4
	s_cbranch_execz .LBB687_22
.LBB687_44:                             ;   in Loop: Header=BB687_4 Depth=1
	v_add_co_u32 v5, vcc_lo, v5, v3
	s_wait_alu 0xfffd
	v_add_co_ci_u32_e64 v6, null, v6, v4, vcc_lo
	v_add_co_u32 v7, vcc_lo, v7, s28
	s_wait_alu 0xfffd
	v_add_co_ci_u32_e64 v8, null, s29, v8, vcc_lo
	flat_load_u16 v5, v[5:6]
	flat_load_u16 v6, v[7:8]
	s_wait_loadcnt_dscnt 0x101
	v_lshlrev_b32_e32 v5, 16, v5
	s_wait_loadcnt_dscnt 0x0
	v_lshlrev_b32_e32 v6, 16, v6
	s_delay_alu instid0(VALU_DEP_1) | instskip(NEXT) | instid1(VALU_DEP_1)
	v_mul_f32_e32 v5, v6, v5
	v_and_b32_e32 v6, 0x7f800000, v5
	s_delay_alu instid0(VALU_DEP_1)
	v_cmp_ne_u32_e32 vcc_lo, 0x7f800000, v6
                                        ; implicit-def: $vgpr6
	s_and_saveexec_b32 s37, vcc_lo
	s_wait_alu 0xfffe
	s_xor_b32 s37, exec_lo, s37
; %bb.45:                               ;   in Loop: Header=BB687_4 Depth=1
	v_bfe_u32 v6, v5, 16, 1
	s_delay_alu instid0(VALU_DEP_1)
	v_add3_u32 v6, v5, v6, 0x7fff
                                        ; implicit-def: $vgpr5
; %bb.46:                               ;   in Loop: Header=BB687_4 Depth=1
	s_wait_alu 0xfffe
	s_and_not1_saveexec_b32 s37, s37
; %bb.47:                               ;   in Loop: Header=BB687_4 Depth=1
	v_and_b32_e32 v6, 0xffff, v5
	v_or_b32_e32 v7, 0x10000, v5
	s_delay_alu instid0(VALU_DEP_2) | instskip(SKIP_1) | instid1(VALU_DEP_2)
	v_cmp_eq_u32_e32 vcc_lo, 0, v6
	s_wait_alu 0xfffd
	v_cndmask_b32_e32 v6, v7, v5, vcc_lo
; %bb.48:                               ;   in Loop: Header=BB687_4 Depth=1
	s_wait_alu 0xfffe
	s_or_b32 exec_lo, exec_lo, s37
	s_delay_alu instid0(VALU_DEP_1) | instskip(NEXT) | instid1(VALU_DEP_1)
	v_and_b32_e32 v5, 0xffff0000, v6
	v_add_f32_e32 v22, v22, v5
	s_or_b32 exec_lo, exec_lo, s5
	s_and_saveexec_b32 s5, s1
	s_cbranch_execnz .LBB687_23
	s_branch .LBB687_24
.LBB687_49:
	s_endpgm
	.section	.rodata,"a",@progbits
	.p2align	6, 0x0
	.amdhsa_kernel _ZL32rocblas_gemvt_warp_reduce_kernelILb0ELi1024ElPK16rocblas_bfloat16fKPfEviiT3_lPKT2_lT1_lS8_lS9_lS5_lPT4_lS9_li
		.amdhsa_group_segment_fixed_size 128
		.amdhsa_private_segment_fixed_size 0
		.amdhsa_kernarg_size 140
		.amdhsa_user_sgpr_count 2
		.amdhsa_user_sgpr_dispatch_ptr 0
		.amdhsa_user_sgpr_queue_ptr 0
		.amdhsa_user_sgpr_kernarg_segment_ptr 1
		.amdhsa_user_sgpr_dispatch_id 0
		.amdhsa_user_sgpr_private_segment_size 0
		.amdhsa_wavefront_size32 1
		.amdhsa_uses_dynamic_stack 0
		.amdhsa_enable_private_segment 0
		.amdhsa_system_sgpr_workgroup_id_x 1
		.amdhsa_system_sgpr_workgroup_id_y 0
		.amdhsa_system_sgpr_workgroup_id_z 1
		.amdhsa_system_sgpr_workgroup_info 0
		.amdhsa_system_vgpr_workitem_id 0
		.amdhsa_next_free_vgpr 27
		.amdhsa_next_free_sgpr 40
		.amdhsa_reserve_vcc 1
		.amdhsa_float_round_mode_32 0
		.amdhsa_float_round_mode_16_64 0
		.amdhsa_float_denorm_mode_32 3
		.amdhsa_float_denorm_mode_16_64 3
		.amdhsa_fp16_overflow 0
		.amdhsa_workgroup_processor_mode 1
		.amdhsa_memory_ordered 1
		.amdhsa_forward_progress 1
		.amdhsa_inst_pref_size 16
		.amdhsa_round_robin_scheduling 0
		.amdhsa_exception_fp_ieee_invalid_op 0
		.amdhsa_exception_fp_denorm_src 0
		.amdhsa_exception_fp_ieee_div_zero 0
		.amdhsa_exception_fp_ieee_overflow 0
		.amdhsa_exception_fp_ieee_underflow 0
		.amdhsa_exception_fp_ieee_inexact 0
		.amdhsa_exception_int_div_zero 0
	.end_amdhsa_kernel
	.section	.text._ZL32rocblas_gemvt_warp_reduce_kernelILb0ELi1024ElPK16rocblas_bfloat16fKPfEviiT3_lPKT2_lT1_lS8_lS9_lS5_lPT4_lS9_li,"axG",@progbits,_ZL32rocblas_gemvt_warp_reduce_kernelILb0ELi1024ElPK16rocblas_bfloat16fKPfEviiT3_lPKT2_lT1_lS8_lS9_lS5_lPT4_lS9_li,comdat
.Lfunc_end687:
	.size	_ZL32rocblas_gemvt_warp_reduce_kernelILb0ELi1024ElPK16rocblas_bfloat16fKPfEviiT3_lPKT2_lT1_lS8_lS9_lS5_lPT4_lS9_li, .Lfunc_end687-_ZL32rocblas_gemvt_warp_reduce_kernelILb0ELi1024ElPK16rocblas_bfloat16fKPfEviiT3_lPKT2_lT1_lS8_lS9_lS5_lPT4_lS9_li
                                        ; -- End function
	.set _ZL32rocblas_gemvt_warp_reduce_kernelILb0ELi1024ElPK16rocblas_bfloat16fKPfEviiT3_lPKT2_lT1_lS8_lS9_lS5_lPT4_lS9_li.num_vgpr, 27
	.set _ZL32rocblas_gemvt_warp_reduce_kernelILb0ELi1024ElPK16rocblas_bfloat16fKPfEviiT3_lPKT2_lT1_lS8_lS9_lS5_lPT4_lS9_li.num_agpr, 0
	.set _ZL32rocblas_gemvt_warp_reduce_kernelILb0ELi1024ElPK16rocblas_bfloat16fKPfEviiT3_lPKT2_lT1_lS8_lS9_lS5_lPT4_lS9_li.numbered_sgpr, 40
	.set _ZL32rocblas_gemvt_warp_reduce_kernelILb0ELi1024ElPK16rocblas_bfloat16fKPfEviiT3_lPKT2_lT1_lS8_lS9_lS5_lPT4_lS9_li.num_named_barrier, 0
	.set _ZL32rocblas_gemvt_warp_reduce_kernelILb0ELi1024ElPK16rocblas_bfloat16fKPfEviiT3_lPKT2_lT1_lS8_lS9_lS5_lPT4_lS9_li.private_seg_size, 0
	.set _ZL32rocblas_gemvt_warp_reduce_kernelILb0ELi1024ElPK16rocblas_bfloat16fKPfEviiT3_lPKT2_lT1_lS8_lS9_lS5_lPT4_lS9_li.uses_vcc, 1
	.set _ZL32rocblas_gemvt_warp_reduce_kernelILb0ELi1024ElPK16rocblas_bfloat16fKPfEviiT3_lPKT2_lT1_lS8_lS9_lS5_lPT4_lS9_li.uses_flat_scratch, 0
	.set _ZL32rocblas_gemvt_warp_reduce_kernelILb0ELi1024ElPK16rocblas_bfloat16fKPfEviiT3_lPKT2_lT1_lS8_lS9_lS5_lPT4_lS9_li.has_dyn_sized_stack, 0
	.set _ZL32rocblas_gemvt_warp_reduce_kernelILb0ELi1024ElPK16rocblas_bfloat16fKPfEviiT3_lPKT2_lT1_lS8_lS9_lS5_lPT4_lS9_li.has_recursion, 0
	.set _ZL32rocblas_gemvt_warp_reduce_kernelILb0ELi1024ElPK16rocblas_bfloat16fKPfEviiT3_lPKT2_lT1_lS8_lS9_lS5_lPT4_lS9_li.has_indirect_call, 0
	.section	.AMDGPU.csdata,"",@progbits
; Kernel info:
; codeLenInByte = 1980
; TotalNumSgprs: 42
; NumVgprs: 27
; ScratchSize: 0
; MemoryBound: 0
; FloatMode: 240
; IeeeMode: 1
; LDSByteSize: 128 bytes/workgroup (compile time only)
; SGPRBlocks: 0
; VGPRBlocks: 3
; NumSGPRsForWavesPerEU: 42
; NumVGPRsForWavesPerEU: 27
; Occupancy: 16
; WaveLimiterHint : 1
; COMPUTE_PGM_RSRC2:SCRATCH_EN: 0
; COMPUTE_PGM_RSRC2:USER_SGPR: 2
; COMPUTE_PGM_RSRC2:TRAP_HANDLER: 0
; COMPUTE_PGM_RSRC2:TGID_X_EN: 1
; COMPUTE_PGM_RSRC2:TGID_Y_EN: 0
; COMPUTE_PGM_RSRC2:TGID_Z_EN: 1
; COMPUTE_PGM_RSRC2:TIDIG_COMP_CNT: 0
	.section	.text._ZL22rocblas_gemvtsm_kernelILb1ELi256EPK16rocblas_bfloat16PKfKPfEviiT2_lPKT1_lilSA_lilS7_lPT3_lil,"axG",@progbits,_ZL22rocblas_gemvtsm_kernelILb1ELi256EPK16rocblas_bfloat16PKfKPfEviiT2_lPKT1_lilSA_lilS7_lPT3_lil,comdat
	.globl	_ZL22rocblas_gemvtsm_kernelILb1ELi256EPK16rocblas_bfloat16PKfKPfEviiT2_lPKT1_lilSA_lilS7_lPT3_lil ; -- Begin function _ZL22rocblas_gemvtsm_kernelILb1ELi256EPK16rocblas_bfloat16PKfKPfEviiT2_lPKT1_lilSA_lilS7_lPT3_lil
	.p2align	8
	.type	_ZL22rocblas_gemvtsm_kernelILb1ELi256EPK16rocblas_bfloat16PKfKPfEviiT2_lPKT1_lilSA_lilS7_lPT3_lil,@function
_ZL22rocblas_gemvtsm_kernelILb1ELi256EPK16rocblas_bfloat16PKfKPfEviiT2_lPKT1_lilSA_lilS7_lPT3_lil: ; @_ZL22rocblas_gemvtsm_kernelILb1ELi256EPK16rocblas_bfloat16PKfKPfEviiT2_lPKT1_lilSA_lilS7_lPT3_lil
; %bb.0:
	s_clause 0x1
	s_load_b256 s[12:19], s[0:1], 0x8
	s_load_b256 s[4:11], s[0:1], 0x58
	s_mov_b32 s2, ttmp9
	s_mov_b32 s3, 0
	s_wait_kmcnt 0x0
	s_mul_u64 s[14:15], s[14:15], s[2:3]
	s_mul_u64 s[6:7], s[6:7], s[2:3]
	s_lshl_b64 s[14:15], s[14:15], 2
	s_lshl_b64 s[6:7], s[6:7], 2
	s_add_nc_u64 s[12:13], s[12:13], s[14:15]
	s_add_nc_u64 s[4:5], s[4:5], s[6:7]
	s_load_b32 s21, s[12:13], 0x0
	s_load_b32 s20, s[4:5], 0x0
	s_wait_kmcnt 0x0
	s_cmp_eq_f32 s21, 0
	s_cselect_b32 s4, -1, 0
	s_cmp_eq_f32 s20, 1.0
	s_cselect_b32 s5, -1, 0
	s_delay_alu instid0(SALU_CYCLE_1) | instskip(NEXT) | instid1(SALU_CYCLE_1)
	s_and_b32 s4, s4, s5
	s_and_b32 vcc_lo, exec_lo, s4
	s_cbranch_vccnz .LBB688_62
; %bb.1:
	s_cmp_neq_f32 s21, 0
	s_mov_b64 s[12:13], 0
	s_mov_b64 s[6:7], 0
	s_cselect_b32 s4, -1, 0
	s_cmp_eq_f32 s21, 0
	s_cselect_b32 s5, -1, 0
	s_delay_alu instid0(SALU_CYCLE_1)
	s_and_b32 vcc_lo, exec_lo, s5
	s_cbranch_vccnz .LBB688_3
; %bb.2:
	s_lshl_b64 s[6:7], s[2:3], 3
	s_lshl_b64 s[14:15], s[18:19], 1
	s_add_nc_u64 s[6:7], s[16:17], s[6:7]
	s_load_b64 s[6:7], s[6:7], 0x0
	s_wait_kmcnt 0x0
	s_add_nc_u64 s[6:7], s[6:7], s[14:15]
.LBB688_3:
	s_and_not1_b32 vcc_lo, exec_lo, s4
	s_cbranch_vccnz .LBB688_5
; %bb.4:
	s_load_b128 s[12:15], s[0:1], 0x38
	s_lshl_b64 s[16:17], s[2:3], 3
	s_wait_kmcnt 0x0
	s_add_nc_u64 s[12:13], s[12:13], s[16:17]
	s_lshl_b64 s[14:15], s[14:15], 1
	s_load_b64 s[12:13], s[12:13], 0x0
	s_wait_kmcnt 0x0
	s_add_nc_u64 s[12:13], s[12:13], s[14:15]
.LBB688_5:
	s_lshl_b64 s[2:3], s[2:3], 3
	s_and_not1_b32 vcc_lo, exec_lo, s5
	s_add_nc_u64 s[8:9], s[8:9], s[2:3]
	s_clause 0x1
	s_load_b64 s[2:3], s[0:1], 0x0
	s_load_b32 s4, s[0:1], 0x78
	s_load_b64 s[8:9], s[8:9], 0x0
	s_mov_b32 s5, -1
	s_cbranch_vccnz .LBB688_20
; %bb.6:
	s_wait_kmcnt 0x0
	s_cmp_gt_i32 s3, 0
	s_cselect_b32 s16, -1, 0
	s_cmp_neq_f32 s20, 0
	v_cndmask_b32_e64 v1, 0, 1, s16
	s_delay_alu instid0(VALU_DEP_1)
	v_cmp_ne_u32_e32 vcc_lo, 1, v1
	s_cbranch_scc1 .LBB688_13
; %bb.7:
	s_and_b32 vcc_lo, exec_lo, vcc_lo
	s_cbranch_vccnz .LBB688_12
; %bb.8:
	v_mad_co_i64_i32 v[1:2], null, s4, v0, 0
	s_lshl_b64 s[14:15], s[10:11], 2
	v_mov_b32_e32 v3, 0
	s_add_nc_u64 s[14:15], s[8:9], s[14:15]
	s_ashr_i32 s5, s4, 31
	v_lshlrev_b64_e32 v[1:2], 2, v[1:2]
	s_delay_alu instid0(VALU_DEP_1) | instskip(NEXT) | instid1(VALU_DEP_1)
	v_add_co_u32 v1, vcc_lo, s14, v1
	v_add_co_ci_u32_e64 v2, null, s15, v2, vcc_lo
	s_wait_alu 0xfffe
	s_lshl_b64 s[14:15], s[4:5], 10
	s_mov_b32 s5, 0
	s_branch .LBB688_10
.LBB688_9:                              ;   in Loop: Header=BB688_10 Depth=1
	s_wait_alu 0xfffe
	s_or_b32 exec_lo, exec_lo, s17
	v_add_co_u32 v1, vcc_lo, v1, s14
	s_wait_alu 0xfffd
	v_add_co_ci_u32_e64 v2, null, s15, v2, vcc_lo
	s_addk_co_i32 s5, 0x100
	s_wait_alu 0xfffe
	s_cmp_ge_i32 s5, s3
	s_cbranch_scc1 .LBB688_12
.LBB688_10:                             ; =>This Inner Loop Header: Depth=1
	s_wait_alu 0xfffe
	v_add_nc_u32_e32 v4, s5, v0
	s_mov_b32 s17, exec_lo
	s_delay_alu instid0(VALU_DEP_1)
	v_cmpx_gt_i32_e64 s3, v4
	s_cbranch_execz .LBB688_9
; %bb.11:                               ;   in Loop: Header=BB688_10 Depth=1
	flat_store_b32 v[1:2], v3
	s_branch .LBB688_9
.LBB688_12:
	s_mov_b32 s5, 0
.LBB688_13:
	s_wait_alu 0xfffe
	s_and_not1_b32 vcc_lo, exec_lo, s5
	s_wait_alu 0xfffe
	s_cbranch_vccnz .LBB688_19
; %bb.14:
	s_and_not1_b32 vcc_lo, exec_lo, s16
	s_wait_alu 0xfffe
	s_cbranch_vccnz .LBB688_19
; %bb.15:
	v_mad_co_i64_i32 v[1:2], null, s4, v0, 0
	s_lshl_b64 s[14:15], s[10:11], 2
	s_ashr_i32 s5, s4, 31
	s_wait_alu 0xfffe
	s_add_nc_u64 s[14:15], s[8:9], s[14:15]
	v_lshlrev_b64_e32 v[1:2], 2, v[1:2]
	s_wait_alu 0xfffe
	s_delay_alu instid0(VALU_DEP_1) | instskip(SKIP_1) | instid1(VALU_DEP_2)
	v_add_co_u32 v1, vcc_lo, s14, v1
	s_wait_alu 0xfffd
	v_add_co_ci_u32_e64 v2, null, s15, v2, vcc_lo
	s_lshl_b64 s[14:15], s[4:5], 10
	s_mov_b32 s5, 0
	s_branch .LBB688_17
.LBB688_16:                             ;   in Loop: Header=BB688_17 Depth=1
	s_wait_alu 0xfffe
	s_or_b32 exec_lo, exec_lo, s16
	v_add_co_u32 v1, vcc_lo, v1, s14
	s_wait_alu 0xfffd
	v_add_co_ci_u32_e64 v2, null, s15, v2, vcc_lo
	s_addk_co_i32 s5, 0x100
	s_wait_alu 0xfffe
	s_cmp_ge_i32 s5, s3
	s_cbranch_scc1 .LBB688_19
.LBB688_17:                             ; =>This Inner Loop Header: Depth=1
	s_wait_alu 0xfffe
	v_add_nc_u32_e32 v3, s5, v0
	s_mov_b32 s16, exec_lo
	s_delay_alu instid0(VALU_DEP_1)
	v_cmpx_gt_i32_e64 s3, v3
	s_cbranch_execz .LBB688_16
; %bb.18:                               ;   in Loop: Header=BB688_17 Depth=1
	flat_load_b32 v3, v[1:2]
	s_wait_loadcnt_dscnt 0x0
	v_mul_f32_e32 v3, s20, v3
	flat_store_b32 v[1:2], v3
	s_branch .LBB688_16
.LBB688_19:
	s_mov_b32 s5, 0
.LBB688_20:
	s_wait_alu 0xfffe
	s_and_not1_b32 vcc_lo, exec_lo, s5
	s_wait_alu 0xfffe
	s_cbranch_vccnz .LBB688_62
; %bb.21:
	s_mov_b32 s5, exec_lo
	s_wait_kmcnt 0x0
	v_cmpx_gt_i32_e64 s2, v0
	s_cbranch_execz .LBB688_27
; %bb.22:
	s_load_b32 s14, s[0:1], 0x48
	s_wait_kmcnt 0x0
	v_mad_co_i64_i32 v[1:2], null, s14, v0, 0
	s_delay_alu instid0(VALU_DEP_1) | instskip(NEXT) | instid1(VALU_DEP_1)
	v_lshlrev_b64_e32 v[1:2], 1, v[1:2]
	v_add_co_u32 v1, vcc_lo, s12, v1
	s_wait_alu 0xfffd
	s_delay_alu instid0(VALU_DEP_2) | instskip(SKIP_3) | instid1(VALU_DEP_1)
	v_add_co_ci_u32_e64 v2, null, s13, v2, vcc_lo
	flat_load_u16 v1, v[1:2]
	s_wait_loadcnt_dscnt 0x0
	v_lshlrev_b32_e32 v1, 16, v1
	v_mul_f32_e32 v1, s21, v1
	s_delay_alu instid0(VALU_DEP_1) | instskip(NEXT) | instid1(VALU_DEP_1)
	v_and_b32_e32 v2, 0x7f800000, v1
	v_cmp_ne_u32_e32 vcc_lo, 0x7f800000, v2
                                        ; implicit-def: $vgpr2
	s_and_saveexec_b32 s12, vcc_lo
	s_wait_alu 0xfffe
	s_xor_b32 s12, exec_lo, s12
; %bb.23:
	v_bfe_u32 v2, v1, 16, 1
	s_delay_alu instid0(VALU_DEP_1)
	v_add3_u32 v2, v1, v2, 0x7fff
                                        ; implicit-def: $vgpr1
; %bb.24:
	s_wait_alu 0xfffe
	s_and_not1_saveexec_b32 s12, s12
; %bb.25:
	v_and_b32_e32 v2, 0xffff, v1
	v_or_b32_e32 v3, 0x10000, v1
	s_delay_alu instid0(VALU_DEP_2) | instskip(SKIP_1) | instid1(VALU_DEP_2)
	v_cmp_eq_u32_e32 vcc_lo, 0, v2
	s_wait_alu 0xfffd
	v_cndmask_b32_e32 v2, v3, v1, vcc_lo
; %bb.26:
	s_wait_alu 0xfffe
	s_or_b32 exec_lo, exec_lo, s12
	s_delay_alu instid0(VALU_DEP_1)
	v_and_b32_e32 v1, 0xffff0000, v2
	v_lshlrev_b32_e32 v2, 2, v0
	ds_store_b32 v2, v1
.LBB688_27:
	s_wait_alu 0xfffe
	s_or_b32 exec_lo, exec_lo, s5
	s_cmp_lt_i32 s3, 1
	s_wait_storecnt_dscnt 0x0
	s_barrier_signal -1
	s_barrier_wait -1
	global_inv scope:SCOPE_SE
	s_cbranch_scc1 .LBB688_62
; %bb.28:
	s_load_b32 s16, s[0:1], 0x28
	s_lshl_b64 s[0:1], s[10:11], 2
	s_ashr_i32 s5, s4, 31
	s_add_nc_u64 s[0:1], s[8:9], s[0:1]
	s_mov_b32 s8, 0
	s_wait_kmcnt 0x0
	v_mad_co_i64_i32 v[1:2], null, s16, v0, 0
	s_ashr_i32 s17, s16, 31
	s_cmp_neq_f32 s20, 0
	s_cselect_b32 s10, -1, 0
	v_lshlrev_b64_e32 v[1:2], 1, v[1:2]
	s_cmp_gt_i32 s2, 0
	s_cselect_b32 s11, -1, 0
	s_and_b32 s12, s2, 3
	s_cmp_gt_u32 s2, 3
	s_delay_alu instid0(VALU_DEP_1)
	v_add_co_u32 v7, vcc_lo, s6, v1
	s_wait_alu 0xfffd
	v_add_co_ci_u32_e64 v8, null, s7, v2, vcc_lo
	s_cselect_b32 s13, -1, 0
	v_add_co_u32 v1, vcc_lo, v7, 4
	s_and_b32 s2, s2, 0x7ffffffc
	s_wait_alu 0xfffd
	v_add_co_ci_u32_e64 v2, null, 0, v8, vcc_lo
	s_wait_alu 0xfffe
	s_cmp_lg_u32 s12, 0
	s_cselect_b32 s14, -1, 0
	s_lshl_b64 s[6:7], s[16:17], 9
	s_branch .LBB688_31
.LBB688_29:                             ;   in Loop: Header=BB688_31 Depth=1
	v_add_co_u32 v3, vcc_lo, s0, v3
	s_wait_alu 0xfffd
	v_add_co_ci_u32_e64 v4, null, s1, v4, vcc_lo
	flat_store_b32 v[3:4], v9
.LBB688_30:                             ;   in Loop: Header=BB688_31 Depth=1
	s_wait_alu 0xfffe
	s_or_b32 exec_lo, exec_lo, s9
	v_add_co_u32 v1, vcc_lo, v1, s6
	s_wait_alu 0xfffd
	v_add_co_ci_u32_e64 v2, null, s7, v2, vcc_lo
	v_add_co_u32 v7, vcc_lo, v7, s6
	s_wait_alu 0xfffd
	v_add_co_ci_u32_e64 v8, null, s7, v8, vcc_lo
	s_addk_co_i32 s8, 0x100
	s_wait_alu 0xfffe
	s_cmp_ge_i32 s8, s3
	s_cbranch_scc1 .LBB688_62
.LBB688_31:                             ; =>This Loop Header: Depth=1
                                        ;     Child Loop BB688_38 Depth 2
                                        ;     Child Loop BB688_58 Depth 2
	v_add_nc_u32_e32 v3, s8, v0
	s_mov_b32 s9, exec_lo
	s_delay_alu instid0(VALU_DEP_1)
	v_cmpx_gt_i32_e64 s3, v3
	s_cbranch_execz .LBB688_30
; %bb.32:                               ;   in Loop: Header=BB688_31 Depth=1
	v_mad_co_u64_u32 v[4:5], null, v3, s4, 0
	s_and_not1_b32 vcc_lo, exec_lo, s10
	v_mad_co_u64_u32 v[5:6], null, v3, s5, v[5:6]
	s_delay_alu instid0(VALU_DEP_1)
	v_lshlrev_b64_e32 v[3:4], 2, v[4:5]
	s_wait_alu 0xfffe
	s_cbranch_vccnz .LBB688_34
; %bb.33:                               ;   in Loop: Header=BB688_31 Depth=1
	s_delay_alu instid0(VALU_DEP_1) | instskip(SKIP_1) | instid1(VALU_DEP_2)
	v_add_co_u32 v5, vcc_lo, s0, v3
	s_wait_alu 0xfffd
	v_add_co_ci_u32_e64 v6, null, s1, v4, vcc_lo
	flat_load_b32 v5, v[5:6]
	s_wait_loadcnt_dscnt 0x0
	v_mul_f32_e32 v9, s20, v5
	s_and_not1_b32 vcc_lo, exec_lo, s11
	s_wait_alu 0xfffe
	s_cbranch_vccz .LBB688_35
	s_branch .LBB688_29
.LBB688_34:                             ;   in Loop: Header=BB688_31 Depth=1
	v_mov_b32_e32 v9, 0
	s_and_not1_b32 vcc_lo, exec_lo, s11
	s_wait_alu 0xfffe
	s_cbranch_vccnz .LBB688_29
.LBB688_35:                             ;   in Loop: Header=BB688_31 Depth=1
	s_and_not1_b32 vcc_lo, exec_lo, s13
	s_mov_b32 s15, 0
	s_wait_alu 0xfffe
	s_cbranch_vccnz .LBB688_55
; %bb.36:                               ;   in Loop: Header=BB688_31 Depth=1
	v_dual_mov_b32 v6, v2 :: v_dual_mov_b32 v5, v1
	s_mov_b32 s16, 0
	s_branch .LBB688_38
.LBB688_37:                             ;   in Loop: Header=BB688_38 Depth=2
	s_wait_alu 0xfffe
	s_or_b32 exec_lo, exec_lo, s17
	v_and_b32_e32 v11, 0xffff0000, v11
	v_and_b32_e32 v10, 0xffff0000, v10
	v_add_co_u32 v5, vcc_lo, v5, 8
	s_wait_alu 0xfffd
	v_add_co_ci_u32_e64 v6, null, 0, v6, vcc_lo
	s_delay_alu instid0(VALU_DEP_3)
	v_dual_add_f32 v9, v9, v10 :: v_dual_and_b32 v10, 0xffff0000, v12
	s_add_co_i32 s16, s16, 4
	s_add_co_i32 s15, s15, 16
	s_wait_alu 0xfffe
	s_cmp_eq_u32 s2, s16
	v_add_f32_e32 v9, v9, v11
	v_and_b32_e32 v11, 0xffff0000, v13
	s_delay_alu instid0(VALU_DEP_2) | instskip(NEXT) | instid1(VALU_DEP_1)
	v_add_f32_e32 v9, v9, v10
	v_add_f32_e32 v9, v9, v11
	s_cbranch_scc1 .LBB688_54
.LBB688_38:                             ;   Parent Loop BB688_31 Depth=1
                                        ; =>  This Inner Loop Header: Depth=2
	flat_load_u16 v10, v[5:6] offset:-4
	s_wait_loadcnt_dscnt 0x0
	v_dual_mov_b32 v11, s15 :: v_dual_lshlrev_b32 v10, 16, v10
	ds_load_b32 v11, v11
	s_wait_dscnt 0x0
	v_mul_f32_e32 v11, v11, v10
	s_delay_alu instid0(VALU_DEP_1) | instskip(NEXT) | instid1(VALU_DEP_1)
	v_and_b32_e32 v10, 0x7f800000, v11
	v_cmp_ne_u32_e32 vcc_lo, 0x7f800000, v10
                                        ; implicit-def: $vgpr10
	s_and_saveexec_b32 s17, vcc_lo
	s_wait_alu 0xfffe
	s_xor_b32 s17, exec_lo, s17
; %bb.39:                               ;   in Loop: Header=BB688_38 Depth=2
	v_bfe_u32 v10, v11, 16, 1
	s_delay_alu instid0(VALU_DEP_1)
	v_add3_u32 v10, v11, v10, 0x7fff
                                        ; implicit-def: $vgpr11
; %bb.40:                               ;   in Loop: Header=BB688_38 Depth=2
	s_wait_alu 0xfffe
	s_and_not1_saveexec_b32 s17, s17
; %bb.41:                               ;   in Loop: Header=BB688_38 Depth=2
	v_and_b32_e32 v10, 0xffff, v11
	v_or_b32_e32 v12, 0x10000, v11
	s_delay_alu instid0(VALU_DEP_2) | instskip(SKIP_1) | instid1(VALU_DEP_2)
	v_cmp_eq_u32_e32 vcc_lo, 0, v10
	s_wait_alu 0xfffd
	v_cndmask_b32_e32 v10, v12, v11, vcc_lo
; %bb.42:                               ;   in Loop: Header=BB688_38 Depth=2
	s_wait_alu 0xfffe
	s_or_b32 exec_lo, exec_lo, s17
	flat_load_u16 v11, v[5:6] offset:-2
	s_wait_loadcnt_dscnt 0x0
	v_dual_mov_b32 v12, s15 :: v_dual_lshlrev_b32 v11, 16, v11
	ds_load_b32 v12, v12 offset:4
	s_wait_dscnt 0x0
	v_mul_f32_e32 v12, v12, v11
	s_delay_alu instid0(VALU_DEP_1) | instskip(NEXT) | instid1(VALU_DEP_1)
	v_and_b32_e32 v11, 0x7f800000, v12
	v_cmp_ne_u32_e32 vcc_lo, 0x7f800000, v11
                                        ; implicit-def: $vgpr11
	s_and_saveexec_b32 s17, vcc_lo
	s_wait_alu 0xfffe
	s_xor_b32 s17, exec_lo, s17
; %bb.43:                               ;   in Loop: Header=BB688_38 Depth=2
	v_bfe_u32 v11, v12, 16, 1
	s_delay_alu instid0(VALU_DEP_1)
	v_add3_u32 v11, v12, v11, 0x7fff
                                        ; implicit-def: $vgpr12
; %bb.44:                               ;   in Loop: Header=BB688_38 Depth=2
	s_wait_alu 0xfffe
	s_and_not1_saveexec_b32 s17, s17
; %bb.45:                               ;   in Loop: Header=BB688_38 Depth=2
	v_and_b32_e32 v11, 0xffff, v12
	v_or_b32_e32 v13, 0x10000, v12
	s_delay_alu instid0(VALU_DEP_2) | instskip(SKIP_1) | instid1(VALU_DEP_2)
	v_cmp_eq_u32_e32 vcc_lo, 0, v11
	s_wait_alu 0xfffd
	v_cndmask_b32_e32 v11, v13, v12, vcc_lo
; %bb.46:                               ;   in Loop: Header=BB688_38 Depth=2
	s_wait_alu 0xfffe
	s_or_b32 exec_lo, exec_lo, s17
	flat_load_u16 v12, v[5:6]
	s_wait_loadcnt_dscnt 0x0
	v_dual_mov_b32 v13, s15 :: v_dual_lshlrev_b32 v12, 16, v12
	ds_load_b32 v13, v13 offset:8
	s_wait_dscnt 0x0
	v_mul_f32_e32 v13, v13, v12
	s_delay_alu instid0(VALU_DEP_1) | instskip(NEXT) | instid1(VALU_DEP_1)
	v_and_b32_e32 v12, 0x7f800000, v13
	v_cmp_ne_u32_e32 vcc_lo, 0x7f800000, v12
                                        ; implicit-def: $vgpr12
	s_and_saveexec_b32 s17, vcc_lo
	s_wait_alu 0xfffe
	s_xor_b32 s17, exec_lo, s17
; %bb.47:                               ;   in Loop: Header=BB688_38 Depth=2
	v_bfe_u32 v12, v13, 16, 1
	s_delay_alu instid0(VALU_DEP_1)
	v_add3_u32 v12, v13, v12, 0x7fff
                                        ; implicit-def: $vgpr13
; %bb.48:                               ;   in Loop: Header=BB688_38 Depth=2
	s_wait_alu 0xfffe
	s_and_not1_saveexec_b32 s17, s17
; %bb.49:                               ;   in Loop: Header=BB688_38 Depth=2
	v_and_b32_e32 v12, 0xffff, v13
	v_or_b32_e32 v14, 0x10000, v13
	s_delay_alu instid0(VALU_DEP_2) | instskip(SKIP_1) | instid1(VALU_DEP_2)
	v_cmp_eq_u32_e32 vcc_lo, 0, v12
	s_wait_alu 0xfffd
	v_cndmask_b32_e32 v12, v14, v13, vcc_lo
; %bb.50:                               ;   in Loop: Header=BB688_38 Depth=2
	s_wait_alu 0xfffe
	s_or_b32 exec_lo, exec_lo, s17
	flat_load_u16 v13, v[5:6] offset:2
	s_wait_loadcnt_dscnt 0x0
	v_dual_mov_b32 v14, s15 :: v_dual_lshlrev_b32 v13, 16, v13
	ds_load_b32 v14, v14 offset:12
	s_wait_dscnt 0x0
	v_mul_f32_e32 v14, v14, v13
	s_delay_alu instid0(VALU_DEP_1) | instskip(NEXT) | instid1(VALU_DEP_1)
	v_and_b32_e32 v13, 0x7f800000, v14
	v_cmp_ne_u32_e32 vcc_lo, 0x7f800000, v13
                                        ; implicit-def: $vgpr13
	s_and_saveexec_b32 s17, vcc_lo
	s_wait_alu 0xfffe
	s_xor_b32 s17, exec_lo, s17
; %bb.51:                               ;   in Loop: Header=BB688_38 Depth=2
	v_bfe_u32 v13, v14, 16, 1
	s_delay_alu instid0(VALU_DEP_1)
	v_add3_u32 v13, v14, v13, 0x7fff
                                        ; implicit-def: $vgpr14
; %bb.52:                               ;   in Loop: Header=BB688_38 Depth=2
	s_wait_alu 0xfffe
	s_and_not1_saveexec_b32 s17, s17
	s_cbranch_execz .LBB688_37
; %bb.53:                               ;   in Loop: Header=BB688_38 Depth=2
	v_and_b32_e32 v13, 0xffff, v14
	v_or_b32_e32 v15, 0x10000, v14
	s_delay_alu instid0(VALU_DEP_2) | instskip(SKIP_1) | instid1(VALU_DEP_2)
	v_cmp_eq_u32_e32 vcc_lo, 0, v13
	s_wait_alu 0xfffd
	v_cndmask_b32_e32 v13, v15, v14, vcc_lo
	s_branch .LBB688_37
.LBB688_54:                             ;   in Loop: Header=BB688_31 Depth=1
	s_mov_b32 s15, s2
.LBB688_55:                             ;   in Loop: Header=BB688_31 Depth=1
	s_and_not1_b32 vcc_lo, exec_lo, s14
	s_wait_alu 0xfffe
	s_cbranch_vccnz .LBB688_29
; %bb.56:                               ;   in Loop: Header=BB688_31 Depth=1
	s_lshl_b32 s16, s15, 1
	s_lshl_b32 s15, s15, 2
	s_wait_alu 0xfffe
	v_add_co_u32 v5, vcc_lo, v7, s16
	s_wait_alu 0xfffd
	v_add_co_ci_u32_e64 v6, null, 0, v8, vcc_lo
	s_mov_b32 s16, s12
	s_branch .LBB688_58
.LBB688_57:                             ;   in Loop: Header=BB688_58 Depth=2
	s_wait_alu 0xfffe
	s_or_b32 exec_lo, exec_lo, s17
	s_delay_alu instid0(VALU_DEP_1) | instskip(SKIP_3) | instid1(VALU_DEP_3)
	v_and_b32_e32 v10, 0xffff0000, v11
	v_add_co_u32 v5, vcc_lo, v5, 2
	s_wait_alu 0xfffd
	v_add_co_ci_u32_e64 v6, null, 0, v6, vcc_lo
	v_add_f32_e32 v9, v9, v10
	s_add_co_i32 s16, s16, -1
	s_add_co_i32 s15, s15, 4
	s_wait_alu 0xfffe
	s_cmp_lg_u32 s16, 0
	s_cbranch_scc0 .LBB688_29
.LBB688_58:                             ;   Parent Loop BB688_31 Depth=1
                                        ; =>  This Inner Loop Header: Depth=2
	flat_load_u16 v10, v[5:6]
	s_wait_loadcnt_dscnt 0x0
	v_dual_mov_b32 v11, s15 :: v_dual_lshlrev_b32 v10, 16, v10
	ds_load_b32 v11, v11
	s_wait_dscnt 0x0
	v_mul_f32_e32 v10, v11, v10
	s_delay_alu instid0(VALU_DEP_1) | instskip(NEXT) | instid1(VALU_DEP_1)
	v_and_b32_e32 v11, 0x7f800000, v10
	v_cmp_ne_u32_e32 vcc_lo, 0x7f800000, v11
                                        ; implicit-def: $vgpr11
	s_and_saveexec_b32 s17, vcc_lo
	s_wait_alu 0xfffe
	s_xor_b32 s17, exec_lo, s17
; %bb.59:                               ;   in Loop: Header=BB688_58 Depth=2
	v_bfe_u32 v11, v10, 16, 1
	s_delay_alu instid0(VALU_DEP_1)
	v_add3_u32 v11, v10, v11, 0x7fff
                                        ; implicit-def: $vgpr10
; %bb.60:                               ;   in Loop: Header=BB688_58 Depth=2
	s_wait_alu 0xfffe
	s_and_not1_saveexec_b32 s17, s17
	s_cbranch_execz .LBB688_57
; %bb.61:                               ;   in Loop: Header=BB688_58 Depth=2
	v_and_b32_e32 v11, 0xffff, v10
	v_or_b32_e32 v12, 0x10000, v10
	s_delay_alu instid0(VALU_DEP_2) | instskip(SKIP_1) | instid1(VALU_DEP_2)
	v_cmp_eq_u32_e32 vcc_lo, 0, v11
	s_wait_alu 0xfffd
	v_cndmask_b32_e32 v11, v12, v10, vcc_lo
	s_branch .LBB688_57
.LBB688_62:
	s_endpgm
	.section	.rodata,"a",@progbits
	.p2align	6, 0x0
	.amdhsa_kernel _ZL22rocblas_gemvtsm_kernelILb1ELi256EPK16rocblas_bfloat16PKfKPfEviiT2_lPKT1_lilSA_lilS7_lPT3_lil
		.amdhsa_group_segment_fixed_size 256
		.amdhsa_private_segment_fixed_size 0
		.amdhsa_kernarg_size 136
		.amdhsa_user_sgpr_count 2
		.amdhsa_user_sgpr_dispatch_ptr 0
		.amdhsa_user_sgpr_queue_ptr 0
		.amdhsa_user_sgpr_kernarg_segment_ptr 1
		.amdhsa_user_sgpr_dispatch_id 0
		.amdhsa_user_sgpr_private_segment_size 0
		.amdhsa_wavefront_size32 1
		.amdhsa_uses_dynamic_stack 0
		.amdhsa_enable_private_segment 0
		.amdhsa_system_sgpr_workgroup_id_x 1
		.amdhsa_system_sgpr_workgroup_id_y 0
		.amdhsa_system_sgpr_workgroup_id_z 0
		.amdhsa_system_sgpr_workgroup_info 0
		.amdhsa_system_vgpr_workitem_id 0
		.amdhsa_next_free_vgpr 16
		.amdhsa_next_free_sgpr 22
		.amdhsa_reserve_vcc 1
		.amdhsa_float_round_mode_32 0
		.amdhsa_float_round_mode_16_64 0
		.amdhsa_float_denorm_mode_32 3
		.amdhsa_float_denorm_mode_16_64 3
		.amdhsa_fp16_overflow 0
		.amdhsa_workgroup_processor_mode 1
		.amdhsa_memory_ordered 1
		.amdhsa_forward_progress 1
		.amdhsa_inst_pref_size 19
		.amdhsa_round_robin_scheduling 0
		.amdhsa_exception_fp_ieee_invalid_op 0
		.amdhsa_exception_fp_denorm_src 0
		.amdhsa_exception_fp_ieee_div_zero 0
		.amdhsa_exception_fp_ieee_overflow 0
		.amdhsa_exception_fp_ieee_underflow 0
		.amdhsa_exception_fp_ieee_inexact 0
		.amdhsa_exception_int_div_zero 0
	.end_amdhsa_kernel
	.section	.text._ZL22rocblas_gemvtsm_kernelILb1ELi256EPK16rocblas_bfloat16PKfKPfEviiT2_lPKT1_lilSA_lilS7_lPT3_lil,"axG",@progbits,_ZL22rocblas_gemvtsm_kernelILb1ELi256EPK16rocblas_bfloat16PKfKPfEviiT2_lPKT1_lilSA_lilS7_lPT3_lil,comdat
.Lfunc_end688:
	.size	_ZL22rocblas_gemvtsm_kernelILb1ELi256EPK16rocblas_bfloat16PKfKPfEviiT2_lPKT1_lilSA_lilS7_lPT3_lil, .Lfunc_end688-_ZL22rocblas_gemvtsm_kernelILb1ELi256EPK16rocblas_bfloat16PKfKPfEviiT2_lPKT1_lilSA_lilS7_lPT3_lil
                                        ; -- End function
	.set _ZL22rocblas_gemvtsm_kernelILb1ELi256EPK16rocblas_bfloat16PKfKPfEviiT2_lPKT1_lilSA_lilS7_lPT3_lil.num_vgpr, 16
	.set _ZL22rocblas_gemvtsm_kernelILb1ELi256EPK16rocblas_bfloat16PKfKPfEviiT2_lPKT1_lilSA_lilS7_lPT3_lil.num_agpr, 0
	.set _ZL22rocblas_gemvtsm_kernelILb1ELi256EPK16rocblas_bfloat16PKfKPfEviiT2_lPKT1_lilSA_lilS7_lPT3_lil.numbered_sgpr, 22
	.set _ZL22rocblas_gemvtsm_kernelILb1ELi256EPK16rocblas_bfloat16PKfKPfEviiT2_lPKT1_lilSA_lilS7_lPT3_lil.num_named_barrier, 0
	.set _ZL22rocblas_gemvtsm_kernelILb1ELi256EPK16rocblas_bfloat16PKfKPfEviiT2_lPKT1_lilSA_lilS7_lPT3_lil.private_seg_size, 0
	.set _ZL22rocblas_gemvtsm_kernelILb1ELi256EPK16rocblas_bfloat16PKfKPfEviiT2_lPKT1_lilSA_lilS7_lPT3_lil.uses_vcc, 1
	.set _ZL22rocblas_gemvtsm_kernelILb1ELi256EPK16rocblas_bfloat16PKfKPfEviiT2_lPKT1_lilSA_lilS7_lPT3_lil.uses_flat_scratch, 0
	.set _ZL22rocblas_gemvtsm_kernelILb1ELi256EPK16rocblas_bfloat16PKfKPfEviiT2_lPKT1_lilSA_lilS7_lPT3_lil.has_dyn_sized_stack, 0
	.set _ZL22rocblas_gemvtsm_kernelILb1ELi256EPK16rocblas_bfloat16PKfKPfEviiT2_lPKT1_lilSA_lilS7_lPT3_lil.has_recursion, 0
	.set _ZL22rocblas_gemvtsm_kernelILb1ELi256EPK16rocblas_bfloat16PKfKPfEviiT2_lPKT1_lilSA_lilS7_lPT3_lil.has_indirect_call, 0
	.section	.AMDGPU.csdata,"",@progbits
; Kernel info:
; codeLenInByte = 2312
; TotalNumSgprs: 24
; NumVgprs: 16
; ScratchSize: 0
; MemoryBound: 0
; FloatMode: 240
; IeeeMode: 1
; LDSByteSize: 256 bytes/workgroup (compile time only)
; SGPRBlocks: 0
; VGPRBlocks: 1
; NumSGPRsForWavesPerEU: 24
; NumVGPRsForWavesPerEU: 16
; Occupancy: 16
; WaveLimiterHint : 1
; COMPUTE_PGM_RSRC2:SCRATCH_EN: 0
; COMPUTE_PGM_RSRC2:USER_SGPR: 2
; COMPUTE_PGM_RSRC2:TRAP_HANDLER: 0
; COMPUTE_PGM_RSRC2:TGID_X_EN: 1
; COMPUTE_PGM_RSRC2:TGID_Y_EN: 0
; COMPUTE_PGM_RSRC2:TGID_Z_EN: 0
; COMPUTE_PGM_RSRC2:TIDIG_COMP_CNT: 0
	.section	.text._ZL22rocblas_gemvtsm_kernelILb1ELi256EPK16rocblas_bfloat16fKPfEviiT2_lPKT1_lilS8_lilS5_lPT3_lil,"axG",@progbits,_ZL22rocblas_gemvtsm_kernelILb1ELi256EPK16rocblas_bfloat16fKPfEviiT2_lPKT1_lilS8_lilS5_lPT3_lil,comdat
	.globl	_ZL22rocblas_gemvtsm_kernelILb1ELi256EPK16rocblas_bfloat16fKPfEviiT2_lPKT1_lilS8_lilS5_lPT3_lil ; -- Begin function _ZL22rocblas_gemvtsm_kernelILb1ELi256EPK16rocblas_bfloat16fKPfEviiT2_lPKT1_lilS8_lilS5_lPT3_lil
	.p2align	8
	.type	_ZL22rocblas_gemvtsm_kernelILb1ELi256EPK16rocblas_bfloat16fKPfEviiT2_lPKT1_lilS8_lilS5_lPT3_lil,@function
_ZL22rocblas_gemvtsm_kernelILb1ELi256EPK16rocblas_bfloat16fKPfEviiT2_lPKT1_lilS8_lilS5_lPT3_lil: ; @_ZL22rocblas_gemvtsm_kernelILb1ELi256EPK16rocblas_bfloat16fKPfEviiT2_lPKT1_lilS8_lilS5_lPT3_lil
; %bb.0:
	s_clause 0x1
	s_load_b96 s[8:10], s[0:1], 0x0
	s_load_b32 s11, s[0:1], 0x58
	s_mov_b32 s5, 0
	s_wait_kmcnt 0x0
	s_cmp_eq_f32 s10, 0
	s_cselect_b32 s2, -1, 0
	s_cmp_eq_f32 s11, 1.0
	s_cselect_b32 s3, -1, 0
	s_delay_alu instid0(SALU_CYCLE_1) | instskip(NEXT) | instid1(SALU_CYCLE_1)
	s_and_b32 s2, s2, s3
	s_and_b32 vcc_lo, exec_lo, s2
	s_cbranch_vccnz .LBB689_64
; %bb.1:
	s_cmp_neq_f32 s10, 0
	s_mov_b32 s4, ttmp9
	s_cselect_b32 s6, -1, 0
	s_cmp_eq_f32 s10, 0
	s_cselect_b32 s16, -1, 0
	s_and_b32 vcc_lo, exec_lo, s6
	s_cbranch_vccnz .LBB689_3
; %bb.2:
	s_mov_b32 s3, 0
	s_mov_b32 s2, ttmp9
	s_mov_b32 s7, s3
	s_mov_b64 s[14:15], 0
	s_and_not1_b32 vcc_lo, exec_lo, s7
	s_mov_b64 s[12:13], 0
	s_cbranch_vccz .LBB689_4
	s_branch .LBB689_5
.LBB689_3:
	s_mov_b64 s[2:3], s[4:5]
	s_mov_b64 s[14:15], 0
	s_mov_b64 s[12:13], 0
.LBB689_4:
	s_load_b128 s[20:23], s[0:1], 0x18
	s_lshl_b64 s[4:5], s[4:5], 3
	s_wait_kmcnt 0x0
	s_add_nc_u64 s[4:5], s[20:21], s[4:5]
	s_lshl_b64 s[12:13], s[22:23], 1
	s_load_b64 s[4:5], s[4:5], 0x0
	s_wait_kmcnt 0x0
	s_add_nc_u64 s[12:13], s[4:5], s[12:13]
.LBB689_5:
	s_and_not1_b32 vcc_lo, exec_lo, s6
	s_cbranch_vccnz .LBB689_7
; %bb.6:
	s_load_b128 s[4:7], s[0:1], 0x38
	s_lshl_b64 s[14:15], s[2:3], 3
	s_wait_kmcnt 0x0
	s_add_nc_u64 s[4:5], s[4:5], s[14:15]
	s_lshl_b64 s[6:7], s[6:7], 1
	s_load_b64 s[4:5], s[4:5], 0x0
	s_wait_kmcnt 0x0
	s_add_nc_u64 s[14:15], s[4:5], s[6:7]
.LBB689_7:
	s_load_b128 s[4:7], s[0:1], 0x68
	s_lshl_b64 s[18:19], s[2:3], 3
	s_load_b32 s2, s[0:1], 0x78
	s_and_not1_b32 vcc_lo, exec_lo, s16
	s_mov_b32 s3, -1
	s_wait_kmcnt 0x0
	s_add_nc_u64 s[4:5], s[4:5], s[18:19]
	s_load_b64 s[4:5], s[4:5], 0x0
	s_cbranch_vccnz .LBB689_22
; %bb.8:
	s_cmp_gt_i32 s9, 0
	s_cselect_b32 s18, -1, 0
	s_cmp_neq_f32 s11, 0
	v_cndmask_b32_e64 v1, 0, 1, s18
	s_delay_alu instid0(VALU_DEP_1)
	v_cmp_ne_u32_e32 vcc_lo, 1, v1
	s_cbranch_scc1 .LBB689_15
; %bb.9:
	s_and_b32 vcc_lo, exec_lo, vcc_lo
	s_cbranch_vccnz .LBB689_14
; %bb.10:
	v_mad_co_i64_i32 v[1:2], null, s2, v0, 0
	s_lshl_b64 s[16:17], s[6:7], 2
	v_mov_b32_e32 v3, 0
	s_wait_kmcnt 0x0
	s_add_nc_u64 s[16:17], s[4:5], s[16:17]
	s_ashr_i32 s3, s2, 31
	v_lshlrev_b64_e32 v[1:2], 2, v[1:2]
	s_delay_alu instid0(VALU_DEP_1) | instskip(NEXT) | instid1(VALU_DEP_1)
	v_add_co_u32 v1, vcc_lo, s16, v1
	v_add_co_ci_u32_e64 v2, null, s17, v2, vcc_lo
	s_wait_alu 0xfffe
	s_lshl_b64 s[16:17], s[2:3], 10
	s_mov_b32 s3, 0
	s_branch .LBB689_12
.LBB689_11:                             ;   in Loop: Header=BB689_12 Depth=1
	s_wait_alu 0xfffe
	s_or_b32 exec_lo, exec_lo, s19
	v_add_co_u32 v1, vcc_lo, v1, s16
	s_wait_alu 0xfffd
	v_add_co_ci_u32_e64 v2, null, s17, v2, vcc_lo
	s_addk_co_i32 s3, 0x100
	s_wait_alu 0xfffe
	s_cmp_ge_i32 s3, s9
	s_cbranch_scc1 .LBB689_14
.LBB689_12:                             ; =>This Inner Loop Header: Depth=1
	s_wait_alu 0xfffe
	v_add_nc_u32_e32 v4, s3, v0
	s_mov_b32 s19, exec_lo
	s_delay_alu instid0(VALU_DEP_1)
	v_cmpx_gt_i32_e64 s9, v4
	s_cbranch_execz .LBB689_11
; %bb.13:                               ;   in Loop: Header=BB689_12 Depth=1
	flat_store_b32 v[1:2], v3
	s_branch .LBB689_11
.LBB689_14:
	s_mov_b32 s3, 0
.LBB689_15:
	s_wait_alu 0xfffe
	s_and_not1_b32 vcc_lo, exec_lo, s3
	s_wait_alu 0xfffe
	s_cbranch_vccnz .LBB689_21
; %bb.16:
	s_and_not1_b32 vcc_lo, exec_lo, s18
	s_wait_alu 0xfffe
	s_cbranch_vccnz .LBB689_21
; %bb.17:
	v_mad_co_i64_i32 v[1:2], null, s2, v0, 0
	s_lshl_b64 s[16:17], s[6:7], 2
	s_ashr_i32 s3, s2, 31
	s_wait_kmcnt 0x0
	s_wait_alu 0xfffe
	s_add_nc_u64 s[16:17], s[4:5], s[16:17]
	v_lshlrev_b64_e32 v[1:2], 2, v[1:2]
	s_wait_alu 0xfffe
	s_delay_alu instid0(VALU_DEP_1) | instskip(SKIP_1) | instid1(VALU_DEP_2)
	v_add_co_u32 v1, vcc_lo, s16, v1
	s_wait_alu 0xfffd
	v_add_co_ci_u32_e64 v2, null, s17, v2, vcc_lo
	s_lshl_b64 s[16:17], s[2:3], 10
	s_mov_b32 s3, 0
	s_branch .LBB689_19
.LBB689_18:                             ;   in Loop: Header=BB689_19 Depth=1
	s_wait_alu 0xfffe
	s_or_b32 exec_lo, exec_lo, s18
	v_add_co_u32 v1, vcc_lo, v1, s16
	s_wait_alu 0xfffd
	v_add_co_ci_u32_e64 v2, null, s17, v2, vcc_lo
	s_addk_co_i32 s3, 0x100
	s_wait_alu 0xfffe
	s_cmp_ge_i32 s3, s9
	s_cbranch_scc1 .LBB689_21
.LBB689_19:                             ; =>This Inner Loop Header: Depth=1
	s_wait_alu 0xfffe
	v_add_nc_u32_e32 v3, s3, v0
	s_mov_b32 s18, exec_lo
	s_delay_alu instid0(VALU_DEP_1)
	v_cmpx_gt_i32_e64 s9, v3
	s_cbranch_execz .LBB689_18
; %bb.20:                               ;   in Loop: Header=BB689_19 Depth=1
	flat_load_b32 v3, v[1:2]
	s_wait_loadcnt_dscnt 0x0
	v_mul_f32_e32 v3, s11, v3
	flat_store_b32 v[1:2], v3
	s_branch .LBB689_18
.LBB689_21:
	s_mov_b32 s3, 0
.LBB689_22:
	s_wait_alu 0xfffe
	s_and_not1_b32 vcc_lo, exec_lo, s3
	s_wait_alu 0xfffe
	s_cbranch_vccnz .LBB689_64
; %bb.23:
	s_mov_b32 s3, exec_lo
	v_cmpx_gt_i32_e64 s8, v0
	s_cbranch_execz .LBB689_29
; %bb.24:
	s_load_b32 s16, s[0:1], 0x48
	s_wait_kmcnt 0x0
	v_mad_co_i64_i32 v[1:2], null, s16, v0, 0
	s_delay_alu instid0(VALU_DEP_1) | instskip(NEXT) | instid1(VALU_DEP_1)
	v_lshlrev_b64_e32 v[1:2], 1, v[1:2]
	v_add_co_u32 v1, vcc_lo, s14, v1
	s_wait_alu 0xfffd
	s_delay_alu instid0(VALU_DEP_2) | instskip(SKIP_3) | instid1(VALU_DEP_1)
	v_add_co_ci_u32_e64 v2, null, s15, v2, vcc_lo
	flat_load_u16 v1, v[1:2]
	s_wait_loadcnt_dscnt 0x0
	v_lshlrev_b32_e32 v1, 16, v1
	v_mul_f32_e32 v1, s10, v1
	s_delay_alu instid0(VALU_DEP_1) | instskip(NEXT) | instid1(VALU_DEP_1)
	v_and_b32_e32 v2, 0x7f800000, v1
	v_cmp_ne_u32_e32 vcc_lo, 0x7f800000, v2
                                        ; implicit-def: $vgpr2
	s_and_saveexec_b32 s10, vcc_lo
	s_wait_alu 0xfffe
	s_xor_b32 s10, exec_lo, s10
; %bb.25:
	v_bfe_u32 v2, v1, 16, 1
	s_delay_alu instid0(VALU_DEP_1)
	v_add3_u32 v2, v1, v2, 0x7fff
                                        ; implicit-def: $vgpr1
; %bb.26:
	s_wait_alu 0xfffe
	s_and_not1_saveexec_b32 s10, s10
; %bb.27:
	v_and_b32_e32 v2, 0xffff, v1
	v_or_b32_e32 v3, 0x10000, v1
	s_delay_alu instid0(VALU_DEP_2) | instskip(SKIP_1) | instid1(VALU_DEP_2)
	v_cmp_eq_u32_e32 vcc_lo, 0, v2
	s_wait_alu 0xfffd
	v_cndmask_b32_e32 v2, v3, v1, vcc_lo
; %bb.28:
	s_wait_alu 0xfffe
	s_or_b32 exec_lo, exec_lo, s10
	s_delay_alu instid0(VALU_DEP_1)
	v_and_b32_e32 v1, 0xffff0000, v2
	v_lshlrev_b32_e32 v2, 2, v0
	ds_store_b32 v2, v1
.LBB689_29:
	s_wait_alu 0xfffe
	s_or_b32 exec_lo, exec_lo, s3
	s_cmp_lt_i32 s9, 1
	s_wait_storecnt_dscnt 0x0
	s_barrier_signal -1
	s_barrier_wait -1
	global_inv scope:SCOPE_SE
	s_cbranch_scc1 .LBB689_64
; %bb.30:
	s_load_b32 s16, s[0:1], 0x28
	s_lshl_b64 s[0:1], s[6:7], 2
	s_ashr_i32 s3, s2, 31
	s_wait_kmcnt 0x0
	s_add_nc_u64 s[0:1], s[4:5], s[0:1]
	v_mad_co_i64_i32 v[1:2], null, s16, v0, 0
	s_ashr_i32 s17, s16, 31
	s_cmp_neq_f32 s11, 0
	s_cselect_b32 s6, -1, 0
	v_lshlrev_b64_e32 v[1:2], 1, v[1:2]
	s_cmp_gt_i32 s8, 0
	s_cselect_b32 s7, -1, 0
	s_and_b32 s10, s8, 3
	s_cmp_gt_u32 s8, 3
	s_delay_alu instid0(VALU_DEP_1)
	v_add_co_u32 v7, vcc_lo, s12, v1
	s_wait_alu 0xfffd
	v_add_co_ci_u32_e64 v8, null, s13, v2, vcc_lo
	s_cselect_b32 s14, -1, 0
	v_add_co_u32 v1, vcc_lo, v7, 4
	s_and_b32 s8, s8, 0x7ffffffc
	s_wait_alu 0xfffd
	v_add_co_ci_u32_e64 v2, null, 0, v8, vcc_lo
	s_wait_alu 0xfffe
	s_cmp_lg_u32 s10, 0
	s_mov_b32 s13, 0
	s_cselect_b32 s12, -1, 0
	s_lshl_b64 s[4:5], s[16:17], 9
	s_branch .LBB689_33
.LBB689_31:                             ;   in Loop: Header=BB689_33 Depth=1
	v_add_co_u32 v3, vcc_lo, s0, v3
	s_wait_alu 0xfffd
	v_add_co_ci_u32_e64 v4, null, s1, v4, vcc_lo
	flat_store_b32 v[3:4], v9
.LBB689_32:                             ;   in Loop: Header=BB689_33 Depth=1
	s_wait_alu 0xfffe
	s_or_b32 exec_lo, exec_lo, s15
	v_add_co_u32 v1, vcc_lo, v1, s4
	s_wait_alu 0xfffd
	v_add_co_ci_u32_e64 v2, null, s5, v2, vcc_lo
	v_add_co_u32 v7, vcc_lo, v7, s4
	s_wait_alu 0xfffd
	v_add_co_ci_u32_e64 v8, null, s5, v8, vcc_lo
	s_addk_co_i32 s13, 0x100
	s_wait_alu 0xfffe
	s_cmp_ge_i32 s13, s9
	s_cbranch_scc1 .LBB689_64
.LBB689_33:                             ; =>This Loop Header: Depth=1
                                        ;     Child Loop BB689_40 Depth 2
                                        ;     Child Loop BB689_60 Depth 2
	s_wait_alu 0xfffe
	v_add_nc_u32_e32 v3, s13, v0
	s_mov_b32 s15, exec_lo
	s_delay_alu instid0(VALU_DEP_1)
	v_cmpx_gt_i32_e64 s9, v3
	s_cbranch_execz .LBB689_32
; %bb.34:                               ;   in Loop: Header=BB689_33 Depth=1
	v_mad_co_u64_u32 v[4:5], null, v3, s2, 0
	s_and_not1_b32 vcc_lo, exec_lo, s6
	v_mad_co_u64_u32 v[5:6], null, v3, s3, v[5:6]
	s_delay_alu instid0(VALU_DEP_1)
	v_lshlrev_b64_e32 v[3:4], 2, v[4:5]
	s_wait_alu 0xfffe
	s_cbranch_vccnz .LBB689_36
; %bb.35:                               ;   in Loop: Header=BB689_33 Depth=1
	s_delay_alu instid0(VALU_DEP_1) | instskip(SKIP_1) | instid1(VALU_DEP_2)
	v_add_co_u32 v5, vcc_lo, s0, v3
	s_wait_alu 0xfffd
	v_add_co_ci_u32_e64 v6, null, s1, v4, vcc_lo
	flat_load_b32 v5, v[5:6]
	s_wait_loadcnt_dscnt 0x0
	v_mul_f32_e32 v9, s11, v5
	s_and_not1_b32 vcc_lo, exec_lo, s7
	s_wait_alu 0xfffe
	s_cbranch_vccz .LBB689_37
	s_branch .LBB689_31
.LBB689_36:                             ;   in Loop: Header=BB689_33 Depth=1
	v_mov_b32_e32 v9, 0
	s_and_not1_b32 vcc_lo, exec_lo, s7
	s_wait_alu 0xfffe
	s_cbranch_vccnz .LBB689_31
.LBB689_37:                             ;   in Loop: Header=BB689_33 Depth=1
	s_and_not1_b32 vcc_lo, exec_lo, s14
	s_mov_b32 s16, 0
	s_wait_alu 0xfffe
	s_cbranch_vccnz .LBB689_57
; %bb.38:                               ;   in Loop: Header=BB689_33 Depth=1
	v_dual_mov_b32 v6, v2 :: v_dual_mov_b32 v5, v1
	s_mov_b32 s17, 0
	s_branch .LBB689_40
.LBB689_39:                             ;   in Loop: Header=BB689_40 Depth=2
	s_wait_alu 0xfffe
	s_or_b32 exec_lo, exec_lo, s18
	v_and_b32_e32 v11, 0xffff0000, v11
	v_and_b32_e32 v10, 0xffff0000, v10
	v_add_co_u32 v5, vcc_lo, v5, 8
	s_wait_alu 0xfffd
	v_add_co_ci_u32_e64 v6, null, 0, v6, vcc_lo
	s_delay_alu instid0(VALU_DEP_3)
	v_dual_add_f32 v9, v9, v10 :: v_dual_and_b32 v10, 0xffff0000, v12
	s_add_co_i32 s17, s17, 4
	s_add_co_i32 s16, s16, 16
	s_wait_alu 0xfffe
	s_cmp_eq_u32 s8, s17
	v_add_f32_e32 v9, v9, v11
	v_and_b32_e32 v11, 0xffff0000, v13
	s_delay_alu instid0(VALU_DEP_2) | instskip(NEXT) | instid1(VALU_DEP_1)
	v_add_f32_e32 v9, v9, v10
	v_add_f32_e32 v9, v9, v11
	s_cbranch_scc1 .LBB689_56
.LBB689_40:                             ;   Parent Loop BB689_33 Depth=1
                                        ; =>  This Inner Loop Header: Depth=2
	flat_load_u16 v10, v[5:6] offset:-4
	s_wait_loadcnt_dscnt 0x0
	v_dual_mov_b32 v11, s16 :: v_dual_lshlrev_b32 v10, 16, v10
	ds_load_b32 v11, v11
	s_wait_dscnt 0x0
	v_mul_f32_e32 v11, v11, v10
	s_delay_alu instid0(VALU_DEP_1) | instskip(NEXT) | instid1(VALU_DEP_1)
	v_and_b32_e32 v10, 0x7f800000, v11
	v_cmp_ne_u32_e32 vcc_lo, 0x7f800000, v10
                                        ; implicit-def: $vgpr10
	s_and_saveexec_b32 s18, vcc_lo
	s_wait_alu 0xfffe
	s_xor_b32 s18, exec_lo, s18
; %bb.41:                               ;   in Loop: Header=BB689_40 Depth=2
	v_bfe_u32 v10, v11, 16, 1
	s_delay_alu instid0(VALU_DEP_1)
	v_add3_u32 v10, v11, v10, 0x7fff
                                        ; implicit-def: $vgpr11
; %bb.42:                               ;   in Loop: Header=BB689_40 Depth=2
	s_wait_alu 0xfffe
	s_and_not1_saveexec_b32 s18, s18
; %bb.43:                               ;   in Loop: Header=BB689_40 Depth=2
	v_and_b32_e32 v10, 0xffff, v11
	v_or_b32_e32 v12, 0x10000, v11
	s_delay_alu instid0(VALU_DEP_2) | instskip(SKIP_1) | instid1(VALU_DEP_2)
	v_cmp_eq_u32_e32 vcc_lo, 0, v10
	s_wait_alu 0xfffd
	v_cndmask_b32_e32 v10, v12, v11, vcc_lo
; %bb.44:                               ;   in Loop: Header=BB689_40 Depth=2
	s_wait_alu 0xfffe
	s_or_b32 exec_lo, exec_lo, s18
	flat_load_u16 v11, v[5:6] offset:-2
	s_wait_loadcnt_dscnt 0x0
	v_dual_mov_b32 v12, s16 :: v_dual_lshlrev_b32 v11, 16, v11
	ds_load_b32 v12, v12 offset:4
	s_wait_dscnt 0x0
	v_mul_f32_e32 v12, v12, v11
	s_delay_alu instid0(VALU_DEP_1) | instskip(NEXT) | instid1(VALU_DEP_1)
	v_and_b32_e32 v11, 0x7f800000, v12
	v_cmp_ne_u32_e32 vcc_lo, 0x7f800000, v11
                                        ; implicit-def: $vgpr11
	s_and_saveexec_b32 s18, vcc_lo
	s_wait_alu 0xfffe
	s_xor_b32 s18, exec_lo, s18
; %bb.45:                               ;   in Loop: Header=BB689_40 Depth=2
	v_bfe_u32 v11, v12, 16, 1
	s_delay_alu instid0(VALU_DEP_1)
	v_add3_u32 v11, v12, v11, 0x7fff
                                        ; implicit-def: $vgpr12
; %bb.46:                               ;   in Loop: Header=BB689_40 Depth=2
	s_wait_alu 0xfffe
	s_and_not1_saveexec_b32 s18, s18
; %bb.47:                               ;   in Loop: Header=BB689_40 Depth=2
	v_and_b32_e32 v11, 0xffff, v12
	v_or_b32_e32 v13, 0x10000, v12
	s_delay_alu instid0(VALU_DEP_2) | instskip(SKIP_1) | instid1(VALU_DEP_2)
	v_cmp_eq_u32_e32 vcc_lo, 0, v11
	s_wait_alu 0xfffd
	v_cndmask_b32_e32 v11, v13, v12, vcc_lo
; %bb.48:                               ;   in Loop: Header=BB689_40 Depth=2
	s_wait_alu 0xfffe
	s_or_b32 exec_lo, exec_lo, s18
	flat_load_u16 v12, v[5:6]
	s_wait_loadcnt_dscnt 0x0
	v_dual_mov_b32 v13, s16 :: v_dual_lshlrev_b32 v12, 16, v12
	ds_load_b32 v13, v13 offset:8
	s_wait_dscnt 0x0
	v_mul_f32_e32 v13, v13, v12
	s_delay_alu instid0(VALU_DEP_1) | instskip(NEXT) | instid1(VALU_DEP_1)
	v_and_b32_e32 v12, 0x7f800000, v13
	v_cmp_ne_u32_e32 vcc_lo, 0x7f800000, v12
                                        ; implicit-def: $vgpr12
	s_and_saveexec_b32 s18, vcc_lo
	s_wait_alu 0xfffe
	s_xor_b32 s18, exec_lo, s18
; %bb.49:                               ;   in Loop: Header=BB689_40 Depth=2
	v_bfe_u32 v12, v13, 16, 1
	s_delay_alu instid0(VALU_DEP_1)
	v_add3_u32 v12, v13, v12, 0x7fff
                                        ; implicit-def: $vgpr13
; %bb.50:                               ;   in Loop: Header=BB689_40 Depth=2
	s_wait_alu 0xfffe
	s_and_not1_saveexec_b32 s18, s18
; %bb.51:                               ;   in Loop: Header=BB689_40 Depth=2
	v_and_b32_e32 v12, 0xffff, v13
	v_or_b32_e32 v14, 0x10000, v13
	s_delay_alu instid0(VALU_DEP_2) | instskip(SKIP_1) | instid1(VALU_DEP_2)
	v_cmp_eq_u32_e32 vcc_lo, 0, v12
	s_wait_alu 0xfffd
	v_cndmask_b32_e32 v12, v14, v13, vcc_lo
; %bb.52:                               ;   in Loop: Header=BB689_40 Depth=2
	s_wait_alu 0xfffe
	s_or_b32 exec_lo, exec_lo, s18
	flat_load_u16 v13, v[5:6] offset:2
	s_wait_loadcnt_dscnt 0x0
	v_dual_mov_b32 v14, s16 :: v_dual_lshlrev_b32 v13, 16, v13
	ds_load_b32 v14, v14 offset:12
	s_wait_dscnt 0x0
	v_mul_f32_e32 v14, v14, v13
	s_delay_alu instid0(VALU_DEP_1) | instskip(NEXT) | instid1(VALU_DEP_1)
	v_and_b32_e32 v13, 0x7f800000, v14
	v_cmp_ne_u32_e32 vcc_lo, 0x7f800000, v13
                                        ; implicit-def: $vgpr13
	s_and_saveexec_b32 s18, vcc_lo
	s_wait_alu 0xfffe
	s_xor_b32 s18, exec_lo, s18
; %bb.53:                               ;   in Loop: Header=BB689_40 Depth=2
	v_bfe_u32 v13, v14, 16, 1
	s_delay_alu instid0(VALU_DEP_1)
	v_add3_u32 v13, v14, v13, 0x7fff
                                        ; implicit-def: $vgpr14
; %bb.54:                               ;   in Loop: Header=BB689_40 Depth=2
	s_wait_alu 0xfffe
	s_and_not1_saveexec_b32 s18, s18
	s_cbranch_execz .LBB689_39
; %bb.55:                               ;   in Loop: Header=BB689_40 Depth=2
	v_and_b32_e32 v13, 0xffff, v14
	v_or_b32_e32 v15, 0x10000, v14
	s_delay_alu instid0(VALU_DEP_2) | instskip(SKIP_1) | instid1(VALU_DEP_2)
	v_cmp_eq_u32_e32 vcc_lo, 0, v13
	s_wait_alu 0xfffd
	v_cndmask_b32_e32 v13, v15, v14, vcc_lo
	s_branch .LBB689_39
.LBB689_56:                             ;   in Loop: Header=BB689_33 Depth=1
	s_mov_b32 s16, s8
.LBB689_57:                             ;   in Loop: Header=BB689_33 Depth=1
	s_and_not1_b32 vcc_lo, exec_lo, s12
	s_wait_alu 0xfffe
	s_cbranch_vccnz .LBB689_31
; %bb.58:                               ;   in Loop: Header=BB689_33 Depth=1
	s_lshl_b32 s17, s16, 1
	s_lshl_b32 s16, s16, 2
	s_wait_alu 0xfffe
	v_add_co_u32 v5, vcc_lo, v7, s17
	s_wait_alu 0xfffd
	v_add_co_ci_u32_e64 v6, null, 0, v8, vcc_lo
	s_mov_b32 s17, s10
	s_branch .LBB689_60
.LBB689_59:                             ;   in Loop: Header=BB689_60 Depth=2
	s_wait_alu 0xfffe
	s_or_b32 exec_lo, exec_lo, s18
	s_delay_alu instid0(VALU_DEP_1) | instskip(SKIP_3) | instid1(VALU_DEP_3)
	v_and_b32_e32 v10, 0xffff0000, v11
	v_add_co_u32 v5, vcc_lo, v5, 2
	s_wait_alu 0xfffd
	v_add_co_ci_u32_e64 v6, null, 0, v6, vcc_lo
	v_add_f32_e32 v9, v9, v10
	s_add_co_i32 s17, s17, -1
	s_add_co_i32 s16, s16, 4
	s_wait_alu 0xfffe
	s_cmp_lg_u32 s17, 0
	s_cbranch_scc0 .LBB689_31
.LBB689_60:                             ;   Parent Loop BB689_33 Depth=1
                                        ; =>  This Inner Loop Header: Depth=2
	flat_load_u16 v10, v[5:6]
	s_wait_loadcnt_dscnt 0x0
	v_dual_mov_b32 v11, s16 :: v_dual_lshlrev_b32 v10, 16, v10
	ds_load_b32 v11, v11
	s_wait_dscnt 0x0
	v_mul_f32_e32 v10, v11, v10
	s_delay_alu instid0(VALU_DEP_1) | instskip(NEXT) | instid1(VALU_DEP_1)
	v_and_b32_e32 v11, 0x7f800000, v10
	v_cmp_ne_u32_e32 vcc_lo, 0x7f800000, v11
                                        ; implicit-def: $vgpr11
	s_and_saveexec_b32 s18, vcc_lo
	s_wait_alu 0xfffe
	s_xor_b32 s18, exec_lo, s18
; %bb.61:                               ;   in Loop: Header=BB689_60 Depth=2
	v_bfe_u32 v11, v10, 16, 1
	s_delay_alu instid0(VALU_DEP_1)
	v_add3_u32 v11, v10, v11, 0x7fff
                                        ; implicit-def: $vgpr10
; %bb.62:                               ;   in Loop: Header=BB689_60 Depth=2
	s_wait_alu 0xfffe
	s_and_not1_saveexec_b32 s18, s18
	s_cbranch_execz .LBB689_59
; %bb.63:                               ;   in Loop: Header=BB689_60 Depth=2
	v_and_b32_e32 v11, 0xffff, v10
	v_or_b32_e32 v12, 0x10000, v10
	s_delay_alu instid0(VALU_DEP_2) | instskip(SKIP_1) | instid1(VALU_DEP_2)
	v_cmp_eq_u32_e32 vcc_lo, 0, v11
	s_wait_alu 0xfffd
	v_cndmask_b32_e32 v11, v12, v10, vcc_lo
	s_branch .LBB689_59
.LBB689_64:
	s_endpgm
	.section	.rodata,"a",@progbits
	.p2align	6, 0x0
	.amdhsa_kernel _ZL22rocblas_gemvtsm_kernelILb1ELi256EPK16rocblas_bfloat16fKPfEviiT2_lPKT1_lilS8_lilS5_lPT3_lil
		.amdhsa_group_segment_fixed_size 256
		.amdhsa_private_segment_fixed_size 0
		.amdhsa_kernarg_size 136
		.amdhsa_user_sgpr_count 2
		.amdhsa_user_sgpr_dispatch_ptr 0
		.amdhsa_user_sgpr_queue_ptr 0
		.amdhsa_user_sgpr_kernarg_segment_ptr 1
		.amdhsa_user_sgpr_dispatch_id 0
		.amdhsa_user_sgpr_private_segment_size 0
		.amdhsa_wavefront_size32 1
		.amdhsa_uses_dynamic_stack 0
		.amdhsa_enable_private_segment 0
		.amdhsa_system_sgpr_workgroup_id_x 1
		.amdhsa_system_sgpr_workgroup_id_y 0
		.amdhsa_system_sgpr_workgroup_id_z 0
		.amdhsa_system_sgpr_workgroup_info 0
		.amdhsa_system_vgpr_workitem_id 0
		.amdhsa_next_free_vgpr 16
		.amdhsa_next_free_sgpr 24
		.amdhsa_reserve_vcc 1
		.amdhsa_float_round_mode_32 0
		.amdhsa_float_round_mode_16_64 0
		.amdhsa_float_denorm_mode_32 3
		.amdhsa_float_denorm_mode_16_64 3
		.amdhsa_fp16_overflow 0
		.amdhsa_workgroup_processor_mode 1
		.amdhsa_memory_ordered 1
		.amdhsa_forward_progress 1
		.amdhsa_inst_pref_size 19
		.amdhsa_round_robin_scheduling 0
		.amdhsa_exception_fp_ieee_invalid_op 0
		.amdhsa_exception_fp_denorm_src 0
		.amdhsa_exception_fp_ieee_div_zero 0
		.amdhsa_exception_fp_ieee_overflow 0
		.amdhsa_exception_fp_ieee_underflow 0
		.amdhsa_exception_fp_ieee_inexact 0
		.amdhsa_exception_int_div_zero 0
	.end_amdhsa_kernel
	.section	.text._ZL22rocblas_gemvtsm_kernelILb1ELi256EPK16rocblas_bfloat16fKPfEviiT2_lPKT1_lilS8_lilS5_lPT3_lil,"axG",@progbits,_ZL22rocblas_gemvtsm_kernelILb1ELi256EPK16rocblas_bfloat16fKPfEviiT2_lPKT1_lilS8_lilS5_lPT3_lil,comdat
.Lfunc_end689:
	.size	_ZL22rocblas_gemvtsm_kernelILb1ELi256EPK16rocblas_bfloat16fKPfEviiT2_lPKT1_lilS8_lilS5_lPT3_lil, .Lfunc_end689-_ZL22rocblas_gemvtsm_kernelILb1ELi256EPK16rocblas_bfloat16fKPfEviiT2_lPKT1_lilS8_lilS5_lPT3_lil
                                        ; -- End function
	.set _ZL22rocblas_gemvtsm_kernelILb1ELi256EPK16rocblas_bfloat16fKPfEviiT2_lPKT1_lilS8_lilS5_lPT3_lil.num_vgpr, 16
	.set _ZL22rocblas_gemvtsm_kernelILb1ELi256EPK16rocblas_bfloat16fKPfEviiT2_lPKT1_lilS8_lilS5_lPT3_lil.num_agpr, 0
	.set _ZL22rocblas_gemvtsm_kernelILb1ELi256EPK16rocblas_bfloat16fKPfEviiT2_lPKT1_lilS8_lilS5_lPT3_lil.numbered_sgpr, 24
	.set _ZL22rocblas_gemvtsm_kernelILb1ELi256EPK16rocblas_bfloat16fKPfEviiT2_lPKT1_lilS8_lilS5_lPT3_lil.num_named_barrier, 0
	.set _ZL22rocblas_gemvtsm_kernelILb1ELi256EPK16rocblas_bfloat16fKPfEviiT2_lPKT1_lilS8_lilS5_lPT3_lil.private_seg_size, 0
	.set _ZL22rocblas_gemvtsm_kernelILb1ELi256EPK16rocblas_bfloat16fKPfEviiT2_lPKT1_lilS8_lilS5_lPT3_lil.uses_vcc, 1
	.set _ZL22rocblas_gemvtsm_kernelILb1ELi256EPK16rocblas_bfloat16fKPfEviiT2_lPKT1_lilS8_lilS5_lPT3_lil.uses_flat_scratch, 0
	.set _ZL22rocblas_gemvtsm_kernelILb1ELi256EPK16rocblas_bfloat16fKPfEviiT2_lPKT1_lilS8_lilS5_lPT3_lil.has_dyn_sized_stack, 0
	.set _ZL22rocblas_gemvtsm_kernelILb1ELi256EPK16rocblas_bfloat16fKPfEviiT2_lPKT1_lilS8_lilS5_lPT3_lil.has_recursion, 0
	.set _ZL22rocblas_gemvtsm_kernelILb1ELi256EPK16rocblas_bfloat16fKPfEviiT2_lPKT1_lilS8_lilS5_lPT3_lil.has_indirect_call, 0
	.section	.AMDGPU.csdata,"",@progbits
; Kernel info:
; codeLenInByte = 2316
; TotalNumSgprs: 26
; NumVgprs: 16
; ScratchSize: 0
; MemoryBound: 0
; FloatMode: 240
; IeeeMode: 1
; LDSByteSize: 256 bytes/workgroup (compile time only)
; SGPRBlocks: 0
; VGPRBlocks: 1
; NumSGPRsForWavesPerEU: 26
; NumVGPRsForWavesPerEU: 16
; Occupancy: 16
; WaveLimiterHint : 1
; COMPUTE_PGM_RSRC2:SCRATCH_EN: 0
; COMPUTE_PGM_RSRC2:USER_SGPR: 2
; COMPUTE_PGM_RSRC2:TRAP_HANDLER: 0
; COMPUTE_PGM_RSRC2:TGID_X_EN: 1
; COMPUTE_PGM_RSRC2:TGID_Y_EN: 0
; COMPUTE_PGM_RSRC2:TGID_Z_EN: 0
; COMPUTE_PGM_RSRC2:TIDIG_COMP_CNT: 0
	.section	.text._ZL20rocblas_gemvt_kernelILb1ELi256EPK16rocblas_bfloat16PKfKPfEviiT2_lPKT1_lilSA_lilS7_lPT3_lili,"axG",@progbits,_ZL20rocblas_gemvt_kernelILb1ELi256EPK16rocblas_bfloat16PKfKPfEviiT2_lPKT1_lilSA_lilS7_lPT3_lili,comdat
	.globl	_ZL20rocblas_gemvt_kernelILb1ELi256EPK16rocblas_bfloat16PKfKPfEviiT2_lPKT1_lilSA_lilS7_lPT3_lili ; -- Begin function _ZL20rocblas_gemvt_kernelILb1ELi256EPK16rocblas_bfloat16PKfKPfEviiT2_lPKT1_lilSA_lilS7_lPT3_lili
	.p2align	8
	.type	_ZL20rocblas_gemvt_kernelILb1ELi256EPK16rocblas_bfloat16PKfKPfEviiT2_lPKT1_lilSA_lilS7_lPT3_lili,@function
_ZL20rocblas_gemvt_kernelILb1ELi256EPK16rocblas_bfloat16PKfKPfEviiT2_lPKT1_lilSA_lilS7_lPT3_lili: ; @_ZL20rocblas_gemvt_kernelILb1ELi256EPK16rocblas_bfloat16PKfKPfEviiT2_lPKT1_lilSA_lilS7_lPT3_lili
; %bb.0:
	s_load_b32 s11, s[0:1], 0x88
	s_lshr_b32 s34, ttmp7, 16
	s_wait_kmcnt 0x0
	s_cmp_ge_u32 s34, s11
	s_cbranch_scc1 .LBB690_53
; %bb.1:
	s_clause 0x6
	s_load_b32 s4, s[0:1], 0x28
	s_load_b32 s38, s[0:1], 0x48
	;; [unrolled: 1-line block ×4, first 2 shown]
	s_load_b128 s[28:31], s[0:1], 0x38
	s_load_b256 s[12:19], s[0:1], 0x8
	s_load_b256 s[20:27], s[0:1], 0x58
	s_mov_b32 s2, ttmp9
	s_ashr_i32 s3, ttmp9, 31
	v_cmp_eq_u32_e64 s0, 0, v0
	v_dual_mov_b32 v12, 0 :: v_dual_lshlrev_b32 v13, 2, v0
	v_cmp_gt_u32_e64 s1, 0x80, v0
	s_mov_b32 s35, 0
	s_wait_kmcnt 0x0
	s_ashr_i32 s5, s4, 31
	v_mad_co_i64_i32 v[1:2], null, s38, v0, 0
	s_ashr_i32 s9, s8, 31
	s_ashr_i32 s7, s6, 31
	s_lshr_b32 s9, s9, 24
	v_cmp_gt_i32_e32 vcc_lo, s8, v0
	s_add_co_i32 s9, s8, s9
	s_mul_u64 s[40:41], s[6:7], s[2:3]
	s_wait_alu 0xfffe
	s_and_b32 s36, s9, 0xffffff00
	s_mul_u64 s[42:43], s[4:5], s[2:3]
	v_or_b32_e32 v3, s36, v0
	v_cndmask_b32_e32 v5, 0, v0, vcc_lo
	s_ashr_i32 s39, s38, 31
	s_cmp_gt_i32 s8, 0xff
	v_cmp_gt_u32_e64 s3, 64, v0
	v_cmp_gt_i32_e64 s2, s8, v3
	v_mad_co_i64_i32 v[3:4], null, s38, v3, 0
	v_cmp_gt_u32_e64 s4, 32, v0
	v_cmp_gt_u32_e64 s5, 16, v0
	;; [unrolled: 1-line block ×5, first 2 shown]
	v_lshlrev_b64_e32 v[0:1], 1, v[1:2]
	v_lshlrev_b64_e32 v[2:3], 1, v[3:4]
	v_lshlrev_b32_e32 v14, 1, v5
	s_cselect_b32 s33, -1, 0
	s_ashr_i32 s37, s36, 31
	s_wait_alu 0xfffe
	s_lshl_b64 s[38:39], s[38:39], 9
	s_lshl_b64 s[18:19], s[18:19], 1
	;; [unrolled: 1-line block ×7, first 2 shown]
	s_branch .LBB690_4
.LBB690_2:                              ;   in Loop: Header=BB690_4 Depth=1
	s_or_b32 exec_lo, exec_lo, s10
.LBB690_3:                              ;   in Loop: Header=BB690_4 Depth=1
	s_add_co_i32 s34, s34, 0x10000
	s_delay_alu instid0(SALU_CYCLE_1)
	s_cmp_lt_u32 s34, s11
	s_cbranch_scc0 .LBB690_53
.LBB690_4:                              ; =>This Loop Header: Depth=1
                                        ;     Child Loop BB690_20 Depth 2
	s_mul_u64 s[46:47], s[14:15], s[34:35]
	s_mul_u64 s[48:49], s[22:23], s[34:35]
	s_lshl_b64 s[46:47], s[46:47], 2
	s_lshl_b64 s[48:49], s[48:49], 2
	s_add_nc_u64 s[46:47], s[12:13], s[46:47]
	s_add_nc_u64 s[48:49], s[20:21], s[48:49]
	s_clause 0x1
	global_load_b32 v15, v12, s[46:47]
	global_load_b32 v4, v12, s[48:49]
	s_wait_loadcnt 0x1
	v_cmp_eq_f32_e64 s9, 0, v15
	s_wait_loadcnt 0x0
	v_cmp_eq_f32_e32 vcc_lo, 1.0, v4
	v_readfirstlane_b32 s37, v4
	s_and_b32 s10, s9, vcc_lo
	s_delay_alu instid0(SALU_CYCLE_1)
	s_and_b32 vcc_lo, exec_lo, s10
	s_wait_alu 0xfffe
	s_cbranch_vccnz .LBB690_3
; %bb.5:                                ;   in Loop: Header=BB690_4 Depth=1
	v_mov_b32_e32 v4, 0
	v_dual_mov_b32 v5, 0 :: v_dual_mov_b32 v6, 0
	v_cmp_neq_f32_e64 s10, 0, v15
	v_mov_b32_e32 v7, 0
	s_and_b32 vcc_lo, exec_lo, s9
	s_wait_alu 0xfffe
	s_cbranch_vccnz .LBB690_7
; %bb.6:                                ;   in Loop: Header=BB690_4 Depth=1
	s_lshl_b64 s[46:47], s[34:35], 3
	s_delay_alu instid0(SALU_CYCLE_1)
	s_add_nc_u64 s[46:47], s[16:17], s[46:47]
	global_load_b64 v[6:7], v12, s[46:47]
	s_wait_loadcnt 0x0
	v_add_co_u32 v6, vcc_lo, v6, s18
	s_wait_alu 0xfffd
	v_add_co_ci_u32_e64 v7, null, s19, v7, vcc_lo
.LBB690_7:                              ;   in Loop: Header=BB690_4 Depth=1
	s_and_not1_b32 vcc_lo, exec_lo, s10
	s_wait_alu 0xfffe
	s_cbranch_vccnz .LBB690_9
; %bb.8:                                ;   in Loop: Header=BB690_4 Depth=1
	s_lshl_b64 s[46:47], s[34:35], 3
	s_delay_alu instid0(SALU_CYCLE_1)
	s_add_nc_u64 s[46:47], s[28:29], s[46:47]
	global_load_b64 v[4:5], v12, s[46:47]
	s_wait_loadcnt 0x0
	v_add_co_u32 v4, vcc_lo, v4, s30
	s_wait_alu 0xfffd
	v_add_co_ci_u32_e64 v5, null, s31, v5, vcc_lo
.LBB690_9:                              ;   in Loop: Header=BB690_4 Depth=1
	s_lshl_b64 s[46:47], s[34:35], 3
	s_delay_alu instid0(SALU_CYCLE_1)
	s_add_nc_u64 s[46:47], s[24:25], s[46:47]
	global_load_b64 v[8:9], v12, s[46:47]
	s_wait_loadcnt 0x0
	v_add_co_u32 v16, vcc_lo, v8, s26
	s_wait_alu 0xfffd
	v_add_co_ci_u32_e64 v17, null, s27, v9, vcc_lo
	s_and_not1_b32 vcc_lo, exec_lo, s9
	s_wait_alu 0xfffe
	s_cbranch_vccnz .LBB690_13
; %bb.10:                               ;   in Loop: Header=BB690_4 Depth=1
	s_mov_b32 s10, 0
	s_mov_b32 s9, 0
                                        ; implicit-def: $vgpr8
	s_and_saveexec_b32 s46, s0
	s_cbranch_execz .LBB690_14
; %bb.11:                               ;   in Loop: Header=BB690_4 Depth=1
	s_cmp_eq_f32 s37, 0
	s_cbranch_scc1 .LBB690_15
; %bb.12:                               ;   in Loop: Header=BB690_4 Depth=1
	v_add_co_u32 v8, vcc_lo, v16, s40
	s_wait_alu 0xfffd
	v_add_co_ci_u32_e64 v9, null, s41, v17, vcc_lo
	flat_load_b32 v8, v[8:9]
	s_wait_loadcnt_dscnt 0x0
	v_mul_f32_e32 v8, s37, v8
	s_branch .LBB690_16
.LBB690_13:                             ;   in Loop: Header=BB690_4 Depth=1
	s_mov_b32 s9, 0
                                        ; implicit-def: $vgpr8
	s_cbranch_execnz .LBB690_17
	s_branch .LBB690_51
.LBB690_14:                             ;   in Loop: Header=BB690_4 Depth=1
	s_or_b32 exec_lo, exec_lo, s46
	s_delay_alu instid0(SALU_CYCLE_1)
	s_and_b32 vcc_lo, exec_lo, s10
	s_wait_alu 0xfffe
	s_cbranch_vccnz .LBB690_17
	s_branch .LBB690_51
.LBB690_15:                             ;   in Loop: Header=BB690_4 Depth=1
	v_mov_b32_e32 v8, 0
.LBB690_16:                             ;   in Loop: Header=BB690_4 Depth=1
	s_mov_b32 s9, exec_lo
	s_or_b32 exec_lo, exec_lo, s46
	s_delay_alu instid0(SALU_CYCLE_1)
	s_and_b32 vcc_lo, exec_lo, s10
	s_wait_alu 0xfffe
	s_cbranch_vccz .LBB690_51
.LBB690_17:                             ;   in Loop: Header=BB690_4 Depth=1
	v_add_co_u32 v6, vcc_lo, v6, v14
	s_wait_alu 0xfffd
	v_add_co_ci_u32_e64 v7, null, 0, v7, vcc_lo
	v_mov_b32_e32 v18, 0
	s_delay_alu instid0(VALU_DEP_3) | instskip(SKIP_1) | instid1(VALU_DEP_3)
	v_add_co_u32 v6, vcc_lo, v6, s42
	s_wait_alu 0xfffd
	v_add_co_ci_u32_e64 v7, null, s43, v7, vcc_lo
	s_and_not1_b32 vcc_lo, exec_lo, s33
	s_wait_alu 0xfffe
	s_cbranch_vccnz .LBB690_24
; %bb.18:                               ;   in Loop: Header=BB690_4 Depth=1
	v_add_co_u32 v8, vcc_lo, v4, v0
	v_dual_mov_b32 v18, 0 :: v_dual_mov_b32 v11, v7
	s_wait_alu 0xfffd
	v_add_co_ci_u32_e64 v9, null, v5, v1, vcc_lo
	v_mov_b32_e32 v10, v6
	s_mov_b32 s10, 0
	s_branch .LBB690_20
.LBB690_19:                             ;   in Loop: Header=BB690_20 Depth=2
	s_or_b32 exec_lo, exec_lo, s46
	s_delay_alu instid0(VALU_DEP_1)
	v_and_b32_e32 v19, 0xffff0000, v20
	v_add_co_u32 v8, vcc_lo, v8, s38
	s_wait_alu 0xfffd
	v_add_co_ci_u32_e64 v9, null, s39, v9, vcc_lo
	v_add_co_u32 v10, vcc_lo, 0x200, v10
	v_add_f32_e32 v18, v18, v19
	s_wait_alu 0xfffd
	v_add_co_ci_u32_e64 v11, null, 0, v11, vcc_lo
	s_addk_co_i32 s10, 0x100
	s_delay_alu instid0(SALU_CYCLE_1)
	s_cmp_ge_i32 s10, s36
	s_cbranch_scc1 .LBB690_24
.LBB690_20:                             ;   Parent Loop BB690_4 Depth=1
                                        ; =>  This Inner Loop Header: Depth=2
	flat_load_u16 v19, v[8:9]
	flat_load_u16 v20, v[10:11]
	s_wait_loadcnt_dscnt 0x101
	v_lshlrev_b32_e32 v19, 16, v19
	s_wait_loadcnt_dscnt 0x0
	v_lshlrev_b32_e32 v20, 16, v20
	s_delay_alu instid0(VALU_DEP_1) | instskip(NEXT) | instid1(VALU_DEP_1)
	v_mul_f32_e32 v19, v20, v19
	v_and_b32_e32 v20, 0x7f800000, v19
	s_delay_alu instid0(VALU_DEP_1) | instskip(SKIP_1) | instid1(SALU_CYCLE_1)
	v_cmp_ne_u32_e32 vcc_lo, 0x7f800000, v20
                                        ; implicit-def: $vgpr20
	s_and_saveexec_b32 s46, vcc_lo
	s_xor_b32 s46, exec_lo, s46
; %bb.21:                               ;   in Loop: Header=BB690_20 Depth=2
	v_bfe_u32 v20, v19, 16, 1
	s_delay_alu instid0(VALU_DEP_1)
	v_add3_u32 v20, v19, v20, 0x7fff
                                        ; implicit-def: $vgpr19
; %bb.22:                               ;   in Loop: Header=BB690_20 Depth=2
	s_and_not1_saveexec_b32 s46, s46
	s_cbranch_execz .LBB690_19
; %bb.23:                               ;   in Loop: Header=BB690_20 Depth=2
	v_and_b32_e32 v20, 0xffff, v19
	v_or_b32_e32 v21, 0x10000, v19
	s_delay_alu instid0(VALU_DEP_2) | instskip(SKIP_1) | instid1(VALU_DEP_2)
	v_cmp_eq_u32_e32 vcc_lo, 0, v20
	s_wait_alu 0xfffd
	v_cndmask_b32_e32 v20, v21, v19, vcc_lo
	s_branch .LBB690_19
.LBB690_24:                             ;   in Loop: Header=BB690_4 Depth=1
	s_and_saveexec_b32 s10, s2
	s_cbranch_execz .LBB690_30
; %bb.25:                               ;   in Loop: Header=BB690_4 Depth=1
	v_add_co_u32 v4, vcc_lo, v4, v2
	s_wait_alu 0xfffd
	v_add_co_ci_u32_e64 v5, null, v5, v3, vcc_lo
	v_add_co_u32 v6, vcc_lo, v6, s44
	s_wait_alu 0xfffd
	v_add_co_ci_u32_e64 v7, null, s45, v7, vcc_lo
	flat_load_u16 v4, v[4:5]
	flat_load_u16 v5, v[6:7]
	s_wait_loadcnt_dscnt 0x101
	v_lshlrev_b32_e32 v4, 16, v4
	s_wait_loadcnt_dscnt 0x0
	v_lshlrev_b32_e32 v5, 16, v5
	s_delay_alu instid0(VALU_DEP_1) | instskip(NEXT) | instid1(VALU_DEP_1)
	v_mul_f32_e32 v4, v5, v4
	v_and_b32_e32 v5, 0x7f800000, v4
	s_delay_alu instid0(VALU_DEP_1) | instskip(SKIP_1) | instid1(SALU_CYCLE_1)
	v_cmp_ne_u32_e32 vcc_lo, 0x7f800000, v5
                                        ; implicit-def: $vgpr5
	s_and_saveexec_b32 s46, vcc_lo
	s_xor_b32 s46, exec_lo, s46
; %bb.26:                               ;   in Loop: Header=BB690_4 Depth=1
	v_bfe_u32 v5, v4, 16, 1
	s_delay_alu instid0(VALU_DEP_1)
	v_add3_u32 v5, v4, v5, 0x7fff
                                        ; implicit-def: $vgpr4
; %bb.27:                               ;   in Loop: Header=BB690_4 Depth=1
	s_and_not1_saveexec_b32 s46, s46
; %bb.28:                               ;   in Loop: Header=BB690_4 Depth=1
	v_and_b32_e32 v5, 0xffff, v4
	v_or_b32_e32 v6, 0x10000, v4
	s_delay_alu instid0(VALU_DEP_2) | instskip(SKIP_1) | instid1(VALU_DEP_2)
	v_cmp_eq_u32_e32 vcc_lo, 0, v5
	s_wait_alu 0xfffd
	v_cndmask_b32_e32 v5, v6, v4, vcc_lo
; %bb.29:                               ;   in Loop: Header=BB690_4 Depth=1
	s_or_b32 exec_lo, exec_lo, s46
	s_delay_alu instid0(VALU_DEP_1) | instskip(NEXT) | instid1(VALU_DEP_1)
	v_and_b32_e32 v4, 0xffff0000, v5
	v_add_f32_e32 v18, v18, v4
.LBB690_30:                             ;   in Loop: Header=BB690_4 Depth=1
	s_or_b32 exec_lo, exec_lo, s10
	ds_store_b32 v13, v18
	s_wait_dscnt 0x0
	s_barrier_signal -1
	s_barrier_wait -1
	global_inv scope:SCOPE_SE
	s_and_saveexec_b32 s10, s1
	s_cbranch_execz .LBB690_32
; %bb.31:                               ;   in Loop: Header=BB690_4 Depth=1
	ds_load_2addr_stride64_b32 v[4:5], v13 offset1:2
	s_wait_dscnt 0x0
	v_add_f32_e32 v4, v5, v4
	ds_store_b32 v13, v4
.LBB690_32:                             ;   in Loop: Header=BB690_4 Depth=1
	s_or_b32 exec_lo, exec_lo, s10
	s_wait_loadcnt_dscnt 0x0
	s_barrier_signal -1
	s_barrier_wait -1
	global_inv scope:SCOPE_SE
	s_and_saveexec_b32 s10, s3
	s_cbranch_execz .LBB690_34
; %bb.33:                               ;   in Loop: Header=BB690_4 Depth=1
	ds_load_2addr_stride64_b32 v[4:5], v13 offset1:1
	s_wait_dscnt 0x0
	v_add_f32_e32 v4, v5, v4
	ds_store_b32 v13, v4
.LBB690_34:                             ;   in Loop: Header=BB690_4 Depth=1
	s_or_b32 exec_lo, exec_lo, s10
	s_wait_loadcnt_dscnt 0x0
	s_barrier_signal -1
	s_barrier_wait -1
	global_inv scope:SCOPE_SE
	s_and_saveexec_b32 s10, s4
	s_cbranch_execz .LBB690_36
; %bb.35:                               ;   in Loop: Header=BB690_4 Depth=1
	ds_load_2addr_b32 v[4:5], v13 offset1:32
	s_wait_dscnt 0x0
	v_add_f32_e32 v4, v5, v4
	ds_store_b32 v13, v4
.LBB690_36:                             ;   in Loop: Header=BB690_4 Depth=1
	s_or_b32 exec_lo, exec_lo, s10
	s_wait_loadcnt_dscnt 0x0
	s_barrier_signal -1
	s_barrier_wait -1
	global_inv scope:SCOPE_SE
	s_and_saveexec_b32 s10, s5
	s_cbranch_execz .LBB690_38
; %bb.37:                               ;   in Loop: Header=BB690_4 Depth=1
	ds_load_2addr_b32 v[4:5], v13 offset1:16
	s_wait_dscnt 0x0
	v_add_f32_e32 v4, v5, v4
	ds_store_b32 v13, v4
.LBB690_38:                             ;   in Loop: Header=BB690_4 Depth=1
	;; [unrolled: 13-line block ×5, first 2 shown]
	s_or_b32 exec_lo, exec_lo, s10
	s_wait_loadcnt_dscnt 0x0
	s_barrier_signal -1
	s_barrier_wait -1
	global_inv scope:SCOPE_SE
	s_and_saveexec_b32 s10, s0
	s_cbranch_execz .LBB690_46
; %bb.45:                               ;   in Loop: Header=BB690_4 Depth=1
	ds_load_b64 v[4:5], v12
	s_wait_dscnt 0x0
	v_add_f32_e32 v4, v5, v4
	ds_store_b32 v12, v4
.LBB690_46:                             ;   in Loop: Header=BB690_4 Depth=1
	s_or_b32 exec_lo, exec_lo, s10
	s_wait_loadcnt_dscnt 0x0
	s_barrier_signal -1
	s_barrier_wait -1
	global_inv scope:SCOPE_SE
                                        ; implicit-def: $vgpr8
	s_and_saveexec_b32 s10, s0
	s_cbranch_execz .LBB690_50
; %bb.47:                               ;   in Loop: Header=BB690_4 Depth=1
	ds_load_b32 v4, v12
	s_cmp_eq_f32 s37, 0
	s_wait_dscnt 0x0
	v_mul_f32_e32 v8, v15, v4
	s_cbranch_scc1 .LBB690_49
; %bb.48:                               ;   in Loop: Header=BB690_4 Depth=1
	v_add_co_u32 v4, vcc_lo, v16, s40
	s_wait_alu 0xfffd
	v_add_co_ci_u32_e64 v5, null, s41, v17, vcc_lo
	flat_load_b32 v4, v[4:5]
	s_wait_loadcnt_dscnt 0x0
	v_fmac_f32_e32 v8, s37, v4
.LBB690_49:                             ;   in Loop: Header=BB690_4 Depth=1
	s_or_b32 s9, s9, exec_lo
.LBB690_50:                             ;   in Loop: Header=BB690_4 Depth=1
	s_or_b32 exec_lo, exec_lo, s10
.LBB690_51:                             ;   in Loop: Header=BB690_4 Depth=1
	s_wait_alu 0xfffe
	s_and_saveexec_b32 s10, s9
	s_cbranch_execz .LBB690_2
; %bb.52:                               ;   in Loop: Header=BB690_4 Depth=1
	v_add_co_u32 v4, vcc_lo, v16, s40
	s_wait_alu 0xfffd
	v_add_co_ci_u32_e64 v5, null, s41, v17, vcc_lo
	flat_store_b32 v[4:5], v8
	s_branch .LBB690_2
.LBB690_53:
	s_endpgm
	.section	.rodata,"a",@progbits
	.p2align	6, 0x0
	.amdhsa_kernel _ZL20rocblas_gemvt_kernelILb1ELi256EPK16rocblas_bfloat16PKfKPfEviiT2_lPKT1_lilSA_lilS7_lPT3_lili
		.amdhsa_group_segment_fixed_size 1024
		.amdhsa_private_segment_fixed_size 0
		.amdhsa_kernarg_size 140
		.amdhsa_user_sgpr_count 2
		.amdhsa_user_sgpr_dispatch_ptr 0
		.amdhsa_user_sgpr_queue_ptr 0
		.amdhsa_user_sgpr_kernarg_segment_ptr 1
		.amdhsa_user_sgpr_dispatch_id 0
		.amdhsa_user_sgpr_private_segment_size 0
		.amdhsa_wavefront_size32 1
		.amdhsa_uses_dynamic_stack 0
		.amdhsa_enable_private_segment 0
		.amdhsa_system_sgpr_workgroup_id_x 1
		.amdhsa_system_sgpr_workgroup_id_y 0
		.amdhsa_system_sgpr_workgroup_id_z 1
		.amdhsa_system_sgpr_workgroup_info 0
		.amdhsa_system_vgpr_workitem_id 0
		.amdhsa_next_free_vgpr 22
		.amdhsa_next_free_sgpr 50
		.amdhsa_reserve_vcc 1
		.amdhsa_float_round_mode_32 0
		.amdhsa_float_round_mode_16_64 0
		.amdhsa_float_denorm_mode_32 3
		.amdhsa_float_denorm_mode_16_64 3
		.amdhsa_fp16_overflow 0
		.amdhsa_workgroup_processor_mode 1
		.amdhsa_memory_ordered 1
		.amdhsa_forward_progress 1
		.amdhsa_inst_pref_size 16
		.amdhsa_round_robin_scheduling 0
		.amdhsa_exception_fp_ieee_invalid_op 0
		.amdhsa_exception_fp_denorm_src 0
		.amdhsa_exception_fp_ieee_div_zero 0
		.amdhsa_exception_fp_ieee_overflow 0
		.amdhsa_exception_fp_ieee_underflow 0
		.amdhsa_exception_fp_ieee_inexact 0
		.amdhsa_exception_int_div_zero 0
	.end_amdhsa_kernel
	.section	.text._ZL20rocblas_gemvt_kernelILb1ELi256EPK16rocblas_bfloat16PKfKPfEviiT2_lPKT1_lilSA_lilS7_lPT3_lili,"axG",@progbits,_ZL20rocblas_gemvt_kernelILb1ELi256EPK16rocblas_bfloat16PKfKPfEviiT2_lPKT1_lilSA_lilS7_lPT3_lili,comdat
.Lfunc_end690:
	.size	_ZL20rocblas_gemvt_kernelILb1ELi256EPK16rocblas_bfloat16PKfKPfEviiT2_lPKT1_lilSA_lilS7_lPT3_lili, .Lfunc_end690-_ZL20rocblas_gemvt_kernelILb1ELi256EPK16rocblas_bfloat16PKfKPfEviiT2_lPKT1_lilSA_lilS7_lPT3_lili
                                        ; -- End function
	.set _ZL20rocblas_gemvt_kernelILb1ELi256EPK16rocblas_bfloat16PKfKPfEviiT2_lPKT1_lilSA_lilS7_lPT3_lili.num_vgpr, 22
	.set _ZL20rocblas_gemvt_kernelILb1ELi256EPK16rocblas_bfloat16PKfKPfEviiT2_lPKT1_lilSA_lilS7_lPT3_lili.num_agpr, 0
	.set _ZL20rocblas_gemvt_kernelILb1ELi256EPK16rocblas_bfloat16PKfKPfEviiT2_lPKT1_lilSA_lilS7_lPT3_lili.numbered_sgpr, 50
	.set _ZL20rocblas_gemvt_kernelILb1ELi256EPK16rocblas_bfloat16PKfKPfEviiT2_lPKT1_lilSA_lilS7_lPT3_lili.num_named_barrier, 0
	.set _ZL20rocblas_gemvt_kernelILb1ELi256EPK16rocblas_bfloat16PKfKPfEviiT2_lPKT1_lilSA_lilS7_lPT3_lili.private_seg_size, 0
	.set _ZL20rocblas_gemvt_kernelILb1ELi256EPK16rocblas_bfloat16PKfKPfEviiT2_lPKT1_lilSA_lilS7_lPT3_lili.uses_vcc, 1
	.set _ZL20rocblas_gemvt_kernelILb1ELi256EPK16rocblas_bfloat16PKfKPfEviiT2_lPKT1_lilSA_lilS7_lPT3_lili.uses_flat_scratch, 0
	.set _ZL20rocblas_gemvt_kernelILb1ELi256EPK16rocblas_bfloat16PKfKPfEviiT2_lPKT1_lilSA_lilS7_lPT3_lili.has_dyn_sized_stack, 0
	.set _ZL20rocblas_gemvt_kernelILb1ELi256EPK16rocblas_bfloat16PKfKPfEviiT2_lPKT1_lilSA_lilS7_lPT3_lili.has_recursion, 0
	.set _ZL20rocblas_gemvt_kernelILb1ELi256EPK16rocblas_bfloat16PKfKPfEviiT2_lPKT1_lilSA_lilS7_lPT3_lili.has_indirect_call, 0
	.section	.AMDGPU.csdata,"",@progbits
; Kernel info:
; codeLenInByte = 1952
; TotalNumSgprs: 52
; NumVgprs: 22
; ScratchSize: 0
; MemoryBound: 0
; FloatMode: 240
; IeeeMode: 1
; LDSByteSize: 1024 bytes/workgroup (compile time only)
; SGPRBlocks: 0
; VGPRBlocks: 2
; NumSGPRsForWavesPerEU: 52
; NumVGPRsForWavesPerEU: 22
; Occupancy: 16
; WaveLimiterHint : 1
; COMPUTE_PGM_RSRC2:SCRATCH_EN: 0
; COMPUTE_PGM_RSRC2:USER_SGPR: 2
; COMPUTE_PGM_RSRC2:TRAP_HANDLER: 0
; COMPUTE_PGM_RSRC2:TGID_X_EN: 1
; COMPUTE_PGM_RSRC2:TGID_Y_EN: 0
; COMPUTE_PGM_RSRC2:TGID_Z_EN: 1
; COMPUTE_PGM_RSRC2:TIDIG_COMP_CNT: 0
	.section	.text._ZL20rocblas_gemvt_kernelILb1ELi256EPK16rocblas_bfloat16fKPfEviiT2_lPKT1_lilS8_lilS5_lPT3_lili,"axG",@progbits,_ZL20rocblas_gemvt_kernelILb1ELi256EPK16rocblas_bfloat16fKPfEviiT2_lPKT1_lilS8_lilS5_lPT3_lili,comdat
	.globl	_ZL20rocblas_gemvt_kernelILb1ELi256EPK16rocblas_bfloat16fKPfEviiT2_lPKT1_lilS8_lilS5_lPT3_lili ; -- Begin function _ZL20rocblas_gemvt_kernelILb1ELi256EPK16rocblas_bfloat16fKPfEviiT2_lPKT1_lilS8_lilS5_lPT3_lili
	.p2align	8
	.type	_ZL20rocblas_gemvt_kernelILb1ELi256EPK16rocblas_bfloat16fKPfEviiT2_lPKT1_lilS8_lilS5_lPT3_lili,@function
_ZL20rocblas_gemvt_kernelILb1ELi256EPK16rocblas_bfloat16fKPfEviiT2_lPKT1_lilS8_lilS5_lPT3_lili: ; @_ZL20rocblas_gemvt_kernelILb1ELi256EPK16rocblas_bfloat16fKPfEviiT2_lPKT1_lilS8_lilS5_lPT3_lili
; %bb.0:
	s_load_b32 s33, s[0:1], 0x88
	s_lshr_b32 s10, ttmp7, 16
	s_wait_kmcnt 0x0
	s_cmp_ge_u32 s10, s33
	s_cbranch_scc1 .LBB691_56
; %bb.1:
	s_clause 0x8
	s_load_b32 s26, s[0:1], 0x28
	s_load_b32 s28, s[0:1], 0x48
	;; [unrolled: 1-line block ×6, first 2 shown]
	s_load_b128 s[12:15], s[0:1], 0x18
	s_load_b128 s[16:19], s[0:1], 0x38
	;; [unrolled: 1-line block ×3, first 2 shown]
	v_cmp_eq_u32_e64 s0, 0, v0
	v_dual_mov_b32 v13, 0 :: v_dual_lshlrev_b32 v14, 2, v0
	v_cmp_gt_u32_e64 s1, 0x80, v0
	v_cmp_gt_u32_e64 s2, 64, v0
	;; [unrolled: 1-line block ×5, first 2 shown]
	s_mov_b32 s8, ttmp9
	s_mov_b32 s11, 0
	s_wait_kmcnt 0x0
	s_ashr_i32 s27, s26, 31
	s_ashr_i32 s29, s28, 31
	;; [unrolled: 1-line block ×3, first 2 shown]
	s_cmp_eq_f32 s36, 0
	v_mad_co_i64_i32 v[1:2], null, s28, v0, 0
	v_cmp_gt_i32_e32 vcc_lo, s41, v0
	s_cselect_b32 s38, -1, 0
	s_cmp_neq_f32 s37, 1.0
	v_cndmask_b32_e32 v5, 0, v0, vcc_lo
	s_cselect_b32 s6, -1, 0
	s_cmp_neq_f32 s36, 0
	s_delay_alu instid0(VALU_DEP_3) | instskip(SKIP_1) | instid1(SALU_CYCLE_1)
	v_lshlrev_b64_e32 v[1:2], 1, v[1:2]
	s_cselect_b32 s7, -1, 0
	s_or_b32 s39, s7, s6
	s_cmp_neq_f32 s37, 0
	v_cndmask_b32_e64 v15, 0, 1, s7
	v_cmp_gt_u32_e64 s6, 4, v0
	v_cmp_gt_u32_e64 s7, 2, v0
	s_cselect_b32 s40, -1, 0
	s_ashr_i32 s9, s41, 31
	s_delay_alu instid0(SALU_CYCLE_1) | instskip(NEXT) | instid1(SALU_CYCLE_1)
	s_lshr_b32 s9, s9, 24
	s_add_co_i32 s24, s41, s9
	s_ashr_i32 s9, ttmp9, 31
	s_and_b32 s24, s24, 0xffffff00
	s_cmp_gt_i32 s41, 0xff
	v_or_b32_e32 v0, s24, v0
	s_mul_u64 s[30:31], s[30:31], s[8:9]
	s_mul_u64 s[34:35], s[26:27], s[8:9]
	s_cselect_b32 s9, -1, 0
	s_ashr_i32 s25, s24, 31
	v_mad_co_i64_i32 v[3:4], null, s28, v0, 0
	v_cmp_gt_i32_e64 s8, s41, v0
	v_lshlrev_b32_e32 v0, 1, v5
	s_lshl_b64 s[26:27], s[28:29], 9
	s_lshl_b64 s[14:15], s[14:15], 1
	;; [unrolled: 1-line block ×4, first 2 shown]
	v_lshlrev_b64_e32 v[3:4], 1, v[3:4]
	s_lshl_b64 s[28:29], s[30:31], 2
	s_lshl_b64 s[30:31], s[34:35], 1
	s_wait_alu 0xfffe
	s_lshl_b64 s[34:35], s[24:25], 1
	s_branch .LBB691_4
.LBB691_2:                              ;   in Loop: Header=BB691_4 Depth=1
	s_wait_alu 0xfffe
	s_or_b32 exec_lo, exec_lo, s41
.LBB691_3:                              ;   in Loop: Header=BB691_4 Depth=1
	s_add_co_i32 s10, s10, 0x10000
	s_delay_alu instid0(SALU_CYCLE_1)
	s_cmp_lt_u32 s10, s33
	s_cbranch_scc0 .LBB691_56
.LBB691_4:                              ; =>This Loop Header: Depth=1
                                        ;     Child Loop BB691_23 Depth 2
	s_and_not1_b32 vcc_lo, exec_lo, s39
	s_wait_alu 0xfffe
	s_cbranch_vccnz .LBB691_3
; %bb.5:                                ;   in Loop: Header=BB691_4 Depth=1
	s_and_not1_b32 vcc_lo, exec_lo, s38
	s_wait_alu 0xfffe
	s_cbranch_vccnz .LBB691_7
; %bb.6:                                ;   in Loop: Header=BB691_4 Depth=1
	s_mov_b32 s25, 0
	s_branch .LBB691_8
.LBB691_7:                              ;   in Loop: Header=BB691_4 Depth=1
	s_mov_b32 s25, -1
.LBB691_8:                              ;   in Loop: Header=BB691_4 Depth=1
	v_mov_b32_e32 v5, 0
	v_dual_mov_b32 v6, 0 :: v_dual_mov_b32 v7, 0
	v_mov_b32_e32 v8, 0
	s_wait_alu 0xfffe
	s_and_not1_b32 vcc_lo, exec_lo, s25
	s_wait_alu 0xfffe
	s_cbranch_vccnz .LBB691_10
; %bb.9:                                ;   in Loop: Header=BB691_4 Depth=1
	s_lshl_b64 s[42:43], s[10:11], 3
	s_delay_alu instid0(SALU_CYCLE_1)
	s_add_nc_u64 s[42:43], s[12:13], s[42:43]
	global_load_b64 v[7:8], v13, s[42:43]
	s_wait_loadcnt 0x0
	v_add_co_u32 v7, vcc_lo, v7, s14
	s_wait_alu 0xfffd
	v_add_co_ci_u32_e64 v8, null, s15, v8, vcc_lo
.LBB691_10:                             ;   in Loop: Header=BB691_4 Depth=1
	v_cmp_ne_u32_e32 vcc_lo, 1, v15
	s_cbranch_vccnz .LBB691_12
; %bb.11:                               ;   in Loop: Header=BB691_4 Depth=1
	s_lshl_b64 s[42:43], s[10:11], 3
	s_delay_alu instid0(SALU_CYCLE_1)
	s_add_nc_u64 s[42:43], s[16:17], s[42:43]
	global_load_b64 v[5:6], v13, s[42:43]
	s_wait_loadcnt 0x0
	v_add_co_u32 v5, vcc_lo, v5, s18
	s_wait_alu 0xfffd
	v_add_co_ci_u32_e64 v6, null, s19, v6, vcc_lo
.LBB691_12:                             ;   in Loop: Header=BB691_4 Depth=1
	s_lshl_b64 s[42:43], s[10:11], 3
	s_delay_alu instid0(SALU_CYCLE_1)
	s_add_nc_u64 s[42:43], s[20:21], s[42:43]
	global_load_b64 v[9:10], v13, s[42:43]
	s_wait_loadcnt 0x0
	v_add_co_u32 v16, vcc_lo, v9, s22
	s_wait_alu 0xfffd
	v_add_co_ci_u32_e64 v17, null, s23, v10, vcc_lo
	s_and_not1_b32 vcc_lo, exec_lo, s38
	s_wait_alu 0xfffe
	s_cbranch_vccnz .LBB691_16
; %bb.13:                               ;   in Loop: Header=BB691_4 Depth=1
	s_mov_b32 s41, 0
	s_mov_b32 s25, 0
                                        ; implicit-def: $vgpr9
	s_and_saveexec_b32 s42, s0
	s_cbranch_execz .LBB691_17
; %bb.14:                               ;   in Loop: Header=BB691_4 Depth=1
	s_and_not1_b32 vcc_lo, exec_lo, s40
	s_wait_alu 0xfffe
	s_cbranch_vccnz .LBB691_18
; %bb.15:                               ;   in Loop: Header=BB691_4 Depth=1
	v_add_co_u32 v9, vcc_lo, v16, s28
	s_wait_alu 0xfffd
	v_add_co_ci_u32_e64 v10, null, s29, v17, vcc_lo
	flat_load_b32 v9, v[9:10]
	s_wait_loadcnt_dscnt 0x0
	v_mul_f32_e32 v9, s37, v9
	s_branch .LBB691_19
.LBB691_16:                             ;   in Loop: Header=BB691_4 Depth=1
	s_mov_b32 s25, 0
                                        ; implicit-def: $vgpr9
	s_cbranch_execnz .LBB691_20
	s_branch .LBB691_54
.LBB691_17:                             ;   in Loop: Header=BB691_4 Depth=1
	s_or_b32 exec_lo, exec_lo, s42
	s_wait_alu 0xfffe
	s_and_b32 vcc_lo, exec_lo, s41
	s_wait_alu 0xfffe
	s_cbranch_vccnz .LBB691_20
	s_branch .LBB691_54
.LBB691_18:                             ;   in Loop: Header=BB691_4 Depth=1
	v_mov_b32_e32 v9, 0
.LBB691_19:                             ;   in Loop: Header=BB691_4 Depth=1
	s_mov_b32 s25, exec_lo
	s_or_b32 exec_lo, exec_lo, s42
	s_delay_alu instid0(SALU_CYCLE_1)
	s_and_b32 vcc_lo, exec_lo, s41
	s_wait_alu 0xfffe
	s_cbranch_vccz .LBB691_54
.LBB691_20:                             ;   in Loop: Header=BB691_4 Depth=1
	v_add_co_u32 v7, vcc_lo, v7, v0
	s_wait_alu 0xfffd
	v_add_co_ci_u32_e64 v8, null, 0, v8, vcc_lo
	v_mov_b32_e32 v18, 0
	s_delay_alu instid0(VALU_DEP_3) | instskip(SKIP_1) | instid1(VALU_DEP_3)
	v_add_co_u32 v7, vcc_lo, v7, s30
	s_wait_alu 0xfffd
	v_add_co_ci_u32_e64 v8, null, s31, v8, vcc_lo
	s_and_not1_b32 vcc_lo, exec_lo, s9
	s_wait_alu 0xfffe
	s_cbranch_vccnz .LBB691_27
; %bb.21:                               ;   in Loop: Header=BB691_4 Depth=1
	v_add_co_u32 v9, vcc_lo, v5, v1
	v_mov_b32_e32 v12, v8
	s_wait_alu 0xfffd
	v_add_co_ci_u32_e64 v10, null, v6, v2, vcc_lo
	v_dual_mov_b32 v18, 0 :: v_dual_mov_b32 v11, v7
	s_mov_b32 s41, 0
	s_branch .LBB691_23
.LBB691_22:                             ;   in Loop: Header=BB691_23 Depth=2
	s_or_b32 exec_lo, exec_lo, s42
	s_delay_alu instid0(VALU_DEP_1)
	v_and_b32_e32 v19, 0xffff0000, v20
	v_add_co_u32 v9, vcc_lo, v9, s26
	s_wait_alu 0xfffd
	v_add_co_ci_u32_e64 v10, null, s27, v10, vcc_lo
	v_add_co_u32 v11, vcc_lo, 0x200, v11
	v_add_f32_e32 v18, v18, v19
	s_wait_alu 0xfffd
	v_add_co_ci_u32_e64 v12, null, 0, v12, vcc_lo
	s_wait_alu 0xfffe
	s_addk_co_i32 s41, 0x100
	s_wait_alu 0xfffe
	s_cmp_ge_i32 s41, s24
	s_cbranch_scc1 .LBB691_27
.LBB691_23:                             ;   Parent Loop BB691_4 Depth=1
                                        ; =>  This Inner Loop Header: Depth=2
	flat_load_u16 v19, v[9:10]
	flat_load_u16 v20, v[11:12]
	s_wait_loadcnt_dscnt 0x101
	v_lshlrev_b32_e32 v19, 16, v19
	s_wait_loadcnt_dscnt 0x0
	v_lshlrev_b32_e32 v20, 16, v20
	s_delay_alu instid0(VALU_DEP_1) | instskip(NEXT) | instid1(VALU_DEP_1)
	v_mul_f32_e32 v19, v20, v19
	v_and_b32_e32 v20, 0x7f800000, v19
	s_delay_alu instid0(VALU_DEP_1) | instskip(SKIP_1) | instid1(SALU_CYCLE_1)
	v_cmp_ne_u32_e32 vcc_lo, 0x7f800000, v20
                                        ; implicit-def: $vgpr20
	s_and_saveexec_b32 s42, vcc_lo
	s_xor_b32 s42, exec_lo, s42
; %bb.24:                               ;   in Loop: Header=BB691_23 Depth=2
	v_bfe_u32 v20, v19, 16, 1
	s_delay_alu instid0(VALU_DEP_1)
	v_add3_u32 v20, v19, v20, 0x7fff
                                        ; implicit-def: $vgpr19
; %bb.25:                               ;   in Loop: Header=BB691_23 Depth=2
	s_and_not1_saveexec_b32 s42, s42
	s_cbranch_execz .LBB691_22
; %bb.26:                               ;   in Loop: Header=BB691_23 Depth=2
	v_and_b32_e32 v20, 0xffff, v19
	v_or_b32_e32 v21, 0x10000, v19
	s_delay_alu instid0(VALU_DEP_2) | instskip(SKIP_1) | instid1(VALU_DEP_2)
	v_cmp_eq_u32_e32 vcc_lo, 0, v20
	s_wait_alu 0xfffd
	v_cndmask_b32_e32 v20, v21, v19, vcc_lo
	s_branch .LBB691_22
.LBB691_27:                             ;   in Loop: Header=BB691_4 Depth=1
	s_and_saveexec_b32 s41, s8
	s_cbranch_execz .LBB691_33
; %bb.28:                               ;   in Loop: Header=BB691_4 Depth=1
	v_add_co_u32 v5, vcc_lo, v5, v3
	s_wait_alu 0xfffd
	v_add_co_ci_u32_e64 v6, null, v6, v4, vcc_lo
	v_add_co_u32 v7, vcc_lo, v7, s34
	s_wait_alu 0xfffd
	v_add_co_ci_u32_e64 v8, null, s35, v8, vcc_lo
	flat_load_u16 v5, v[5:6]
	flat_load_u16 v6, v[7:8]
	s_wait_loadcnt_dscnt 0x101
	v_lshlrev_b32_e32 v5, 16, v5
	s_wait_loadcnt_dscnt 0x0
	v_lshlrev_b32_e32 v6, 16, v6
	s_delay_alu instid0(VALU_DEP_1) | instskip(NEXT) | instid1(VALU_DEP_1)
	v_mul_f32_e32 v5, v6, v5
	v_and_b32_e32 v6, 0x7f800000, v5
	s_delay_alu instid0(VALU_DEP_1) | instskip(SKIP_1) | instid1(SALU_CYCLE_1)
	v_cmp_ne_u32_e32 vcc_lo, 0x7f800000, v6
                                        ; implicit-def: $vgpr6
	s_and_saveexec_b32 s42, vcc_lo
	s_xor_b32 s42, exec_lo, s42
; %bb.29:                               ;   in Loop: Header=BB691_4 Depth=1
	v_bfe_u32 v6, v5, 16, 1
	s_delay_alu instid0(VALU_DEP_1)
	v_add3_u32 v6, v5, v6, 0x7fff
                                        ; implicit-def: $vgpr5
; %bb.30:                               ;   in Loop: Header=BB691_4 Depth=1
	s_and_not1_saveexec_b32 s42, s42
; %bb.31:                               ;   in Loop: Header=BB691_4 Depth=1
	v_and_b32_e32 v6, 0xffff, v5
	v_or_b32_e32 v7, 0x10000, v5
	s_delay_alu instid0(VALU_DEP_2) | instskip(SKIP_1) | instid1(VALU_DEP_2)
	v_cmp_eq_u32_e32 vcc_lo, 0, v6
	s_wait_alu 0xfffd
	v_cndmask_b32_e32 v6, v7, v5, vcc_lo
; %bb.32:                               ;   in Loop: Header=BB691_4 Depth=1
	s_or_b32 exec_lo, exec_lo, s42
	s_delay_alu instid0(VALU_DEP_1) | instskip(NEXT) | instid1(VALU_DEP_1)
	v_and_b32_e32 v5, 0xffff0000, v6
	v_add_f32_e32 v18, v18, v5
.LBB691_33:                             ;   in Loop: Header=BB691_4 Depth=1
	s_wait_alu 0xfffe
	s_or_b32 exec_lo, exec_lo, s41
	ds_store_b32 v14, v18
	s_wait_dscnt 0x0
	s_barrier_signal -1
	s_barrier_wait -1
	global_inv scope:SCOPE_SE
	s_and_saveexec_b32 s41, s1
	s_cbranch_execz .LBB691_35
; %bb.34:                               ;   in Loop: Header=BB691_4 Depth=1
	ds_load_2addr_stride64_b32 v[5:6], v14 offset1:2
	s_wait_dscnt 0x0
	v_add_f32_e32 v5, v6, v5
	ds_store_b32 v14, v5
.LBB691_35:                             ;   in Loop: Header=BB691_4 Depth=1
	s_wait_alu 0xfffe
	s_or_b32 exec_lo, exec_lo, s41
	s_wait_loadcnt_dscnt 0x0
	s_barrier_signal -1
	s_barrier_wait -1
	global_inv scope:SCOPE_SE
	s_and_saveexec_b32 s41, s2
	s_cbranch_execz .LBB691_37
; %bb.36:                               ;   in Loop: Header=BB691_4 Depth=1
	ds_load_2addr_stride64_b32 v[5:6], v14 offset1:1
	s_wait_dscnt 0x0
	v_add_f32_e32 v5, v6, v5
	ds_store_b32 v14, v5
.LBB691_37:                             ;   in Loop: Header=BB691_4 Depth=1
	s_wait_alu 0xfffe
	s_or_b32 exec_lo, exec_lo, s41
	s_wait_loadcnt_dscnt 0x0
	s_barrier_signal -1
	s_barrier_wait -1
	global_inv scope:SCOPE_SE
	s_and_saveexec_b32 s41, s3
	s_cbranch_execz .LBB691_39
; %bb.38:                               ;   in Loop: Header=BB691_4 Depth=1
	ds_load_2addr_b32 v[5:6], v14 offset1:32
	s_wait_dscnt 0x0
	v_add_f32_e32 v5, v6, v5
	ds_store_b32 v14, v5
.LBB691_39:                             ;   in Loop: Header=BB691_4 Depth=1
	s_wait_alu 0xfffe
	s_or_b32 exec_lo, exec_lo, s41
	s_wait_loadcnt_dscnt 0x0
	s_barrier_signal -1
	s_barrier_wait -1
	global_inv scope:SCOPE_SE
	s_and_saveexec_b32 s41, s4
	s_cbranch_execz .LBB691_41
; %bb.40:                               ;   in Loop: Header=BB691_4 Depth=1
	ds_load_2addr_b32 v[5:6], v14 offset1:16
	s_wait_dscnt 0x0
	v_add_f32_e32 v5, v6, v5
	ds_store_b32 v14, v5
.LBB691_41:                             ;   in Loop: Header=BB691_4 Depth=1
	;; [unrolled: 14-line block ×5, first 2 shown]
	s_wait_alu 0xfffe
	s_or_b32 exec_lo, exec_lo, s41
	s_wait_loadcnt_dscnt 0x0
	s_barrier_signal -1
	s_barrier_wait -1
	global_inv scope:SCOPE_SE
	s_and_saveexec_b32 s41, s0
	s_cbranch_execz .LBB691_49
; %bb.48:                               ;   in Loop: Header=BB691_4 Depth=1
	ds_load_b64 v[5:6], v13
	s_wait_dscnt 0x0
	v_add_f32_e32 v5, v6, v5
	ds_store_b32 v13, v5
.LBB691_49:                             ;   in Loop: Header=BB691_4 Depth=1
	s_wait_alu 0xfffe
	s_or_b32 exec_lo, exec_lo, s41
	s_wait_loadcnt_dscnt 0x0
	s_barrier_signal -1
	s_barrier_wait -1
	global_inv scope:SCOPE_SE
                                        ; implicit-def: $vgpr9
	s_and_saveexec_b32 s41, s0
	s_cbranch_execz .LBB691_53
; %bb.50:                               ;   in Loop: Header=BB691_4 Depth=1
	ds_load_b32 v5, v13
	s_and_not1_b32 vcc_lo, exec_lo, s40
	s_wait_dscnt 0x0
	v_mul_f32_e32 v9, s36, v5
	s_wait_alu 0xfffe
	s_cbranch_vccnz .LBB691_52
; %bb.51:                               ;   in Loop: Header=BB691_4 Depth=1
	v_add_co_u32 v5, vcc_lo, v16, s28
	s_wait_alu 0xfffd
	v_add_co_ci_u32_e64 v6, null, s29, v17, vcc_lo
	flat_load_b32 v5, v[5:6]
	s_wait_loadcnt_dscnt 0x0
	v_fmac_f32_e32 v9, s37, v5
.LBB691_52:                             ;   in Loop: Header=BB691_4 Depth=1
	s_or_b32 s25, s25, exec_lo
.LBB691_53:                             ;   in Loop: Header=BB691_4 Depth=1
	s_wait_alu 0xfffe
	s_or_b32 exec_lo, exec_lo, s41
.LBB691_54:                             ;   in Loop: Header=BB691_4 Depth=1
	s_wait_alu 0xfffe
	s_and_saveexec_b32 s41, s25
	s_cbranch_execz .LBB691_2
; %bb.55:                               ;   in Loop: Header=BB691_4 Depth=1
	v_add_co_u32 v5, vcc_lo, v16, s28
	s_wait_alu 0xfffd
	v_add_co_ci_u32_e64 v6, null, s29, v17, vcc_lo
	flat_store_b32 v[5:6], v9
	s_branch .LBB691_2
.LBB691_56:
	s_endpgm
	.section	.rodata,"a",@progbits
	.p2align	6, 0x0
	.amdhsa_kernel _ZL20rocblas_gemvt_kernelILb1ELi256EPK16rocblas_bfloat16fKPfEviiT2_lPKT1_lilS8_lilS5_lPT3_lili
		.amdhsa_group_segment_fixed_size 1024
		.amdhsa_private_segment_fixed_size 0
		.amdhsa_kernarg_size 140
		.amdhsa_user_sgpr_count 2
		.amdhsa_user_sgpr_dispatch_ptr 0
		.amdhsa_user_sgpr_queue_ptr 0
		.amdhsa_user_sgpr_kernarg_segment_ptr 1
		.amdhsa_user_sgpr_dispatch_id 0
		.amdhsa_user_sgpr_private_segment_size 0
		.amdhsa_wavefront_size32 1
		.amdhsa_uses_dynamic_stack 0
		.amdhsa_enable_private_segment 0
		.amdhsa_system_sgpr_workgroup_id_x 1
		.amdhsa_system_sgpr_workgroup_id_y 0
		.amdhsa_system_sgpr_workgroup_id_z 1
		.amdhsa_system_sgpr_workgroup_info 0
		.amdhsa_system_vgpr_workitem_id 0
		.amdhsa_next_free_vgpr 22
		.amdhsa_next_free_sgpr 44
		.amdhsa_reserve_vcc 1
		.amdhsa_float_round_mode_32 0
		.amdhsa_float_round_mode_16_64 0
		.amdhsa_float_denorm_mode_32 3
		.amdhsa_float_denorm_mode_16_64 3
		.amdhsa_fp16_overflow 0
		.amdhsa_workgroup_processor_mode 1
		.amdhsa_memory_ordered 1
		.amdhsa_forward_progress 1
		.amdhsa_inst_pref_size 16
		.amdhsa_round_robin_scheduling 0
		.amdhsa_exception_fp_ieee_invalid_op 0
		.amdhsa_exception_fp_denorm_src 0
		.amdhsa_exception_fp_ieee_div_zero 0
		.amdhsa_exception_fp_ieee_overflow 0
		.amdhsa_exception_fp_ieee_underflow 0
		.amdhsa_exception_fp_ieee_inexact 0
		.amdhsa_exception_int_div_zero 0
	.end_amdhsa_kernel
	.section	.text._ZL20rocblas_gemvt_kernelILb1ELi256EPK16rocblas_bfloat16fKPfEviiT2_lPKT1_lilS8_lilS5_lPT3_lili,"axG",@progbits,_ZL20rocblas_gemvt_kernelILb1ELi256EPK16rocblas_bfloat16fKPfEviiT2_lPKT1_lilS8_lilS5_lPT3_lili,comdat
.Lfunc_end691:
	.size	_ZL20rocblas_gemvt_kernelILb1ELi256EPK16rocblas_bfloat16fKPfEviiT2_lPKT1_lilS8_lilS5_lPT3_lili, .Lfunc_end691-_ZL20rocblas_gemvt_kernelILb1ELi256EPK16rocblas_bfloat16fKPfEviiT2_lPKT1_lilS8_lilS5_lPT3_lili
                                        ; -- End function
	.set _ZL20rocblas_gemvt_kernelILb1ELi256EPK16rocblas_bfloat16fKPfEviiT2_lPKT1_lilS8_lilS5_lPT3_lili.num_vgpr, 22
	.set _ZL20rocblas_gemvt_kernelILb1ELi256EPK16rocblas_bfloat16fKPfEviiT2_lPKT1_lilS8_lilS5_lPT3_lili.num_agpr, 0
	.set _ZL20rocblas_gemvt_kernelILb1ELi256EPK16rocblas_bfloat16fKPfEviiT2_lPKT1_lilS8_lilS5_lPT3_lili.numbered_sgpr, 44
	.set _ZL20rocblas_gemvt_kernelILb1ELi256EPK16rocblas_bfloat16fKPfEviiT2_lPKT1_lilS8_lilS5_lPT3_lili.num_named_barrier, 0
	.set _ZL20rocblas_gemvt_kernelILb1ELi256EPK16rocblas_bfloat16fKPfEviiT2_lPKT1_lilS8_lilS5_lPT3_lili.private_seg_size, 0
	.set _ZL20rocblas_gemvt_kernelILb1ELi256EPK16rocblas_bfloat16fKPfEviiT2_lPKT1_lilS8_lilS5_lPT3_lili.uses_vcc, 1
	.set _ZL20rocblas_gemvt_kernelILb1ELi256EPK16rocblas_bfloat16fKPfEviiT2_lPKT1_lilS8_lilS5_lPT3_lili.uses_flat_scratch, 0
	.set _ZL20rocblas_gemvt_kernelILb1ELi256EPK16rocblas_bfloat16fKPfEviiT2_lPKT1_lilS8_lilS5_lPT3_lili.has_dyn_sized_stack, 0
	.set _ZL20rocblas_gemvt_kernelILb1ELi256EPK16rocblas_bfloat16fKPfEviiT2_lPKT1_lilS8_lilS5_lPT3_lili.has_recursion, 0
	.set _ZL20rocblas_gemvt_kernelILb1ELi256EPK16rocblas_bfloat16fKPfEviiT2_lPKT1_lilS8_lilS5_lPT3_lili.has_indirect_call, 0
	.section	.AMDGPU.csdata,"",@progbits
; Kernel info:
; codeLenInByte = 2004
; TotalNumSgprs: 46
; NumVgprs: 22
; ScratchSize: 0
; MemoryBound: 0
; FloatMode: 240
; IeeeMode: 1
; LDSByteSize: 1024 bytes/workgroup (compile time only)
; SGPRBlocks: 0
; VGPRBlocks: 2
; NumSGPRsForWavesPerEU: 46
; NumVGPRsForWavesPerEU: 22
; Occupancy: 16
; WaveLimiterHint : 1
; COMPUTE_PGM_RSRC2:SCRATCH_EN: 0
; COMPUTE_PGM_RSRC2:USER_SGPR: 2
; COMPUTE_PGM_RSRC2:TRAP_HANDLER: 0
; COMPUTE_PGM_RSRC2:TGID_X_EN: 1
; COMPUTE_PGM_RSRC2:TGID_Y_EN: 0
; COMPUTE_PGM_RSRC2:TGID_Z_EN: 1
; COMPUTE_PGM_RSRC2:TIDIG_COMP_CNT: 0
	.section	.text._ZL32rocblas_gemvt_warp_reduce_kernelILb1ELi1024EiPK16rocblas_bfloat16PKfKPfEviiT3_lPKT2_lT1_lSA_lSB_lS7_lPT4_lSB_li,"axG",@progbits,_ZL32rocblas_gemvt_warp_reduce_kernelILb1ELi1024EiPK16rocblas_bfloat16PKfKPfEviiT3_lPKT2_lT1_lSA_lSB_lS7_lPT4_lSB_li,comdat
	.globl	_ZL32rocblas_gemvt_warp_reduce_kernelILb1ELi1024EiPK16rocblas_bfloat16PKfKPfEviiT3_lPKT2_lT1_lSA_lSB_lS7_lPT4_lSB_li ; -- Begin function _ZL32rocblas_gemvt_warp_reduce_kernelILb1ELi1024EiPK16rocblas_bfloat16PKfKPfEviiT3_lPKT2_lT1_lSA_lSB_lS7_lPT4_lSB_li
	.p2align	8
	.type	_ZL32rocblas_gemvt_warp_reduce_kernelILb1ELi1024EiPK16rocblas_bfloat16PKfKPfEviiT3_lPKT2_lT1_lSA_lSB_lS7_lPT4_lSB_li,@function
_ZL32rocblas_gemvt_warp_reduce_kernelILb1ELi1024EiPK16rocblas_bfloat16PKfKPfEviiT3_lPKT2_lT1_lSA_lSB_lS7_lPT4_lSB_li: ; @_ZL32rocblas_gemvt_warp_reduce_kernelILb1ELi1024EiPK16rocblas_bfloat16PKfKPfEviiT3_lPKT2_lT1_lSA_lSB_lS7_lPT4_lSB_li
; %bb.0:
	s_load_b32 s7, s[0:1], 0x88
	s_lshr_b32 s28, ttmp7, 16
	s_wait_kmcnt 0x0
	s_cmp_ge_u32 s28, s7
	s_cbranch_scc1 .LBB692_46
; %bb.1:
	s_clause 0x6
	s_load_b32 s4, s[0:1], 0x0
	s_load_b32 s3, s[0:1], 0x78
	s_load_b256 s[8:15], s[0:1], 0x8
	s_load_b32 s5, s[0:1], 0x28
	s_load_b128 s[24:27], s[0:1], 0x38
	s_load_b32 s6, s[0:1], 0x48
	s_load_b256 s[16:23], s[0:1], 0x58
	v_lshrrev_b32_e32 v2, 3, v0
	v_and_b32_e32 v1, 31, v0
	v_mov_b32_e32 v11, 0
	v_mbcnt_lo_u32_b32 v15, -1, 0
	v_cmp_eq_u32_e64 s0, 0, v0
	v_and_b32_e32 v13, 0x7c, v2
	v_lshlrev_b32_e32 v12, 2, v1
	v_cmp_gt_u32_e64 s1, 32, v0
	v_lshl_or_b32 v17, v15, 2, 64
	s_mov_b32 s29, 0
	s_wait_kmcnt 0x0
	s_ashr_i32 s2, s4, 31
	v_cmp_gt_i32_e32 vcc_lo, s4, v0
	s_lshr_b32 s2, s2, 22
	s_mul_i32 s34, s3, ttmp9
	s_add_co_i32 s30, s4, s2
	v_cmp_eq_u32_e64 s2, 0, v1
	s_and_b32 s30, s30, 0xfffffc00
	v_cndmask_b32_e32 v3, 0, v0, vcc_lo
	v_or_b32_e32 v2, s30, v0
	v_mul_lo_u32 v14, v0, s6
	s_mul_i32 s36, s5, ttmp9
	v_cmp_gt_i32_e64 s3, s30, v0
	v_lshlrev_b32_e32 v16, 1, v3
	v_mul_lo_u32 v1, s6, v2
	v_cmp_gt_i32_e64 s4, s4, v2
	s_ashr_i32 s35, s34, 31
	s_ashr_i32 s37, s36, 31
	;; [unrolled: 1-line block ×3, first 2 shown]
	s_lshl_b32 s33, s6, 10
	s_lshl_b64 s[14:15], s[14:15], 1
	s_lshl_b64 s[26:27], s[26:27], 1
	v_ashrrev_i32_e32 v2, 31, v1
	s_lshl_b64 s[22:23], s[22:23], 2
	s_lshl_b64 s[34:35], s[34:35], 2
	;; [unrolled: 1-line block ×3, first 2 shown]
	s_wait_alu 0xfffe
	s_lshl_b64 s[38:39], s[30:31], 1
	v_lshlrev_b64_e32 v[1:2], 1, v[1:2]
	s_branch .LBB692_4
.LBB692_2:                              ;   in Loop: Header=BB692_4 Depth=1
	s_wait_alu 0xfffe
	s_or_b32 exec_lo, exec_lo, s5
.LBB692_3:                              ;   in Loop: Header=BB692_4 Depth=1
	s_add_co_i32 s28, s28, 0x10000
	s_delay_alu instid0(SALU_CYCLE_1)
	s_cmp_lt_u32 s28, s7
	s_cbranch_scc0 .LBB692_46
.LBB692_4:                              ; =>This Loop Header: Depth=1
                                        ;     Child Loop BB692_28 Depth 2
	s_mul_u64 s[40:41], s[10:11], s[28:29]
	s_mul_u64 s[42:43], s[18:19], s[28:29]
	s_lshl_b64 s[40:41], s[40:41], 2
	s_lshl_b64 s[42:43], s[42:43], 2
	s_add_nc_u64 s[40:41], s[8:9], s[40:41]
	s_add_nc_u64 s[42:43], s[16:17], s[42:43]
	s_clause 0x1
	global_load_b32 v18, v11, s[40:41]
	global_load_b32 v3, v11, s[42:43]
	s_wait_loadcnt 0x1
	v_cmp_eq_f32_e64 s5, 0, v18
	s_wait_loadcnt 0x0
	v_cmp_eq_f32_e32 vcc_lo, 1.0, v3
	v_readfirstlane_b32 s31, v3
	s_and_b32 s6, s5, vcc_lo
	s_wait_alu 0xfffe
	s_and_b32 vcc_lo, exec_lo, s6
	s_wait_alu 0xfffe
	s_cbranch_vccnz .LBB692_3
; %bb.5:                                ;   in Loop: Header=BB692_4 Depth=1
	v_mov_b32_e32 v3, 0
	v_dual_mov_b32 v4, 0 :: v_dual_mov_b32 v5, 0
	v_cmp_neq_f32_e64 s6, 0, v18
	v_mov_b32_e32 v6, 0
	s_and_b32 vcc_lo, exec_lo, s5
	s_wait_alu 0xfffe
	s_cbranch_vccnz .LBB692_7
; %bb.6:                                ;   in Loop: Header=BB692_4 Depth=1
	s_lshl_b64 s[40:41], s[28:29], 3
	s_delay_alu instid0(SALU_CYCLE_1)
	s_add_nc_u64 s[40:41], s[12:13], s[40:41]
	global_load_b64 v[5:6], v11, s[40:41]
	s_wait_loadcnt 0x0
	v_add_co_u32 v5, vcc_lo, v5, s14
	s_wait_alu 0xfffd
	v_add_co_ci_u32_e64 v6, null, s15, v6, vcc_lo
.LBB692_7:                              ;   in Loop: Header=BB692_4 Depth=1
	s_and_not1_b32 vcc_lo, exec_lo, s6
	s_wait_alu 0xfffe
	s_cbranch_vccnz .LBB692_9
; %bb.8:                                ;   in Loop: Header=BB692_4 Depth=1
	s_lshl_b64 s[40:41], s[28:29], 3
	s_delay_alu instid0(SALU_CYCLE_1)
	s_add_nc_u64 s[40:41], s[24:25], s[40:41]
	global_load_b64 v[3:4], v11, s[40:41]
	s_wait_loadcnt 0x0
	v_add_co_u32 v3, vcc_lo, v3, s26
	s_wait_alu 0xfffd
	v_add_co_ci_u32_e64 v4, null, s27, v4, vcc_lo
.LBB692_9:                              ;   in Loop: Header=BB692_4 Depth=1
	s_lshl_b64 s[40:41], s[28:29], 3
	s_delay_alu instid0(SALU_CYCLE_1)
	s_add_nc_u64 s[40:41], s[20:21], s[40:41]
	s_wait_dscnt 0x0
	global_load_b64 v[7:8], v11, s[40:41]
	s_wait_loadcnt 0x0
	v_add_co_u32 v19, vcc_lo, v7, s22
	s_wait_alu 0xfffd
	v_add_co_ci_u32_e64 v20, null, s23, v8, vcc_lo
	s_and_not1_b32 vcc_lo, exec_lo, s5
	s_wait_alu 0xfffe
	s_cbranch_vccnz .LBB692_13
; %bb.10:                               ;   in Loop: Header=BB692_4 Depth=1
	s_mov_b32 s5, 0
	s_mov_b32 s6, 0
                                        ; implicit-def: $vgpr7
	s_and_saveexec_b32 s40, s0
	s_cbranch_execz .LBB692_14
; %bb.11:                               ;   in Loop: Header=BB692_4 Depth=1
	s_cmp_eq_f32 s31, 0
	s_cbranch_scc1 .LBB692_15
; %bb.12:                               ;   in Loop: Header=BB692_4 Depth=1
	v_add_co_u32 v7, vcc_lo, v19, s34
	s_wait_alu 0xfffd
	v_add_co_ci_u32_e64 v8, null, s35, v20, vcc_lo
	flat_load_b32 v7, v[7:8]
	s_wait_loadcnt_dscnt 0x0
	v_mul_f32_e32 v7, s31, v7
	s_branch .LBB692_16
.LBB692_13:                             ;   in Loop: Header=BB692_4 Depth=1
	s_mov_b32 s6, 0
                                        ; implicit-def: $vgpr7
	s_cbranch_execnz .LBB692_17
	s_branch .LBB692_38
.LBB692_14:                             ;   in Loop: Header=BB692_4 Depth=1
	s_or_b32 exec_lo, exec_lo, s40
	s_wait_alu 0xfffe
	s_and_b32 vcc_lo, exec_lo, s5
	s_wait_alu 0xfffe
	s_cbranch_vccnz .LBB692_17
	s_branch .LBB692_38
.LBB692_15:                             ;   in Loop: Header=BB692_4 Depth=1
	v_mov_b32_e32 v7, 0
.LBB692_16:                             ;   in Loop: Header=BB692_4 Depth=1
	s_mov_b32 s6, exec_lo
	s_or_b32 exec_lo, exec_lo, s40
	s_wait_alu 0xfffe
	s_and_b32 vcc_lo, exec_lo, s5
	s_wait_alu 0xfffe
	s_cbranch_vccz .LBB692_38
.LBB692_17:                             ;   in Loop: Header=BB692_4 Depth=1
	v_add_co_u32 v5, vcc_lo, v5, v16
	s_wait_alu 0xfffd
	v_add_co_ci_u32_e64 v6, null, 0, v6, vcc_lo
	v_mov_b32_e32 v21, 0
	s_delay_alu instid0(VALU_DEP_3) | instskip(SKIP_1) | instid1(VALU_DEP_3)
	v_add_co_u32 v5, vcc_lo, v5, s36
	s_wait_alu 0xfffd
	v_add_co_ci_u32_e64 v6, null, s37, v6, vcc_lo
	s_and_saveexec_b32 s40, s3
	s_cbranch_execnz .LBB692_26
; %bb.18:                               ;   in Loop: Header=BB692_4 Depth=1
	s_or_b32 exec_lo, exec_lo, s40
	s_and_saveexec_b32 s5, s4
	s_cbranch_execnz .LBB692_41
.LBB692_19:                             ;   in Loop: Header=BB692_4 Depth=1
	s_wait_alu 0xfffe
	s_or_b32 exec_lo, exec_lo, s5
	s_and_saveexec_b32 s5, s1
.LBB692_20:                             ;   in Loop: Header=BB692_4 Depth=1
	ds_store_b32 v12, v11
.LBB692_21:                             ;   in Loop: Header=BB692_4 Depth=1
	s_wait_alu 0xfffe
	s_or_b32 exec_lo, exec_lo, s5
	ds_bpermute_b32 v4, v17, v21
	v_cmp_gt_u32_e32 vcc_lo, 24, v15
	s_wait_dscnt 0x0
	s_barrier_signal -1
	s_barrier_wait -1
	global_inv scope:SCOPE_SE
	s_wait_alu 0xfffd
	v_cndmask_b32_e64 v3, 0, 8, vcc_lo
	v_cmp_gt_u32_e32 vcc_lo, 28, v15
	s_delay_alu instid0(VALU_DEP_2)
	v_add_lshl_u32 v3, v3, v15, 2
	v_add_f32_e32 v5, v21, v4
	s_wait_alu 0xfffd
	v_cndmask_b32_e64 v4, 0, 4, vcc_lo
	v_cmp_gt_u32_e32 vcc_lo, 30, v15
	ds_bpermute_b32 v6, v3, v5
	v_add_lshl_u32 v4, v4, v15, 2
	s_wait_dscnt 0x0
	v_add_f32_e32 v6, v5, v6
	s_wait_alu 0xfffd
	v_cndmask_b32_e64 v5, 0, 2, vcc_lo
	v_cmp_ne_u32_e32 vcc_lo, 31, v15
	ds_bpermute_b32 v7, v4, v6
	v_add_lshl_u32 v5, v5, v15, 2
	s_wait_alu 0xfffd
	v_add_co_ci_u32_e64 v8, null, 0, v15, vcc_lo
	s_wait_dscnt 0x0
	v_add_f32_e32 v6, v6, v7
	ds_bpermute_b32 v7, v5, v6
	s_wait_dscnt 0x0
	v_dual_add_f32 v7, v6, v7 :: v_dual_lshlrev_b32 v6, 2, v8
	ds_bpermute_b32 v8, v6, v7
	s_and_saveexec_b32 s5, s2
	s_cbranch_execz .LBB692_23
; %bb.22:                               ;   in Loop: Header=BB692_4 Depth=1
	s_wait_dscnt 0x0
	v_add_f32_e32 v7, v7, v8
	ds_store_b32 v13, v7
.LBB692_23:                             ;   in Loop: Header=BB692_4 Depth=1
	s_wait_alu 0xfffe
	s_or_b32 exec_lo, exec_lo, s5
	s_wait_dscnt 0x0
	v_mov_b32_e32 v8, 0
	s_wait_loadcnt 0x0
	s_barrier_signal -1
	s_barrier_wait -1
	global_inv scope:SCOPE_SE
	s_and_saveexec_b32 s5, s1
	s_cbranch_execnz .LBB692_32
; %bb.24:                               ;   in Loop: Header=BB692_4 Depth=1
	s_wait_alu 0xfffe
	s_or_b32 exec_lo, exec_lo, s5
	s_and_saveexec_b32 s5, s1
	s_cbranch_execnz .LBB692_33
.LBB692_25:                             ;   in Loop: Header=BB692_4 Depth=1
	s_wait_alu 0xfffe
	s_or_b32 exec_lo, exec_lo, s5
                                        ; implicit-def: $vgpr7
	s_and_saveexec_b32 s5, s0
	s_cbranch_execnz .LBB692_34
	s_branch .LBB692_37
.LBB692_26:                             ;   in Loop: Header=BB692_4 Depth=1
	v_dual_mov_b32 v21, 0 :: v_dual_mov_b32 v8, v6
	v_dual_mov_b32 v7, v5 :: v_dual_mov_b32 v22, v0
	v_mov_b32_e32 v9, v14
	s_mov_b32 s41, 0
	s_branch .LBB692_28
.LBB692_27:                             ;   in Loop: Header=BB692_28 Depth=2
	s_wait_alu 0xfffe
	s_or_b32 exec_lo, exec_lo, s5
	v_add_nc_u32_e32 v22, 0x400, v22
	v_and_b32_e32 v10, 0xffff0000, v23
	v_add_co_u32 v7, s5, 0x800, v7
	v_add_nc_u32_e32 v9, s33, v9
	s_delay_alu instid0(VALU_DEP_4) | instskip(NEXT) | instid1(VALU_DEP_4)
	v_cmp_le_i32_e32 vcc_lo, s30, v22
	v_add_f32_e32 v21, v21, v10
	s_wait_alu 0xf1ff
	v_add_co_ci_u32_e64 v8, null, 0, v8, s5
	s_or_b32 s41, vcc_lo, s41
	s_delay_alu instid0(SALU_CYCLE_1)
	s_and_not1_b32 exec_lo, exec_lo, s41
	s_cbranch_execz .LBB692_40
.LBB692_28:                             ;   Parent Loop BB692_4 Depth=1
                                        ; =>  This Inner Loop Header: Depth=2
	s_delay_alu instid0(VALU_DEP_1) | instskip(NEXT) | instid1(VALU_DEP_1)
	v_ashrrev_i32_e32 v10, 31, v9
	v_lshlrev_b64_e32 v[23:24], 1, v[9:10]
	s_delay_alu instid0(VALU_DEP_1) | instskip(SKIP_1) | instid1(VALU_DEP_2)
	v_add_co_u32 v23, vcc_lo, v3, v23
	s_wait_alu 0xfffd
	v_add_co_ci_u32_e64 v24, null, v4, v24, vcc_lo
	flat_load_u16 v10, v[7:8]
	flat_load_u16 v23, v[23:24]
	s_wait_loadcnt_dscnt 0x101
	v_lshlrev_b32_e32 v10, 16, v10
	s_wait_loadcnt_dscnt 0x0
	v_lshlrev_b32_e32 v23, 16, v23
	s_delay_alu instid0(VALU_DEP_1) | instskip(NEXT) | instid1(VALU_DEP_1)
	v_mul_f32_e32 v10, v10, v23
	v_and_b32_e32 v23, 0x7f800000, v10
	s_delay_alu instid0(VALU_DEP_1)
	v_cmp_ne_u32_e32 vcc_lo, 0x7f800000, v23
                                        ; implicit-def: $vgpr23
	s_and_saveexec_b32 s5, vcc_lo
	s_wait_alu 0xfffe
	s_xor_b32 s5, exec_lo, s5
; %bb.29:                               ;   in Loop: Header=BB692_28 Depth=2
	v_bfe_u32 v23, v10, 16, 1
	s_delay_alu instid0(VALU_DEP_1)
	v_add3_u32 v23, v10, v23, 0x7fff
                                        ; implicit-def: $vgpr10
; %bb.30:                               ;   in Loop: Header=BB692_28 Depth=2
	s_wait_alu 0xfffe
	s_and_not1_saveexec_b32 s5, s5
	s_cbranch_execz .LBB692_27
; %bb.31:                               ;   in Loop: Header=BB692_28 Depth=2
	v_and_b32_e32 v23, 0xffff, v10
	v_or_b32_e32 v24, 0x10000, v10
	s_delay_alu instid0(VALU_DEP_2) | instskip(SKIP_1) | instid1(VALU_DEP_2)
	v_cmp_eq_u32_e32 vcc_lo, 0, v23
	s_wait_alu 0xfffd
	v_cndmask_b32_e32 v23, v24, v10, vcc_lo
	s_branch .LBB692_27
.LBB692_32:                             ;   in Loop: Header=BB692_4 Depth=1
	ds_load_b32 v8, v12
	s_wait_alu 0xfffe
	s_or_b32 exec_lo, exec_lo, s5
	s_and_saveexec_b32 s5, s1
	s_cbranch_execz .LBB692_25
.LBB692_33:                             ;   in Loop: Header=BB692_4 Depth=1
	s_wait_dscnt 0x0
	ds_bpermute_b32 v7, v17, v8
	s_wait_dscnt 0x0
	v_add_f32_e32 v7, v8, v7
	ds_bpermute_b32 v3, v3, v7
	s_wait_dscnt 0x0
	v_add_f32_e32 v3, v7, v3
	;; [unrolled: 3-line block ×5, first 2 shown]
	s_wait_alu 0xfffe
	s_or_b32 exec_lo, exec_lo, s5
                                        ; implicit-def: $vgpr7
	s_and_saveexec_b32 s5, s0
	s_cbranch_execz .LBB692_37
.LBB692_34:                             ;   in Loop: Header=BB692_4 Depth=1
	s_wait_dscnt 0x0
	v_mul_f32_e32 v7, v18, v8
	s_cmp_eq_f32 s31, 0
	s_cbranch_scc1 .LBB692_36
; %bb.35:                               ;   in Loop: Header=BB692_4 Depth=1
	v_add_co_u32 v3, vcc_lo, v19, s34
	s_wait_alu 0xfffd
	v_add_co_ci_u32_e64 v4, null, s35, v20, vcc_lo
	flat_load_b32 v3, v[3:4]
	s_wait_loadcnt_dscnt 0x0
	v_fmac_f32_e32 v7, s31, v3
.LBB692_36:                             ;   in Loop: Header=BB692_4 Depth=1
	s_or_b32 s6, s6, exec_lo
.LBB692_37:                             ;   in Loop: Header=BB692_4 Depth=1
	s_wait_alu 0xfffe
	s_or_b32 exec_lo, exec_lo, s5
.LBB692_38:                             ;   in Loop: Header=BB692_4 Depth=1
	s_wait_alu 0xfffe
	s_and_saveexec_b32 s5, s6
	s_cbranch_execz .LBB692_2
; %bb.39:                               ;   in Loop: Header=BB692_4 Depth=1
	v_add_co_u32 v3, vcc_lo, v19, s34
	s_wait_alu 0xfffd
	v_add_co_ci_u32_e64 v4, null, s35, v20, vcc_lo
	flat_store_b32 v[3:4], v7
	s_branch .LBB692_2
.LBB692_40:                             ;   in Loop: Header=BB692_4 Depth=1
	s_or_b32 exec_lo, exec_lo, s41
	s_delay_alu instid0(SALU_CYCLE_1)
	s_or_b32 exec_lo, exec_lo, s40
	s_and_saveexec_b32 s5, s4
	s_cbranch_execz .LBB692_19
.LBB692_41:                             ;   in Loop: Header=BB692_4 Depth=1
	v_add_co_u32 v3, vcc_lo, v3, v1
	s_wait_alu 0xfffd
	v_add_co_ci_u32_e64 v4, null, v4, v2, vcc_lo
	v_add_co_u32 v5, vcc_lo, v5, s38
	s_wait_alu 0xfffd
	v_add_co_ci_u32_e64 v6, null, s39, v6, vcc_lo
	flat_load_u16 v3, v[3:4]
	flat_load_u16 v4, v[5:6]
	s_wait_loadcnt_dscnt 0x101
	v_lshlrev_b32_e32 v3, 16, v3
	s_wait_loadcnt_dscnt 0x0
	v_lshlrev_b32_e32 v4, 16, v4
	s_delay_alu instid0(VALU_DEP_1) | instskip(NEXT) | instid1(VALU_DEP_1)
	v_mul_f32_e32 v3, v4, v3
	v_and_b32_e32 v4, 0x7f800000, v3
	s_delay_alu instid0(VALU_DEP_1) | instskip(SKIP_1) | instid1(SALU_CYCLE_1)
	v_cmp_ne_u32_e32 vcc_lo, 0x7f800000, v4
                                        ; implicit-def: $vgpr4
	s_and_saveexec_b32 s40, vcc_lo
	s_xor_b32 s40, exec_lo, s40
; %bb.42:                               ;   in Loop: Header=BB692_4 Depth=1
	v_bfe_u32 v4, v3, 16, 1
	s_delay_alu instid0(VALU_DEP_1)
	v_add3_u32 v4, v3, v4, 0x7fff
                                        ; implicit-def: $vgpr3
; %bb.43:                               ;   in Loop: Header=BB692_4 Depth=1
	s_and_not1_saveexec_b32 s40, s40
; %bb.44:                               ;   in Loop: Header=BB692_4 Depth=1
	v_and_b32_e32 v4, 0xffff, v3
	v_or_b32_e32 v5, 0x10000, v3
	s_delay_alu instid0(VALU_DEP_2) | instskip(SKIP_1) | instid1(VALU_DEP_2)
	v_cmp_eq_u32_e32 vcc_lo, 0, v4
	s_wait_alu 0xfffd
	v_cndmask_b32_e32 v4, v5, v3, vcc_lo
; %bb.45:                               ;   in Loop: Header=BB692_4 Depth=1
	s_or_b32 exec_lo, exec_lo, s40
	s_delay_alu instid0(VALU_DEP_1) | instskip(NEXT) | instid1(VALU_DEP_1)
	v_and_b32_e32 v3, 0xffff0000, v4
	v_add_f32_e32 v21, v21, v3
	s_wait_alu 0xfffe
	s_or_b32 exec_lo, exec_lo, s5
	s_and_saveexec_b32 s5, s1
	s_cbranch_execnz .LBB692_20
	s_branch .LBB692_21
.LBB692_46:
	s_endpgm
	.section	.rodata,"a",@progbits
	.p2align	6, 0x0
	.amdhsa_kernel _ZL32rocblas_gemvt_warp_reduce_kernelILb1ELi1024EiPK16rocblas_bfloat16PKfKPfEviiT3_lPKT2_lT1_lSA_lSB_lS7_lPT4_lSB_li
		.amdhsa_group_segment_fixed_size 128
		.amdhsa_private_segment_fixed_size 0
		.amdhsa_kernarg_size 140
		.amdhsa_user_sgpr_count 2
		.amdhsa_user_sgpr_dispatch_ptr 0
		.amdhsa_user_sgpr_queue_ptr 0
		.amdhsa_user_sgpr_kernarg_segment_ptr 1
		.amdhsa_user_sgpr_dispatch_id 0
		.amdhsa_user_sgpr_private_segment_size 0
		.amdhsa_wavefront_size32 1
		.amdhsa_uses_dynamic_stack 0
		.amdhsa_enable_private_segment 0
		.amdhsa_system_sgpr_workgroup_id_x 1
		.amdhsa_system_sgpr_workgroup_id_y 0
		.amdhsa_system_sgpr_workgroup_id_z 1
		.amdhsa_system_sgpr_workgroup_info 0
		.amdhsa_system_vgpr_workitem_id 0
		.amdhsa_next_free_vgpr 25
		.amdhsa_next_free_sgpr 44
		.amdhsa_reserve_vcc 1
		.amdhsa_float_round_mode_32 0
		.amdhsa_float_round_mode_16_64 0
		.amdhsa_float_denorm_mode_32 3
		.amdhsa_float_denorm_mode_16_64 3
		.amdhsa_fp16_overflow 0
		.amdhsa_workgroup_processor_mode 1
		.amdhsa_memory_ordered 1
		.amdhsa_forward_progress 1
		.amdhsa_inst_pref_size 15
		.amdhsa_round_robin_scheduling 0
		.amdhsa_exception_fp_ieee_invalid_op 0
		.amdhsa_exception_fp_denorm_src 0
		.amdhsa_exception_fp_ieee_div_zero 0
		.amdhsa_exception_fp_ieee_overflow 0
		.amdhsa_exception_fp_ieee_underflow 0
		.amdhsa_exception_fp_ieee_inexact 0
		.amdhsa_exception_int_div_zero 0
	.end_amdhsa_kernel
	.section	.text._ZL32rocblas_gemvt_warp_reduce_kernelILb1ELi1024EiPK16rocblas_bfloat16PKfKPfEviiT3_lPKT2_lT1_lSA_lSB_lS7_lPT4_lSB_li,"axG",@progbits,_ZL32rocblas_gemvt_warp_reduce_kernelILb1ELi1024EiPK16rocblas_bfloat16PKfKPfEviiT3_lPKT2_lT1_lSA_lSB_lS7_lPT4_lSB_li,comdat
.Lfunc_end692:
	.size	_ZL32rocblas_gemvt_warp_reduce_kernelILb1ELi1024EiPK16rocblas_bfloat16PKfKPfEviiT3_lPKT2_lT1_lSA_lSB_lS7_lPT4_lSB_li, .Lfunc_end692-_ZL32rocblas_gemvt_warp_reduce_kernelILb1ELi1024EiPK16rocblas_bfloat16PKfKPfEviiT3_lPKT2_lT1_lSA_lSB_lS7_lPT4_lSB_li
                                        ; -- End function
	.set _ZL32rocblas_gemvt_warp_reduce_kernelILb1ELi1024EiPK16rocblas_bfloat16PKfKPfEviiT3_lPKT2_lT1_lSA_lSB_lS7_lPT4_lSB_li.num_vgpr, 25
	.set _ZL32rocblas_gemvt_warp_reduce_kernelILb1ELi1024EiPK16rocblas_bfloat16PKfKPfEviiT3_lPKT2_lT1_lSA_lSB_lS7_lPT4_lSB_li.num_agpr, 0
	.set _ZL32rocblas_gemvt_warp_reduce_kernelILb1ELi1024EiPK16rocblas_bfloat16PKfKPfEviiT3_lPKT2_lT1_lSA_lSB_lS7_lPT4_lSB_li.numbered_sgpr, 44
	.set _ZL32rocblas_gemvt_warp_reduce_kernelILb1ELi1024EiPK16rocblas_bfloat16PKfKPfEviiT3_lPKT2_lT1_lSA_lSB_lS7_lPT4_lSB_li.num_named_barrier, 0
	.set _ZL32rocblas_gemvt_warp_reduce_kernelILb1ELi1024EiPK16rocblas_bfloat16PKfKPfEviiT3_lPKT2_lT1_lSA_lSB_lS7_lPT4_lSB_li.private_seg_size, 0
	.set _ZL32rocblas_gemvt_warp_reduce_kernelILb1ELi1024EiPK16rocblas_bfloat16PKfKPfEviiT3_lPKT2_lT1_lSA_lSB_lS7_lPT4_lSB_li.uses_vcc, 1
	.set _ZL32rocblas_gemvt_warp_reduce_kernelILb1ELi1024EiPK16rocblas_bfloat16PKfKPfEviiT3_lPKT2_lT1_lSA_lSB_lS7_lPT4_lSB_li.uses_flat_scratch, 0
	.set _ZL32rocblas_gemvt_warp_reduce_kernelILb1ELi1024EiPK16rocblas_bfloat16PKfKPfEviiT3_lPKT2_lT1_lSA_lSB_lS7_lPT4_lSB_li.has_dyn_sized_stack, 0
	.set _ZL32rocblas_gemvt_warp_reduce_kernelILb1ELi1024EiPK16rocblas_bfloat16PKfKPfEviiT3_lPKT2_lT1_lSA_lSB_lS7_lPT4_lSB_li.has_recursion, 0
	.set _ZL32rocblas_gemvt_warp_reduce_kernelILb1ELi1024EiPK16rocblas_bfloat16PKfKPfEviiT3_lPKT2_lT1_lSA_lSB_lS7_lPT4_lSB_li.has_indirect_call, 0
	.section	.AMDGPU.csdata,"",@progbits
; Kernel info:
; codeLenInByte = 1920
; TotalNumSgprs: 46
; NumVgprs: 25
; ScratchSize: 0
; MemoryBound: 0
; FloatMode: 240
; IeeeMode: 1
; LDSByteSize: 128 bytes/workgroup (compile time only)
; SGPRBlocks: 0
; VGPRBlocks: 3
; NumSGPRsForWavesPerEU: 46
; NumVGPRsForWavesPerEU: 25
; Occupancy: 16
; WaveLimiterHint : 1
; COMPUTE_PGM_RSRC2:SCRATCH_EN: 0
; COMPUTE_PGM_RSRC2:USER_SGPR: 2
; COMPUTE_PGM_RSRC2:TRAP_HANDLER: 0
; COMPUTE_PGM_RSRC2:TGID_X_EN: 1
; COMPUTE_PGM_RSRC2:TGID_Y_EN: 0
; COMPUTE_PGM_RSRC2:TGID_Z_EN: 1
; COMPUTE_PGM_RSRC2:TIDIG_COMP_CNT: 0
	.section	.text._ZL32rocblas_gemvt_warp_reduce_kernelILb1ELi1024ElPK16rocblas_bfloat16PKfKPfEviiT3_lPKT2_lT1_lSA_lSB_lS7_lPT4_lSB_li,"axG",@progbits,_ZL32rocblas_gemvt_warp_reduce_kernelILb1ELi1024ElPK16rocblas_bfloat16PKfKPfEviiT3_lPKT2_lT1_lSA_lSB_lS7_lPT4_lSB_li,comdat
	.globl	_ZL32rocblas_gemvt_warp_reduce_kernelILb1ELi1024ElPK16rocblas_bfloat16PKfKPfEviiT3_lPKT2_lT1_lSA_lSB_lS7_lPT4_lSB_li ; -- Begin function _ZL32rocblas_gemvt_warp_reduce_kernelILb1ELi1024ElPK16rocblas_bfloat16PKfKPfEviiT3_lPKT2_lT1_lSA_lSB_lS7_lPT4_lSB_li
	.p2align	8
	.type	_ZL32rocblas_gemvt_warp_reduce_kernelILb1ELi1024ElPK16rocblas_bfloat16PKfKPfEviiT3_lPKT2_lT1_lSA_lSB_lS7_lPT4_lSB_li,@function
_ZL32rocblas_gemvt_warp_reduce_kernelILb1ELi1024ElPK16rocblas_bfloat16PKfKPfEviiT3_lPKT2_lT1_lSA_lSB_lS7_lPT4_lSB_li: ; @_ZL32rocblas_gemvt_warp_reduce_kernelILb1ELi1024ElPK16rocblas_bfloat16PKfKPfEviiT3_lPKT2_lT1_lSA_lSB_lS7_lPT4_lSB_li
; %bb.0:
	s_load_b32 s7, s[0:1], 0x88
	s_lshr_b32 s28, ttmp7, 16
	s_wait_kmcnt 0x0
	s_cmp_ge_u32 s28, s7
	s_cbranch_scc1 .LBB693_46
; %bb.1:
	s_clause 0x6
	s_load_b32 s6, s[0:1], 0x0
	s_load_b64 s[36:37], s[0:1], 0x48
	s_load_b256 s[8:15], s[0:1], 0x8
	s_load_b64 s[34:35], s[0:1], 0x78
	s_load_b64 s[38:39], s[0:1], 0x28
	s_load_b128 s[24:27], s[0:1], 0x38
	s_load_b256 s[16:23], s[0:1], 0x58
	v_and_b32_e32 v3, 31, v0
	v_lshrrev_b32_e32 v4, 3, v0
	v_mov_b32_e32 v13, 0
	v_mbcnt_lo_u32_b32 v14, -1, 0
	s_mov_b32 s4, ttmp9
	s_ashr_i32 s5, ttmp9, 31
	v_and_b32_e32 v16, 0x7c, v4
	v_cmp_eq_u32_e64 s0, 0, v0
	v_cmp_gt_u32_e64 s1, 32, v0
	v_lshl_or_b32 v18, v14, 2, 64
	s_mov_b32 s29, 0
	s_wait_kmcnt 0x0
	s_ashr_i32 s2, s6, 31
	v_mad_co_u64_u32 v[1:2], null, s36, v0, 0
	s_lshr_b32 s3, s2, 22
	v_cmp_eq_u32_e64 s2, 0, v3
	s_add_co_i32 s3, s6, s3
	v_cmp_gt_i32_e32 vcc_lo, s6, v0
	s_and_b32 s30, s3, 0xfffffc00
	v_lshlrev_b32_e32 v15, 2, v3
	v_or_b32_e32 v5, s30, v0
	v_mad_co_u64_u32 v[2:3], null, s37, v0, v[2:3]
	s_ashr_i32 s31, s30, 31
	v_cndmask_b32_e32 v6, 0, v0, vcc_lo
	v_mul_lo_u32 v7, s37, v5
	v_mad_co_u64_u32 v[3:4], null, s36, v5, 0
	s_wait_alu 0xfffe
	s_mul_i32 s3, s36, s31
	v_lshlrev_b64_e32 v[1:2], 1, v[1:2]
	s_mul_u64 s[40:41], s[34:35], s[4:5]
	s_mul_u64 s[38:39], s[38:39], s[4:5]
	v_cmp_gt_i32_e64 s4, s6, v5
	v_lshlrev_b32_e32 v17, 1, v6
	v_add3_u32 v4, v4, s3, v7
	v_cmp_gt_i32_e64 s3, s30, v0
	s_lshl_b64 s[34:35], s[36:37], 11
	s_lshl_b64 s[14:15], s[14:15], 1
	;; [unrolled: 1-line block ×3, first 2 shown]
	v_lshlrev_b64_e32 v[3:4], 1, v[3:4]
	s_lshl_b64 s[22:23], s[22:23], 2
	s_lshl_b64 s[36:37], s[40:41], 2
	;; [unrolled: 1-line block ×4, first 2 shown]
	s_branch .LBB693_4
.LBB693_2:                              ;   in Loop: Header=BB693_4 Depth=1
	s_wait_alu 0xfffe
	s_or_b32 exec_lo, exec_lo, s5
.LBB693_3:                              ;   in Loop: Header=BB693_4 Depth=1
	s_add_co_i32 s28, s28, 0x10000
	s_delay_alu instid0(SALU_CYCLE_1)
	s_cmp_lt_u32 s28, s7
	s_cbranch_scc0 .LBB693_46
.LBB693_4:                              ; =>This Loop Header: Depth=1
                                        ;     Child Loop BB693_28 Depth 2
	s_mul_u64 s[42:43], s[10:11], s[28:29]
	s_mul_u64 s[44:45], s[18:19], s[28:29]
	s_lshl_b64 s[42:43], s[42:43], 2
	s_lshl_b64 s[44:45], s[44:45], 2
	s_add_nc_u64 s[42:43], s[8:9], s[42:43]
	s_add_nc_u64 s[44:45], s[16:17], s[44:45]
	s_clause 0x1
	global_load_b32 v19, v13, s[42:43]
	global_load_b32 v5, v13, s[44:45]
	s_wait_loadcnt 0x1
	v_cmp_eq_f32_e64 s5, 0, v19
	s_wait_loadcnt 0x0
	v_cmp_eq_f32_e32 vcc_lo, 1.0, v5
	v_readfirstlane_b32 s31, v5
	s_and_b32 s6, s5, vcc_lo
	s_wait_alu 0xfffe
	s_and_b32 vcc_lo, exec_lo, s6
	s_wait_alu 0xfffe
	s_cbranch_vccnz .LBB693_3
; %bb.5:                                ;   in Loop: Header=BB693_4 Depth=1
	v_mov_b32_e32 v5, 0
	v_dual_mov_b32 v6, 0 :: v_dual_mov_b32 v7, 0
	v_cmp_neq_f32_e64 s6, 0, v19
	v_mov_b32_e32 v8, 0
	s_and_b32 vcc_lo, exec_lo, s5
	s_wait_alu 0xfffe
	s_cbranch_vccnz .LBB693_7
; %bb.6:                                ;   in Loop: Header=BB693_4 Depth=1
	s_lshl_b64 s[42:43], s[28:29], 3
	s_delay_alu instid0(SALU_CYCLE_1)
	s_add_nc_u64 s[42:43], s[12:13], s[42:43]
	global_load_b64 v[7:8], v13, s[42:43]
	s_wait_loadcnt 0x0
	v_add_co_u32 v7, vcc_lo, v7, s14
	s_wait_alu 0xfffd
	v_add_co_ci_u32_e64 v8, null, s15, v8, vcc_lo
.LBB693_7:                              ;   in Loop: Header=BB693_4 Depth=1
	s_and_not1_b32 vcc_lo, exec_lo, s6
	s_wait_alu 0xfffe
	s_cbranch_vccnz .LBB693_9
; %bb.8:                                ;   in Loop: Header=BB693_4 Depth=1
	s_lshl_b64 s[42:43], s[28:29], 3
	s_delay_alu instid0(SALU_CYCLE_1)
	s_add_nc_u64 s[42:43], s[24:25], s[42:43]
	global_load_b64 v[5:6], v13, s[42:43]
	s_wait_loadcnt 0x0
	v_add_co_u32 v5, vcc_lo, v5, s26
	s_wait_alu 0xfffd
	v_add_co_ci_u32_e64 v6, null, s27, v6, vcc_lo
.LBB693_9:                              ;   in Loop: Header=BB693_4 Depth=1
	s_lshl_b64 s[42:43], s[28:29], 3
	s_delay_alu instid0(SALU_CYCLE_1)
	s_add_nc_u64 s[42:43], s[20:21], s[42:43]
	s_wait_dscnt 0x0
	global_load_b64 v[9:10], v13, s[42:43]
	s_wait_loadcnt 0x0
	v_add_co_u32 v20, vcc_lo, v9, s22
	s_wait_alu 0xfffd
	v_add_co_ci_u32_e64 v21, null, s23, v10, vcc_lo
	s_and_not1_b32 vcc_lo, exec_lo, s5
	s_wait_alu 0xfffe
	s_cbranch_vccnz .LBB693_13
; %bb.10:                               ;   in Loop: Header=BB693_4 Depth=1
	s_mov_b32 s5, 0
	s_mov_b32 s6, 0
                                        ; implicit-def: $vgpr9
	s_and_saveexec_b32 s33, s0
	s_cbranch_execz .LBB693_14
; %bb.11:                               ;   in Loop: Header=BB693_4 Depth=1
	s_cmp_eq_f32 s31, 0
	s_cbranch_scc1 .LBB693_15
; %bb.12:                               ;   in Loop: Header=BB693_4 Depth=1
	v_add_co_u32 v9, vcc_lo, v20, s36
	s_wait_alu 0xfffd
	v_add_co_ci_u32_e64 v10, null, s37, v21, vcc_lo
	flat_load_b32 v9, v[9:10]
	s_wait_loadcnt_dscnt 0x0
	v_mul_f32_e32 v9, s31, v9
	s_branch .LBB693_16
.LBB693_13:                             ;   in Loop: Header=BB693_4 Depth=1
	s_mov_b32 s6, 0
                                        ; implicit-def: $vgpr9
	s_cbranch_execnz .LBB693_17
	s_branch .LBB693_38
.LBB693_14:                             ;   in Loop: Header=BB693_4 Depth=1
	s_or_b32 exec_lo, exec_lo, s33
	s_wait_alu 0xfffe
	s_and_b32 vcc_lo, exec_lo, s5
	s_wait_alu 0xfffe
	s_cbranch_vccnz .LBB693_17
	s_branch .LBB693_38
.LBB693_15:                             ;   in Loop: Header=BB693_4 Depth=1
	v_mov_b32_e32 v9, 0
.LBB693_16:                             ;   in Loop: Header=BB693_4 Depth=1
	s_mov_b32 s6, exec_lo
	s_or_b32 exec_lo, exec_lo, s33
	s_wait_alu 0xfffe
	s_and_b32 vcc_lo, exec_lo, s5
	s_wait_alu 0xfffe
	s_cbranch_vccz .LBB693_38
.LBB693_17:                             ;   in Loop: Header=BB693_4 Depth=1
	v_add_co_u32 v7, vcc_lo, v7, v17
	s_wait_alu 0xfffd
	v_add_co_ci_u32_e64 v8, null, 0, v8, vcc_lo
	v_mov_b32_e32 v22, 0
	s_delay_alu instid0(VALU_DEP_3) | instskip(SKIP_1) | instid1(VALU_DEP_3)
	v_add_co_u32 v7, vcc_lo, v7, s38
	s_wait_alu 0xfffd
	v_add_co_ci_u32_e64 v8, null, s39, v8, vcc_lo
	s_and_saveexec_b32 s33, s3
	s_cbranch_execnz .LBB693_26
; %bb.18:                               ;   in Loop: Header=BB693_4 Depth=1
	s_or_b32 exec_lo, exec_lo, s33
	s_and_saveexec_b32 s5, s4
	s_cbranch_execnz .LBB693_41
.LBB693_19:                             ;   in Loop: Header=BB693_4 Depth=1
	s_wait_alu 0xfffe
	s_or_b32 exec_lo, exec_lo, s5
	s_and_saveexec_b32 s5, s1
.LBB693_20:                             ;   in Loop: Header=BB693_4 Depth=1
	ds_store_b32 v15, v13
.LBB693_21:                             ;   in Loop: Header=BB693_4 Depth=1
	s_wait_alu 0xfffe
	s_or_b32 exec_lo, exec_lo, s5
	ds_bpermute_b32 v6, v18, v22
	v_cmp_gt_u32_e32 vcc_lo, 24, v14
	s_wait_dscnt 0x0
	s_barrier_signal -1
	s_barrier_wait -1
	global_inv scope:SCOPE_SE
	s_wait_alu 0xfffd
	v_cndmask_b32_e64 v5, 0, 8, vcc_lo
	v_cmp_gt_u32_e32 vcc_lo, 28, v14
	s_delay_alu instid0(VALU_DEP_2)
	v_add_lshl_u32 v5, v5, v14, 2
	v_add_f32_e32 v7, v22, v6
	s_wait_alu 0xfffd
	v_cndmask_b32_e64 v6, 0, 4, vcc_lo
	v_cmp_gt_u32_e32 vcc_lo, 30, v14
	ds_bpermute_b32 v8, v5, v7
	v_add_lshl_u32 v6, v6, v14, 2
	s_wait_dscnt 0x0
	v_add_f32_e32 v8, v7, v8
	s_wait_alu 0xfffd
	v_cndmask_b32_e64 v7, 0, 2, vcc_lo
	v_cmp_ne_u32_e32 vcc_lo, 31, v14
	ds_bpermute_b32 v9, v6, v8
	v_add_lshl_u32 v7, v7, v14, 2
	s_wait_alu 0xfffd
	v_add_co_ci_u32_e64 v10, null, 0, v14, vcc_lo
	s_wait_dscnt 0x0
	v_add_f32_e32 v8, v8, v9
	ds_bpermute_b32 v9, v7, v8
	s_wait_dscnt 0x0
	v_dual_add_f32 v9, v8, v9 :: v_dual_lshlrev_b32 v8, 2, v10
	ds_bpermute_b32 v10, v8, v9
	s_and_saveexec_b32 s5, s2
	s_cbranch_execz .LBB693_23
; %bb.22:                               ;   in Loop: Header=BB693_4 Depth=1
	s_wait_dscnt 0x0
	v_add_f32_e32 v9, v9, v10
	ds_store_b32 v16, v9
.LBB693_23:                             ;   in Loop: Header=BB693_4 Depth=1
	s_wait_alu 0xfffe
	s_or_b32 exec_lo, exec_lo, s5
	s_wait_dscnt 0x0
	v_mov_b32_e32 v10, 0
	s_wait_loadcnt 0x0
	s_barrier_signal -1
	s_barrier_wait -1
	global_inv scope:SCOPE_SE
	s_and_saveexec_b32 s5, s1
	s_cbranch_execnz .LBB693_32
; %bb.24:                               ;   in Loop: Header=BB693_4 Depth=1
	s_wait_alu 0xfffe
	s_or_b32 exec_lo, exec_lo, s5
	s_and_saveexec_b32 s5, s1
	s_cbranch_execnz .LBB693_33
.LBB693_25:                             ;   in Loop: Header=BB693_4 Depth=1
	s_wait_alu 0xfffe
	s_or_b32 exec_lo, exec_lo, s5
                                        ; implicit-def: $vgpr9
	s_and_saveexec_b32 s5, s0
	s_cbranch_execnz .LBB693_34
	s_branch .LBB693_37
.LBB693_26:                             ;   in Loop: Header=BB693_4 Depth=1
	v_add_co_u32 v9, vcc_lo, v5, v1
	v_dual_mov_b32 v12, v8 :: v_dual_mov_b32 v23, v0
	s_wait_alu 0xfffd
	v_add_co_ci_u32_e64 v10, null, v6, v2, vcc_lo
	v_dual_mov_b32 v22, 0 :: v_dual_mov_b32 v11, v7
	s_mov_b32 s42, 0
	s_branch .LBB693_28
.LBB693_27:                             ;   in Loop: Header=BB693_28 Depth=2
	s_wait_alu 0xfffe
	s_or_b32 exec_lo, exec_lo, s5
	s_delay_alu instid0(VALU_DEP_1)
	v_and_b32_e32 v24, 0xffff0000, v25
	v_add_nc_u32_e32 v23, 0x400, v23
	v_add_co_u32 v11, vcc_lo, 0x800, v11
	s_wait_alu 0xfffd
	v_add_co_ci_u32_e64 v12, null, 0, v12, vcc_lo
	v_add_f32_e32 v22, v22, v24
	v_cmp_le_i32_e32 vcc_lo, s30, v23
	v_add_co_u32 v9, s5, v9, s34
	s_wait_alu 0xf1ff
	v_add_co_ci_u32_e64 v10, null, s35, v10, s5
	s_or_b32 s42, vcc_lo, s42
	s_delay_alu instid0(SALU_CYCLE_1)
	s_and_not1_b32 exec_lo, exec_lo, s42
	s_cbranch_execz .LBB693_40
.LBB693_28:                             ;   Parent Loop BB693_4 Depth=1
                                        ; =>  This Inner Loop Header: Depth=2
	flat_load_u16 v24, v[9:10]
	flat_load_u16 v25, v[11:12]
	s_wait_loadcnt_dscnt 0x101
	v_lshlrev_b32_e32 v24, 16, v24
	s_wait_loadcnt_dscnt 0x0
	v_lshlrev_b32_e32 v25, 16, v25
	s_delay_alu instid0(VALU_DEP_1) | instskip(NEXT) | instid1(VALU_DEP_1)
	v_mul_f32_e32 v24, v25, v24
	v_and_b32_e32 v25, 0x7f800000, v24
	s_delay_alu instid0(VALU_DEP_1)
	v_cmp_ne_u32_e32 vcc_lo, 0x7f800000, v25
                                        ; implicit-def: $vgpr25
	s_and_saveexec_b32 s5, vcc_lo
	s_wait_alu 0xfffe
	s_xor_b32 s5, exec_lo, s5
; %bb.29:                               ;   in Loop: Header=BB693_28 Depth=2
	v_bfe_u32 v25, v24, 16, 1
	s_delay_alu instid0(VALU_DEP_1)
	v_add3_u32 v25, v24, v25, 0x7fff
                                        ; implicit-def: $vgpr24
; %bb.30:                               ;   in Loop: Header=BB693_28 Depth=2
	s_wait_alu 0xfffe
	s_and_not1_saveexec_b32 s5, s5
	s_cbranch_execz .LBB693_27
; %bb.31:                               ;   in Loop: Header=BB693_28 Depth=2
	v_and_b32_e32 v25, 0xffff, v24
	v_or_b32_e32 v26, 0x10000, v24
	s_delay_alu instid0(VALU_DEP_2) | instskip(SKIP_1) | instid1(VALU_DEP_2)
	v_cmp_eq_u32_e32 vcc_lo, 0, v25
	s_wait_alu 0xfffd
	v_cndmask_b32_e32 v25, v26, v24, vcc_lo
	s_branch .LBB693_27
.LBB693_32:                             ;   in Loop: Header=BB693_4 Depth=1
	ds_load_b32 v10, v15
	s_wait_alu 0xfffe
	s_or_b32 exec_lo, exec_lo, s5
	s_and_saveexec_b32 s5, s1
	s_cbranch_execz .LBB693_25
.LBB693_33:                             ;   in Loop: Header=BB693_4 Depth=1
	s_wait_dscnt 0x0
	ds_bpermute_b32 v9, v18, v10
	s_wait_dscnt 0x0
	v_add_f32_e32 v9, v10, v9
	ds_bpermute_b32 v5, v5, v9
	s_wait_dscnt 0x0
	v_add_f32_e32 v5, v9, v5
	;; [unrolled: 3-line block ×5, first 2 shown]
	s_wait_alu 0xfffe
	s_or_b32 exec_lo, exec_lo, s5
                                        ; implicit-def: $vgpr9
	s_and_saveexec_b32 s5, s0
	s_cbranch_execz .LBB693_37
.LBB693_34:                             ;   in Loop: Header=BB693_4 Depth=1
	s_wait_dscnt 0x0
	v_mul_f32_e32 v9, v19, v10
	s_cmp_eq_f32 s31, 0
	s_cbranch_scc1 .LBB693_36
; %bb.35:                               ;   in Loop: Header=BB693_4 Depth=1
	v_add_co_u32 v5, vcc_lo, v20, s36
	s_wait_alu 0xfffd
	v_add_co_ci_u32_e64 v6, null, s37, v21, vcc_lo
	flat_load_b32 v5, v[5:6]
	s_wait_loadcnt_dscnt 0x0
	v_fmac_f32_e32 v9, s31, v5
.LBB693_36:                             ;   in Loop: Header=BB693_4 Depth=1
	s_wait_alu 0xfffe
	s_or_b32 s6, s6, exec_lo
.LBB693_37:                             ;   in Loop: Header=BB693_4 Depth=1
	s_wait_alu 0xfffe
	s_or_b32 exec_lo, exec_lo, s5
.LBB693_38:                             ;   in Loop: Header=BB693_4 Depth=1
	s_wait_alu 0xfffe
	s_and_saveexec_b32 s5, s6
	s_cbranch_execz .LBB693_2
; %bb.39:                               ;   in Loop: Header=BB693_4 Depth=1
	v_add_co_u32 v5, vcc_lo, v20, s36
	s_wait_alu 0xfffd
	v_add_co_ci_u32_e64 v6, null, s37, v21, vcc_lo
	flat_store_b32 v[5:6], v9
	s_branch .LBB693_2
.LBB693_40:                             ;   in Loop: Header=BB693_4 Depth=1
	s_or_b32 exec_lo, exec_lo, s42
	s_delay_alu instid0(SALU_CYCLE_1)
	s_or_b32 exec_lo, exec_lo, s33
	s_and_saveexec_b32 s5, s4
	s_cbranch_execz .LBB693_19
.LBB693_41:                             ;   in Loop: Header=BB693_4 Depth=1
	v_add_co_u32 v5, vcc_lo, v5, v3
	s_wait_alu 0xfffd
	v_add_co_ci_u32_e64 v6, null, v6, v4, vcc_lo
	v_add_co_u32 v7, vcc_lo, v7, s40
	s_wait_alu 0xfffd
	v_add_co_ci_u32_e64 v8, null, s41, v8, vcc_lo
	flat_load_u16 v5, v[5:6]
	flat_load_u16 v6, v[7:8]
	s_wait_loadcnt_dscnt 0x101
	v_lshlrev_b32_e32 v5, 16, v5
	s_wait_loadcnt_dscnt 0x0
	v_lshlrev_b32_e32 v6, 16, v6
	s_delay_alu instid0(VALU_DEP_1) | instskip(NEXT) | instid1(VALU_DEP_1)
	v_mul_f32_e32 v5, v6, v5
	v_and_b32_e32 v6, 0x7f800000, v5
	s_delay_alu instid0(VALU_DEP_1) | instskip(SKIP_1) | instid1(SALU_CYCLE_1)
	v_cmp_ne_u32_e32 vcc_lo, 0x7f800000, v6
                                        ; implicit-def: $vgpr6
	s_and_saveexec_b32 s33, vcc_lo
	s_xor_b32 s33, exec_lo, s33
; %bb.42:                               ;   in Loop: Header=BB693_4 Depth=1
	v_bfe_u32 v6, v5, 16, 1
	s_delay_alu instid0(VALU_DEP_1)
	v_add3_u32 v6, v5, v6, 0x7fff
                                        ; implicit-def: $vgpr5
; %bb.43:                               ;   in Loop: Header=BB693_4 Depth=1
	s_and_not1_saveexec_b32 s33, s33
; %bb.44:                               ;   in Loop: Header=BB693_4 Depth=1
	v_and_b32_e32 v6, 0xffff, v5
	v_or_b32_e32 v7, 0x10000, v5
	s_delay_alu instid0(VALU_DEP_2) | instskip(SKIP_1) | instid1(VALU_DEP_2)
	v_cmp_eq_u32_e32 vcc_lo, 0, v6
	s_wait_alu 0xfffd
	v_cndmask_b32_e32 v6, v7, v5, vcc_lo
; %bb.45:                               ;   in Loop: Header=BB693_4 Depth=1
	s_or_b32 exec_lo, exec_lo, s33
	s_delay_alu instid0(VALU_DEP_1) | instskip(NEXT) | instid1(VALU_DEP_1)
	v_and_b32_e32 v5, 0xffff0000, v6
	v_add_f32_e32 v22, v22, v5
	s_wait_alu 0xfffe
	s_or_b32 exec_lo, exec_lo, s5
	s_and_saveexec_b32 s5, s1
	s_cbranch_execnz .LBB693_20
	s_branch .LBB693_21
.LBB693_46:
	s_endpgm
	.section	.rodata,"a",@progbits
	.p2align	6, 0x0
	.amdhsa_kernel _ZL32rocblas_gemvt_warp_reduce_kernelILb1ELi1024ElPK16rocblas_bfloat16PKfKPfEviiT3_lPKT2_lT1_lSA_lSB_lS7_lPT4_lSB_li
		.amdhsa_group_segment_fixed_size 128
		.amdhsa_private_segment_fixed_size 0
		.amdhsa_kernarg_size 140
		.amdhsa_user_sgpr_count 2
		.amdhsa_user_sgpr_dispatch_ptr 0
		.amdhsa_user_sgpr_queue_ptr 0
		.amdhsa_user_sgpr_kernarg_segment_ptr 1
		.amdhsa_user_sgpr_dispatch_id 0
		.amdhsa_user_sgpr_private_segment_size 0
		.amdhsa_wavefront_size32 1
		.amdhsa_uses_dynamic_stack 0
		.amdhsa_enable_private_segment 0
		.amdhsa_system_sgpr_workgroup_id_x 1
		.amdhsa_system_sgpr_workgroup_id_y 0
		.amdhsa_system_sgpr_workgroup_id_z 1
		.amdhsa_system_sgpr_workgroup_info 0
		.amdhsa_system_vgpr_workitem_id 0
		.amdhsa_next_free_vgpr 27
		.amdhsa_next_free_sgpr 46
		.amdhsa_reserve_vcc 1
		.amdhsa_float_round_mode_32 0
		.amdhsa_float_round_mode_16_64 0
		.amdhsa_float_denorm_mode_32 3
		.amdhsa_float_denorm_mode_16_64 3
		.amdhsa_fp16_overflow 0
		.amdhsa_workgroup_processor_mode 1
		.amdhsa_memory_ordered 1
		.amdhsa_forward_progress 1
		.amdhsa_inst_pref_size 16
		.amdhsa_round_robin_scheduling 0
		.amdhsa_exception_fp_ieee_invalid_op 0
		.amdhsa_exception_fp_denorm_src 0
		.amdhsa_exception_fp_ieee_div_zero 0
		.amdhsa_exception_fp_ieee_overflow 0
		.amdhsa_exception_fp_ieee_underflow 0
		.amdhsa_exception_fp_ieee_inexact 0
		.amdhsa_exception_int_div_zero 0
	.end_amdhsa_kernel
	.section	.text._ZL32rocblas_gemvt_warp_reduce_kernelILb1ELi1024ElPK16rocblas_bfloat16PKfKPfEviiT3_lPKT2_lT1_lSA_lSB_lS7_lPT4_lSB_li,"axG",@progbits,_ZL32rocblas_gemvt_warp_reduce_kernelILb1ELi1024ElPK16rocblas_bfloat16PKfKPfEviiT3_lPKT2_lT1_lSA_lSB_lS7_lPT4_lSB_li,comdat
.Lfunc_end693:
	.size	_ZL32rocblas_gemvt_warp_reduce_kernelILb1ELi1024ElPK16rocblas_bfloat16PKfKPfEviiT3_lPKT2_lT1_lSA_lSB_lS7_lPT4_lSB_li, .Lfunc_end693-_ZL32rocblas_gemvt_warp_reduce_kernelILb1ELi1024ElPK16rocblas_bfloat16PKfKPfEviiT3_lPKT2_lT1_lSA_lSB_lS7_lPT4_lSB_li
                                        ; -- End function
	.set _ZL32rocblas_gemvt_warp_reduce_kernelILb1ELi1024ElPK16rocblas_bfloat16PKfKPfEviiT3_lPKT2_lT1_lSA_lSB_lS7_lPT4_lSB_li.num_vgpr, 27
	.set _ZL32rocblas_gemvt_warp_reduce_kernelILb1ELi1024ElPK16rocblas_bfloat16PKfKPfEviiT3_lPKT2_lT1_lSA_lSB_lS7_lPT4_lSB_li.num_agpr, 0
	.set _ZL32rocblas_gemvt_warp_reduce_kernelILb1ELi1024ElPK16rocblas_bfloat16PKfKPfEviiT3_lPKT2_lT1_lSA_lSB_lS7_lPT4_lSB_li.numbered_sgpr, 46
	.set _ZL32rocblas_gemvt_warp_reduce_kernelILb1ELi1024ElPK16rocblas_bfloat16PKfKPfEviiT3_lPKT2_lT1_lSA_lSB_lS7_lPT4_lSB_li.num_named_barrier, 0
	.set _ZL32rocblas_gemvt_warp_reduce_kernelILb1ELi1024ElPK16rocblas_bfloat16PKfKPfEviiT3_lPKT2_lT1_lSA_lSB_lS7_lPT4_lSB_li.private_seg_size, 0
	.set _ZL32rocblas_gemvt_warp_reduce_kernelILb1ELi1024ElPK16rocblas_bfloat16PKfKPfEviiT3_lPKT2_lT1_lSA_lSB_lS7_lPT4_lSB_li.uses_vcc, 1
	.set _ZL32rocblas_gemvt_warp_reduce_kernelILb1ELi1024ElPK16rocblas_bfloat16PKfKPfEviiT3_lPKT2_lT1_lSA_lSB_lS7_lPT4_lSB_li.uses_flat_scratch, 0
	.set _ZL32rocblas_gemvt_warp_reduce_kernelILb1ELi1024ElPK16rocblas_bfloat16PKfKPfEviiT3_lPKT2_lT1_lSA_lSB_lS7_lPT4_lSB_li.has_dyn_sized_stack, 0
	.set _ZL32rocblas_gemvt_warp_reduce_kernelILb1ELi1024ElPK16rocblas_bfloat16PKfKPfEviiT3_lPKT2_lT1_lSA_lSB_lS7_lPT4_lSB_li.has_recursion, 0
	.set _ZL32rocblas_gemvt_warp_reduce_kernelILb1ELi1024ElPK16rocblas_bfloat16PKfKPfEviiT3_lPKT2_lT1_lSA_lSB_lS7_lPT4_lSB_li.has_indirect_call, 0
	.section	.AMDGPU.csdata,"",@progbits
; Kernel info:
; codeLenInByte = 1948
; TotalNumSgprs: 48
; NumVgprs: 27
; ScratchSize: 0
; MemoryBound: 0
; FloatMode: 240
; IeeeMode: 1
; LDSByteSize: 128 bytes/workgroup (compile time only)
; SGPRBlocks: 0
; VGPRBlocks: 3
; NumSGPRsForWavesPerEU: 48
; NumVGPRsForWavesPerEU: 27
; Occupancy: 16
; WaveLimiterHint : 1
; COMPUTE_PGM_RSRC2:SCRATCH_EN: 0
; COMPUTE_PGM_RSRC2:USER_SGPR: 2
; COMPUTE_PGM_RSRC2:TRAP_HANDLER: 0
; COMPUTE_PGM_RSRC2:TGID_X_EN: 1
; COMPUTE_PGM_RSRC2:TGID_Y_EN: 0
; COMPUTE_PGM_RSRC2:TGID_Z_EN: 1
; COMPUTE_PGM_RSRC2:TIDIG_COMP_CNT: 0
	.section	.text._ZL32rocblas_gemvt_warp_reduce_kernelILb1ELi1024EiPK16rocblas_bfloat16fKPfEviiT3_lPKT2_lT1_lS8_lS9_lS5_lPT4_lS9_li,"axG",@progbits,_ZL32rocblas_gemvt_warp_reduce_kernelILb1ELi1024EiPK16rocblas_bfloat16fKPfEviiT3_lPKT2_lT1_lS8_lS9_lS5_lPT4_lS9_li,comdat
	.globl	_ZL32rocblas_gemvt_warp_reduce_kernelILb1ELi1024EiPK16rocblas_bfloat16fKPfEviiT3_lPKT2_lT1_lS8_lS9_lS5_lPT4_lS9_li ; -- Begin function _ZL32rocblas_gemvt_warp_reduce_kernelILb1ELi1024EiPK16rocblas_bfloat16fKPfEviiT3_lPKT2_lT1_lS8_lS9_lS5_lPT4_lS9_li
	.p2align	8
	.type	_ZL32rocblas_gemvt_warp_reduce_kernelILb1ELi1024EiPK16rocblas_bfloat16fKPfEviiT3_lPKT2_lT1_lS8_lS9_lS5_lPT4_lS9_li,@function
_ZL32rocblas_gemvt_warp_reduce_kernelILb1ELi1024EiPK16rocblas_bfloat16fKPfEviiT3_lPKT2_lT1_lS8_lS9_lS5_lPT4_lS9_li: ; @_ZL32rocblas_gemvt_warp_reduce_kernelILb1ELi1024EiPK16rocblas_bfloat16fKPfEviiT3_lPKT2_lT1_lS8_lS9_lS5_lPT4_lS9_li
; %bb.0:
	s_load_b32 s28, s[0:1], 0x88
	s_lshr_b32 s6, ttmp7, 16
	s_wait_kmcnt 0x0
	s_cmp_ge_u32 s6, s28
	s_cbranch_scc1 .LBB694_49
; %bb.1:
	s_clause 0x8
	s_load_b32 s29, s[0:1], 0x8
	s_load_b32 s30, s[0:1], 0x58
	s_load_b128 s[8:11], s[0:1], 0x18
	s_load_b32 s3, s[0:1], 0x28
	s_load_b32 s4, s[0:1], 0x0
	s_load_b128 s[12:15], s[0:1], 0x38
	s_load_b32 s5, s[0:1], 0x48
	s_load_b128 s[16:19], s[0:1], 0x68
	s_load_b32 s20, s[0:1], 0x78
	v_lshrrev_b32_e32 v2, 3, v0
	v_mov_b32_e32 v11, 0
	v_and_b32_e32 v1, 31, v0
	v_mbcnt_lo_u32_b32 v16, -1, 0
	v_cmp_eq_u32_e64 s0, 0, v0
	v_and_b32_e32 v14, 0x7c, v2
	s_mov_b32 s7, 0
	v_lshlrev_b32_e32 v13, 2, v1
	v_lshl_or_b32 v18, v16, 2, 64
	s_wait_kmcnt 0x0
	s_cmp_eq_f32 s29, 0
	v_cmp_gt_i32_e32 vcc_lo, s4, v0
	s_mul_i32 s24, s3, ttmp9
	s_cselect_b32 s31, -1, 0
	s_cmp_neq_f32 s30, 1.0
	s_mul_i32 s22, s20, ttmp9
	v_cndmask_b32_e32 v3, 0, v0, vcc_lo
	v_mul_lo_u32 v15, v0, s5
	s_cselect_b32 s1, -1, 0
	s_cmp_neq_f32 s29, 0
	s_delay_alu instid0(VALU_DEP_2) | instskip(SKIP_1) | instid1(SALU_CYCLE_1)
	v_lshlrev_b32_e32 v17, 1, v3
	s_cselect_b32 s2, -1, 0
	s_or_b32 s33, s2, s1
	s_cmp_neq_f32 s30, 0
	v_cndmask_b32_e64 v12, 0, 1, s2
	v_cmp_eq_u32_e64 s2, 0, v1
	v_cmp_gt_u32_e64 s1, 32, v0
	s_cselect_b32 s34, -1, 0
	s_ashr_i32 s21, s4, 31
	s_ashr_i32 s23, s22, 31
	s_lshr_b32 s21, s21, 22
	s_ashr_i32 s25, s24, 31
	s_add_co_i32 s21, s4, s21
	s_lshl_b32 s35, s5, 10
	s_and_b32 s20, s21, 0xfffffc00
	s_lshl_b64 s[10:11], s[10:11], 1
	v_or_b32_e32 v2, s20, v0
	v_cmp_gt_i32_e64 s3, s20, v0
	s_ashr_i32 s21, s20, 31
	s_lshl_b64 s[14:15], s[14:15], 1
	s_lshl_b64 s[18:19], s[18:19], 2
	v_mul_lo_u32 v1, s5, v2
	v_cmp_gt_i32_e64 s4, s4, v2
	s_lshl_b64 s[22:23], s[22:23], 2
	s_lshl_b64 s[24:25], s[24:25], 1
	s_wait_alu 0xfffe
	s_lshl_b64 s[26:27], s[20:21], 1
	v_ashrrev_i32_e32 v2, 31, v1
	s_delay_alu instid0(VALU_DEP_1)
	v_lshlrev_b64_e32 v[1:2], 1, v[1:2]
	s_branch .LBB694_4
.LBB694_2:                              ;   in Loop: Header=BB694_4 Depth=1
	s_wait_alu 0xfffe
	s_or_b32 exec_lo, exec_lo, s5
.LBB694_3:                              ;   in Loop: Header=BB694_4 Depth=1
	s_add_co_i32 s6, s6, 0x10000
	s_delay_alu instid0(SALU_CYCLE_1)
	s_cmp_lt_u32 s6, s28
	s_cbranch_scc0 .LBB694_49
.LBB694_4:                              ; =>This Loop Header: Depth=1
                                        ;     Child Loop BB694_31 Depth 2
	s_and_not1_b32 vcc_lo, exec_lo, s33
	s_wait_alu 0xfffe
	s_cbranch_vccnz .LBB694_3
; %bb.5:                                ;   in Loop: Header=BB694_4 Depth=1
	s_and_not1_b32 vcc_lo, exec_lo, s31
	s_wait_alu 0xfffe
	s_cbranch_vccnz .LBB694_7
; %bb.6:                                ;   in Loop: Header=BB694_4 Depth=1
	s_mov_b32 s5, 0
	s_branch .LBB694_8
.LBB694_7:                              ;   in Loop: Header=BB694_4 Depth=1
	s_mov_b32 s5, -1
.LBB694_8:                              ;   in Loop: Header=BB694_4 Depth=1
	v_mov_b32_e32 v3, 0
	v_dual_mov_b32 v4, 0 :: v_dual_mov_b32 v5, 0
	v_mov_b32_e32 v6, 0
	s_wait_alu 0xfffe
	s_and_not1_b32 vcc_lo, exec_lo, s5
	s_wait_alu 0xfffe
	s_cbranch_vccnz .LBB694_10
; %bb.9:                                ;   in Loop: Header=BB694_4 Depth=1
	s_lshl_b64 s[36:37], s[6:7], 3
	s_delay_alu instid0(SALU_CYCLE_1)
	s_add_nc_u64 s[36:37], s[8:9], s[36:37]
	global_load_b64 v[5:6], v11, s[36:37]
	s_wait_loadcnt 0x0
	v_add_co_u32 v5, vcc_lo, v5, s10
	s_wait_alu 0xfffd
	v_add_co_ci_u32_e64 v6, null, s11, v6, vcc_lo
.LBB694_10:                             ;   in Loop: Header=BB694_4 Depth=1
	v_cmp_ne_u32_e32 vcc_lo, 1, v12
	s_cbranch_vccnz .LBB694_12
; %bb.11:                               ;   in Loop: Header=BB694_4 Depth=1
	s_lshl_b64 s[36:37], s[6:7], 3
	s_delay_alu instid0(SALU_CYCLE_1)
	s_add_nc_u64 s[36:37], s[12:13], s[36:37]
	global_load_b64 v[3:4], v11, s[36:37]
	s_wait_loadcnt 0x0
	v_add_co_u32 v3, vcc_lo, v3, s14
	s_wait_alu 0xfffd
	v_add_co_ci_u32_e64 v4, null, s15, v4, vcc_lo
.LBB694_12:                             ;   in Loop: Header=BB694_4 Depth=1
	s_lshl_b64 s[36:37], s[6:7], 3
	s_delay_alu instid0(SALU_CYCLE_1)
	s_add_nc_u64 s[36:37], s[16:17], s[36:37]
	s_wait_dscnt 0x0
	global_load_b64 v[7:8], v11, s[36:37]
	s_wait_loadcnt 0x0
	v_add_co_u32 v19, vcc_lo, v7, s18
	s_wait_alu 0xfffd
	v_add_co_ci_u32_e64 v20, null, s19, v8, vcc_lo
	s_and_not1_b32 vcc_lo, exec_lo, s31
	s_wait_alu 0xfffe
	s_cbranch_vccnz .LBB694_16
; %bb.13:                               ;   in Loop: Header=BB694_4 Depth=1
	s_mov_b32 s5, 0
	s_mov_b32 s21, 0
                                        ; implicit-def: $vgpr7
	s_and_saveexec_b32 s36, s0
	s_cbranch_execz .LBB694_17
; %bb.14:                               ;   in Loop: Header=BB694_4 Depth=1
	s_and_not1_b32 vcc_lo, exec_lo, s34
	s_wait_alu 0xfffe
	s_cbranch_vccnz .LBB694_18
; %bb.15:                               ;   in Loop: Header=BB694_4 Depth=1
	v_add_co_u32 v7, vcc_lo, v19, s22
	s_wait_alu 0xfffd
	v_add_co_ci_u32_e64 v8, null, s23, v20, vcc_lo
	flat_load_b32 v7, v[7:8]
	s_wait_loadcnt_dscnt 0x0
	v_mul_f32_e32 v7, s30, v7
	s_branch .LBB694_19
.LBB694_16:                             ;   in Loop: Header=BB694_4 Depth=1
	s_mov_b32 s21, 0
                                        ; implicit-def: $vgpr7
	s_cbranch_execnz .LBB694_20
	s_branch .LBB694_41
.LBB694_17:                             ;   in Loop: Header=BB694_4 Depth=1
	s_or_b32 exec_lo, exec_lo, s36
	s_wait_alu 0xfffe
	s_and_b32 vcc_lo, exec_lo, s5
	s_wait_alu 0xfffe
	s_cbranch_vccnz .LBB694_20
	s_branch .LBB694_41
.LBB694_18:                             ;   in Loop: Header=BB694_4 Depth=1
	v_mov_b32_e32 v7, 0
.LBB694_19:                             ;   in Loop: Header=BB694_4 Depth=1
	s_mov_b32 s21, exec_lo
	s_or_b32 exec_lo, exec_lo, s36
	s_delay_alu instid0(SALU_CYCLE_1)
	s_and_b32 vcc_lo, exec_lo, s5
	s_wait_alu 0xfffe
	s_cbranch_vccz .LBB694_41
.LBB694_20:                             ;   in Loop: Header=BB694_4 Depth=1
	v_add_co_u32 v5, vcc_lo, v5, v17
	s_wait_alu 0xfffd
	v_add_co_ci_u32_e64 v6, null, 0, v6, vcc_lo
	v_mov_b32_e32 v21, 0
	s_delay_alu instid0(VALU_DEP_3) | instskip(SKIP_1) | instid1(VALU_DEP_3)
	v_add_co_u32 v5, vcc_lo, v5, s24
	s_wait_alu 0xfffd
	v_add_co_ci_u32_e64 v6, null, s25, v6, vcc_lo
	s_and_saveexec_b32 s36, s3
	s_cbranch_execnz .LBB694_29
; %bb.21:                               ;   in Loop: Header=BB694_4 Depth=1
	s_or_b32 exec_lo, exec_lo, s36
	s_and_saveexec_b32 s5, s4
	s_cbranch_execnz .LBB694_44
.LBB694_22:                             ;   in Loop: Header=BB694_4 Depth=1
	s_wait_alu 0xfffe
	s_or_b32 exec_lo, exec_lo, s5
	s_and_saveexec_b32 s5, s1
.LBB694_23:                             ;   in Loop: Header=BB694_4 Depth=1
	ds_store_b32 v13, v11
.LBB694_24:                             ;   in Loop: Header=BB694_4 Depth=1
	s_wait_alu 0xfffe
	s_or_b32 exec_lo, exec_lo, s5
	ds_bpermute_b32 v4, v18, v21
	v_cmp_gt_u32_e32 vcc_lo, 24, v16
	s_wait_dscnt 0x0
	s_barrier_signal -1
	s_barrier_wait -1
	global_inv scope:SCOPE_SE
	s_wait_alu 0xfffd
	v_cndmask_b32_e64 v3, 0, 8, vcc_lo
	v_cmp_gt_u32_e32 vcc_lo, 28, v16
	s_delay_alu instid0(VALU_DEP_2)
	v_add_lshl_u32 v3, v3, v16, 2
	v_add_f32_e32 v5, v21, v4
	s_wait_alu 0xfffd
	v_cndmask_b32_e64 v4, 0, 4, vcc_lo
	v_cmp_gt_u32_e32 vcc_lo, 30, v16
	ds_bpermute_b32 v6, v3, v5
	v_add_lshl_u32 v4, v4, v16, 2
	s_wait_dscnt 0x0
	v_add_f32_e32 v6, v5, v6
	s_wait_alu 0xfffd
	v_cndmask_b32_e64 v5, 0, 2, vcc_lo
	v_cmp_ne_u32_e32 vcc_lo, 31, v16
	ds_bpermute_b32 v7, v4, v6
	v_add_lshl_u32 v5, v5, v16, 2
	s_wait_alu 0xfffd
	v_add_co_ci_u32_e64 v8, null, 0, v16, vcc_lo
	s_wait_dscnt 0x0
	v_add_f32_e32 v6, v6, v7
	ds_bpermute_b32 v7, v5, v6
	s_wait_dscnt 0x0
	v_dual_add_f32 v7, v6, v7 :: v_dual_lshlrev_b32 v6, 2, v8
	ds_bpermute_b32 v8, v6, v7
	s_and_saveexec_b32 s5, s2
	s_cbranch_execz .LBB694_26
; %bb.25:                               ;   in Loop: Header=BB694_4 Depth=1
	s_wait_dscnt 0x0
	v_add_f32_e32 v7, v7, v8
	ds_store_b32 v14, v7
.LBB694_26:                             ;   in Loop: Header=BB694_4 Depth=1
	s_wait_alu 0xfffe
	s_or_b32 exec_lo, exec_lo, s5
	s_wait_dscnt 0x0
	v_mov_b32_e32 v8, 0
	s_wait_loadcnt 0x0
	s_barrier_signal -1
	s_barrier_wait -1
	global_inv scope:SCOPE_SE
	s_and_saveexec_b32 s5, s1
	s_cbranch_execnz .LBB694_35
; %bb.27:                               ;   in Loop: Header=BB694_4 Depth=1
	s_wait_alu 0xfffe
	s_or_b32 exec_lo, exec_lo, s5
	s_and_saveexec_b32 s5, s1
	s_cbranch_execnz .LBB694_36
.LBB694_28:                             ;   in Loop: Header=BB694_4 Depth=1
	s_wait_alu 0xfffe
	s_or_b32 exec_lo, exec_lo, s5
                                        ; implicit-def: $vgpr7
	s_and_saveexec_b32 s5, s0
	s_cbranch_execnz .LBB694_37
	s_branch .LBB694_40
.LBB694_29:                             ;   in Loop: Header=BB694_4 Depth=1
	v_dual_mov_b32 v21, 0 :: v_dual_mov_b32 v8, v6
	v_dual_mov_b32 v7, v5 :: v_dual_mov_b32 v22, v0
	v_mov_b32_e32 v9, v15
	s_mov_b32 s37, 0
	s_branch .LBB694_31
.LBB694_30:                             ;   in Loop: Header=BB694_31 Depth=2
	s_wait_alu 0xfffe
	s_or_b32 exec_lo, exec_lo, s5
	v_add_nc_u32_e32 v22, 0x400, v22
	v_and_b32_e32 v10, 0xffff0000, v23
	v_add_co_u32 v7, s5, 0x800, v7
	v_add_nc_u32_e32 v9, s35, v9
	s_delay_alu instid0(VALU_DEP_4) | instskip(NEXT) | instid1(VALU_DEP_4)
	v_cmp_le_i32_e32 vcc_lo, s20, v22
	v_add_f32_e32 v21, v21, v10
	s_wait_alu 0xf1ff
	v_add_co_ci_u32_e64 v8, null, 0, v8, s5
	s_or_b32 s37, vcc_lo, s37
	s_delay_alu instid0(SALU_CYCLE_1)
	s_and_not1_b32 exec_lo, exec_lo, s37
	s_cbranch_execz .LBB694_43
.LBB694_31:                             ;   Parent Loop BB694_4 Depth=1
                                        ; =>  This Inner Loop Header: Depth=2
	s_delay_alu instid0(VALU_DEP_1) | instskip(NEXT) | instid1(VALU_DEP_1)
	v_ashrrev_i32_e32 v10, 31, v9
	v_lshlrev_b64_e32 v[23:24], 1, v[9:10]
	s_delay_alu instid0(VALU_DEP_1) | instskip(SKIP_1) | instid1(VALU_DEP_2)
	v_add_co_u32 v23, vcc_lo, v3, v23
	s_wait_alu 0xfffd
	v_add_co_ci_u32_e64 v24, null, v4, v24, vcc_lo
	flat_load_u16 v10, v[7:8]
	flat_load_u16 v23, v[23:24]
	s_wait_loadcnt_dscnt 0x101
	v_lshlrev_b32_e32 v10, 16, v10
	s_wait_loadcnt_dscnt 0x0
	v_lshlrev_b32_e32 v23, 16, v23
	s_delay_alu instid0(VALU_DEP_1) | instskip(NEXT) | instid1(VALU_DEP_1)
	v_mul_f32_e32 v10, v10, v23
	v_and_b32_e32 v23, 0x7f800000, v10
	s_delay_alu instid0(VALU_DEP_1)
	v_cmp_ne_u32_e32 vcc_lo, 0x7f800000, v23
                                        ; implicit-def: $vgpr23
	s_and_saveexec_b32 s5, vcc_lo
	s_wait_alu 0xfffe
	s_xor_b32 s5, exec_lo, s5
; %bb.32:                               ;   in Loop: Header=BB694_31 Depth=2
	v_bfe_u32 v23, v10, 16, 1
	s_delay_alu instid0(VALU_DEP_1)
	v_add3_u32 v23, v10, v23, 0x7fff
                                        ; implicit-def: $vgpr10
; %bb.33:                               ;   in Loop: Header=BB694_31 Depth=2
	s_wait_alu 0xfffe
	s_and_not1_saveexec_b32 s5, s5
	s_cbranch_execz .LBB694_30
; %bb.34:                               ;   in Loop: Header=BB694_31 Depth=2
	v_and_b32_e32 v23, 0xffff, v10
	v_or_b32_e32 v24, 0x10000, v10
	s_delay_alu instid0(VALU_DEP_2) | instskip(SKIP_1) | instid1(VALU_DEP_2)
	v_cmp_eq_u32_e32 vcc_lo, 0, v23
	s_wait_alu 0xfffd
	v_cndmask_b32_e32 v23, v24, v10, vcc_lo
	s_branch .LBB694_30
.LBB694_35:                             ;   in Loop: Header=BB694_4 Depth=1
	ds_load_b32 v8, v13
	s_wait_alu 0xfffe
	s_or_b32 exec_lo, exec_lo, s5
	s_and_saveexec_b32 s5, s1
	s_cbranch_execz .LBB694_28
.LBB694_36:                             ;   in Loop: Header=BB694_4 Depth=1
	s_wait_dscnt 0x0
	ds_bpermute_b32 v7, v18, v8
	s_wait_dscnt 0x0
	v_add_f32_e32 v7, v8, v7
	ds_bpermute_b32 v3, v3, v7
	s_wait_dscnt 0x0
	v_add_f32_e32 v3, v7, v3
	;; [unrolled: 3-line block ×5, first 2 shown]
	s_wait_alu 0xfffe
	s_or_b32 exec_lo, exec_lo, s5
                                        ; implicit-def: $vgpr7
	s_and_saveexec_b32 s5, s0
	s_cbranch_execz .LBB694_40
.LBB694_37:                             ;   in Loop: Header=BB694_4 Depth=1
	s_wait_dscnt 0x0
	v_mul_f32_e32 v7, s29, v8
	s_and_not1_b32 vcc_lo, exec_lo, s34
	s_wait_alu 0xfffe
	s_cbranch_vccnz .LBB694_39
; %bb.38:                               ;   in Loop: Header=BB694_4 Depth=1
	v_add_co_u32 v3, vcc_lo, v19, s22
	s_wait_alu 0xfffd
	v_add_co_ci_u32_e64 v4, null, s23, v20, vcc_lo
	flat_load_b32 v3, v[3:4]
	s_wait_loadcnt_dscnt 0x0
	v_fmac_f32_e32 v7, s30, v3
.LBB694_39:                             ;   in Loop: Header=BB694_4 Depth=1
	s_or_b32 s21, s21, exec_lo
.LBB694_40:                             ;   in Loop: Header=BB694_4 Depth=1
	s_wait_alu 0xfffe
	s_or_b32 exec_lo, exec_lo, s5
.LBB694_41:                             ;   in Loop: Header=BB694_4 Depth=1
	s_wait_alu 0xfffe
	s_and_saveexec_b32 s5, s21
	s_cbranch_execz .LBB694_2
; %bb.42:                               ;   in Loop: Header=BB694_4 Depth=1
	v_add_co_u32 v3, vcc_lo, v19, s22
	s_wait_alu 0xfffd
	v_add_co_ci_u32_e64 v4, null, s23, v20, vcc_lo
	flat_store_b32 v[3:4], v7
	s_branch .LBB694_2
.LBB694_43:                             ;   in Loop: Header=BB694_4 Depth=1
	s_or_b32 exec_lo, exec_lo, s37
	s_delay_alu instid0(SALU_CYCLE_1)
	s_or_b32 exec_lo, exec_lo, s36
	s_and_saveexec_b32 s5, s4
	s_cbranch_execz .LBB694_22
.LBB694_44:                             ;   in Loop: Header=BB694_4 Depth=1
	v_add_co_u32 v3, vcc_lo, v3, v1
	s_wait_alu 0xfffd
	v_add_co_ci_u32_e64 v4, null, v4, v2, vcc_lo
	v_add_co_u32 v5, vcc_lo, v5, s26
	s_wait_alu 0xfffd
	v_add_co_ci_u32_e64 v6, null, s27, v6, vcc_lo
	flat_load_u16 v3, v[3:4]
	flat_load_u16 v4, v[5:6]
	s_wait_loadcnt_dscnt 0x101
	v_lshlrev_b32_e32 v3, 16, v3
	s_wait_loadcnt_dscnt 0x0
	v_lshlrev_b32_e32 v4, 16, v4
	s_delay_alu instid0(VALU_DEP_1) | instskip(NEXT) | instid1(VALU_DEP_1)
	v_mul_f32_e32 v3, v4, v3
	v_and_b32_e32 v4, 0x7f800000, v3
	s_delay_alu instid0(VALU_DEP_1) | instskip(SKIP_1) | instid1(SALU_CYCLE_1)
	v_cmp_ne_u32_e32 vcc_lo, 0x7f800000, v4
                                        ; implicit-def: $vgpr4
	s_and_saveexec_b32 s36, vcc_lo
	s_xor_b32 s36, exec_lo, s36
; %bb.45:                               ;   in Loop: Header=BB694_4 Depth=1
	v_bfe_u32 v4, v3, 16, 1
	s_delay_alu instid0(VALU_DEP_1)
	v_add3_u32 v4, v3, v4, 0x7fff
                                        ; implicit-def: $vgpr3
; %bb.46:                               ;   in Loop: Header=BB694_4 Depth=1
	s_and_not1_saveexec_b32 s36, s36
; %bb.47:                               ;   in Loop: Header=BB694_4 Depth=1
	v_and_b32_e32 v4, 0xffff, v3
	v_or_b32_e32 v5, 0x10000, v3
	s_delay_alu instid0(VALU_DEP_2) | instskip(SKIP_1) | instid1(VALU_DEP_2)
	v_cmp_eq_u32_e32 vcc_lo, 0, v4
	s_wait_alu 0xfffd
	v_cndmask_b32_e32 v4, v5, v3, vcc_lo
; %bb.48:                               ;   in Loop: Header=BB694_4 Depth=1
	s_or_b32 exec_lo, exec_lo, s36
	s_delay_alu instid0(VALU_DEP_1) | instskip(NEXT) | instid1(VALU_DEP_1)
	v_and_b32_e32 v3, 0xffff0000, v4
	v_add_f32_e32 v21, v21, v3
	s_wait_alu 0xfffe
	s_or_b32 exec_lo, exec_lo, s5
	s_and_saveexec_b32 s5, s1
	s_cbranch_execnz .LBB694_23
	s_branch .LBB694_24
.LBB694_49:
	s_endpgm
	.section	.rodata,"a",@progbits
	.p2align	6, 0x0
	.amdhsa_kernel _ZL32rocblas_gemvt_warp_reduce_kernelILb1ELi1024EiPK16rocblas_bfloat16fKPfEviiT3_lPKT2_lT1_lS8_lS9_lS5_lPT4_lS9_li
		.amdhsa_group_segment_fixed_size 128
		.amdhsa_private_segment_fixed_size 0
		.amdhsa_kernarg_size 140
		.amdhsa_user_sgpr_count 2
		.amdhsa_user_sgpr_dispatch_ptr 0
		.amdhsa_user_sgpr_queue_ptr 0
		.amdhsa_user_sgpr_kernarg_segment_ptr 1
		.amdhsa_user_sgpr_dispatch_id 0
		.amdhsa_user_sgpr_private_segment_size 0
		.amdhsa_wavefront_size32 1
		.amdhsa_uses_dynamic_stack 0
		.amdhsa_enable_private_segment 0
		.amdhsa_system_sgpr_workgroup_id_x 1
		.amdhsa_system_sgpr_workgroup_id_y 0
		.amdhsa_system_sgpr_workgroup_id_z 1
		.amdhsa_system_sgpr_workgroup_info 0
		.amdhsa_system_vgpr_workitem_id 0
		.amdhsa_next_free_vgpr 25
		.amdhsa_next_free_sgpr 38
		.amdhsa_reserve_vcc 1
		.amdhsa_float_round_mode_32 0
		.amdhsa_float_round_mode_16_64 0
		.amdhsa_float_denorm_mode_32 3
		.amdhsa_float_denorm_mode_16_64 3
		.amdhsa_fp16_overflow 0
		.amdhsa_workgroup_processor_mode 1
		.amdhsa_memory_ordered 1
		.amdhsa_forward_progress 1
		.amdhsa_inst_pref_size 16
		.amdhsa_round_robin_scheduling 0
		.amdhsa_exception_fp_ieee_invalid_op 0
		.amdhsa_exception_fp_denorm_src 0
		.amdhsa_exception_fp_ieee_div_zero 0
		.amdhsa_exception_fp_ieee_overflow 0
		.amdhsa_exception_fp_ieee_underflow 0
		.amdhsa_exception_fp_ieee_inexact 0
		.amdhsa_exception_int_div_zero 0
	.end_amdhsa_kernel
	.section	.text._ZL32rocblas_gemvt_warp_reduce_kernelILb1ELi1024EiPK16rocblas_bfloat16fKPfEviiT3_lPKT2_lT1_lS8_lS9_lS5_lPT4_lS9_li,"axG",@progbits,_ZL32rocblas_gemvt_warp_reduce_kernelILb1ELi1024EiPK16rocblas_bfloat16fKPfEviiT3_lPKT2_lT1_lS8_lS9_lS5_lPT4_lS9_li,comdat
.Lfunc_end694:
	.size	_ZL32rocblas_gemvt_warp_reduce_kernelILb1ELi1024EiPK16rocblas_bfloat16fKPfEviiT3_lPKT2_lT1_lS8_lS9_lS5_lPT4_lS9_li, .Lfunc_end694-_ZL32rocblas_gemvt_warp_reduce_kernelILb1ELi1024EiPK16rocblas_bfloat16fKPfEviiT3_lPKT2_lT1_lS8_lS9_lS5_lPT4_lS9_li
                                        ; -- End function
	.set _ZL32rocblas_gemvt_warp_reduce_kernelILb1ELi1024EiPK16rocblas_bfloat16fKPfEviiT3_lPKT2_lT1_lS8_lS9_lS5_lPT4_lS9_li.num_vgpr, 25
	.set _ZL32rocblas_gemvt_warp_reduce_kernelILb1ELi1024EiPK16rocblas_bfloat16fKPfEviiT3_lPKT2_lT1_lS8_lS9_lS5_lPT4_lS9_li.num_agpr, 0
	.set _ZL32rocblas_gemvt_warp_reduce_kernelILb1ELi1024EiPK16rocblas_bfloat16fKPfEviiT3_lPKT2_lT1_lS8_lS9_lS5_lPT4_lS9_li.numbered_sgpr, 38
	.set _ZL32rocblas_gemvt_warp_reduce_kernelILb1ELi1024EiPK16rocblas_bfloat16fKPfEviiT3_lPKT2_lT1_lS8_lS9_lS5_lPT4_lS9_li.num_named_barrier, 0
	.set _ZL32rocblas_gemvt_warp_reduce_kernelILb1ELi1024EiPK16rocblas_bfloat16fKPfEviiT3_lPKT2_lT1_lS8_lS9_lS5_lPT4_lS9_li.private_seg_size, 0
	.set _ZL32rocblas_gemvt_warp_reduce_kernelILb1ELi1024EiPK16rocblas_bfloat16fKPfEviiT3_lPKT2_lT1_lS8_lS9_lS5_lPT4_lS9_li.uses_vcc, 1
	.set _ZL32rocblas_gemvt_warp_reduce_kernelILb1ELi1024EiPK16rocblas_bfloat16fKPfEviiT3_lPKT2_lT1_lS8_lS9_lS5_lPT4_lS9_li.uses_flat_scratch, 0
	.set _ZL32rocblas_gemvt_warp_reduce_kernelILb1ELi1024EiPK16rocblas_bfloat16fKPfEviiT3_lPKT2_lT1_lS8_lS9_lS5_lPT4_lS9_li.has_dyn_sized_stack, 0
	.set _ZL32rocblas_gemvt_warp_reduce_kernelILb1ELi1024EiPK16rocblas_bfloat16fKPfEviiT3_lPKT2_lT1_lS8_lS9_lS5_lPT4_lS9_li.has_recursion, 0
	.set _ZL32rocblas_gemvt_warp_reduce_kernelILb1ELi1024EiPK16rocblas_bfloat16fKPfEviiT3_lPKT2_lT1_lS8_lS9_lS5_lPT4_lS9_li.has_indirect_call, 0
	.section	.AMDGPU.csdata,"",@progbits
; Kernel info:
; codeLenInByte = 1928
; TotalNumSgprs: 40
; NumVgprs: 25
; ScratchSize: 0
; MemoryBound: 0
; FloatMode: 240
; IeeeMode: 1
; LDSByteSize: 128 bytes/workgroup (compile time only)
; SGPRBlocks: 0
; VGPRBlocks: 3
; NumSGPRsForWavesPerEU: 40
; NumVGPRsForWavesPerEU: 25
; Occupancy: 16
; WaveLimiterHint : 1
; COMPUTE_PGM_RSRC2:SCRATCH_EN: 0
; COMPUTE_PGM_RSRC2:USER_SGPR: 2
; COMPUTE_PGM_RSRC2:TRAP_HANDLER: 0
; COMPUTE_PGM_RSRC2:TGID_X_EN: 1
; COMPUTE_PGM_RSRC2:TGID_Y_EN: 0
; COMPUTE_PGM_RSRC2:TGID_Z_EN: 1
; COMPUTE_PGM_RSRC2:TIDIG_COMP_CNT: 0
	.section	.text._ZL32rocblas_gemvt_warp_reduce_kernelILb1ELi1024ElPK16rocblas_bfloat16fKPfEviiT3_lPKT2_lT1_lS8_lS9_lS5_lPT4_lS9_li,"axG",@progbits,_ZL32rocblas_gemvt_warp_reduce_kernelILb1ELi1024ElPK16rocblas_bfloat16fKPfEviiT3_lPKT2_lT1_lS8_lS9_lS5_lPT4_lS9_li,comdat
	.globl	_ZL32rocblas_gemvt_warp_reduce_kernelILb1ELi1024ElPK16rocblas_bfloat16fKPfEviiT3_lPKT2_lT1_lS8_lS9_lS5_lPT4_lS9_li ; -- Begin function _ZL32rocblas_gemvt_warp_reduce_kernelILb1ELi1024ElPK16rocblas_bfloat16fKPfEviiT3_lPKT2_lT1_lS8_lS9_lS5_lPT4_lS9_li
	.p2align	8
	.type	_ZL32rocblas_gemvt_warp_reduce_kernelILb1ELi1024ElPK16rocblas_bfloat16fKPfEviiT3_lPKT2_lT1_lS8_lS9_lS5_lPT4_lS9_li,@function
_ZL32rocblas_gemvt_warp_reduce_kernelILb1ELi1024ElPK16rocblas_bfloat16fKPfEviiT3_lPKT2_lT1_lS8_lS9_lS5_lPT4_lS9_li: ; @_ZL32rocblas_gemvt_warp_reduce_kernelILb1ELi1024ElPK16rocblas_bfloat16fKPfEviiT3_lPKT2_lT1_lS8_lS9_lS5_lPT4_lS9_li
; %bb.0:
	s_load_b32 s30, s[0:1], 0x88
	s_lshr_b32 s6, ttmp7, 16
	s_wait_kmcnt 0x0
	s_cmp_ge_u32 s6, s30
	s_cbranch_scc1 .LBB695_49
; %bb.1:
	s_clause 0x8
	s_load_b32 s31, s[0:1], 0x8
	s_load_b32 s33, s[0:1], 0x58
	s_load_b64 s[24:25], s[0:1], 0x48
	s_load_b128 s[8:11], s[0:1], 0x38
	s_load_b32 s37, s[0:1], 0x0
	s_load_b128 s[12:15], s[0:1], 0x18
	s_load_b64 s[26:27], s[0:1], 0x28
	s_load_b64 s[28:29], s[0:1], 0x78
	s_load_b128 s[16:19], s[0:1], 0x68
	v_and_b32_e32 v3, 31, v0
	v_lshrrev_b32_e32 v4, 3, v0
	v_mov_b32_e32 v13, 0
	s_mov_b32 s4, ttmp9
	v_mbcnt_lo_u32_b32 v17, -1, 0
	v_lshlrev_b32_e32 v14, 2, v3
	v_and_b32_e32 v16, 0x7c, v4
	v_cmp_eq_u32_e64 s0, 0, v0
	v_cmp_gt_u32_e64 s1, 32, v0
	v_lshl_or_b32 v19, v17, 2, 64
	s_mov_b32 s7, 0
	s_wait_kmcnt 0x0
	s_cmp_eq_f32 s31, 0
	v_mad_co_u64_u32 v[1:2], null, s24, v0, 0
	s_cselect_b32 s34, -1, 0
	s_cmp_neq_f32 s33, 1.0
	v_cmp_gt_i32_e32 vcc_lo, s37, v0
	s_cselect_b32 s2, -1, 0
	s_cmp_neq_f32 s31, 0
	v_cndmask_b32_e32 v5, 0, v0, vcc_lo
	s_cselect_b32 s3, -1, 0
	s_delay_alu instid0(SALU_CYCLE_1)
	s_or_b32 s35, s3, s2
	s_cmp_neq_f32 s33, 0
	v_cndmask_b32_e64 v15, 0, 1, s3
	v_cmp_eq_u32_e64 s2, 0, v3
	v_mad_co_u64_u32 v[2:3], null, s25, v0, v[2:3]
	s_cselect_b32 s36, -1, 0
	s_ashr_i32 s3, s37, 31
	s_ashr_i32 s5, ttmp9, 31
	s_wait_alu 0xfffe
	s_lshr_b32 s3, s3, 22
	s_mul_u64 s[28:29], s[28:29], s[4:5]
	s_wait_alu 0xfffe
	s_add_co_i32 s3, s37, s3
	s_mul_u64 s[26:27], s[26:27], s[4:5]
	s_wait_alu 0xfffe
	s_and_b32 s20, s3, 0xfffffc00
	v_lshlrev_b64_e32 v[1:2], 1, v[1:2]
	v_or_b32_e32 v6, s20, v0
	s_ashr_i32 s21, s20, 31
	v_cmp_gt_i32_e64 s3, s20, v0
	s_wait_alu 0xfffe
	s_mul_i32 s5, s24, s21
	v_lshlrev_b32_e32 v18, 1, v5
	v_mul_lo_u32 v7, s25, v6
	v_mad_co_u64_u32 v[3:4], null, s24, v6, 0
	v_cmp_gt_i32_e64 s4, s37, v6
	s_lshl_b64 s[22:23], s[24:25], 11
	s_lshl_b64 s[14:15], s[14:15], 1
	s_lshl_b64 s[10:11], s[10:11], 1
	s_lshl_b64 s[18:19], s[18:19], 2
	s_lshl_b64 s[24:25], s[28:29], 2
	v_add3_u32 v4, v4, s5, v7
	s_lshl_b64 s[26:27], s[26:27], 1
	s_lshl_b64 s[28:29], s[20:21], 1
	s_delay_alu instid0(VALU_DEP_1)
	v_lshlrev_b64_e32 v[3:4], 1, v[3:4]
	s_branch .LBB695_4
.LBB695_2:                              ;   in Loop: Header=BB695_4 Depth=1
	s_wait_alu 0xfffe
	s_or_b32 exec_lo, exec_lo, s5
.LBB695_3:                              ;   in Loop: Header=BB695_4 Depth=1
	s_add_co_i32 s6, s6, 0x10000
	s_delay_alu instid0(SALU_CYCLE_1)
	s_cmp_lt_u32 s6, s30
	s_cbranch_scc0 .LBB695_49
.LBB695_4:                              ; =>This Loop Header: Depth=1
                                        ;     Child Loop BB695_31 Depth 2
	s_and_not1_b32 vcc_lo, exec_lo, s35
	s_wait_alu 0xfffe
	s_cbranch_vccnz .LBB695_3
; %bb.5:                                ;   in Loop: Header=BB695_4 Depth=1
	s_and_not1_b32 vcc_lo, exec_lo, s34
	s_wait_alu 0xfffe
	s_cbranch_vccnz .LBB695_7
; %bb.6:                                ;   in Loop: Header=BB695_4 Depth=1
	s_mov_b32 s5, 0
	s_branch .LBB695_8
.LBB695_7:                              ;   in Loop: Header=BB695_4 Depth=1
	s_mov_b32 s5, -1
.LBB695_8:                              ;   in Loop: Header=BB695_4 Depth=1
	v_mov_b32_e32 v5, 0
	v_dual_mov_b32 v6, 0 :: v_dual_mov_b32 v7, 0
	v_mov_b32_e32 v8, 0
	s_wait_alu 0xfffe
	s_and_not1_b32 vcc_lo, exec_lo, s5
	s_wait_alu 0xfffe
	s_cbranch_vccnz .LBB695_10
; %bb.9:                                ;   in Loop: Header=BB695_4 Depth=1
	s_lshl_b64 s[38:39], s[6:7], 3
	s_delay_alu instid0(SALU_CYCLE_1)
	s_add_nc_u64 s[38:39], s[12:13], s[38:39]
	global_load_b64 v[7:8], v13, s[38:39]
	s_wait_loadcnt 0x0
	v_add_co_u32 v7, vcc_lo, v7, s14
	s_wait_alu 0xfffd
	v_add_co_ci_u32_e64 v8, null, s15, v8, vcc_lo
.LBB695_10:                             ;   in Loop: Header=BB695_4 Depth=1
	v_cmp_ne_u32_e32 vcc_lo, 1, v15
	s_cbranch_vccnz .LBB695_12
; %bb.11:                               ;   in Loop: Header=BB695_4 Depth=1
	s_lshl_b64 s[38:39], s[6:7], 3
	s_delay_alu instid0(SALU_CYCLE_1)
	s_add_nc_u64 s[38:39], s[8:9], s[38:39]
	global_load_b64 v[5:6], v13, s[38:39]
	s_wait_loadcnt 0x0
	v_add_co_u32 v5, vcc_lo, v5, s10
	s_wait_alu 0xfffd
	v_add_co_ci_u32_e64 v6, null, s11, v6, vcc_lo
.LBB695_12:                             ;   in Loop: Header=BB695_4 Depth=1
	s_lshl_b64 s[38:39], s[6:7], 3
	s_delay_alu instid0(SALU_CYCLE_1)
	s_add_nc_u64 s[38:39], s[16:17], s[38:39]
	s_wait_dscnt 0x0
	global_load_b64 v[9:10], v13, s[38:39]
	s_wait_loadcnt 0x0
	v_add_co_u32 v20, vcc_lo, v9, s18
	s_wait_alu 0xfffd
	v_add_co_ci_u32_e64 v21, null, s19, v10, vcc_lo
	s_and_not1_b32 vcc_lo, exec_lo, s34
	s_wait_alu 0xfffe
	s_cbranch_vccnz .LBB695_16
; %bb.13:                               ;   in Loop: Header=BB695_4 Depth=1
	s_mov_b32 s5, 0
	s_mov_b32 s21, 0
                                        ; implicit-def: $vgpr9
	s_and_saveexec_b32 s37, s0
	s_cbranch_execz .LBB695_17
; %bb.14:                               ;   in Loop: Header=BB695_4 Depth=1
	s_and_not1_b32 vcc_lo, exec_lo, s36
	s_wait_alu 0xfffe
	s_cbranch_vccnz .LBB695_18
; %bb.15:                               ;   in Loop: Header=BB695_4 Depth=1
	v_add_co_u32 v9, vcc_lo, v20, s24
	s_wait_alu 0xfffd
	v_add_co_ci_u32_e64 v10, null, s25, v21, vcc_lo
	flat_load_b32 v9, v[9:10]
	s_wait_loadcnt_dscnt 0x0
	v_mul_f32_e32 v9, s33, v9
	s_branch .LBB695_19
.LBB695_16:                             ;   in Loop: Header=BB695_4 Depth=1
	s_mov_b32 s21, 0
                                        ; implicit-def: $vgpr9
	s_cbranch_execnz .LBB695_20
	s_branch .LBB695_41
.LBB695_17:                             ;   in Loop: Header=BB695_4 Depth=1
	s_wait_alu 0xfffe
	s_or_b32 exec_lo, exec_lo, s37
	s_delay_alu instid0(SALU_CYCLE_1)
	s_and_b32 vcc_lo, exec_lo, s5
	s_wait_alu 0xfffe
	s_cbranch_vccnz .LBB695_20
	s_branch .LBB695_41
.LBB695_18:                             ;   in Loop: Header=BB695_4 Depth=1
	v_mov_b32_e32 v9, 0
.LBB695_19:                             ;   in Loop: Header=BB695_4 Depth=1
	s_mov_b32 s21, exec_lo
	s_or_b32 exec_lo, exec_lo, s37
	s_delay_alu instid0(SALU_CYCLE_1)
	s_and_b32 vcc_lo, exec_lo, s5
	s_wait_alu 0xfffe
	s_cbranch_vccz .LBB695_41
.LBB695_20:                             ;   in Loop: Header=BB695_4 Depth=1
	v_add_co_u32 v7, vcc_lo, v7, v18
	s_wait_alu 0xfffd
	v_add_co_ci_u32_e64 v8, null, 0, v8, vcc_lo
	v_mov_b32_e32 v22, 0
	s_delay_alu instid0(VALU_DEP_3) | instskip(SKIP_1) | instid1(VALU_DEP_3)
	v_add_co_u32 v7, vcc_lo, v7, s26
	s_wait_alu 0xfffd
	v_add_co_ci_u32_e64 v8, null, s27, v8, vcc_lo
	s_and_saveexec_b32 s37, s3
	s_cbranch_execnz .LBB695_29
; %bb.21:                               ;   in Loop: Header=BB695_4 Depth=1
	s_wait_alu 0xfffe
	s_or_b32 exec_lo, exec_lo, s37
	s_and_saveexec_b32 s5, s4
	s_cbranch_execnz .LBB695_44
.LBB695_22:                             ;   in Loop: Header=BB695_4 Depth=1
	s_wait_alu 0xfffe
	s_or_b32 exec_lo, exec_lo, s5
	s_and_saveexec_b32 s5, s1
.LBB695_23:                             ;   in Loop: Header=BB695_4 Depth=1
	ds_store_b32 v14, v13
.LBB695_24:                             ;   in Loop: Header=BB695_4 Depth=1
	s_wait_alu 0xfffe
	s_or_b32 exec_lo, exec_lo, s5
	ds_bpermute_b32 v6, v19, v22
	v_cmp_gt_u32_e32 vcc_lo, 24, v17
	s_wait_dscnt 0x0
	s_barrier_signal -1
	s_barrier_wait -1
	global_inv scope:SCOPE_SE
	s_wait_alu 0xfffd
	v_cndmask_b32_e64 v5, 0, 8, vcc_lo
	v_cmp_gt_u32_e32 vcc_lo, 28, v17
	s_delay_alu instid0(VALU_DEP_2)
	v_add_lshl_u32 v5, v5, v17, 2
	v_add_f32_e32 v7, v22, v6
	s_wait_alu 0xfffd
	v_cndmask_b32_e64 v6, 0, 4, vcc_lo
	v_cmp_gt_u32_e32 vcc_lo, 30, v17
	ds_bpermute_b32 v8, v5, v7
	v_add_lshl_u32 v6, v6, v17, 2
	s_wait_dscnt 0x0
	v_add_f32_e32 v8, v7, v8
	s_wait_alu 0xfffd
	v_cndmask_b32_e64 v7, 0, 2, vcc_lo
	v_cmp_ne_u32_e32 vcc_lo, 31, v17
	ds_bpermute_b32 v9, v6, v8
	v_add_lshl_u32 v7, v7, v17, 2
	s_wait_alu 0xfffd
	v_add_co_ci_u32_e64 v10, null, 0, v17, vcc_lo
	s_wait_dscnt 0x0
	v_add_f32_e32 v8, v8, v9
	ds_bpermute_b32 v9, v7, v8
	s_wait_dscnt 0x0
	v_dual_add_f32 v9, v8, v9 :: v_dual_lshlrev_b32 v8, 2, v10
	ds_bpermute_b32 v10, v8, v9
	s_and_saveexec_b32 s5, s2
	s_cbranch_execz .LBB695_26
; %bb.25:                               ;   in Loop: Header=BB695_4 Depth=1
	s_wait_dscnt 0x0
	v_add_f32_e32 v9, v9, v10
	ds_store_b32 v16, v9
.LBB695_26:                             ;   in Loop: Header=BB695_4 Depth=1
	s_wait_alu 0xfffe
	s_or_b32 exec_lo, exec_lo, s5
	s_wait_dscnt 0x0
	v_mov_b32_e32 v10, 0
	s_wait_loadcnt 0x0
	s_barrier_signal -1
	s_barrier_wait -1
	global_inv scope:SCOPE_SE
	s_and_saveexec_b32 s5, s1
	s_cbranch_execnz .LBB695_35
; %bb.27:                               ;   in Loop: Header=BB695_4 Depth=1
	s_wait_alu 0xfffe
	s_or_b32 exec_lo, exec_lo, s5
	s_and_saveexec_b32 s5, s1
	s_cbranch_execnz .LBB695_36
.LBB695_28:                             ;   in Loop: Header=BB695_4 Depth=1
	s_wait_alu 0xfffe
	s_or_b32 exec_lo, exec_lo, s5
                                        ; implicit-def: $vgpr9
	s_and_saveexec_b32 s5, s0
	s_cbranch_execnz .LBB695_37
	s_branch .LBB695_40
.LBB695_29:                             ;   in Loop: Header=BB695_4 Depth=1
	v_add_co_u32 v9, vcc_lo, v5, v1
	v_dual_mov_b32 v12, v8 :: v_dual_mov_b32 v23, v0
	s_wait_alu 0xfffd
	v_add_co_ci_u32_e64 v10, null, v6, v2, vcc_lo
	v_dual_mov_b32 v22, 0 :: v_dual_mov_b32 v11, v7
	s_mov_b32 s38, 0
	s_branch .LBB695_31
.LBB695_30:                             ;   in Loop: Header=BB695_31 Depth=2
	s_wait_alu 0xfffe
	s_or_b32 exec_lo, exec_lo, s5
	s_delay_alu instid0(VALU_DEP_1)
	v_and_b32_e32 v24, 0xffff0000, v25
	v_add_nc_u32_e32 v23, 0x400, v23
	v_add_co_u32 v11, vcc_lo, 0x800, v11
	s_wait_alu 0xfffd
	v_add_co_ci_u32_e64 v12, null, 0, v12, vcc_lo
	v_add_f32_e32 v22, v22, v24
	v_cmp_le_i32_e32 vcc_lo, s20, v23
	v_add_co_u32 v9, s5, v9, s22
	s_wait_alu 0xf1ff
	v_add_co_ci_u32_e64 v10, null, s23, v10, s5
	s_or_b32 s38, vcc_lo, s38
	s_delay_alu instid0(SALU_CYCLE_1)
	s_and_not1_b32 exec_lo, exec_lo, s38
	s_cbranch_execz .LBB695_43
.LBB695_31:                             ;   Parent Loop BB695_4 Depth=1
                                        ; =>  This Inner Loop Header: Depth=2
	flat_load_u16 v24, v[9:10]
	flat_load_u16 v25, v[11:12]
	s_wait_loadcnt_dscnt 0x101
	v_lshlrev_b32_e32 v24, 16, v24
	s_wait_loadcnt_dscnt 0x0
	v_lshlrev_b32_e32 v25, 16, v25
	s_delay_alu instid0(VALU_DEP_1) | instskip(NEXT) | instid1(VALU_DEP_1)
	v_mul_f32_e32 v24, v25, v24
	v_and_b32_e32 v25, 0x7f800000, v24
	s_delay_alu instid0(VALU_DEP_1)
	v_cmp_ne_u32_e32 vcc_lo, 0x7f800000, v25
                                        ; implicit-def: $vgpr25
	s_and_saveexec_b32 s5, vcc_lo
	s_wait_alu 0xfffe
	s_xor_b32 s5, exec_lo, s5
; %bb.32:                               ;   in Loop: Header=BB695_31 Depth=2
	v_bfe_u32 v25, v24, 16, 1
	s_delay_alu instid0(VALU_DEP_1)
	v_add3_u32 v25, v24, v25, 0x7fff
                                        ; implicit-def: $vgpr24
; %bb.33:                               ;   in Loop: Header=BB695_31 Depth=2
	s_wait_alu 0xfffe
	s_and_not1_saveexec_b32 s5, s5
	s_cbranch_execz .LBB695_30
; %bb.34:                               ;   in Loop: Header=BB695_31 Depth=2
	v_and_b32_e32 v25, 0xffff, v24
	v_or_b32_e32 v26, 0x10000, v24
	s_delay_alu instid0(VALU_DEP_2) | instskip(SKIP_1) | instid1(VALU_DEP_2)
	v_cmp_eq_u32_e32 vcc_lo, 0, v25
	s_wait_alu 0xfffd
	v_cndmask_b32_e32 v25, v26, v24, vcc_lo
	s_branch .LBB695_30
.LBB695_35:                             ;   in Loop: Header=BB695_4 Depth=1
	ds_load_b32 v10, v14
	s_wait_alu 0xfffe
	s_or_b32 exec_lo, exec_lo, s5
	s_and_saveexec_b32 s5, s1
	s_cbranch_execz .LBB695_28
.LBB695_36:                             ;   in Loop: Header=BB695_4 Depth=1
	s_wait_dscnt 0x0
	ds_bpermute_b32 v9, v19, v10
	s_wait_dscnt 0x0
	v_add_f32_e32 v9, v10, v9
	ds_bpermute_b32 v5, v5, v9
	s_wait_dscnt 0x0
	v_add_f32_e32 v5, v9, v5
	;; [unrolled: 3-line block ×5, first 2 shown]
	s_wait_alu 0xfffe
	s_or_b32 exec_lo, exec_lo, s5
                                        ; implicit-def: $vgpr9
	s_and_saveexec_b32 s5, s0
	s_cbranch_execz .LBB695_40
.LBB695_37:                             ;   in Loop: Header=BB695_4 Depth=1
	s_wait_dscnt 0x0
	v_mul_f32_e32 v9, s31, v10
	s_and_not1_b32 vcc_lo, exec_lo, s36
	s_wait_alu 0xfffe
	s_cbranch_vccnz .LBB695_39
; %bb.38:                               ;   in Loop: Header=BB695_4 Depth=1
	v_add_co_u32 v5, vcc_lo, v20, s24
	s_wait_alu 0xfffd
	v_add_co_ci_u32_e64 v6, null, s25, v21, vcc_lo
	flat_load_b32 v5, v[5:6]
	s_wait_loadcnt_dscnt 0x0
	v_fmac_f32_e32 v9, s33, v5
.LBB695_39:                             ;   in Loop: Header=BB695_4 Depth=1
	s_or_b32 s21, s21, exec_lo
.LBB695_40:                             ;   in Loop: Header=BB695_4 Depth=1
	s_wait_alu 0xfffe
	s_or_b32 exec_lo, exec_lo, s5
.LBB695_41:                             ;   in Loop: Header=BB695_4 Depth=1
	s_wait_alu 0xfffe
	s_and_saveexec_b32 s5, s21
	s_cbranch_execz .LBB695_2
; %bb.42:                               ;   in Loop: Header=BB695_4 Depth=1
	v_add_co_u32 v5, vcc_lo, v20, s24
	s_wait_alu 0xfffd
	v_add_co_ci_u32_e64 v6, null, s25, v21, vcc_lo
	flat_store_b32 v[5:6], v9
	s_branch .LBB695_2
.LBB695_43:                             ;   in Loop: Header=BB695_4 Depth=1
	s_or_b32 exec_lo, exec_lo, s38
	s_delay_alu instid0(SALU_CYCLE_1)
	s_or_b32 exec_lo, exec_lo, s37
	s_and_saveexec_b32 s5, s4
	s_cbranch_execz .LBB695_22
.LBB695_44:                             ;   in Loop: Header=BB695_4 Depth=1
	v_add_co_u32 v5, vcc_lo, v5, v3
	s_wait_alu 0xfffd
	v_add_co_ci_u32_e64 v6, null, v6, v4, vcc_lo
	v_add_co_u32 v7, vcc_lo, v7, s28
	s_wait_alu 0xfffd
	v_add_co_ci_u32_e64 v8, null, s29, v8, vcc_lo
	flat_load_u16 v5, v[5:6]
	flat_load_u16 v6, v[7:8]
	s_wait_loadcnt_dscnt 0x101
	v_lshlrev_b32_e32 v5, 16, v5
	s_wait_loadcnt_dscnt 0x0
	v_lshlrev_b32_e32 v6, 16, v6
	s_delay_alu instid0(VALU_DEP_1) | instskip(NEXT) | instid1(VALU_DEP_1)
	v_mul_f32_e32 v5, v6, v5
	v_and_b32_e32 v6, 0x7f800000, v5
	s_delay_alu instid0(VALU_DEP_1)
	v_cmp_ne_u32_e32 vcc_lo, 0x7f800000, v6
                                        ; implicit-def: $vgpr6
	s_and_saveexec_b32 s37, vcc_lo
	s_wait_alu 0xfffe
	s_xor_b32 s37, exec_lo, s37
; %bb.45:                               ;   in Loop: Header=BB695_4 Depth=1
	v_bfe_u32 v6, v5, 16, 1
	s_delay_alu instid0(VALU_DEP_1)
	v_add3_u32 v6, v5, v6, 0x7fff
                                        ; implicit-def: $vgpr5
; %bb.46:                               ;   in Loop: Header=BB695_4 Depth=1
	s_wait_alu 0xfffe
	s_and_not1_saveexec_b32 s37, s37
; %bb.47:                               ;   in Loop: Header=BB695_4 Depth=1
	v_and_b32_e32 v6, 0xffff, v5
	v_or_b32_e32 v7, 0x10000, v5
	s_delay_alu instid0(VALU_DEP_2) | instskip(SKIP_1) | instid1(VALU_DEP_2)
	v_cmp_eq_u32_e32 vcc_lo, 0, v6
	s_wait_alu 0xfffd
	v_cndmask_b32_e32 v6, v7, v5, vcc_lo
; %bb.48:                               ;   in Loop: Header=BB695_4 Depth=1
	s_wait_alu 0xfffe
	s_or_b32 exec_lo, exec_lo, s37
	s_delay_alu instid0(VALU_DEP_1) | instskip(NEXT) | instid1(VALU_DEP_1)
	v_and_b32_e32 v5, 0xffff0000, v6
	v_add_f32_e32 v22, v22, v5
	s_or_b32 exec_lo, exec_lo, s5
	s_and_saveexec_b32 s5, s1
	s_cbranch_execnz .LBB695_23
	s_branch .LBB695_24
.LBB695_49:
	s_endpgm
	.section	.rodata,"a",@progbits
	.p2align	6, 0x0
	.amdhsa_kernel _ZL32rocblas_gemvt_warp_reduce_kernelILb1ELi1024ElPK16rocblas_bfloat16fKPfEviiT3_lPKT2_lT1_lS8_lS9_lS5_lPT4_lS9_li
		.amdhsa_group_segment_fixed_size 128
		.amdhsa_private_segment_fixed_size 0
		.amdhsa_kernarg_size 140
		.amdhsa_user_sgpr_count 2
		.amdhsa_user_sgpr_dispatch_ptr 0
		.amdhsa_user_sgpr_queue_ptr 0
		.amdhsa_user_sgpr_kernarg_segment_ptr 1
		.amdhsa_user_sgpr_dispatch_id 0
		.amdhsa_user_sgpr_private_segment_size 0
		.amdhsa_wavefront_size32 1
		.amdhsa_uses_dynamic_stack 0
		.amdhsa_enable_private_segment 0
		.amdhsa_system_sgpr_workgroup_id_x 1
		.amdhsa_system_sgpr_workgroup_id_y 0
		.amdhsa_system_sgpr_workgroup_id_z 1
		.amdhsa_system_sgpr_workgroup_info 0
		.amdhsa_system_vgpr_workitem_id 0
		.amdhsa_next_free_vgpr 27
		.amdhsa_next_free_sgpr 40
		.amdhsa_reserve_vcc 1
		.amdhsa_float_round_mode_32 0
		.amdhsa_float_round_mode_16_64 0
		.amdhsa_float_denorm_mode_32 3
		.amdhsa_float_denorm_mode_16_64 3
		.amdhsa_fp16_overflow 0
		.amdhsa_workgroup_processor_mode 1
		.amdhsa_memory_ordered 1
		.amdhsa_forward_progress 1
		.amdhsa_inst_pref_size 16
		.amdhsa_round_robin_scheduling 0
		.amdhsa_exception_fp_ieee_invalid_op 0
		.amdhsa_exception_fp_denorm_src 0
		.amdhsa_exception_fp_ieee_div_zero 0
		.amdhsa_exception_fp_ieee_overflow 0
		.amdhsa_exception_fp_ieee_underflow 0
		.amdhsa_exception_fp_ieee_inexact 0
		.amdhsa_exception_int_div_zero 0
	.end_amdhsa_kernel
	.section	.text._ZL32rocblas_gemvt_warp_reduce_kernelILb1ELi1024ElPK16rocblas_bfloat16fKPfEviiT3_lPKT2_lT1_lS8_lS9_lS5_lPT4_lS9_li,"axG",@progbits,_ZL32rocblas_gemvt_warp_reduce_kernelILb1ELi1024ElPK16rocblas_bfloat16fKPfEviiT3_lPKT2_lT1_lS8_lS9_lS5_lPT4_lS9_li,comdat
.Lfunc_end695:
	.size	_ZL32rocblas_gemvt_warp_reduce_kernelILb1ELi1024ElPK16rocblas_bfloat16fKPfEviiT3_lPKT2_lT1_lS8_lS9_lS5_lPT4_lS9_li, .Lfunc_end695-_ZL32rocblas_gemvt_warp_reduce_kernelILb1ELi1024ElPK16rocblas_bfloat16fKPfEviiT3_lPKT2_lT1_lS8_lS9_lS5_lPT4_lS9_li
                                        ; -- End function
	.set _ZL32rocblas_gemvt_warp_reduce_kernelILb1ELi1024ElPK16rocblas_bfloat16fKPfEviiT3_lPKT2_lT1_lS8_lS9_lS5_lPT4_lS9_li.num_vgpr, 27
	.set _ZL32rocblas_gemvt_warp_reduce_kernelILb1ELi1024ElPK16rocblas_bfloat16fKPfEviiT3_lPKT2_lT1_lS8_lS9_lS5_lPT4_lS9_li.num_agpr, 0
	.set _ZL32rocblas_gemvt_warp_reduce_kernelILb1ELi1024ElPK16rocblas_bfloat16fKPfEviiT3_lPKT2_lT1_lS8_lS9_lS5_lPT4_lS9_li.numbered_sgpr, 40
	.set _ZL32rocblas_gemvt_warp_reduce_kernelILb1ELi1024ElPK16rocblas_bfloat16fKPfEviiT3_lPKT2_lT1_lS8_lS9_lS5_lPT4_lS9_li.num_named_barrier, 0
	.set _ZL32rocblas_gemvt_warp_reduce_kernelILb1ELi1024ElPK16rocblas_bfloat16fKPfEviiT3_lPKT2_lT1_lS8_lS9_lS5_lPT4_lS9_li.private_seg_size, 0
	.set _ZL32rocblas_gemvt_warp_reduce_kernelILb1ELi1024ElPK16rocblas_bfloat16fKPfEviiT3_lPKT2_lT1_lS8_lS9_lS5_lPT4_lS9_li.uses_vcc, 1
	.set _ZL32rocblas_gemvt_warp_reduce_kernelILb1ELi1024ElPK16rocblas_bfloat16fKPfEviiT3_lPKT2_lT1_lS8_lS9_lS5_lPT4_lS9_li.uses_flat_scratch, 0
	.set _ZL32rocblas_gemvt_warp_reduce_kernelILb1ELi1024ElPK16rocblas_bfloat16fKPfEviiT3_lPKT2_lT1_lS8_lS9_lS5_lPT4_lS9_li.has_dyn_sized_stack, 0
	.set _ZL32rocblas_gemvt_warp_reduce_kernelILb1ELi1024ElPK16rocblas_bfloat16fKPfEviiT3_lPKT2_lT1_lS8_lS9_lS5_lPT4_lS9_li.has_recursion, 0
	.set _ZL32rocblas_gemvt_warp_reduce_kernelILb1ELi1024ElPK16rocblas_bfloat16fKPfEviiT3_lPKT2_lT1_lS8_lS9_lS5_lPT4_lS9_li.has_indirect_call, 0
	.section	.AMDGPU.csdata,"",@progbits
; Kernel info:
; codeLenInByte = 1980
; TotalNumSgprs: 42
; NumVgprs: 27
; ScratchSize: 0
; MemoryBound: 0
; FloatMode: 240
; IeeeMode: 1
; LDSByteSize: 128 bytes/workgroup (compile time only)
; SGPRBlocks: 0
; VGPRBlocks: 3
; NumSGPRsForWavesPerEU: 42
; NumVGPRsForWavesPerEU: 27
; Occupancy: 16
; WaveLimiterHint : 1
; COMPUTE_PGM_RSRC2:SCRATCH_EN: 0
; COMPUTE_PGM_RSRC2:USER_SGPR: 2
; COMPUTE_PGM_RSRC2:TRAP_HANDLER: 0
; COMPUTE_PGM_RSRC2:TGID_X_EN: 1
; COMPUTE_PGM_RSRC2:TGID_Y_EN: 0
; COMPUTE_PGM_RSRC2:TGID_Z_EN: 1
; COMPUTE_PGM_RSRC2:TIDIG_COMP_CNT: 0
	.section	.AMDGPU.gpr_maximums,"",@progbits
	.set amdgpu.max_num_vgpr, 0
	.set amdgpu.max_num_agpr, 0
	.set amdgpu.max_num_sgpr, 0
	.section	.AMDGPU.csdata,"",@progbits
	.type	__hip_cuid_b10ab391d67d277c,@object ; @__hip_cuid_b10ab391d67d277c
	.section	.bss,"aw",@nobits
	.globl	__hip_cuid_b10ab391d67d277c
__hip_cuid_b10ab391d67d277c:
	.byte	0                               ; 0x0
	.size	__hip_cuid_b10ab391d67d277c, 1

	.ident	"AMD clang version 22.0.0git (https://github.com/RadeonOpenCompute/llvm-project roc-7.2.4 26084 f58b06dce1f9c15707c5f808fd002e18c2accf7e)"
	.section	".note.GNU-stack","",@progbits
	.addrsig
	.addrsig_sym __hip_cuid_b10ab391d67d277c
	.amdgpu_metadata
---
amdhsa.kernels:
  - .args:
      - .offset:         0
        .size:           4
        .value_kind:     by_value
      - .offset:         4
        .size:           4
        .value_kind:     by_value
      - .address_space:  global
        .offset:         8
        .size:           8
        .value_kind:     global_buffer
      - .offset:         16
        .size:           8
        .value_kind:     by_value
      - .address_space:  global
        .offset:         24
        .size:           8
        .value_kind:     global_buffer
      - .offset:         32
        .size:           8
        .value_kind:     by_value
      - .offset:         40
        .size:           4
        .value_kind:     by_value
      - .offset:         48
        .size:           8
        .value_kind:     by_value
      - .address_space:  global
        .offset:         56
        .size:           8
        .value_kind:     global_buffer
      - .offset:         64
        .size:           8
        .value_kind:     by_value
      - .offset:         72
        .size:           4
        .value_kind:     by_value
      - .offset:         80
        .size:           8
        .value_kind:     by_value
      - .address_space:  global
        .offset:         88
        .size:           8
        .value_kind:     global_buffer
      - .offset:         96
        .size:           8
        .value_kind:     by_value
      - .address_space:  global
        .offset:         104
        .size:           8
        .value_kind:     global_buffer
      - .offset:         112
        .size:           8
        .value_kind:     by_value
      - .offset:         120
        .size:           4
        .value_kind:     by_value
      - .offset:         128
        .size:           8
        .value_kind:     by_value
      - .offset:         136
        .size:           4
        .value_kind:     by_value
    .group_segment_fixed_size: 0
    .kernarg_segment_align: 8
    .kernarg_segment_size: 140
    .language:       OpenCL C
    .language_version:
      - 2
      - 0
    .max_flat_workgroup_size: 768
    .name:           _ZL34rocblas_gemvn_sm_mn_batched_kernelILi32ELi24EfPKffEviiT2_lPKT1_lilS5_lilS2_lPT3_lili
    .private_segment_fixed_size: 0
    .sgpr_count:     0
    .sgpr_spill_count: 0
    .symbol:         _ZL34rocblas_gemvn_sm_mn_batched_kernelILi32ELi24EfPKffEviiT2_lPKT1_lilS5_lilS2_lPT3_lili.kd
    .uniform_work_group_size: 1
    .uses_dynamic_stack: false
    .vgpr_count:     0
    .vgpr_spill_count: 0
    .wavefront_size: 32
    .workgroup_processor_mode: 1
  - .args:
      - .offset:         0
        .size:           4
        .value_kind:     by_value
      - .offset:         4
        .size:           4
        .value_kind:     by_value
      - .offset:         8
        .size:           4
        .value_kind:     by_value
      - .offset:         16
        .size:           8
        .value_kind:     by_value
      - .address_space:  global
        .offset:         24
        .size:           8
        .value_kind:     global_buffer
      - .offset:         32
        .size:           8
        .value_kind:     by_value
      - .offset:         40
        .size:           4
        .value_kind:     by_value
      - .offset:         48
        .size:           8
        .value_kind:     by_value
      - .address_space:  global
        .offset:         56
        .size:           8
        .value_kind:     global_buffer
      - .offset:         64
        .size:           8
        .value_kind:     by_value
      - .offset:         72
        .size:           4
        .value_kind:     by_value
      - .offset:         80
        .size:           8
        .value_kind:     by_value
      - .offset:         88
        .size:           4
        .value_kind:     by_value
      - .offset:         96
        .size:           8
        .value_kind:     by_value
      - .address_space:  global
        .offset:         104
        .size:           8
        .value_kind:     global_buffer
      - .offset:         112
        .size:           8
        .value_kind:     by_value
      - .offset:         120
        .size:           4
        .value_kind:     by_value
      - .offset:         128
        .size:           8
        .value_kind:     by_value
      - .offset:         136
        .size:           4
        .value_kind:     by_value
    .group_segment_fixed_size: 0
    .kernarg_segment_align: 8
    .kernarg_segment_size: 140
    .language:       OpenCL C
    .language_version:
      - 2
      - 0
    .max_flat_workgroup_size: 768
    .name:           _ZL34rocblas_gemvn_sm_mn_batched_kernelILi32ELi24EfffEviiT2_lPKT1_lilS3_lilS0_lPT3_lili
    .private_segment_fixed_size: 0
    .sgpr_count:     0
    .sgpr_spill_count: 0
    .symbol:         _ZL34rocblas_gemvn_sm_mn_batched_kernelILi32ELi24EfffEviiT2_lPKT1_lilS3_lilS0_lPT3_lili.kd
    .uniform_work_group_size: 1
    .uses_dynamic_stack: false
    .vgpr_count:     0
    .vgpr_spill_count: 0
    .wavefront_size: 32
    .workgroup_processor_mode: 1
  - .args:
      - .offset:         0
        .size:           4
        .value_kind:     by_value
      - .offset:         4
        .size:           4
        .value_kind:     by_value
      - .address_space:  global
        .offset:         8
        .size:           8
        .value_kind:     global_buffer
      - .offset:         16
        .size:           8
        .value_kind:     by_value
      - .address_space:  global
        .offset:         24
        .size:           8
        .value_kind:     global_buffer
      - .offset:         32
        .size:           8
        .value_kind:     by_value
      - .offset:         40
        .size:           4
        .value_kind:     by_value
      - .offset:         48
        .size:           8
        .value_kind:     by_value
      - .address_space:  global
        .offset:         56
        .size:           8
        .value_kind:     global_buffer
      - .offset:         64
        .size:           8
        .value_kind:     by_value
      - .offset:         72
        .size:           4
        .value_kind:     by_value
      - .offset:         80
        .size:           8
        .value_kind:     by_value
      - .address_space:  global
        .offset:         88
        .size:           8
        .value_kind:     global_buffer
      - .offset:         96
        .size:           8
        .value_kind:     by_value
      - .address_space:  global
        .offset:         104
        .size:           8
        .value_kind:     global_buffer
      - .offset:         112
        .size:           8
        .value_kind:     by_value
      - .offset:         120
        .size:           4
        .value_kind:     by_value
      - .offset:         128
        .size:           8
        .value_kind:     by_value
      - .offset:         136
        .size:           4
        .value_kind:     by_value
      - .offset:         144
        .size:           4
        .value_kind:     hidden_block_count_x
      - .offset:         148
        .size:           4
        .value_kind:     hidden_block_count_y
      - .offset:         152
        .size:           4
        .value_kind:     hidden_block_count_z
      - .offset:         156
        .size:           2
        .value_kind:     hidden_group_size_x
      - .offset:         158
        .size:           2
        .value_kind:     hidden_group_size_y
      - .offset:         160
        .size:           2
        .value_kind:     hidden_group_size_z
      - .offset:         162
        .size:           2
        .value_kind:     hidden_remainder_x
      - .offset:         164
        .size:           2
        .value_kind:     hidden_remainder_y
      - .offset:         166
        .size:           2
        .value_kind:     hidden_remainder_z
      - .offset:         184
        .size:           8
        .value_kind:     hidden_global_offset_x
      - .offset:         192
        .size:           8
        .value_kind:     hidden_global_offset_y
      - .offset:         200
        .size:           8
        .value_kind:     hidden_global_offset_z
      - .offset:         208
        .size:           2
        .value_kind:     hidden_grid_dims
    .group_segment_fixed_size: 4096
    .kernarg_segment_align: 8
    .kernarg_segment_size: 400
    .language:       OpenCL C
    .language_version:
      - 2
      - 0
    .max_flat_workgroup_size: 256
    .name:           _ZL20rocblas_gemvn_kernelILi64ELi4EifPKffEviiT3_lPKT2_lT1_lS5_lS6_lS2_lPT4_lS6_li
    .private_segment_fixed_size: 0
    .sgpr_count:     57
    .sgpr_spill_count: 0
    .symbol:         _ZL20rocblas_gemvn_kernelILi64ELi4EifPKffEviiT3_lPKT2_lT1_lS5_lS6_lS2_lPT4_lS6_li.kd
    .uniform_work_group_size: 1
    .uses_dynamic_stack: false
    .vgpr_count:     53
    .vgpr_spill_count: 0
    .wavefront_size: 32
    .workgroup_processor_mode: 1
  - .args:
      - .offset:         0
        .size:           4
        .value_kind:     by_value
      - .offset:         4
        .size:           4
        .value_kind:     by_value
      - .address_space:  global
        .offset:         8
        .size:           8
        .value_kind:     global_buffer
      - .offset:         16
        .size:           8
        .value_kind:     by_value
      - .address_space:  global
        .offset:         24
        .size:           8
        .value_kind:     global_buffer
      - .offset:         32
        .size:           8
        .value_kind:     by_value
      - .offset:         40
        .size:           8
        .value_kind:     by_value
      - .offset:         48
        .size:           8
        .value_kind:     by_value
      - .address_space:  global
        .offset:         56
        .size:           8
        .value_kind:     global_buffer
      - .offset:         64
        .size:           8
        .value_kind:     by_value
      - .offset:         72
        .size:           8
        .value_kind:     by_value
      - .offset:         80
        .size:           8
        .value_kind:     by_value
      - .address_space:  global
        .offset:         88
        .size:           8
        .value_kind:     global_buffer
      - .offset:         96
        .size:           8
        .value_kind:     by_value
      - .address_space:  global
        .offset:         104
        .size:           8
        .value_kind:     global_buffer
      - .offset:         112
        .size:           8
        .value_kind:     by_value
      - .offset:         120
        .size:           8
        .value_kind:     by_value
      - .offset:         128
        .size:           8
        .value_kind:     by_value
      - .offset:         136
        .size:           4
        .value_kind:     by_value
      - .offset:         144
        .size:           4
        .value_kind:     hidden_block_count_x
      - .offset:         148
        .size:           4
        .value_kind:     hidden_block_count_y
      - .offset:         152
        .size:           4
        .value_kind:     hidden_block_count_z
      - .offset:         156
        .size:           2
        .value_kind:     hidden_group_size_x
      - .offset:         158
        .size:           2
        .value_kind:     hidden_group_size_y
      - .offset:         160
        .size:           2
        .value_kind:     hidden_group_size_z
      - .offset:         162
        .size:           2
        .value_kind:     hidden_remainder_x
      - .offset:         164
        .size:           2
        .value_kind:     hidden_remainder_y
      - .offset:         166
        .size:           2
        .value_kind:     hidden_remainder_z
      - .offset:         184
        .size:           8
        .value_kind:     hidden_global_offset_x
      - .offset:         192
        .size:           8
        .value_kind:     hidden_global_offset_y
      - .offset:         200
        .size:           8
        .value_kind:     hidden_global_offset_z
      - .offset:         208
        .size:           2
        .value_kind:     hidden_grid_dims
    .group_segment_fixed_size: 4096
    .kernarg_segment_align: 8
    .kernarg_segment_size: 400
    .language:       OpenCL C
    .language_version:
      - 2
      - 0
    .max_flat_workgroup_size: 256
    .name:           _ZL20rocblas_gemvn_kernelILi64ELi4ElfPKffEviiT3_lPKT2_lT1_lS5_lS6_lS2_lPT4_lS6_li
    .private_segment_fixed_size: 0
    .sgpr_count:     62
    .sgpr_spill_count: 0
    .symbol:         _ZL20rocblas_gemvn_kernelILi64ELi4ElfPKffEviiT3_lPKT2_lT1_lS5_lS6_lS2_lPT4_lS6_li.kd
    .uniform_work_group_size: 1
    .uses_dynamic_stack: false
    .vgpr_count:     74
    .vgpr_spill_count: 0
    .wavefront_size: 32
    .workgroup_processor_mode: 1
  - .args:
      - .offset:         0
        .size:           4
        .value_kind:     by_value
      - .offset:         4
        .size:           4
        .value_kind:     by_value
      - .offset:         8
        .size:           4
        .value_kind:     by_value
      - .offset:         16
        .size:           8
        .value_kind:     by_value
      - .address_space:  global
        .offset:         24
        .size:           8
        .value_kind:     global_buffer
      - .offset:         32
        .size:           8
        .value_kind:     by_value
      - .offset:         40
        .size:           4
        .value_kind:     by_value
      - .offset:         48
        .size:           8
        .value_kind:     by_value
      - .address_space:  global
        .offset:         56
        .size:           8
        .value_kind:     global_buffer
      - .offset:         64
        .size:           8
        .value_kind:     by_value
      - .offset:         72
        .size:           4
        .value_kind:     by_value
      - .offset:         80
        .size:           8
        .value_kind:     by_value
      - .offset:         88
        .size:           4
        .value_kind:     by_value
      - .offset:         96
        .size:           8
        .value_kind:     by_value
      - .address_space:  global
        .offset:         104
        .size:           8
        .value_kind:     global_buffer
      - .offset:         112
        .size:           8
        .value_kind:     by_value
      - .offset:         120
        .size:           4
        .value_kind:     by_value
      - .offset:         128
        .size:           8
        .value_kind:     by_value
      - .offset:         136
        .size:           4
        .value_kind:     by_value
      - .offset:         144
        .size:           4
        .value_kind:     hidden_block_count_x
      - .offset:         148
        .size:           4
        .value_kind:     hidden_block_count_y
      - .offset:         152
        .size:           4
        .value_kind:     hidden_block_count_z
      - .offset:         156
        .size:           2
        .value_kind:     hidden_group_size_x
      - .offset:         158
        .size:           2
        .value_kind:     hidden_group_size_y
      - .offset:         160
        .size:           2
        .value_kind:     hidden_group_size_z
      - .offset:         162
        .size:           2
        .value_kind:     hidden_remainder_x
      - .offset:         164
        .size:           2
        .value_kind:     hidden_remainder_y
      - .offset:         166
        .size:           2
        .value_kind:     hidden_remainder_z
      - .offset:         184
        .size:           8
        .value_kind:     hidden_global_offset_x
      - .offset:         192
        .size:           8
        .value_kind:     hidden_global_offset_y
      - .offset:         200
        .size:           8
        .value_kind:     hidden_global_offset_z
      - .offset:         208
        .size:           2
        .value_kind:     hidden_grid_dims
    .group_segment_fixed_size: 4096
    .kernarg_segment_align: 8
    .kernarg_segment_size: 400
    .language:       OpenCL C
    .language_version:
      - 2
      - 0
    .max_flat_workgroup_size: 256
    .name:           _ZL20rocblas_gemvn_kernelILi64ELi4EifffEviiT3_lPKT2_lT1_lS3_lS4_lS0_lPT4_lS4_li
    .private_segment_fixed_size: 0
    .sgpr_count:     53
    .sgpr_spill_count: 0
    .symbol:         _ZL20rocblas_gemvn_kernelILi64ELi4EifffEviiT3_lPKT2_lT1_lS3_lS4_lS0_lPT4_lS4_li.kd
    .uniform_work_group_size: 1
    .uses_dynamic_stack: false
    .vgpr_count:     51
    .vgpr_spill_count: 0
    .wavefront_size: 32
    .workgroup_processor_mode: 1
  - .args:
      - .offset:         0
        .size:           4
        .value_kind:     by_value
      - .offset:         4
        .size:           4
        .value_kind:     by_value
      - .offset:         8
        .size:           4
        .value_kind:     by_value
      - .offset:         16
        .size:           8
        .value_kind:     by_value
      - .address_space:  global
        .offset:         24
        .size:           8
        .value_kind:     global_buffer
      - .offset:         32
        .size:           8
        .value_kind:     by_value
      - .offset:         40
        .size:           8
        .value_kind:     by_value
      - .offset:         48
        .size:           8
        .value_kind:     by_value
      - .address_space:  global
        .offset:         56
        .size:           8
        .value_kind:     global_buffer
      - .offset:         64
        .size:           8
        .value_kind:     by_value
      - .offset:         72
        .size:           8
        .value_kind:     by_value
      - .offset:         80
        .size:           8
        .value_kind:     by_value
      - .offset:         88
        .size:           4
        .value_kind:     by_value
      - .offset:         96
        .size:           8
        .value_kind:     by_value
      - .address_space:  global
        .offset:         104
        .size:           8
        .value_kind:     global_buffer
      - .offset:         112
        .size:           8
        .value_kind:     by_value
      - .offset:         120
        .size:           8
        .value_kind:     by_value
      - .offset:         128
        .size:           8
        .value_kind:     by_value
      - .offset:         136
        .size:           4
        .value_kind:     by_value
      - .offset:         144
        .size:           4
        .value_kind:     hidden_block_count_x
      - .offset:         148
        .size:           4
        .value_kind:     hidden_block_count_y
      - .offset:         152
        .size:           4
        .value_kind:     hidden_block_count_z
      - .offset:         156
        .size:           2
        .value_kind:     hidden_group_size_x
      - .offset:         158
        .size:           2
        .value_kind:     hidden_group_size_y
      - .offset:         160
        .size:           2
        .value_kind:     hidden_group_size_z
      - .offset:         162
        .size:           2
        .value_kind:     hidden_remainder_x
      - .offset:         164
        .size:           2
        .value_kind:     hidden_remainder_y
      - .offset:         166
        .size:           2
        .value_kind:     hidden_remainder_z
      - .offset:         184
        .size:           8
        .value_kind:     hidden_global_offset_x
      - .offset:         192
        .size:           8
        .value_kind:     hidden_global_offset_y
      - .offset:         200
        .size:           8
        .value_kind:     hidden_global_offset_z
      - .offset:         208
        .size:           2
        .value_kind:     hidden_grid_dims
    .group_segment_fixed_size: 4096
    .kernarg_segment_align: 8
    .kernarg_segment_size: 400
    .language:       OpenCL C
    .language_version:
      - 2
      - 0
    .max_flat_workgroup_size: 256
    .name:           _ZL20rocblas_gemvn_kernelILi64ELi4ElfffEviiT3_lPKT2_lT1_lS3_lS4_lS0_lPT4_lS4_li
    .private_segment_fixed_size: 0
    .sgpr_count:     58
    .sgpr_spill_count: 0
    .symbol:         _ZL20rocblas_gemvn_kernelILi64ELi4ElfffEviiT3_lPKT2_lT1_lS3_lS4_lS0_lPT4_lS4_li.kd
    .uniform_work_group_size: 1
    .uses_dynamic_stack: false
    .vgpr_count:     72
    .vgpr_spill_count: 0
    .wavefront_size: 32
    .workgroup_processor_mode: 1
  - .args:
      - .offset:         0
        .size:           4
        .value_kind:     by_value
      - .address_space:  global
        .offset:         8
        .size:           8
        .value_kind:     global_buffer
      - .offset:         16
        .size:           8
        .value_kind:     by_value
      - .address_space:  global
        .offset:         24
        .size:           8
        .value_kind:     global_buffer
      - .offset:         32
        .size:           8
        .value_kind:     by_value
      - .offset:         40
        .size:           4
        .value_kind:     by_value
      - .offset:         48
        .size:           8
        .value_kind:     by_value
      - .offset:         56
        .size:           4
        .value_kind:     by_value
      - .offset:         64
        .size:           4
        .value_kind:     hidden_block_count_x
      - .offset:         68
        .size:           4
        .value_kind:     hidden_block_count_y
      - .offset:         72
        .size:           4
        .value_kind:     hidden_block_count_z
      - .offset:         76
        .size:           2
        .value_kind:     hidden_group_size_x
      - .offset:         78
        .size:           2
        .value_kind:     hidden_group_size_y
      - .offset:         80
        .size:           2
        .value_kind:     hidden_group_size_z
      - .offset:         82
        .size:           2
        .value_kind:     hidden_remainder_x
      - .offset:         84
        .size:           2
        .value_kind:     hidden_remainder_y
      - .offset:         86
        .size:           2
        .value_kind:     hidden_remainder_z
      - .offset:         104
        .size:           8
        .value_kind:     hidden_global_offset_x
      - .offset:         112
        .size:           8
        .value_kind:     hidden_global_offset_y
      - .offset:         120
        .size:           8
        .value_kind:     hidden_global_offset_z
      - .offset:         128
        .size:           2
        .value_kind:     hidden_grid_dims
    .group_segment_fixed_size: 0
    .kernarg_segment_align: 8
    .kernarg_segment_size: 320
    .language:       OpenCL C
    .language_version:
      - 2
      - 0
    .max_flat_workgroup_size: 256
    .name:           _ZL24rocblas_gemv_scal_kernelILi256EPKfPfEviT0_lT1_lili
    .private_segment_fixed_size: 0
    .sgpr_count:     24
    .sgpr_spill_count: 0
    .symbol:         _ZL24rocblas_gemv_scal_kernelILi256EPKfPfEviT0_lT1_lili.kd
    .uniform_work_group_size: 1
    .uses_dynamic_stack: false
    .vgpr_count:     8
    .vgpr_spill_count: 0
    .wavefront_size: 32
    .workgroup_processor_mode: 1
  - .args:
      - .offset:         0
        .size:           4
        .value_kind:     by_value
      - .offset:         4
        .size:           4
        .value_kind:     by_value
      - .offset:         8
        .size:           8
        .value_kind:     by_value
      - .address_space:  global
        .offset:         16
        .size:           8
        .value_kind:     global_buffer
      - .offset:         24
        .size:           8
        .value_kind:     by_value
      - .offset:         32
        .size:           4
        .value_kind:     by_value
      - .offset:         40
        .size:           8
        .value_kind:     by_value
      - .offset:         48
        .size:           4
        .value_kind:     by_value
      - .offset:         56
        .size:           4
        .value_kind:     hidden_block_count_x
      - .offset:         60
        .size:           4
        .value_kind:     hidden_block_count_y
      - .offset:         64
        .size:           4
        .value_kind:     hidden_block_count_z
      - .offset:         68
        .size:           2
        .value_kind:     hidden_group_size_x
      - .offset:         70
        .size:           2
        .value_kind:     hidden_group_size_y
      - .offset:         72
        .size:           2
        .value_kind:     hidden_group_size_z
      - .offset:         74
        .size:           2
        .value_kind:     hidden_remainder_x
      - .offset:         76
        .size:           2
        .value_kind:     hidden_remainder_y
      - .offset:         78
        .size:           2
        .value_kind:     hidden_remainder_z
      - .offset:         96
        .size:           8
        .value_kind:     hidden_global_offset_x
      - .offset:         104
        .size:           8
        .value_kind:     hidden_global_offset_y
      - .offset:         112
        .size:           8
        .value_kind:     hidden_global_offset_z
      - .offset:         120
        .size:           2
        .value_kind:     hidden_grid_dims
    .group_segment_fixed_size: 0
    .kernarg_segment_align: 8
    .kernarg_segment_size: 312
    .language:       OpenCL C
    .language_version:
      - 2
      - 0
    .max_flat_workgroup_size: 256
    .name:           _ZL24rocblas_gemv_scal_kernelILi256EfPfEviT0_lT1_lili
    .private_segment_fixed_size: 0
    .sgpr_count:     22
    .sgpr_spill_count: 0
    .symbol:         _ZL24rocblas_gemv_scal_kernelILi256EfPfEviT0_lT1_lili.kd
    .uniform_work_group_size: 1
    .uses_dynamic_stack: false
    .vgpr_count:     6
    .vgpr_spill_count: 0
    .wavefront_size: 32
    .workgroup_processor_mode: 1
  - .args:
      - .offset:         0
        .size:           4
        .value_kind:     by_value
      - .offset:         4
        .size:           4
        .value_kind:     by_value
      - .address_space:  global
        .offset:         8
        .size:           8
        .value_kind:     global_buffer
      - .offset:         16
        .size:           8
        .value_kind:     by_value
      - .address_space:  global
        .offset:         24
        .size:           8
        .value_kind:     global_buffer
      - .offset:         32
        .size:           8
        .value_kind:     by_value
      - .offset:         40
        .size:           4
        .value_kind:     by_value
      - .offset:         48
        .size:           8
        .value_kind:     by_value
      - .address_space:  global
        .offset:         56
        .size:           8
        .value_kind:     global_buffer
      - .offset:         64
        .size:           8
        .value_kind:     by_value
      - .offset:         72
        .size:           4
        .value_kind:     by_value
      - .offset:         80
        .size:           8
        .value_kind:     by_value
      - .address_space:  global
        .offset:         88
        .size:           8
        .value_kind:     global_buffer
      - .offset:         96
        .size:           8
        .value_kind:     by_value
      - .offset:         104
        .size:           4
        .value_kind:     by_value
      - .offset:         112
        .size:           8
        .value_kind:     by_value
      - .offset:         120
        .size:           4
        .value_kind:     by_value
      - .offset:         128
        .size:           4
        .value_kind:     hidden_block_count_x
      - .offset:         132
        .size:           4
        .value_kind:     hidden_block_count_y
      - .offset:         136
        .size:           4
        .value_kind:     hidden_block_count_z
      - .offset:         140
        .size:           2
        .value_kind:     hidden_group_size_x
      - .offset:         142
        .size:           2
        .value_kind:     hidden_group_size_y
      - .offset:         144
        .size:           2
        .value_kind:     hidden_group_size_z
      - .offset:         146
        .size:           2
        .value_kind:     hidden_remainder_x
      - .offset:         148
        .size:           2
        .value_kind:     hidden_remainder_y
      - .offset:         150
        .size:           2
        .value_kind:     hidden_remainder_z
      - .offset:         168
        .size:           8
        .value_kind:     hidden_global_offset_x
      - .offset:         176
        .size:           8
        .value_kind:     hidden_global_offset_y
      - .offset:         184
        .size:           8
        .value_kind:     hidden_global_offset_z
      - .offset:         192
        .size:           2
        .value_kind:     hidden_grid_dims
    .group_segment_fixed_size: 8192
    .kernarg_segment_align: 8
    .kernarg_segment_size: 384
    .language:       OpenCL C
    .language_version:
      - 2
      - 0
    .max_flat_workgroup_size: 1024
    .name:           _ZL36rocblas_gemvn_double_buffered_kernelILi128ELi8ELi8EfPKffEviiT3_lPKT2_lilS5_lilPT4_lili
    .private_segment_fixed_size: 0
    .sgpr_count:     52
    .sgpr_spill_count: 0
    .symbol:         _ZL36rocblas_gemvn_double_buffered_kernelILi128ELi8ELi8EfPKffEviiT3_lPKT2_lilS5_lilPT4_lili.kd
    .uniform_work_group_size: 1
    .uses_dynamic_stack: false
    .vgpr_count:     100
    .vgpr_spill_count: 0
    .wavefront_size: 32
    .workgroup_processor_mode: 1
  - .args:
      - .offset:         0
        .size:           4
        .value_kind:     by_value
      - .offset:         4
        .size:           4
        .value_kind:     by_value
      - .offset:         8
        .size:           4
        .value_kind:     by_value
      - .offset:         16
        .size:           8
        .value_kind:     by_value
      - .address_space:  global
        .offset:         24
        .size:           8
        .value_kind:     global_buffer
      - .offset:         32
        .size:           8
        .value_kind:     by_value
      - .offset:         40
        .size:           4
        .value_kind:     by_value
      - .offset:         48
        .size:           8
        .value_kind:     by_value
      - .address_space:  global
        .offset:         56
        .size:           8
        .value_kind:     global_buffer
      - .offset:         64
        .size:           8
        .value_kind:     by_value
      - .offset:         72
        .size:           4
        .value_kind:     by_value
      - .offset:         80
        .size:           8
        .value_kind:     by_value
      - .address_space:  global
        .offset:         88
        .size:           8
        .value_kind:     global_buffer
      - .offset:         96
        .size:           8
        .value_kind:     by_value
      - .offset:         104
        .size:           4
        .value_kind:     by_value
      - .offset:         112
        .size:           8
        .value_kind:     by_value
      - .offset:         120
        .size:           4
        .value_kind:     by_value
      - .offset:         128
        .size:           4
        .value_kind:     hidden_block_count_x
      - .offset:         132
        .size:           4
        .value_kind:     hidden_block_count_y
      - .offset:         136
        .size:           4
        .value_kind:     hidden_block_count_z
      - .offset:         140
        .size:           2
        .value_kind:     hidden_group_size_x
      - .offset:         142
        .size:           2
        .value_kind:     hidden_group_size_y
      - .offset:         144
        .size:           2
        .value_kind:     hidden_group_size_z
      - .offset:         146
        .size:           2
        .value_kind:     hidden_remainder_x
      - .offset:         148
        .size:           2
        .value_kind:     hidden_remainder_y
      - .offset:         150
        .size:           2
        .value_kind:     hidden_remainder_z
      - .offset:         168
        .size:           8
        .value_kind:     hidden_global_offset_x
      - .offset:         176
        .size:           8
        .value_kind:     hidden_global_offset_y
      - .offset:         184
        .size:           8
        .value_kind:     hidden_global_offset_z
      - .offset:         192
        .size:           2
        .value_kind:     hidden_grid_dims
    .group_segment_fixed_size: 8192
    .kernarg_segment_align: 8
    .kernarg_segment_size: 384
    .language:       OpenCL C
    .language_version:
      - 2
      - 0
    .max_flat_workgroup_size: 1024
    .name:           _ZL36rocblas_gemvn_double_buffered_kernelILi128ELi8ELi8EfffEviiT3_lPKT2_lilS3_lilPT4_lili
    .private_segment_fixed_size: 0
    .sgpr_count:     52
    .sgpr_spill_count: 0
    .symbol:         _ZL36rocblas_gemvn_double_buffered_kernelILi128ELi8ELi8EfffEviiT3_lPKT2_lilS3_lilPT4_lili.kd
    .uniform_work_group_size: 1
    .uses_dynamic_stack: false
    .vgpr_count:     98
    .vgpr_spill_count: 0
    .wavefront_size: 32
    .workgroup_processor_mode: 1
  - .args:
      - .offset:         0
        .size:           4
        .value_kind:     by_value
      - .offset:         4
        .size:           4
        .value_kind:     by_value
      - .address_space:  global
        .offset:         8
        .size:           8
        .value_kind:     global_buffer
      - .offset:         16
        .size:           8
        .value_kind:     by_value
      - .address_space:  global
        .offset:         24
        .size:           8
        .value_kind:     global_buffer
      - .offset:         32
        .size:           8
        .value_kind:     by_value
      - .offset:         40
        .size:           4
        .value_kind:     by_value
      - .offset:         48
        .size:           8
        .value_kind:     by_value
      - .address_space:  global
        .offset:         56
        .size:           8
        .value_kind:     global_buffer
      - .offset:         64
        .size:           8
        .value_kind:     by_value
      - .offset:         72
        .size:           4
        .value_kind:     by_value
      - .offset:         80
        .size:           8
        .value_kind:     by_value
      - .address_space:  global
        .offset:         88
        .size:           8
        .value_kind:     global_buffer
      - .offset:         96
        .size:           8
        .value_kind:     by_value
      - .address_space:  global
        .offset:         104
        .size:           8
        .value_kind:     global_buffer
      - .offset:         112
        .size:           8
        .value_kind:     by_value
      - .offset:         120
        .size:           4
        .value_kind:     by_value
      - .offset:         128
        .size:           8
        .value_kind:     by_value
      - .offset:         136
        .size:           4
        .value_kind:     by_value
      - .offset:         144
        .size:           4
        .value_kind:     hidden_block_count_x
      - .offset:         148
        .size:           4
        .value_kind:     hidden_block_count_y
      - .offset:         152
        .size:           4
        .value_kind:     hidden_block_count_z
      - .offset:         156
        .size:           2
        .value_kind:     hidden_group_size_x
      - .offset:         158
        .size:           2
        .value_kind:     hidden_group_size_y
      - .offset:         160
        .size:           2
        .value_kind:     hidden_group_size_z
      - .offset:         162
        .size:           2
        .value_kind:     hidden_remainder_x
      - .offset:         164
        .size:           2
        .value_kind:     hidden_remainder_y
      - .offset:         166
        .size:           2
        .value_kind:     hidden_remainder_z
      - .offset:         184
        .size:           8
        .value_kind:     hidden_global_offset_x
      - .offset:         192
        .size:           8
        .value_kind:     hidden_global_offset_y
      - .offset:         200
        .size:           8
        .value_kind:     hidden_global_offset_z
      - .offset:         208
        .size:           2
        .value_kind:     hidden_grid_dims
    .group_segment_fixed_size: 8192
    .kernarg_segment_align: 8
    .kernarg_segment_size: 400
    .language:       OpenCL C
    .language_version:
      - 2
      - 0
    .max_flat_workgroup_size: 512
    .name:           _ZL20rocblas_gemvn_kernelILi32ELi16EifPKffEviiT3_lPKT2_lT1_lS5_lS6_lS2_lPT4_lS6_li
    .private_segment_fixed_size: 0
    .sgpr_count:     57
    .sgpr_spill_count: 0
    .symbol:         _ZL20rocblas_gemvn_kernelILi32ELi16EifPKffEviiT3_lPKT2_lT1_lS5_lS6_lS2_lPT4_lS6_li.kd
    .uniform_work_group_size: 1
    .uses_dynamic_stack: false
    .vgpr_count:     55
    .vgpr_spill_count: 0
    .wavefront_size: 32
    .workgroup_processor_mode: 1
  - .args:
      - .offset:         0
        .size:           4
        .value_kind:     by_value
      - .offset:         4
        .size:           4
        .value_kind:     by_value
      - .address_space:  global
        .offset:         8
        .size:           8
        .value_kind:     global_buffer
      - .offset:         16
        .size:           8
        .value_kind:     by_value
      - .address_space:  global
        .offset:         24
        .size:           8
        .value_kind:     global_buffer
      - .offset:         32
        .size:           8
        .value_kind:     by_value
      - .offset:         40
        .size:           8
        .value_kind:     by_value
      - .offset:         48
        .size:           8
        .value_kind:     by_value
      - .address_space:  global
        .offset:         56
        .size:           8
        .value_kind:     global_buffer
      - .offset:         64
        .size:           8
        .value_kind:     by_value
      - .offset:         72
        .size:           8
        .value_kind:     by_value
      - .offset:         80
        .size:           8
        .value_kind:     by_value
      - .address_space:  global
        .offset:         88
        .size:           8
        .value_kind:     global_buffer
      - .offset:         96
        .size:           8
        .value_kind:     by_value
      - .address_space:  global
        .offset:         104
        .size:           8
        .value_kind:     global_buffer
      - .offset:         112
        .size:           8
        .value_kind:     by_value
      - .offset:         120
        .size:           8
        .value_kind:     by_value
      - .offset:         128
        .size:           8
        .value_kind:     by_value
      - .offset:         136
        .size:           4
        .value_kind:     by_value
      - .offset:         144
        .size:           4
        .value_kind:     hidden_block_count_x
      - .offset:         148
        .size:           4
        .value_kind:     hidden_block_count_y
      - .offset:         152
        .size:           4
        .value_kind:     hidden_block_count_z
      - .offset:         156
        .size:           2
        .value_kind:     hidden_group_size_x
      - .offset:         158
        .size:           2
        .value_kind:     hidden_group_size_y
      - .offset:         160
        .size:           2
        .value_kind:     hidden_group_size_z
      - .offset:         162
        .size:           2
        .value_kind:     hidden_remainder_x
      - .offset:         164
        .size:           2
        .value_kind:     hidden_remainder_y
      - .offset:         166
        .size:           2
        .value_kind:     hidden_remainder_z
      - .offset:         184
        .size:           8
        .value_kind:     hidden_global_offset_x
      - .offset:         192
        .size:           8
        .value_kind:     hidden_global_offset_y
      - .offset:         200
        .size:           8
        .value_kind:     hidden_global_offset_z
      - .offset:         208
        .size:           2
        .value_kind:     hidden_grid_dims
    .group_segment_fixed_size: 8192
    .kernarg_segment_align: 8
    .kernarg_segment_size: 400
    .language:       OpenCL C
    .language_version:
      - 2
      - 0
    .max_flat_workgroup_size: 512
    .name:           _ZL20rocblas_gemvn_kernelILi32ELi16ElfPKffEviiT3_lPKT2_lT1_lS5_lS6_lS2_lPT4_lS6_li
    .private_segment_fixed_size: 0
    .sgpr_count:     62
    .sgpr_spill_count: 0
    .symbol:         _ZL20rocblas_gemvn_kernelILi32ELi16ElfPKffEviiT3_lPKT2_lT1_lS5_lS6_lS2_lPT4_lS6_li.kd
    .uniform_work_group_size: 1
    .uses_dynamic_stack: false
    .vgpr_count:     74
    .vgpr_spill_count: 0
    .wavefront_size: 32
    .workgroup_processor_mode: 1
  - .args:
      - .offset:         0
        .size:           4
        .value_kind:     by_value
      - .offset:         4
        .size:           4
        .value_kind:     by_value
      - .offset:         8
        .size:           4
        .value_kind:     by_value
      - .offset:         16
        .size:           8
        .value_kind:     by_value
      - .address_space:  global
        .offset:         24
        .size:           8
        .value_kind:     global_buffer
      - .offset:         32
        .size:           8
        .value_kind:     by_value
      - .offset:         40
        .size:           4
        .value_kind:     by_value
      - .offset:         48
        .size:           8
        .value_kind:     by_value
      - .address_space:  global
        .offset:         56
        .size:           8
        .value_kind:     global_buffer
      - .offset:         64
        .size:           8
        .value_kind:     by_value
      - .offset:         72
        .size:           4
        .value_kind:     by_value
      - .offset:         80
        .size:           8
        .value_kind:     by_value
      - .offset:         88
        .size:           4
        .value_kind:     by_value
      - .offset:         96
        .size:           8
        .value_kind:     by_value
      - .address_space:  global
        .offset:         104
        .size:           8
        .value_kind:     global_buffer
      - .offset:         112
        .size:           8
        .value_kind:     by_value
      - .offset:         120
        .size:           4
        .value_kind:     by_value
      - .offset:         128
        .size:           8
        .value_kind:     by_value
      - .offset:         136
        .size:           4
        .value_kind:     by_value
      - .offset:         144
        .size:           4
        .value_kind:     hidden_block_count_x
      - .offset:         148
        .size:           4
        .value_kind:     hidden_block_count_y
      - .offset:         152
        .size:           4
        .value_kind:     hidden_block_count_z
      - .offset:         156
        .size:           2
        .value_kind:     hidden_group_size_x
      - .offset:         158
        .size:           2
        .value_kind:     hidden_group_size_y
      - .offset:         160
        .size:           2
        .value_kind:     hidden_group_size_z
      - .offset:         162
        .size:           2
        .value_kind:     hidden_remainder_x
      - .offset:         164
        .size:           2
        .value_kind:     hidden_remainder_y
      - .offset:         166
        .size:           2
        .value_kind:     hidden_remainder_z
      - .offset:         184
        .size:           8
        .value_kind:     hidden_global_offset_x
      - .offset:         192
        .size:           8
        .value_kind:     hidden_global_offset_y
      - .offset:         200
        .size:           8
        .value_kind:     hidden_global_offset_z
      - .offset:         208
        .size:           2
        .value_kind:     hidden_grid_dims
    .group_segment_fixed_size: 8192
    .kernarg_segment_align: 8
    .kernarg_segment_size: 400
    .language:       OpenCL C
    .language_version:
      - 2
      - 0
    .max_flat_workgroup_size: 512
    .name:           _ZL20rocblas_gemvn_kernelILi32ELi16EifffEviiT3_lPKT2_lT1_lS3_lS4_lS0_lPT4_lS4_li
    .private_segment_fixed_size: 0
    .sgpr_count:     53
    .sgpr_spill_count: 0
    .symbol:         _ZL20rocblas_gemvn_kernelILi32ELi16EifffEviiT3_lPKT2_lT1_lS3_lS4_lS0_lPT4_lS4_li.kd
    .uniform_work_group_size: 1
    .uses_dynamic_stack: false
    .vgpr_count:     53
    .vgpr_spill_count: 0
    .wavefront_size: 32
    .workgroup_processor_mode: 1
  - .args:
      - .offset:         0
        .size:           4
        .value_kind:     by_value
      - .offset:         4
        .size:           4
        .value_kind:     by_value
      - .offset:         8
        .size:           4
        .value_kind:     by_value
      - .offset:         16
        .size:           8
        .value_kind:     by_value
      - .address_space:  global
        .offset:         24
        .size:           8
        .value_kind:     global_buffer
      - .offset:         32
        .size:           8
        .value_kind:     by_value
      - .offset:         40
        .size:           8
        .value_kind:     by_value
      - .offset:         48
        .size:           8
        .value_kind:     by_value
      - .address_space:  global
        .offset:         56
        .size:           8
        .value_kind:     global_buffer
      - .offset:         64
        .size:           8
        .value_kind:     by_value
      - .offset:         72
        .size:           8
        .value_kind:     by_value
      - .offset:         80
        .size:           8
        .value_kind:     by_value
      - .offset:         88
        .size:           4
        .value_kind:     by_value
      - .offset:         96
        .size:           8
        .value_kind:     by_value
      - .address_space:  global
        .offset:         104
        .size:           8
        .value_kind:     global_buffer
      - .offset:         112
        .size:           8
        .value_kind:     by_value
      - .offset:         120
        .size:           8
        .value_kind:     by_value
      - .offset:         128
        .size:           8
        .value_kind:     by_value
      - .offset:         136
        .size:           4
        .value_kind:     by_value
      - .offset:         144
        .size:           4
        .value_kind:     hidden_block_count_x
      - .offset:         148
        .size:           4
        .value_kind:     hidden_block_count_y
      - .offset:         152
        .size:           4
        .value_kind:     hidden_block_count_z
      - .offset:         156
        .size:           2
        .value_kind:     hidden_group_size_x
      - .offset:         158
        .size:           2
        .value_kind:     hidden_group_size_y
      - .offset:         160
        .size:           2
        .value_kind:     hidden_group_size_z
      - .offset:         162
        .size:           2
        .value_kind:     hidden_remainder_x
      - .offset:         164
        .size:           2
        .value_kind:     hidden_remainder_y
      - .offset:         166
        .size:           2
        .value_kind:     hidden_remainder_z
      - .offset:         184
        .size:           8
        .value_kind:     hidden_global_offset_x
      - .offset:         192
        .size:           8
        .value_kind:     hidden_global_offset_y
      - .offset:         200
        .size:           8
        .value_kind:     hidden_global_offset_z
      - .offset:         208
        .size:           2
        .value_kind:     hidden_grid_dims
    .group_segment_fixed_size: 8192
    .kernarg_segment_align: 8
    .kernarg_segment_size: 400
    .language:       OpenCL C
    .language_version:
      - 2
      - 0
    .max_flat_workgroup_size: 512
    .name:           _ZL20rocblas_gemvn_kernelILi32ELi16ElfffEviiT3_lPKT2_lT1_lS3_lS4_lS0_lPT4_lS4_li
    .private_segment_fixed_size: 0
    .sgpr_count:     58
    .sgpr_spill_count: 0
    .symbol:         _ZL20rocblas_gemvn_kernelILi32ELi16ElfffEviiT3_lPKT2_lT1_lS3_lS4_lS0_lPT4_lS4_li.kd
    .uniform_work_group_size: 1
    .uses_dynamic_stack: false
    .vgpr_count:     72
    .vgpr_spill_count: 0
    .wavefront_size: 32
    .workgroup_processor_mode: 1
  - .args:
      - .offset:         0
        .size:           4
        .value_kind:     by_value
      - .offset:         4
        .size:           4
        .value_kind:     by_value
      - .address_space:  global
        .offset:         8
        .size:           8
        .value_kind:     global_buffer
      - .offset:         16
        .size:           8
        .value_kind:     by_value
      - .address_space:  global
        .offset:         24
        .size:           8
        .value_kind:     global_buffer
      - .offset:         32
        .size:           8
        .value_kind:     by_value
      - .offset:         40
        .size:           4
        .value_kind:     by_value
      - .offset:         48
        .size:           8
        .value_kind:     by_value
      - .address_space:  global
        .offset:         56
        .size:           8
        .value_kind:     global_buffer
      - .offset:         64
        .size:           8
        .value_kind:     by_value
      - .offset:         72
        .size:           4
        .value_kind:     by_value
      - .offset:         80
        .size:           8
        .value_kind:     by_value
      - .address_space:  global
        .offset:         88
        .size:           8
        .value_kind:     global_buffer
      - .offset:         96
        .size:           8
        .value_kind:     by_value
      - .address_space:  global
        .offset:         104
        .size:           8
        .value_kind:     global_buffer
      - .offset:         112
        .size:           8
        .value_kind:     by_value
      - .offset:         120
        .size:           4
        .value_kind:     by_value
      - .offset:         128
        .size:           8
        .value_kind:     by_value
      - .offset:         136
        .size:           4
        .value_kind:     by_value
      - .offset:         144
        .size:           4
        .value_kind:     hidden_block_count_x
      - .offset:         148
        .size:           4
        .value_kind:     hidden_block_count_y
      - .offset:         152
        .size:           4
        .value_kind:     hidden_block_count_z
      - .offset:         156
        .size:           2
        .value_kind:     hidden_group_size_x
      - .offset:         158
        .size:           2
        .value_kind:     hidden_group_size_y
      - .offset:         160
        .size:           2
        .value_kind:     hidden_group_size_z
      - .offset:         162
        .size:           2
        .value_kind:     hidden_remainder_x
      - .offset:         164
        .size:           2
        .value_kind:     hidden_remainder_y
      - .offset:         166
        .size:           2
        .value_kind:     hidden_remainder_z
      - .offset:         184
        .size:           8
        .value_kind:     hidden_global_offset_x
      - .offset:         192
        .size:           8
        .value_kind:     hidden_global_offset_y
      - .offset:         200
        .size:           8
        .value_kind:     hidden_global_offset_z
      - .offset:         208
        .size:           2
        .value_kind:     hidden_grid_dims
    .group_segment_fixed_size: 16384
    .kernarg_segment_align: 8
    .kernarg_segment_size: 400
    .language:       OpenCL C
    .language_version:
      - 2
      - 0
    .max_flat_workgroup_size: 1024
    .name:           _ZL20rocblas_gemvn_kernelILi64ELi16EifPKffEviiT3_lPKT2_lT1_lS5_lS6_lS2_lPT4_lS6_li
    .private_segment_fixed_size: 0
    .sgpr_count:     57
    .sgpr_spill_count: 0
    .symbol:         _ZL20rocblas_gemvn_kernelILi64ELi16EifPKffEviiT3_lPKT2_lT1_lS5_lS6_lS2_lPT4_lS6_li.kd
    .uniform_work_group_size: 1
    .uses_dynamic_stack: false
    .vgpr_count:     53
    .vgpr_spill_count: 0
    .wavefront_size: 32
    .workgroup_processor_mode: 1
  - .args:
      - .offset:         0
        .size:           4
        .value_kind:     by_value
      - .offset:         4
        .size:           4
        .value_kind:     by_value
      - .address_space:  global
        .offset:         8
        .size:           8
        .value_kind:     global_buffer
      - .offset:         16
        .size:           8
        .value_kind:     by_value
      - .address_space:  global
        .offset:         24
        .size:           8
        .value_kind:     global_buffer
      - .offset:         32
        .size:           8
        .value_kind:     by_value
      - .offset:         40
        .size:           8
        .value_kind:     by_value
      - .offset:         48
        .size:           8
        .value_kind:     by_value
      - .address_space:  global
        .offset:         56
        .size:           8
        .value_kind:     global_buffer
      - .offset:         64
        .size:           8
        .value_kind:     by_value
      - .offset:         72
        .size:           8
        .value_kind:     by_value
      - .offset:         80
        .size:           8
        .value_kind:     by_value
      - .address_space:  global
        .offset:         88
        .size:           8
        .value_kind:     global_buffer
      - .offset:         96
        .size:           8
        .value_kind:     by_value
      - .address_space:  global
        .offset:         104
        .size:           8
        .value_kind:     global_buffer
      - .offset:         112
        .size:           8
        .value_kind:     by_value
      - .offset:         120
        .size:           8
        .value_kind:     by_value
      - .offset:         128
        .size:           8
        .value_kind:     by_value
      - .offset:         136
        .size:           4
        .value_kind:     by_value
      - .offset:         144
        .size:           4
        .value_kind:     hidden_block_count_x
      - .offset:         148
        .size:           4
        .value_kind:     hidden_block_count_y
      - .offset:         152
        .size:           4
        .value_kind:     hidden_block_count_z
      - .offset:         156
        .size:           2
        .value_kind:     hidden_group_size_x
      - .offset:         158
        .size:           2
        .value_kind:     hidden_group_size_y
      - .offset:         160
        .size:           2
        .value_kind:     hidden_group_size_z
      - .offset:         162
        .size:           2
        .value_kind:     hidden_remainder_x
      - .offset:         164
        .size:           2
        .value_kind:     hidden_remainder_y
      - .offset:         166
        .size:           2
        .value_kind:     hidden_remainder_z
      - .offset:         184
        .size:           8
        .value_kind:     hidden_global_offset_x
      - .offset:         192
        .size:           8
        .value_kind:     hidden_global_offset_y
      - .offset:         200
        .size:           8
        .value_kind:     hidden_global_offset_z
      - .offset:         208
        .size:           2
        .value_kind:     hidden_grid_dims
    .group_segment_fixed_size: 16384
    .kernarg_segment_align: 8
    .kernarg_segment_size: 400
    .language:       OpenCL C
    .language_version:
      - 2
      - 0
    .max_flat_workgroup_size: 1024
    .name:           _ZL20rocblas_gemvn_kernelILi64ELi16ElfPKffEviiT3_lPKT2_lT1_lS5_lS6_lS2_lPT4_lS6_li
    .private_segment_fixed_size: 0
    .sgpr_count:     62
    .sgpr_spill_count: 0
    .symbol:         _ZL20rocblas_gemvn_kernelILi64ELi16ElfPKffEviiT3_lPKT2_lT1_lS5_lS6_lS2_lPT4_lS6_li.kd
    .uniform_work_group_size: 1
    .uses_dynamic_stack: false
    .vgpr_count:     74
    .vgpr_spill_count: 0
    .wavefront_size: 32
    .workgroup_processor_mode: 1
  - .args:
      - .offset:         0
        .size:           4
        .value_kind:     by_value
      - .offset:         4
        .size:           4
        .value_kind:     by_value
      - .offset:         8
        .size:           4
        .value_kind:     by_value
      - .offset:         16
        .size:           8
        .value_kind:     by_value
      - .address_space:  global
        .offset:         24
        .size:           8
        .value_kind:     global_buffer
      - .offset:         32
        .size:           8
        .value_kind:     by_value
      - .offset:         40
        .size:           4
        .value_kind:     by_value
      - .offset:         48
        .size:           8
        .value_kind:     by_value
      - .address_space:  global
        .offset:         56
        .size:           8
        .value_kind:     global_buffer
      - .offset:         64
        .size:           8
        .value_kind:     by_value
      - .offset:         72
        .size:           4
        .value_kind:     by_value
      - .offset:         80
        .size:           8
        .value_kind:     by_value
      - .offset:         88
        .size:           4
        .value_kind:     by_value
      - .offset:         96
        .size:           8
        .value_kind:     by_value
      - .address_space:  global
        .offset:         104
        .size:           8
        .value_kind:     global_buffer
      - .offset:         112
        .size:           8
        .value_kind:     by_value
      - .offset:         120
        .size:           4
        .value_kind:     by_value
      - .offset:         128
        .size:           8
        .value_kind:     by_value
      - .offset:         136
        .size:           4
        .value_kind:     by_value
      - .offset:         144
        .size:           4
        .value_kind:     hidden_block_count_x
      - .offset:         148
        .size:           4
        .value_kind:     hidden_block_count_y
      - .offset:         152
        .size:           4
        .value_kind:     hidden_block_count_z
      - .offset:         156
        .size:           2
        .value_kind:     hidden_group_size_x
      - .offset:         158
        .size:           2
        .value_kind:     hidden_group_size_y
      - .offset:         160
        .size:           2
        .value_kind:     hidden_group_size_z
      - .offset:         162
        .size:           2
        .value_kind:     hidden_remainder_x
      - .offset:         164
        .size:           2
        .value_kind:     hidden_remainder_y
      - .offset:         166
        .size:           2
        .value_kind:     hidden_remainder_z
      - .offset:         184
        .size:           8
        .value_kind:     hidden_global_offset_x
      - .offset:         192
        .size:           8
        .value_kind:     hidden_global_offset_y
      - .offset:         200
        .size:           8
        .value_kind:     hidden_global_offset_z
      - .offset:         208
        .size:           2
        .value_kind:     hidden_grid_dims
    .group_segment_fixed_size: 16384
    .kernarg_segment_align: 8
    .kernarg_segment_size: 400
    .language:       OpenCL C
    .language_version:
      - 2
      - 0
    .max_flat_workgroup_size: 1024
    .name:           _ZL20rocblas_gemvn_kernelILi64ELi16EifffEviiT3_lPKT2_lT1_lS3_lS4_lS0_lPT4_lS4_li
    .private_segment_fixed_size: 0
    .sgpr_count:     53
    .sgpr_spill_count: 0
    .symbol:         _ZL20rocblas_gemvn_kernelILi64ELi16EifffEviiT3_lPKT2_lT1_lS3_lS4_lS0_lPT4_lS4_li.kd
    .uniform_work_group_size: 1
    .uses_dynamic_stack: false
    .vgpr_count:     51
    .vgpr_spill_count: 0
    .wavefront_size: 32
    .workgroup_processor_mode: 1
  - .args:
      - .offset:         0
        .size:           4
        .value_kind:     by_value
      - .offset:         4
        .size:           4
        .value_kind:     by_value
      - .offset:         8
        .size:           4
        .value_kind:     by_value
      - .offset:         16
        .size:           8
        .value_kind:     by_value
      - .address_space:  global
        .offset:         24
        .size:           8
        .value_kind:     global_buffer
      - .offset:         32
        .size:           8
        .value_kind:     by_value
      - .offset:         40
        .size:           8
        .value_kind:     by_value
      - .offset:         48
        .size:           8
        .value_kind:     by_value
      - .address_space:  global
        .offset:         56
        .size:           8
        .value_kind:     global_buffer
      - .offset:         64
        .size:           8
        .value_kind:     by_value
      - .offset:         72
        .size:           8
        .value_kind:     by_value
      - .offset:         80
        .size:           8
        .value_kind:     by_value
      - .offset:         88
        .size:           4
        .value_kind:     by_value
      - .offset:         96
        .size:           8
        .value_kind:     by_value
      - .address_space:  global
        .offset:         104
        .size:           8
        .value_kind:     global_buffer
      - .offset:         112
        .size:           8
        .value_kind:     by_value
      - .offset:         120
        .size:           8
        .value_kind:     by_value
      - .offset:         128
        .size:           8
        .value_kind:     by_value
      - .offset:         136
        .size:           4
        .value_kind:     by_value
      - .offset:         144
        .size:           4
        .value_kind:     hidden_block_count_x
      - .offset:         148
        .size:           4
        .value_kind:     hidden_block_count_y
      - .offset:         152
        .size:           4
        .value_kind:     hidden_block_count_z
      - .offset:         156
        .size:           2
        .value_kind:     hidden_group_size_x
      - .offset:         158
        .size:           2
        .value_kind:     hidden_group_size_y
      - .offset:         160
        .size:           2
        .value_kind:     hidden_group_size_z
      - .offset:         162
        .size:           2
        .value_kind:     hidden_remainder_x
      - .offset:         164
        .size:           2
        .value_kind:     hidden_remainder_y
      - .offset:         166
        .size:           2
        .value_kind:     hidden_remainder_z
      - .offset:         184
        .size:           8
        .value_kind:     hidden_global_offset_x
      - .offset:         192
        .size:           8
        .value_kind:     hidden_global_offset_y
      - .offset:         200
        .size:           8
        .value_kind:     hidden_global_offset_z
      - .offset:         208
        .size:           2
        .value_kind:     hidden_grid_dims
    .group_segment_fixed_size: 16384
    .kernarg_segment_align: 8
    .kernarg_segment_size: 400
    .language:       OpenCL C
    .language_version:
      - 2
      - 0
    .max_flat_workgroup_size: 1024
    .name:           _ZL20rocblas_gemvn_kernelILi64ELi16ElfffEviiT3_lPKT2_lT1_lS3_lS4_lS0_lPT4_lS4_li
    .private_segment_fixed_size: 0
    .sgpr_count:     58
    .sgpr_spill_count: 0
    .symbol:         _ZL20rocblas_gemvn_kernelILi64ELi16ElfffEviiT3_lPKT2_lT1_lS3_lS4_lS0_lPT4_lS4_li.kd
    .uniform_work_group_size: 1
    .uses_dynamic_stack: false
    .vgpr_count:     72
    .vgpr_spill_count: 0
    .wavefront_size: 32
    .workgroup_processor_mode: 1
  - .args:
      - .offset:         0
        .size:           4
        .value_kind:     by_value
      - .offset:         4
        .size:           4
        .value_kind:     by_value
      - .address_space:  global
        .offset:         8
        .size:           8
        .value_kind:     global_buffer
      - .offset:         16
        .size:           8
        .value_kind:     by_value
      - .address_space:  global
        .offset:         24
        .size:           8
        .value_kind:     global_buffer
      - .offset:         32
        .size:           8
        .value_kind:     by_value
      - .offset:         40
        .size:           4
        .value_kind:     by_value
      - .offset:         48
        .size:           8
        .value_kind:     by_value
      - .address_space:  global
        .offset:         56
        .size:           8
        .value_kind:     global_buffer
      - .offset:         64
        .size:           8
        .value_kind:     by_value
      - .offset:         72
        .size:           4
        .value_kind:     by_value
      - .offset:         80
        .size:           8
        .value_kind:     by_value
      - .address_space:  global
        .offset:         88
        .size:           8
        .value_kind:     global_buffer
      - .offset:         96
        .size:           8
        .value_kind:     by_value
      - .address_space:  global
        .offset:         104
        .size:           8
        .value_kind:     global_buffer
      - .offset:         112
        .size:           8
        .value_kind:     by_value
      - .offset:         120
        .size:           4
        .value_kind:     by_value
      - .offset:         128
        .size:           8
        .value_kind:     by_value
    .group_segment_fixed_size: 256
    .kernarg_segment_align: 8
    .kernarg_segment_size: 136
    .language:       OpenCL C
    .language_version:
      - 2
      - 0
    .max_flat_workgroup_size: 256
    .name:           _ZL22rocblas_gemvtsm_kernelILb0ELi256EfPKffEviiT2_lPKT1_lilS5_lilS2_lPT3_lil
    .private_segment_fixed_size: 0
    .sgpr_count:     32
    .sgpr_spill_count: 0
    .symbol:         _ZL22rocblas_gemvtsm_kernelILb0ELi256EfPKffEviiT2_lPKT1_lilS5_lilS2_lPT3_lil.kd
    .uniform_work_group_size: 1
    .uses_dynamic_stack: false
    .vgpr_count:     26
    .vgpr_spill_count: 0
    .wavefront_size: 32
    .workgroup_processor_mode: 1
  - .args:
      - .offset:         0
        .size:           4
        .value_kind:     by_value
      - .offset:         4
        .size:           4
        .value_kind:     by_value
      - .offset:         8
        .size:           4
        .value_kind:     by_value
      - .offset:         16
        .size:           8
        .value_kind:     by_value
      - .address_space:  global
        .offset:         24
        .size:           8
        .value_kind:     global_buffer
      - .offset:         32
        .size:           8
        .value_kind:     by_value
      - .offset:         40
        .size:           4
        .value_kind:     by_value
      - .offset:         48
        .size:           8
        .value_kind:     by_value
      - .address_space:  global
        .offset:         56
        .size:           8
        .value_kind:     global_buffer
      - .offset:         64
        .size:           8
        .value_kind:     by_value
      - .offset:         72
        .size:           4
        .value_kind:     by_value
      - .offset:         80
        .size:           8
        .value_kind:     by_value
      - .offset:         88
        .size:           4
        .value_kind:     by_value
      - .offset:         96
        .size:           8
        .value_kind:     by_value
      - .address_space:  global
        .offset:         104
        .size:           8
        .value_kind:     global_buffer
      - .offset:         112
        .size:           8
        .value_kind:     by_value
      - .offset:         120
        .size:           4
        .value_kind:     by_value
      - .offset:         128
        .size:           8
        .value_kind:     by_value
    .group_segment_fixed_size: 256
    .kernarg_segment_align: 8
    .kernarg_segment_size: 136
    .language:       OpenCL C
    .language_version:
      - 2
      - 0
    .max_flat_workgroup_size: 256
    .name:           _ZL22rocblas_gemvtsm_kernelILb0ELi256EfffEviiT2_lPKT1_lilS3_lilS0_lPT3_lil
    .private_segment_fixed_size: 0
    .sgpr_count:     27
    .sgpr_spill_count: 0
    .symbol:         _ZL22rocblas_gemvtsm_kernelILb0ELi256EfffEviiT2_lPKT1_lilS3_lilS0_lPT3_lil.kd
    .uniform_work_group_size: 1
    .uses_dynamic_stack: false
    .vgpr_count:     26
    .vgpr_spill_count: 0
    .wavefront_size: 32
    .workgroup_processor_mode: 1
  - .args:
      - .offset:         0
        .size:           4
        .value_kind:     by_value
      - .offset:         4
        .size:           4
        .value_kind:     by_value
      - .address_space:  global
        .offset:         8
        .size:           8
        .value_kind:     global_buffer
      - .offset:         16
        .size:           8
        .value_kind:     by_value
      - .address_space:  global
        .offset:         24
        .size:           8
        .value_kind:     global_buffer
      - .offset:         32
        .size:           8
        .value_kind:     by_value
      - .offset:         40
        .size:           4
        .value_kind:     by_value
      - .offset:         48
        .size:           8
        .value_kind:     by_value
      - .address_space:  global
        .offset:         56
        .size:           8
        .value_kind:     global_buffer
      - .offset:         64
        .size:           8
        .value_kind:     by_value
      - .offset:         72
        .size:           4
        .value_kind:     by_value
      - .offset:         80
        .size:           8
        .value_kind:     by_value
      - .address_space:  global
        .offset:         88
        .size:           8
        .value_kind:     global_buffer
      - .offset:         96
        .size:           4
        .value_kind:     by_value
      - .offset:         104
        .size:           4
        .value_kind:     hidden_block_count_x
      - .offset:         108
        .size:           4
        .value_kind:     hidden_block_count_y
      - .offset:         112
        .size:           4
        .value_kind:     hidden_block_count_z
      - .offset:         116
        .size:           2
        .value_kind:     hidden_group_size_x
      - .offset:         118
        .size:           2
        .value_kind:     hidden_group_size_y
      - .offset:         120
        .size:           2
        .value_kind:     hidden_group_size_z
      - .offset:         122
        .size:           2
        .value_kind:     hidden_remainder_x
      - .offset:         124
        .size:           2
        .value_kind:     hidden_remainder_y
      - .offset:         126
        .size:           2
        .value_kind:     hidden_remainder_z
      - .offset:         144
        .size:           8
        .value_kind:     hidden_global_offset_x
      - .offset:         152
        .size:           8
        .value_kind:     hidden_global_offset_y
      - .offset:         160
        .size:           8
        .value_kind:     hidden_global_offset_z
      - .offset:         168
        .size:           2
        .value_kind:     hidden_grid_dims
    .group_segment_fixed_size: 128
    .kernarg_segment_align: 8
    .kernarg_segment_size: 360
    .language:       OpenCL C
    .language_version:
      - 2
      - 0
    .max_flat_workgroup_size: 256
    .name:           _ZL23rocblas_gemvt_sn_kernelILb0ELi256ELi4EifPKffEviiT4_lPKT3_lilS5_lilPT5_i
    .private_segment_fixed_size: 0
    .sgpr_count:     80
    .sgpr_spill_count: 0
    .symbol:         _ZL23rocblas_gemvt_sn_kernelILb0ELi256ELi4EifPKffEviiT4_lPKT3_lilS5_lilPT5_i.kd
    .uniform_work_group_size: 1
    .uses_dynamic_stack: false
    .vgpr_count:     58
    .vgpr_spill_count: 0
    .wavefront_size: 32
    .workgroup_processor_mode: 1
  - .args:
      - .offset:         0
        .size:           4
        .value_kind:     by_value
      - .offset:         4
        .size:           4
        .value_kind:     by_value
      - .address_space:  global
        .offset:         8
        .size:           8
        .value_kind:     global_buffer
      - .offset:         16
        .size:           8
        .value_kind:     by_value
      - .address_space:  global
        .offset:         24
        .size:           8
        .value_kind:     global_buffer
      - .offset:         32
        .size:           8
        .value_kind:     by_value
      - .offset:         40
        .size:           4
        .value_kind:     by_value
      - .offset:         48
        .size:           8
        .value_kind:     by_value
      - .address_space:  global
        .offset:         56
        .size:           8
        .value_kind:     global_buffer
      - .offset:         64
        .size:           8
        .value_kind:     by_value
      - .offset:         72
        .size:           4
        .value_kind:     by_value
      - .offset:         80
        .size:           8
        .value_kind:     by_value
      - .address_space:  global
        .offset:         88
        .size:           8
        .value_kind:     global_buffer
      - .offset:         96
        .size:           4
        .value_kind:     by_value
      - .offset:         104
        .size:           4
        .value_kind:     hidden_block_count_x
      - .offset:         108
        .size:           4
        .value_kind:     hidden_block_count_y
      - .offset:         112
        .size:           4
        .value_kind:     hidden_block_count_z
      - .offset:         116
        .size:           2
        .value_kind:     hidden_group_size_x
      - .offset:         118
        .size:           2
        .value_kind:     hidden_group_size_y
      - .offset:         120
        .size:           2
        .value_kind:     hidden_group_size_z
      - .offset:         122
        .size:           2
        .value_kind:     hidden_remainder_x
      - .offset:         124
        .size:           2
        .value_kind:     hidden_remainder_y
      - .offset:         126
        .size:           2
        .value_kind:     hidden_remainder_z
      - .offset:         144
        .size:           8
        .value_kind:     hidden_global_offset_x
      - .offset:         152
        .size:           8
        .value_kind:     hidden_global_offset_y
      - .offset:         160
        .size:           8
        .value_kind:     hidden_global_offset_z
      - .offset:         168
        .size:           2
        .value_kind:     hidden_grid_dims
    .group_segment_fixed_size: 128
    .kernarg_segment_align: 8
    .kernarg_segment_size: 360
    .language:       OpenCL C
    .language_version:
      - 2
      - 0
    .max_flat_workgroup_size: 256
    .name:           _ZL23rocblas_gemvt_sn_kernelILb0ELi256ELi4ElfPKffEviiT4_lPKT3_lilS5_lilPT5_i
    .private_segment_fixed_size: 0
    .sgpr_count:     74
    .sgpr_spill_count: 0
    .symbol:         _ZL23rocblas_gemvt_sn_kernelILb0ELi256ELi4ElfPKffEviiT4_lPKT3_lilS5_lilPT5_i.kd
    .uniform_work_group_size: 1
    .uses_dynamic_stack: false
    .vgpr_count:     61
    .vgpr_spill_count: 0
    .wavefront_size: 32
    .workgroup_processor_mode: 1
  - .args:
      - .offset:         0
        .size:           4
        .value_kind:     by_value
      - .offset:         4
        .size:           4
        .value_kind:     by_value
      - .offset:         8
        .size:           4
        .value_kind:     by_value
      - .offset:         16
        .size:           8
        .value_kind:     by_value
      - .address_space:  global
        .offset:         24
        .size:           8
        .value_kind:     global_buffer
      - .offset:         32
        .size:           8
        .value_kind:     by_value
      - .offset:         40
        .size:           4
        .value_kind:     by_value
      - .offset:         48
        .size:           8
        .value_kind:     by_value
      - .address_space:  global
        .offset:         56
        .size:           8
        .value_kind:     global_buffer
      - .offset:         64
        .size:           8
        .value_kind:     by_value
      - .offset:         72
        .size:           4
        .value_kind:     by_value
      - .offset:         80
        .size:           8
        .value_kind:     by_value
      - .address_space:  global
        .offset:         88
        .size:           8
        .value_kind:     global_buffer
      - .offset:         96
        .size:           4
        .value_kind:     by_value
      - .offset:         104
        .size:           4
        .value_kind:     hidden_block_count_x
      - .offset:         108
        .size:           4
        .value_kind:     hidden_block_count_y
      - .offset:         112
        .size:           4
        .value_kind:     hidden_block_count_z
      - .offset:         116
        .size:           2
        .value_kind:     hidden_group_size_x
      - .offset:         118
        .size:           2
        .value_kind:     hidden_group_size_y
      - .offset:         120
        .size:           2
        .value_kind:     hidden_group_size_z
      - .offset:         122
        .size:           2
        .value_kind:     hidden_remainder_x
      - .offset:         124
        .size:           2
        .value_kind:     hidden_remainder_y
      - .offset:         126
        .size:           2
        .value_kind:     hidden_remainder_z
      - .offset:         144
        .size:           8
        .value_kind:     hidden_global_offset_x
      - .offset:         152
        .size:           8
        .value_kind:     hidden_global_offset_y
      - .offset:         160
        .size:           8
        .value_kind:     hidden_global_offset_z
      - .offset:         168
        .size:           2
        .value_kind:     hidden_grid_dims
    .group_segment_fixed_size: 128
    .kernarg_segment_align: 8
    .kernarg_segment_size: 360
    .language:       OpenCL C
    .language_version:
      - 2
      - 0
    .max_flat_workgroup_size: 256
    .name:           _ZL23rocblas_gemvt_sn_kernelILb0ELi256ELi4EifffEviiT4_lPKT3_lilS3_lilPT5_i
    .private_segment_fixed_size: 0
    .sgpr_count:     78
    .sgpr_spill_count: 0
    .symbol:         _ZL23rocblas_gemvt_sn_kernelILb0ELi256ELi4EifffEviiT4_lPKT3_lilS3_lilPT5_i.kd
    .uniform_work_group_size: 1
    .uses_dynamic_stack: false
    .vgpr_count:     57
    .vgpr_spill_count: 0
    .wavefront_size: 32
    .workgroup_processor_mode: 1
  - .args:
      - .offset:         0
        .size:           4
        .value_kind:     by_value
      - .offset:         4
        .size:           4
        .value_kind:     by_value
      - .offset:         8
        .size:           4
        .value_kind:     by_value
      - .offset:         16
        .size:           8
        .value_kind:     by_value
      - .address_space:  global
        .offset:         24
        .size:           8
        .value_kind:     global_buffer
      - .offset:         32
        .size:           8
        .value_kind:     by_value
      - .offset:         40
        .size:           4
        .value_kind:     by_value
      - .offset:         48
        .size:           8
        .value_kind:     by_value
      - .address_space:  global
        .offset:         56
        .size:           8
        .value_kind:     global_buffer
      - .offset:         64
        .size:           8
        .value_kind:     by_value
      - .offset:         72
        .size:           4
        .value_kind:     by_value
      - .offset:         80
        .size:           8
        .value_kind:     by_value
      - .address_space:  global
        .offset:         88
        .size:           8
        .value_kind:     global_buffer
      - .offset:         96
        .size:           4
        .value_kind:     by_value
      - .offset:         104
        .size:           4
        .value_kind:     hidden_block_count_x
      - .offset:         108
        .size:           4
        .value_kind:     hidden_block_count_y
      - .offset:         112
        .size:           4
        .value_kind:     hidden_block_count_z
      - .offset:         116
        .size:           2
        .value_kind:     hidden_group_size_x
      - .offset:         118
        .size:           2
        .value_kind:     hidden_group_size_y
      - .offset:         120
        .size:           2
        .value_kind:     hidden_group_size_z
      - .offset:         122
        .size:           2
        .value_kind:     hidden_remainder_x
      - .offset:         124
        .size:           2
        .value_kind:     hidden_remainder_y
      - .offset:         126
        .size:           2
        .value_kind:     hidden_remainder_z
      - .offset:         144
        .size:           8
        .value_kind:     hidden_global_offset_x
      - .offset:         152
        .size:           8
        .value_kind:     hidden_global_offset_y
      - .offset:         160
        .size:           8
        .value_kind:     hidden_global_offset_z
      - .offset:         168
        .size:           2
        .value_kind:     hidden_grid_dims
    .group_segment_fixed_size: 128
    .kernarg_segment_align: 8
    .kernarg_segment_size: 360
    .language:       OpenCL C
    .language_version:
      - 2
      - 0
    .max_flat_workgroup_size: 256
    .name:           _ZL23rocblas_gemvt_sn_kernelILb0ELi256ELi4ElfffEviiT4_lPKT3_lilS3_lilPT5_i
    .private_segment_fixed_size: 0
    .sgpr_count:     72
    .sgpr_spill_count: 0
    .symbol:         _ZL23rocblas_gemvt_sn_kernelILb0ELi256ELi4ElfffEviiT4_lPKT3_lilS3_lilPT5_i.kd
    .uniform_work_group_size: 1
    .uses_dynamic_stack: false
    .vgpr_count:     60
    .vgpr_spill_count: 0
    .wavefront_size: 32
    .workgroup_processor_mode: 1
  - .args:
      - .offset:         0
        .size:           4
        .value_kind:     by_value
      - .offset:         4
        .size:           4
        .value_kind:     by_value
      - .address_space:  global
        .offset:         8
        .size:           8
        .value_kind:     global_buffer
      - .offset:         16
        .size:           8
        .value_kind:     by_value
      - .address_space:  global
        .offset:         24
        .size:           8
        .value_kind:     global_buffer
      - .offset:         32
        .size:           8
        .value_kind:     by_value
      - .offset:         40
        .size:           4
        .value_kind:     by_value
      - .offset:         48
        .size:           8
        .value_kind:     by_value
      - .address_space:  global
        .offset:         56
        .size:           8
        .value_kind:     global_buffer
      - .offset:         64
        .size:           8
        .value_kind:     by_value
      - .offset:         72
        .size:           4
        .value_kind:     by_value
      - .offset:         80
        .size:           8
        .value_kind:     by_value
      - .address_space:  global
        .offset:         88
        .size:           8
        .value_kind:     global_buffer
      - .offset:         96
        .size:           8
        .value_kind:     by_value
      - .offset:         104
        .size:           4
        .value_kind:     by_value
      - .offset:         112
        .size:           8
        .value_kind:     by_value
      - .offset:         120
        .size:           4
        .value_kind:     by_value
      - .offset:         128
        .size:           4
        .value_kind:     hidden_block_count_x
      - .offset:         132
        .size:           4
        .value_kind:     hidden_block_count_y
      - .offset:         136
        .size:           4
        .value_kind:     hidden_block_count_z
      - .offset:         140
        .size:           2
        .value_kind:     hidden_group_size_x
      - .offset:         142
        .size:           2
        .value_kind:     hidden_group_size_y
      - .offset:         144
        .size:           2
        .value_kind:     hidden_group_size_z
      - .offset:         146
        .size:           2
        .value_kind:     hidden_remainder_x
      - .offset:         148
        .size:           2
        .value_kind:     hidden_remainder_y
      - .offset:         150
        .size:           2
        .value_kind:     hidden_remainder_z
      - .offset:         168
        .size:           8
        .value_kind:     hidden_global_offset_x
      - .offset:         176
        .size:           8
        .value_kind:     hidden_global_offset_y
      - .offset:         184
        .size:           8
        .value_kind:     hidden_global_offset_z
      - .offset:         192
        .size:           2
        .value_kind:     hidden_grid_dims
    .group_segment_fixed_size: 32768
    .kernarg_segment_align: 8
    .kernarg_segment_size: 384
    .language:       OpenCL C
    .language_version:
      - 2
      - 0
    .max_flat_workgroup_size: 1024
    .name:           _ZL36rocblas_gemvt_double_buffered_kernelILb0ELi128ELi8ELi8EfPKffEviiT4_lPKT3_lilS5_lilPT5_lili
    .private_segment_fixed_size: 0
    .sgpr_count:     43
    .sgpr_spill_count: 0
    .symbol:         _ZL36rocblas_gemvt_double_buffered_kernelILb0ELi128ELi8ELi8EfPKffEviiT4_lPKT3_lilS5_lilPT5_lili.kd
    .uniform_work_group_size: 1
    .uses_dynamic_stack: false
    .vgpr_count:     156
    .vgpr_spill_count: 0
    .wavefront_size: 32
    .workgroup_processor_mode: 1
  - .args:
      - .offset:         0
        .size:           4
        .value_kind:     by_value
      - .offset:         4
        .size:           4
        .value_kind:     by_value
      - .offset:         8
        .size:           4
        .value_kind:     by_value
      - .offset:         16
        .size:           8
        .value_kind:     by_value
      - .address_space:  global
        .offset:         24
        .size:           8
        .value_kind:     global_buffer
      - .offset:         32
        .size:           8
        .value_kind:     by_value
      - .offset:         40
        .size:           4
        .value_kind:     by_value
      - .offset:         48
        .size:           8
        .value_kind:     by_value
      - .address_space:  global
        .offset:         56
        .size:           8
        .value_kind:     global_buffer
      - .offset:         64
        .size:           8
        .value_kind:     by_value
      - .offset:         72
        .size:           4
        .value_kind:     by_value
      - .offset:         80
        .size:           8
        .value_kind:     by_value
      - .address_space:  global
        .offset:         88
        .size:           8
        .value_kind:     global_buffer
      - .offset:         96
        .size:           8
        .value_kind:     by_value
      - .offset:         104
        .size:           4
        .value_kind:     by_value
      - .offset:         112
        .size:           8
        .value_kind:     by_value
      - .offset:         120
        .size:           4
        .value_kind:     by_value
      - .offset:         128
        .size:           4
        .value_kind:     hidden_block_count_x
      - .offset:         132
        .size:           4
        .value_kind:     hidden_block_count_y
      - .offset:         136
        .size:           4
        .value_kind:     hidden_block_count_z
      - .offset:         140
        .size:           2
        .value_kind:     hidden_group_size_x
      - .offset:         142
        .size:           2
        .value_kind:     hidden_group_size_y
      - .offset:         144
        .size:           2
        .value_kind:     hidden_group_size_z
      - .offset:         146
        .size:           2
        .value_kind:     hidden_remainder_x
      - .offset:         148
        .size:           2
        .value_kind:     hidden_remainder_y
      - .offset:         150
        .size:           2
        .value_kind:     hidden_remainder_z
      - .offset:         168
        .size:           8
        .value_kind:     hidden_global_offset_x
      - .offset:         176
        .size:           8
        .value_kind:     hidden_global_offset_y
      - .offset:         184
        .size:           8
        .value_kind:     hidden_global_offset_z
      - .offset:         192
        .size:           2
        .value_kind:     hidden_grid_dims
    .group_segment_fixed_size: 32768
    .kernarg_segment_align: 8
    .kernarg_segment_size: 384
    .language:       OpenCL C
    .language_version:
      - 2
      - 0
    .max_flat_workgroup_size: 1024
    .name:           _ZL36rocblas_gemvt_double_buffered_kernelILb0ELi128ELi8ELi8EfffEviiT4_lPKT3_lilS3_lilPT5_lili
    .private_segment_fixed_size: 0
    .sgpr_count:     41
    .sgpr_spill_count: 0
    .symbol:         _ZL36rocblas_gemvt_double_buffered_kernelILb0ELi128ELi8ELi8EfffEviiT4_lPKT3_lilS3_lilPT5_lili.kd
    .uniform_work_group_size: 1
    .uses_dynamic_stack: false
    .vgpr_count:     154
    .vgpr_spill_count: 0
    .wavefront_size: 32
    .workgroup_processor_mode: 1
  - .args:
      - .offset:         0
        .size:           4
        .value_kind:     by_value
      - .offset:         4
        .size:           4
        .value_kind:     by_value
      - .address_space:  global
        .offset:         8
        .size:           8
        .value_kind:     global_buffer
      - .offset:         16
        .size:           8
        .value_kind:     by_value
      - .address_space:  global
        .offset:         24
        .size:           8
        .value_kind:     global_buffer
      - .offset:         32
        .size:           8
        .value_kind:     by_value
      - .offset:         40
        .size:           4
        .value_kind:     by_value
      - .offset:         48
        .size:           8
        .value_kind:     by_value
      - .address_space:  global
        .offset:         56
        .size:           8
        .value_kind:     global_buffer
      - .offset:         64
        .size:           8
        .value_kind:     by_value
      - .offset:         72
        .size:           4
        .value_kind:     by_value
      - .offset:         80
        .size:           8
        .value_kind:     by_value
      - .address_space:  global
        .offset:         88
        .size:           8
        .value_kind:     global_buffer
      - .offset:         96
        .size:           8
        .value_kind:     by_value
      - .address_space:  global
        .offset:         104
        .size:           8
        .value_kind:     global_buffer
      - .offset:         112
        .size:           8
        .value_kind:     by_value
      - .offset:         120
        .size:           4
        .value_kind:     by_value
      - .offset:         128
        .size:           8
        .value_kind:     by_value
      - .offset:         136
        .size:           4
        .value_kind:     by_value
    .group_segment_fixed_size: 128
    .kernarg_segment_align: 8
    .kernarg_segment_size: 140
    .language:       OpenCL C
    .language_version:
      - 2
      - 0
    .max_flat_workgroup_size: 256
    .name:           _ZL32rocblas_gemvt_warp_reduce_kernelILb0ELi256EifPKffEviiT3_lPKT2_lT1_lS5_lS6_lS2_lPT4_lS6_li
    .private_segment_fixed_size: 0
    .sgpr_count:     48
    .sgpr_spill_count: 0
    .symbol:         _ZL32rocblas_gemvt_warp_reduce_kernelILb0ELi256EifPKffEviiT3_lPKT2_lT1_lS5_lS6_lS2_lPT4_lS6_li.kd
    .uniform_work_group_size: 1
    .uses_dynamic_stack: false
    .vgpr_count:     22
    .vgpr_spill_count: 0
    .wavefront_size: 32
    .workgroup_processor_mode: 1
  - .args:
      - .offset:         0
        .size:           4
        .value_kind:     by_value
      - .offset:         4
        .size:           4
        .value_kind:     by_value
      - .address_space:  global
        .offset:         8
        .size:           8
        .value_kind:     global_buffer
      - .offset:         16
        .size:           8
        .value_kind:     by_value
      - .address_space:  global
        .offset:         24
        .size:           8
        .value_kind:     global_buffer
      - .offset:         32
        .size:           8
        .value_kind:     by_value
      - .offset:         40
        .size:           8
        .value_kind:     by_value
      - .offset:         48
        .size:           8
        .value_kind:     by_value
      - .address_space:  global
        .offset:         56
        .size:           8
        .value_kind:     global_buffer
      - .offset:         64
        .size:           8
        .value_kind:     by_value
      - .offset:         72
        .size:           8
        .value_kind:     by_value
      - .offset:         80
        .size:           8
        .value_kind:     by_value
      - .address_space:  global
        .offset:         88
        .size:           8
        .value_kind:     global_buffer
      - .offset:         96
        .size:           8
        .value_kind:     by_value
      - .address_space:  global
        .offset:         104
        .size:           8
        .value_kind:     global_buffer
      - .offset:         112
        .size:           8
        .value_kind:     by_value
      - .offset:         120
        .size:           8
        .value_kind:     by_value
      - .offset:         128
        .size:           8
        .value_kind:     by_value
      - .offset:         136
        .size:           4
        .value_kind:     by_value
    .group_segment_fixed_size: 128
    .kernarg_segment_align: 8
    .kernarg_segment_size: 140
    .language:       OpenCL C
    .language_version:
      - 2
      - 0
    .max_flat_workgroup_size: 256
    .name:           _ZL32rocblas_gemvt_warp_reduce_kernelILb0ELi256ElfPKffEviiT3_lPKT2_lT1_lS5_lS6_lS2_lPT4_lS6_li
    .private_segment_fixed_size: 0
    .sgpr_count:     54
    .sgpr_spill_count: 0
    .symbol:         _ZL32rocblas_gemvt_warp_reduce_kernelILb0ELi256ElfPKffEviiT3_lPKT2_lT1_lS5_lS6_lS2_lPT4_lS6_li.kd
    .uniform_work_group_size: 1
    .uses_dynamic_stack: false
    .vgpr_count:     23
    .vgpr_spill_count: 0
    .wavefront_size: 32
    .workgroup_processor_mode: 1
  - .args:
      - .offset:         0
        .size:           4
        .value_kind:     by_value
      - .offset:         4
        .size:           4
        .value_kind:     by_value
      - .offset:         8
        .size:           4
        .value_kind:     by_value
      - .offset:         16
        .size:           8
        .value_kind:     by_value
      - .address_space:  global
        .offset:         24
        .size:           8
        .value_kind:     global_buffer
      - .offset:         32
        .size:           8
        .value_kind:     by_value
      - .offset:         40
        .size:           4
        .value_kind:     by_value
      - .offset:         48
        .size:           8
        .value_kind:     by_value
      - .address_space:  global
        .offset:         56
        .size:           8
        .value_kind:     global_buffer
      - .offset:         64
        .size:           8
        .value_kind:     by_value
      - .offset:         72
        .size:           4
        .value_kind:     by_value
      - .offset:         80
        .size:           8
        .value_kind:     by_value
      - .offset:         88
        .size:           4
        .value_kind:     by_value
      - .offset:         96
        .size:           8
        .value_kind:     by_value
      - .address_space:  global
        .offset:         104
        .size:           8
        .value_kind:     global_buffer
      - .offset:         112
        .size:           8
        .value_kind:     by_value
      - .offset:         120
        .size:           4
        .value_kind:     by_value
      - .offset:         128
        .size:           8
        .value_kind:     by_value
      - .offset:         136
        .size:           4
        .value_kind:     by_value
    .group_segment_fixed_size: 128
    .kernarg_segment_align: 8
    .kernarg_segment_size: 140
    .language:       OpenCL C
    .language_version:
      - 2
      - 0
    .max_flat_workgroup_size: 256
    .name:           _ZL32rocblas_gemvt_warp_reduce_kernelILb0ELi256EifffEviiT3_lPKT2_lT1_lS3_lS4_lS0_lPT4_lS4_li
    .private_segment_fixed_size: 0
    .sgpr_count:     44
    .sgpr_spill_count: 0
    .symbol:         _ZL32rocblas_gemvt_warp_reduce_kernelILb0ELi256EifffEviiT3_lPKT2_lT1_lS3_lS4_lS0_lPT4_lS4_li.kd
    .uniform_work_group_size: 1
    .uses_dynamic_stack: false
    .vgpr_count:     21
    .vgpr_spill_count: 0
    .wavefront_size: 32
    .workgroup_processor_mode: 1
  - .args:
      - .offset:         0
        .size:           4
        .value_kind:     by_value
      - .offset:         4
        .size:           4
        .value_kind:     by_value
      - .offset:         8
        .size:           4
        .value_kind:     by_value
      - .offset:         16
        .size:           8
        .value_kind:     by_value
      - .address_space:  global
        .offset:         24
        .size:           8
        .value_kind:     global_buffer
      - .offset:         32
        .size:           8
        .value_kind:     by_value
      - .offset:         40
        .size:           8
        .value_kind:     by_value
      - .offset:         48
        .size:           8
        .value_kind:     by_value
      - .address_space:  global
        .offset:         56
        .size:           8
        .value_kind:     global_buffer
      - .offset:         64
        .size:           8
        .value_kind:     by_value
      - .offset:         72
        .size:           8
        .value_kind:     by_value
      - .offset:         80
        .size:           8
        .value_kind:     by_value
      - .offset:         88
        .size:           4
        .value_kind:     by_value
      - .offset:         96
        .size:           8
        .value_kind:     by_value
      - .address_space:  global
        .offset:         104
        .size:           8
        .value_kind:     global_buffer
      - .offset:         112
        .size:           8
        .value_kind:     by_value
      - .offset:         120
        .size:           8
        .value_kind:     by_value
      - .offset:         128
        .size:           8
        .value_kind:     by_value
      - .offset:         136
        .size:           4
        .value_kind:     by_value
    .group_segment_fixed_size: 128
    .kernarg_segment_align: 8
    .kernarg_segment_size: 140
    .language:       OpenCL C
    .language_version:
      - 2
      - 0
    .max_flat_workgroup_size: 256
    .name:           _ZL32rocblas_gemvt_warp_reduce_kernelILb0ELi256ElfffEviiT3_lPKT2_lT1_lS3_lS4_lS0_lPT4_lS4_li
    .private_segment_fixed_size: 0
    .sgpr_count:     46
    .sgpr_spill_count: 0
    .symbol:         _ZL32rocblas_gemvt_warp_reduce_kernelILb0ELi256ElfffEviiT3_lPKT2_lT1_lS3_lS4_lS0_lPT4_lS4_li.kd
    .uniform_work_group_size: 1
    .uses_dynamic_stack: false
    .vgpr_count:     22
    .vgpr_spill_count: 0
    .wavefront_size: 32
    .workgroup_processor_mode: 1
  - .args:
      - .offset:         0
        .size:           4
        .value_kind:     by_value
      - .offset:         4
        .size:           4
        .value_kind:     by_value
      - .address_space:  global
        .offset:         8
        .size:           8
        .value_kind:     global_buffer
      - .offset:         16
        .size:           8
        .value_kind:     by_value
      - .address_space:  global
        .offset:         24
        .size:           8
        .value_kind:     global_buffer
      - .offset:         32
        .size:           8
        .value_kind:     by_value
      - .offset:         40
        .size:           4
        .value_kind:     by_value
      - .offset:         48
        .size:           8
        .value_kind:     by_value
      - .address_space:  global
        .offset:         56
        .size:           8
        .value_kind:     global_buffer
      - .offset:         64
        .size:           8
        .value_kind:     by_value
      - .offset:         72
        .size:           4
        .value_kind:     by_value
      - .offset:         80
        .size:           8
        .value_kind:     by_value
      - .address_space:  global
        .offset:         88
        .size:           8
        .value_kind:     global_buffer
      - .offset:         96
        .size:           8
        .value_kind:     by_value
      - .address_space:  global
        .offset:         104
        .size:           8
        .value_kind:     global_buffer
      - .offset:         112
        .size:           8
        .value_kind:     by_value
      - .offset:         120
        .size:           4
        .value_kind:     by_value
      - .offset:         128
        .size:           8
        .value_kind:     by_value
      - .offset:         136
        .size:           4
        .value_kind:     by_value
    .group_segment_fixed_size: 1024
    .kernarg_segment_align: 8
    .kernarg_segment_size: 140
    .language:       OpenCL C
    .language_version:
      - 2
      - 0
    .max_flat_workgroup_size: 256
    .name:           _ZL20rocblas_gemvt_kernelILb0ELi256EfPKffEviiT2_lPKT1_lilS5_lilS2_lPT3_lili
    .private_segment_fixed_size: 0
    .sgpr_count:     54
    .sgpr_spill_count: 0
    .symbol:         _ZL20rocblas_gemvt_kernelILb0ELi256EfPKffEviiT2_lPKT1_lilS5_lilS2_lPT3_lili.kd
    .uniform_work_group_size: 1
    .uses_dynamic_stack: false
    .vgpr_count:     19
    .vgpr_spill_count: 0
    .wavefront_size: 32
    .workgroup_processor_mode: 1
  - .args:
      - .offset:         0
        .size:           4
        .value_kind:     by_value
      - .offset:         4
        .size:           4
        .value_kind:     by_value
      - .offset:         8
        .size:           4
        .value_kind:     by_value
      - .offset:         16
        .size:           8
        .value_kind:     by_value
      - .address_space:  global
        .offset:         24
        .size:           8
        .value_kind:     global_buffer
      - .offset:         32
        .size:           8
        .value_kind:     by_value
      - .offset:         40
        .size:           4
        .value_kind:     by_value
      - .offset:         48
        .size:           8
        .value_kind:     by_value
      - .address_space:  global
        .offset:         56
        .size:           8
        .value_kind:     global_buffer
      - .offset:         64
        .size:           8
        .value_kind:     by_value
      - .offset:         72
        .size:           4
        .value_kind:     by_value
      - .offset:         80
        .size:           8
        .value_kind:     by_value
      - .offset:         88
        .size:           4
        .value_kind:     by_value
      - .offset:         96
        .size:           8
        .value_kind:     by_value
      - .address_space:  global
        .offset:         104
        .size:           8
        .value_kind:     global_buffer
      - .offset:         112
        .size:           8
        .value_kind:     by_value
      - .offset:         120
        .size:           4
        .value_kind:     by_value
      - .offset:         128
        .size:           8
        .value_kind:     by_value
      - .offset:         136
        .size:           4
        .value_kind:     by_value
    .group_segment_fixed_size: 1024
    .kernarg_segment_align: 8
    .kernarg_segment_size: 140
    .language:       OpenCL C
    .language_version:
      - 2
      - 0
    .max_flat_workgroup_size: 256
    .name:           _ZL20rocblas_gemvt_kernelILb0ELi256EfffEviiT2_lPKT1_lilS3_lilS0_lPT3_lili
    .private_segment_fixed_size: 0
    .sgpr_count:     50
    .sgpr_spill_count: 0
    .symbol:         _ZL20rocblas_gemvt_kernelILb0ELi256EfffEviiT2_lPKT1_lilS3_lilS0_lPT3_lili.kd
    .uniform_work_group_size: 1
    .uses_dynamic_stack: false
    .vgpr_count:     17
    .vgpr_spill_count: 0
    .wavefront_size: 32
    .workgroup_processor_mode: 1
  - .args:
      - .offset:         0
        .size:           4
        .value_kind:     by_value
      - .offset:         4
        .size:           4
        .value_kind:     by_value
      - .address_space:  global
        .offset:         8
        .size:           8
        .value_kind:     global_buffer
      - .offset:         16
        .size:           8
        .value_kind:     by_value
      - .address_space:  global
        .offset:         24
        .size:           8
        .value_kind:     global_buffer
      - .offset:         32
        .size:           8
        .value_kind:     by_value
      - .offset:         40
        .size:           4
        .value_kind:     by_value
      - .offset:         48
        .size:           8
        .value_kind:     by_value
      - .address_space:  global
        .offset:         56
        .size:           8
        .value_kind:     global_buffer
      - .offset:         64
        .size:           8
        .value_kind:     by_value
      - .offset:         72
        .size:           4
        .value_kind:     by_value
      - .offset:         80
        .size:           8
        .value_kind:     by_value
      - .address_space:  global
        .offset:         88
        .size:           8
        .value_kind:     global_buffer
      - .offset:         96
        .size:           8
        .value_kind:     by_value
      - .address_space:  global
        .offset:         104
        .size:           8
        .value_kind:     global_buffer
      - .offset:         112
        .size:           8
        .value_kind:     by_value
      - .offset:         120
        .size:           4
        .value_kind:     by_value
      - .offset:         128
        .size:           8
        .value_kind:     by_value
      - .offset:         136
        .size:           4
        .value_kind:     by_value
    .group_segment_fixed_size: 128
    .kernarg_segment_align: 8
    .kernarg_segment_size: 140
    .language:       OpenCL C
    .language_version:
      - 2
      - 0
    .max_flat_workgroup_size: 1024
    .name:           _ZL32rocblas_gemvt_warp_reduce_kernelILb0ELi1024EifPKffEviiT3_lPKT2_lT1_lS5_lS6_lS2_lPT4_lS6_li
    .private_segment_fixed_size: 0
    .sgpr_count:     46
    .sgpr_spill_count: 0
    .symbol:         _ZL32rocblas_gemvt_warp_reduce_kernelILb0ELi1024EifPKffEviiT3_lPKT2_lT1_lS5_lS6_lS2_lPT4_lS6_li.kd
    .uniform_work_group_size: 1
    .uses_dynamic_stack: false
    .vgpr_count:     22
    .vgpr_spill_count: 0
    .wavefront_size: 32
    .workgroup_processor_mode: 1
  - .args:
      - .offset:         0
        .size:           4
        .value_kind:     by_value
      - .offset:         4
        .size:           4
        .value_kind:     by_value
      - .address_space:  global
        .offset:         8
        .size:           8
        .value_kind:     global_buffer
      - .offset:         16
        .size:           8
        .value_kind:     by_value
      - .address_space:  global
        .offset:         24
        .size:           8
        .value_kind:     global_buffer
      - .offset:         32
        .size:           8
        .value_kind:     by_value
      - .offset:         40
        .size:           8
        .value_kind:     by_value
      - .offset:         48
        .size:           8
        .value_kind:     by_value
      - .address_space:  global
        .offset:         56
        .size:           8
        .value_kind:     global_buffer
      - .offset:         64
        .size:           8
        .value_kind:     by_value
      - .offset:         72
        .size:           8
        .value_kind:     by_value
      - .offset:         80
        .size:           8
        .value_kind:     by_value
      - .address_space:  global
        .offset:         88
        .size:           8
        .value_kind:     global_buffer
      - .offset:         96
        .size:           8
        .value_kind:     by_value
      - .address_space:  global
        .offset:         104
        .size:           8
        .value_kind:     global_buffer
      - .offset:         112
        .size:           8
        .value_kind:     by_value
      - .offset:         120
        .size:           8
        .value_kind:     by_value
      - .offset:         128
        .size:           8
        .value_kind:     by_value
      - .offset:         136
        .size:           4
        .value_kind:     by_value
    .group_segment_fixed_size: 128
    .kernarg_segment_align: 8
    .kernarg_segment_size: 140
    .language:       OpenCL C
    .language_version:
      - 2
      - 0
    .max_flat_workgroup_size: 1024
    .name:           _ZL32rocblas_gemvt_warp_reduce_kernelILb0ELi1024ElfPKffEviiT3_lPKT2_lT1_lS5_lS6_lS2_lPT4_lS6_li
    .private_segment_fixed_size: 0
    .sgpr_count:     54
    .sgpr_spill_count: 0
    .symbol:         _ZL32rocblas_gemvt_warp_reduce_kernelILb0ELi1024ElfPKffEviiT3_lPKT2_lT1_lS5_lS6_lS2_lPT4_lS6_li.kd
    .uniform_work_group_size: 1
    .uses_dynamic_stack: false
    .vgpr_count:     23
    .vgpr_spill_count: 0
    .wavefront_size: 32
    .workgroup_processor_mode: 1
  - .args:
      - .offset:         0
        .size:           4
        .value_kind:     by_value
      - .offset:         4
        .size:           4
        .value_kind:     by_value
      - .offset:         8
        .size:           4
        .value_kind:     by_value
      - .offset:         16
        .size:           8
        .value_kind:     by_value
      - .address_space:  global
        .offset:         24
        .size:           8
        .value_kind:     global_buffer
      - .offset:         32
        .size:           8
        .value_kind:     by_value
      - .offset:         40
        .size:           4
        .value_kind:     by_value
      - .offset:         48
        .size:           8
        .value_kind:     by_value
      - .address_space:  global
        .offset:         56
        .size:           8
        .value_kind:     global_buffer
      - .offset:         64
        .size:           8
        .value_kind:     by_value
      - .offset:         72
        .size:           4
        .value_kind:     by_value
      - .offset:         80
        .size:           8
        .value_kind:     by_value
      - .offset:         88
        .size:           4
        .value_kind:     by_value
      - .offset:         96
        .size:           8
        .value_kind:     by_value
      - .address_space:  global
        .offset:         104
        .size:           8
        .value_kind:     global_buffer
      - .offset:         112
        .size:           8
        .value_kind:     by_value
      - .offset:         120
        .size:           4
        .value_kind:     by_value
      - .offset:         128
        .size:           8
        .value_kind:     by_value
      - .offset:         136
        .size:           4
        .value_kind:     by_value
    .group_segment_fixed_size: 128
    .kernarg_segment_align: 8
    .kernarg_segment_size: 140
    .language:       OpenCL C
    .language_version:
      - 2
      - 0
    .max_flat_workgroup_size: 1024
    .name:           _ZL32rocblas_gemvt_warp_reduce_kernelILb0ELi1024EifffEviiT3_lPKT2_lT1_lS3_lS4_lS0_lPT4_lS4_li
    .private_segment_fixed_size: 0
    .sgpr_count:     44
    .sgpr_spill_count: 0
    .symbol:         _ZL32rocblas_gemvt_warp_reduce_kernelILb0ELi1024EifffEviiT3_lPKT2_lT1_lS3_lS4_lS0_lPT4_lS4_li.kd
    .uniform_work_group_size: 1
    .uses_dynamic_stack: false
    .vgpr_count:     21
    .vgpr_spill_count: 0
    .wavefront_size: 32
    .workgroup_processor_mode: 1
  - .args:
      - .offset:         0
        .size:           4
        .value_kind:     by_value
      - .offset:         4
        .size:           4
        .value_kind:     by_value
      - .offset:         8
        .size:           4
        .value_kind:     by_value
      - .offset:         16
        .size:           8
        .value_kind:     by_value
      - .address_space:  global
        .offset:         24
        .size:           8
        .value_kind:     global_buffer
      - .offset:         32
        .size:           8
        .value_kind:     by_value
      - .offset:         40
        .size:           8
        .value_kind:     by_value
      - .offset:         48
        .size:           8
        .value_kind:     by_value
      - .address_space:  global
        .offset:         56
        .size:           8
        .value_kind:     global_buffer
      - .offset:         64
        .size:           8
        .value_kind:     by_value
      - .offset:         72
        .size:           8
        .value_kind:     by_value
      - .offset:         80
        .size:           8
        .value_kind:     by_value
      - .offset:         88
        .size:           4
        .value_kind:     by_value
      - .offset:         96
        .size:           8
        .value_kind:     by_value
      - .address_space:  global
        .offset:         104
        .size:           8
        .value_kind:     global_buffer
      - .offset:         112
        .size:           8
        .value_kind:     by_value
      - .offset:         120
        .size:           8
        .value_kind:     by_value
      - .offset:         128
        .size:           8
        .value_kind:     by_value
      - .offset:         136
        .size:           4
        .value_kind:     by_value
    .group_segment_fixed_size: 128
    .kernarg_segment_align: 8
    .kernarg_segment_size: 140
    .language:       OpenCL C
    .language_version:
      - 2
      - 0
    .max_flat_workgroup_size: 1024
    .name:           _ZL32rocblas_gemvt_warp_reduce_kernelILb0ELi1024ElfffEviiT3_lPKT2_lT1_lS3_lS4_lS0_lPT4_lS4_li
    .private_segment_fixed_size: 0
    .sgpr_count:     46
    .sgpr_spill_count: 0
    .symbol:         _ZL32rocblas_gemvt_warp_reduce_kernelILb0ELi1024ElfffEviiT3_lPKT2_lT1_lS3_lS4_lS0_lPT4_lS4_li.kd
    .uniform_work_group_size: 1
    .uses_dynamic_stack: false
    .vgpr_count:     22
    .vgpr_spill_count: 0
    .wavefront_size: 32
    .workgroup_processor_mode: 1
  - .args:
      - .offset:         0
        .size:           4
        .value_kind:     by_value
      - .offset:         4
        .size:           4
        .value_kind:     by_value
      - .address_space:  global
        .offset:         8
        .size:           8
        .value_kind:     global_buffer
      - .offset:         16
        .size:           8
        .value_kind:     by_value
      - .address_space:  global
        .offset:         24
        .size:           8
        .value_kind:     global_buffer
      - .offset:         32
        .size:           8
        .value_kind:     by_value
      - .offset:         40
        .size:           4
        .value_kind:     by_value
      - .offset:         48
        .size:           8
        .value_kind:     by_value
      - .address_space:  global
        .offset:         56
        .size:           8
        .value_kind:     global_buffer
      - .offset:         64
        .size:           8
        .value_kind:     by_value
      - .offset:         72
        .size:           4
        .value_kind:     by_value
      - .offset:         80
        .size:           8
        .value_kind:     by_value
      - .address_space:  global
        .offset:         88
        .size:           8
        .value_kind:     global_buffer
      - .offset:         96
        .size:           8
        .value_kind:     by_value
      - .address_space:  global
        .offset:         104
        .size:           8
        .value_kind:     global_buffer
      - .offset:         112
        .size:           8
        .value_kind:     by_value
      - .offset:         120
        .size:           4
        .value_kind:     by_value
      - .offset:         128
        .size:           8
        .value_kind:     by_value
    .group_segment_fixed_size: 256
    .kernarg_segment_align: 8
    .kernarg_segment_size: 136
    .language:       OpenCL C
    .language_version:
      - 2
      - 0
    .max_flat_workgroup_size: 256
    .name:           _ZL22rocblas_gemvtsm_kernelILb1ELi256EfPKffEviiT2_lPKT1_lilS5_lilS2_lPT3_lil
    .private_segment_fixed_size: 0
    .sgpr_count:     32
    .sgpr_spill_count: 0
    .symbol:         _ZL22rocblas_gemvtsm_kernelILb1ELi256EfPKffEviiT2_lPKT1_lilS5_lilS2_lPT3_lil.kd
    .uniform_work_group_size: 1
    .uses_dynamic_stack: false
    .vgpr_count:     26
    .vgpr_spill_count: 0
    .wavefront_size: 32
    .workgroup_processor_mode: 1
  - .args:
      - .offset:         0
        .size:           4
        .value_kind:     by_value
      - .offset:         4
        .size:           4
        .value_kind:     by_value
      - .offset:         8
        .size:           4
        .value_kind:     by_value
      - .offset:         16
        .size:           8
        .value_kind:     by_value
      - .address_space:  global
        .offset:         24
        .size:           8
        .value_kind:     global_buffer
      - .offset:         32
        .size:           8
        .value_kind:     by_value
      - .offset:         40
        .size:           4
        .value_kind:     by_value
      - .offset:         48
        .size:           8
        .value_kind:     by_value
      - .address_space:  global
        .offset:         56
        .size:           8
        .value_kind:     global_buffer
      - .offset:         64
        .size:           8
        .value_kind:     by_value
      - .offset:         72
        .size:           4
        .value_kind:     by_value
      - .offset:         80
        .size:           8
        .value_kind:     by_value
      - .offset:         88
        .size:           4
        .value_kind:     by_value
      - .offset:         96
        .size:           8
        .value_kind:     by_value
      - .address_space:  global
        .offset:         104
        .size:           8
        .value_kind:     global_buffer
      - .offset:         112
        .size:           8
        .value_kind:     by_value
      - .offset:         120
        .size:           4
        .value_kind:     by_value
      - .offset:         128
        .size:           8
        .value_kind:     by_value
    .group_segment_fixed_size: 256
    .kernarg_segment_align: 8
    .kernarg_segment_size: 136
    .language:       OpenCL C
    .language_version:
      - 2
      - 0
    .max_flat_workgroup_size: 256
    .name:           _ZL22rocblas_gemvtsm_kernelILb1ELi256EfffEviiT2_lPKT1_lilS3_lilS0_lPT3_lil
    .private_segment_fixed_size: 0
    .sgpr_count:     27
    .sgpr_spill_count: 0
    .symbol:         _ZL22rocblas_gemvtsm_kernelILb1ELi256EfffEviiT2_lPKT1_lilS3_lilS0_lPT3_lil.kd
    .uniform_work_group_size: 1
    .uses_dynamic_stack: false
    .vgpr_count:     26
    .vgpr_spill_count: 0
    .wavefront_size: 32
    .workgroup_processor_mode: 1
  - .args:
      - .offset:         0
        .size:           4
        .value_kind:     by_value
      - .offset:         4
        .size:           4
        .value_kind:     by_value
      - .address_space:  global
        .offset:         8
        .size:           8
        .value_kind:     global_buffer
      - .offset:         16
        .size:           8
        .value_kind:     by_value
      - .address_space:  global
        .offset:         24
        .size:           8
        .value_kind:     global_buffer
      - .offset:         32
        .size:           8
        .value_kind:     by_value
      - .offset:         40
        .size:           4
        .value_kind:     by_value
      - .offset:         48
        .size:           8
        .value_kind:     by_value
      - .address_space:  global
        .offset:         56
        .size:           8
        .value_kind:     global_buffer
      - .offset:         64
        .size:           8
        .value_kind:     by_value
      - .offset:         72
        .size:           4
        .value_kind:     by_value
      - .offset:         80
        .size:           8
        .value_kind:     by_value
      - .address_space:  global
        .offset:         88
        .size:           8
        .value_kind:     global_buffer
      - .offset:         96
        .size:           4
        .value_kind:     by_value
      - .offset:         104
        .size:           4
        .value_kind:     hidden_block_count_x
      - .offset:         108
        .size:           4
        .value_kind:     hidden_block_count_y
      - .offset:         112
        .size:           4
        .value_kind:     hidden_block_count_z
      - .offset:         116
        .size:           2
        .value_kind:     hidden_group_size_x
      - .offset:         118
        .size:           2
        .value_kind:     hidden_group_size_y
      - .offset:         120
        .size:           2
        .value_kind:     hidden_group_size_z
      - .offset:         122
        .size:           2
        .value_kind:     hidden_remainder_x
      - .offset:         124
        .size:           2
        .value_kind:     hidden_remainder_y
      - .offset:         126
        .size:           2
        .value_kind:     hidden_remainder_z
      - .offset:         144
        .size:           8
        .value_kind:     hidden_global_offset_x
      - .offset:         152
        .size:           8
        .value_kind:     hidden_global_offset_y
      - .offset:         160
        .size:           8
        .value_kind:     hidden_global_offset_z
      - .offset:         168
        .size:           2
        .value_kind:     hidden_grid_dims
    .group_segment_fixed_size: 128
    .kernarg_segment_align: 8
    .kernarg_segment_size: 360
    .language:       OpenCL C
    .language_version:
      - 2
      - 0
    .max_flat_workgroup_size: 256
    .name:           _ZL23rocblas_gemvt_sn_kernelILb1ELi256ELi4EifPKffEviiT4_lPKT3_lilS5_lilPT5_i
    .private_segment_fixed_size: 0
    .sgpr_count:     80
    .sgpr_spill_count: 0
    .symbol:         _ZL23rocblas_gemvt_sn_kernelILb1ELi256ELi4EifPKffEviiT4_lPKT3_lilS5_lilPT5_i.kd
    .uniform_work_group_size: 1
    .uses_dynamic_stack: false
    .vgpr_count:     58
    .vgpr_spill_count: 0
    .wavefront_size: 32
    .workgroup_processor_mode: 1
  - .args:
      - .offset:         0
        .size:           4
        .value_kind:     by_value
      - .offset:         4
        .size:           4
        .value_kind:     by_value
      - .address_space:  global
        .offset:         8
        .size:           8
        .value_kind:     global_buffer
      - .offset:         16
        .size:           8
        .value_kind:     by_value
      - .address_space:  global
        .offset:         24
        .size:           8
        .value_kind:     global_buffer
      - .offset:         32
        .size:           8
        .value_kind:     by_value
      - .offset:         40
        .size:           4
        .value_kind:     by_value
      - .offset:         48
        .size:           8
        .value_kind:     by_value
      - .address_space:  global
        .offset:         56
        .size:           8
        .value_kind:     global_buffer
      - .offset:         64
        .size:           8
        .value_kind:     by_value
      - .offset:         72
        .size:           4
        .value_kind:     by_value
      - .offset:         80
        .size:           8
        .value_kind:     by_value
      - .address_space:  global
        .offset:         88
        .size:           8
        .value_kind:     global_buffer
      - .offset:         96
        .size:           4
        .value_kind:     by_value
      - .offset:         104
        .size:           4
        .value_kind:     hidden_block_count_x
      - .offset:         108
        .size:           4
        .value_kind:     hidden_block_count_y
      - .offset:         112
        .size:           4
        .value_kind:     hidden_block_count_z
      - .offset:         116
        .size:           2
        .value_kind:     hidden_group_size_x
      - .offset:         118
        .size:           2
        .value_kind:     hidden_group_size_y
      - .offset:         120
        .size:           2
        .value_kind:     hidden_group_size_z
      - .offset:         122
        .size:           2
        .value_kind:     hidden_remainder_x
      - .offset:         124
        .size:           2
        .value_kind:     hidden_remainder_y
      - .offset:         126
        .size:           2
        .value_kind:     hidden_remainder_z
      - .offset:         144
        .size:           8
        .value_kind:     hidden_global_offset_x
      - .offset:         152
        .size:           8
        .value_kind:     hidden_global_offset_y
      - .offset:         160
        .size:           8
        .value_kind:     hidden_global_offset_z
      - .offset:         168
        .size:           2
        .value_kind:     hidden_grid_dims
    .group_segment_fixed_size: 128
    .kernarg_segment_align: 8
    .kernarg_segment_size: 360
    .language:       OpenCL C
    .language_version:
      - 2
      - 0
    .max_flat_workgroup_size: 256
    .name:           _ZL23rocblas_gemvt_sn_kernelILb1ELi256ELi4ElfPKffEviiT4_lPKT3_lilS5_lilPT5_i
    .private_segment_fixed_size: 0
    .sgpr_count:     74
    .sgpr_spill_count: 0
    .symbol:         _ZL23rocblas_gemvt_sn_kernelILb1ELi256ELi4ElfPKffEviiT4_lPKT3_lilS5_lilPT5_i.kd
    .uniform_work_group_size: 1
    .uses_dynamic_stack: false
    .vgpr_count:     61
    .vgpr_spill_count: 0
    .wavefront_size: 32
    .workgroup_processor_mode: 1
  - .args:
      - .offset:         0
        .size:           4
        .value_kind:     by_value
      - .offset:         4
        .size:           4
        .value_kind:     by_value
      - .offset:         8
        .size:           4
        .value_kind:     by_value
      - .offset:         16
        .size:           8
        .value_kind:     by_value
      - .address_space:  global
        .offset:         24
        .size:           8
        .value_kind:     global_buffer
      - .offset:         32
        .size:           8
        .value_kind:     by_value
      - .offset:         40
        .size:           4
        .value_kind:     by_value
      - .offset:         48
        .size:           8
        .value_kind:     by_value
      - .address_space:  global
        .offset:         56
        .size:           8
        .value_kind:     global_buffer
      - .offset:         64
        .size:           8
        .value_kind:     by_value
      - .offset:         72
        .size:           4
        .value_kind:     by_value
      - .offset:         80
        .size:           8
        .value_kind:     by_value
      - .address_space:  global
        .offset:         88
        .size:           8
        .value_kind:     global_buffer
      - .offset:         96
        .size:           4
        .value_kind:     by_value
      - .offset:         104
        .size:           4
        .value_kind:     hidden_block_count_x
      - .offset:         108
        .size:           4
        .value_kind:     hidden_block_count_y
      - .offset:         112
        .size:           4
        .value_kind:     hidden_block_count_z
      - .offset:         116
        .size:           2
        .value_kind:     hidden_group_size_x
      - .offset:         118
        .size:           2
        .value_kind:     hidden_group_size_y
      - .offset:         120
        .size:           2
        .value_kind:     hidden_group_size_z
      - .offset:         122
        .size:           2
        .value_kind:     hidden_remainder_x
      - .offset:         124
        .size:           2
        .value_kind:     hidden_remainder_y
      - .offset:         126
        .size:           2
        .value_kind:     hidden_remainder_z
      - .offset:         144
        .size:           8
        .value_kind:     hidden_global_offset_x
      - .offset:         152
        .size:           8
        .value_kind:     hidden_global_offset_y
      - .offset:         160
        .size:           8
        .value_kind:     hidden_global_offset_z
      - .offset:         168
        .size:           2
        .value_kind:     hidden_grid_dims
    .group_segment_fixed_size: 128
    .kernarg_segment_align: 8
    .kernarg_segment_size: 360
    .language:       OpenCL C
    .language_version:
      - 2
      - 0
    .max_flat_workgroup_size: 256
    .name:           _ZL23rocblas_gemvt_sn_kernelILb1ELi256ELi4EifffEviiT4_lPKT3_lilS3_lilPT5_i
    .private_segment_fixed_size: 0
    .sgpr_count:     78
    .sgpr_spill_count: 0
    .symbol:         _ZL23rocblas_gemvt_sn_kernelILb1ELi256ELi4EifffEviiT4_lPKT3_lilS3_lilPT5_i.kd
    .uniform_work_group_size: 1
    .uses_dynamic_stack: false
    .vgpr_count:     57
    .vgpr_spill_count: 0
    .wavefront_size: 32
    .workgroup_processor_mode: 1
  - .args:
      - .offset:         0
        .size:           4
        .value_kind:     by_value
      - .offset:         4
        .size:           4
        .value_kind:     by_value
      - .offset:         8
        .size:           4
        .value_kind:     by_value
      - .offset:         16
        .size:           8
        .value_kind:     by_value
      - .address_space:  global
        .offset:         24
        .size:           8
        .value_kind:     global_buffer
      - .offset:         32
        .size:           8
        .value_kind:     by_value
      - .offset:         40
        .size:           4
        .value_kind:     by_value
      - .offset:         48
        .size:           8
        .value_kind:     by_value
      - .address_space:  global
        .offset:         56
        .size:           8
        .value_kind:     global_buffer
      - .offset:         64
        .size:           8
        .value_kind:     by_value
      - .offset:         72
        .size:           4
        .value_kind:     by_value
      - .offset:         80
        .size:           8
        .value_kind:     by_value
      - .address_space:  global
        .offset:         88
        .size:           8
        .value_kind:     global_buffer
      - .offset:         96
        .size:           4
        .value_kind:     by_value
      - .offset:         104
        .size:           4
        .value_kind:     hidden_block_count_x
      - .offset:         108
        .size:           4
        .value_kind:     hidden_block_count_y
      - .offset:         112
        .size:           4
        .value_kind:     hidden_block_count_z
      - .offset:         116
        .size:           2
        .value_kind:     hidden_group_size_x
      - .offset:         118
        .size:           2
        .value_kind:     hidden_group_size_y
      - .offset:         120
        .size:           2
        .value_kind:     hidden_group_size_z
      - .offset:         122
        .size:           2
        .value_kind:     hidden_remainder_x
      - .offset:         124
        .size:           2
        .value_kind:     hidden_remainder_y
      - .offset:         126
        .size:           2
        .value_kind:     hidden_remainder_z
      - .offset:         144
        .size:           8
        .value_kind:     hidden_global_offset_x
      - .offset:         152
        .size:           8
        .value_kind:     hidden_global_offset_y
      - .offset:         160
        .size:           8
        .value_kind:     hidden_global_offset_z
      - .offset:         168
        .size:           2
        .value_kind:     hidden_grid_dims
    .group_segment_fixed_size: 128
    .kernarg_segment_align: 8
    .kernarg_segment_size: 360
    .language:       OpenCL C
    .language_version:
      - 2
      - 0
    .max_flat_workgroup_size: 256
    .name:           _ZL23rocblas_gemvt_sn_kernelILb1ELi256ELi4ElfffEviiT4_lPKT3_lilS3_lilPT5_i
    .private_segment_fixed_size: 0
    .sgpr_count:     72
    .sgpr_spill_count: 0
    .symbol:         _ZL23rocblas_gemvt_sn_kernelILb1ELi256ELi4ElfffEviiT4_lPKT3_lilS3_lilPT5_i.kd
    .uniform_work_group_size: 1
    .uses_dynamic_stack: false
    .vgpr_count:     60
    .vgpr_spill_count: 0
    .wavefront_size: 32
    .workgroup_processor_mode: 1
  - .args:
      - .offset:         0
        .size:           4
        .value_kind:     by_value
      - .offset:         4
        .size:           4
        .value_kind:     by_value
      - .address_space:  global
        .offset:         8
        .size:           8
        .value_kind:     global_buffer
      - .offset:         16
        .size:           8
        .value_kind:     by_value
      - .address_space:  global
        .offset:         24
        .size:           8
        .value_kind:     global_buffer
      - .offset:         32
        .size:           8
        .value_kind:     by_value
      - .offset:         40
        .size:           4
        .value_kind:     by_value
      - .offset:         48
        .size:           8
        .value_kind:     by_value
      - .address_space:  global
        .offset:         56
        .size:           8
        .value_kind:     global_buffer
      - .offset:         64
        .size:           8
        .value_kind:     by_value
      - .offset:         72
        .size:           4
        .value_kind:     by_value
      - .offset:         80
        .size:           8
        .value_kind:     by_value
      - .address_space:  global
        .offset:         88
        .size:           8
        .value_kind:     global_buffer
      - .offset:         96
        .size:           8
        .value_kind:     by_value
      - .offset:         104
        .size:           4
        .value_kind:     by_value
      - .offset:         112
        .size:           8
        .value_kind:     by_value
      - .offset:         120
        .size:           4
        .value_kind:     by_value
      - .offset:         128
        .size:           4
        .value_kind:     hidden_block_count_x
      - .offset:         132
        .size:           4
        .value_kind:     hidden_block_count_y
      - .offset:         136
        .size:           4
        .value_kind:     hidden_block_count_z
      - .offset:         140
        .size:           2
        .value_kind:     hidden_group_size_x
      - .offset:         142
        .size:           2
        .value_kind:     hidden_group_size_y
      - .offset:         144
        .size:           2
        .value_kind:     hidden_group_size_z
      - .offset:         146
        .size:           2
        .value_kind:     hidden_remainder_x
      - .offset:         148
        .size:           2
        .value_kind:     hidden_remainder_y
      - .offset:         150
        .size:           2
        .value_kind:     hidden_remainder_z
      - .offset:         168
        .size:           8
        .value_kind:     hidden_global_offset_x
      - .offset:         176
        .size:           8
        .value_kind:     hidden_global_offset_y
      - .offset:         184
        .size:           8
        .value_kind:     hidden_global_offset_z
      - .offset:         192
        .size:           2
        .value_kind:     hidden_grid_dims
    .group_segment_fixed_size: 32768
    .kernarg_segment_align: 8
    .kernarg_segment_size: 384
    .language:       OpenCL C
    .language_version:
      - 2
      - 0
    .max_flat_workgroup_size: 1024
    .name:           _ZL36rocblas_gemvt_double_buffered_kernelILb1ELi128ELi8ELi8EfPKffEviiT4_lPKT3_lilS5_lilPT5_lili
    .private_segment_fixed_size: 0
    .sgpr_count:     43
    .sgpr_spill_count: 0
    .symbol:         _ZL36rocblas_gemvt_double_buffered_kernelILb1ELi128ELi8ELi8EfPKffEviiT4_lPKT3_lilS5_lilPT5_lili.kd
    .uniform_work_group_size: 1
    .uses_dynamic_stack: false
    .vgpr_count:     156
    .vgpr_spill_count: 0
    .wavefront_size: 32
    .workgroup_processor_mode: 1
  - .args:
      - .offset:         0
        .size:           4
        .value_kind:     by_value
      - .offset:         4
        .size:           4
        .value_kind:     by_value
      - .offset:         8
        .size:           4
        .value_kind:     by_value
      - .offset:         16
        .size:           8
        .value_kind:     by_value
      - .address_space:  global
        .offset:         24
        .size:           8
        .value_kind:     global_buffer
      - .offset:         32
        .size:           8
        .value_kind:     by_value
      - .offset:         40
        .size:           4
        .value_kind:     by_value
      - .offset:         48
        .size:           8
        .value_kind:     by_value
      - .address_space:  global
        .offset:         56
        .size:           8
        .value_kind:     global_buffer
      - .offset:         64
        .size:           8
        .value_kind:     by_value
      - .offset:         72
        .size:           4
        .value_kind:     by_value
      - .offset:         80
        .size:           8
        .value_kind:     by_value
      - .address_space:  global
        .offset:         88
        .size:           8
        .value_kind:     global_buffer
      - .offset:         96
        .size:           8
        .value_kind:     by_value
      - .offset:         104
        .size:           4
        .value_kind:     by_value
      - .offset:         112
        .size:           8
        .value_kind:     by_value
      - .offset:         120
        .size:           4
        .value_kind:     by_value
      - .offset:         128
        .size:           4
        .value_kind:     hidden_block_count_x
      - .offset:         132
        .size:           4
        .value_kind:     hidden_block_count_y
      - .offset:         136
        .size:           4
        .value_kind:     hidden_block_count_z
      - .offset:         140
        .size:           2
        .value_kind:     hidden_group_size_x
      - .offset:         142
        .size:           2
        .value_kind:     hidden_group_size_y
      - .offset:         144
        .size:           2
        .value_kind:     hidden_group_size_z
      - .offset:         146
        .size:           2
        .value_kind:     hidden_remainder_x
      - .offset:         148
        .size:           2
        .value_kind:     hidden_remainder_y
      - .offset:         150
        .size:           2
        .value_kind:     hidden_remainder_z
      - .offset:         168
        .size:           8
        .value_kind:     hidden_global_offset_x
      - .offset:         176
        .size:           8
        .value_kind:     hidden_global_offset_y
      - .offset:         184
        .size:           8
        .value_kind:     hidden_global_offset_z
      - .offset:         192
        .size:           2
        .value_kind:     hidden_grid_dims
    .group_segment_fixed_size: 32768
    .kernarg_segment_align: 8
    .kernarg_segment_size: 384
    .language:       OpenCL C
    .language_version:
      - 2
      - 0
    .max_flat_workgroup_size: 1024
    .name:           _ZL36rocblas_gemvt_double_buffered_kernelILb1ELi128ELi8ELi8EfffEviiT4_lPKT3_lilS3_lilPT5_lili
    .private_segment_fixed_size: 0
    .sgpr_count:     41
    .sgpr_spill_count: 0
    .symbol:         _ZL36rocblas_gemvt_double_buffered_kernelILb1ELi128ELi8ELi8EfffEviiT4_lPKT3_lilS3_lilPT5_lili.kd
    .uniform_work_group_size: 1
    .uses_dynamic_stack: false
    .vgpr_count:     154
    .vgpr_spill_count: 0
    .wavefront_size: 32
    .workgroup_processor_mode: 1
  - .args:
      - .offset:         0
        .size:           4
        .value_kind:     by_value
      - .offset:         4
        .size:           4
        .value_kind:     by_value
      - .address_space:  global
        .offset:         8
        .size:           8
        .value_kind:     global_buffer
      - .offset:         16
        .size:           8
        .value_kind:     by_value
      - .address_space:  global
        .offset:         24
        .size:           8
        .value_kind:     global_buffer
      - .offset:         32
        .size:           8
        .value_kind:     by_value
      - .offset:         40
        .size:           4
        .value_kind:     by_value
      - .offset:         48
        .size:           8
        .value_kind:     by_value
      - .address_space:  global
        .offset:         56
        .size:           8
        .value_kind:     global_buffer
      - .offset:         64
        .size:           8
        .value_kind:     by_value
      - .offset:         72
        .size:           4
        .value_kind:     by_value
      - .offset:         80
        .size:           8
        .value_kind:     by_value
      - .address_space:  global
        .offset:         88
        .size:           8
        .value_kind:     global_buffer
      - .offset:         96
        .size:           8
        .value_kind:     by_value
      - .address_space:  global
        .offset:         104
        .size:           8
        .value_kind:     global_buffer
      - .offset:         112
        .size:           8
        .value_kind:     by_value
      - .offset:         120
        .size:           4
        .value_kind:     by_value
      - .offset:         128
        .size:           8
        .value_kind:     by_value
      - .offset:         136
        .size:           4
        .value_kind:     by_value
    .group_segment_fixed_size: 1024
    .kernarg_segment_align: 8
    .kernarg_segment_size: 140
    .language:       OpenCL C
    .language_version:
      - 2
      - 0
    .max_flat_workgroup_size: 256
    .name:           _ZL20rocblas_gemvt_kernelILb1ELi256EfPKffEviiT2_lPKT1_lilS5_lilS2_lPT3_lili
    .private_segment_fixed_size: 0
    .sgpr_count:     54
    .sgpr_spill_count: 0
    .symbol:         _ZL20rocblas_gemvt_kernelILb1ELi256EfPKffEviiT2_lPKT1_lilS5_lilS2_lPT3_lili.kd
    .uniform_work_group_size: 1
    .uses_dynamic_stack: false
    .vgpr_count:     19
    .vgpr_spill_count: 0
    .wavefront_size: 32
    .workgroup_processor_mode: 1
  - .args:
      - .offset:         0
        .size:           4
        .value_kind:     by_value
      - .offset:         4
        .size:           4
        .value_kind:     by_value
      - .offset:         8
        .size:           4
        .value_kind:     by_value
      - .offset:         16
        .size:           8
        .value_kind:     by_value
      - .address_space:  global
        .offset:         24
        .size:           8
        .value_kind:     global_buffer
      - .offset:         32
        .size:           8
        .value_kind:     by_value
      - .offset:         40
        .size:           4
        .value_kind:     by_value
      - .offset:         48
        .size:           8
        .value_kind:     by_value
      - .address_space:  global
        .offset:         56
        .size:           8
        .value_kind:     global_buffer
      - .offset:         64
        .size:           8
        .value_kind:     by_value
      - .offset:         72
        .size:           4
        .value_kind:     by_value
      - .offset:         80
        .size:           8
        .value_kind:     by_value
      - .offset:         88
        .size:           4
        .value_kind:     by_value
      - .offset:         96
        .size:           8
        .value_kind:     by_value
      - .address_space:  global
        .offset:         104
        .size:           8
        .value_kind:     global_buffer
      - .offset:         112
        .size:           8
        .value_kind:     by_value
      - .offset:         120
        .size:           4
        .value_kind:     by_value
      - .offset:         128
        .size:           8
        .value_kind:     by_value
      - .offset:         136
        .size:           4
        .value_kind:     by_value
    .group_segment_fixed_size: 1024
    .kernarg_segment_align: 8
    .kernarg_segment_size: 140
    .language:       OpenCL C
    .language_version:
      - 2
      - 0
    .max_flat_workgroup_size: 256
    .name:           _ZL20rocblas_gemvt_kernelILb1ELi256EfffEviiT2_lPKT1_lilS3_lilS0_lPT3_lili
    .private_segment_fixed_size: 0
    .sgpr_count:     50
    .sgpr_spill_count: 0
    .symbol:         _ZL20rocblas_gemvt_kernelILb1ELi256EfffEviiT2_lPKT1_lilS3_lilS0_lPT3_lili.kd
    .uniform_work_group_size: 1
    .uses_dynamic_stack: false
    .vgpr_count:     17
    .vgpr_spill_count: 0
    .wavefront_size: 32
    .workgroup_processor_mode: 1
  - .args:
      - .offset:         0
        .size:           4
        .value_kind:     by_value
      - .offset:         4
        .size:           4
        .value_kind:     by_value
      - .address_space:  global
        .offset:         8
        .size:           8
        .value_kind:     global_buffer
      - .offset:         16
        .size:           8
        .value_kind:     by_value
      - .address_space:  global
        .offset:         24
        .size:           8
        .value_kind:     global_buffer
      - .offset:         32
        .size:           8
        .value_kind:     by_value
      - .offset:         40
        .size:           4
        .value_kind:     by_value
      - .offset:         48
        .size:           8
        .value_kind:     by_value
      - .address_space:  global
        .offset:         56
        .size:           8
        .value_kind:     global_buffer
      - .offset:         64
        .size:           8
        .value_kind:     by_value
      - .offset:         72
        .size:           4
        .value_kind:     by_value
      - .offset:         80
        .size:           8
        .value_kind:     by_value
      - .address_space:  global
        .offset:         88
        .size:           8
        .value_kind:     global_buffer
      - .offset:         96
        .size:           8
        .value_kind:     by_value
      - .address_space:  global
        .offset:         104
        .size:           8
        .value_kind:     global_buffer
      - .offset:         112
        .size:           8
        .value_kind:     by_value
      - .offset:         120
        .size:           4
        .value_kind:     by_value
      - .offset:         128
        .size:           8
        .value_kind:     by_value
      - .offset:         136
        .size:           4
        .value_kind:     by_value
    .group_segment_fixed_size: 128
    .kernarg_segment_align: 8
    .kernarg_segment_size: 140
    .language:       OpenCL C
    .language_version:
      - 2
      - 0
    .max_flat_workgroup_size: 1024
    .name:           _ZL32rocblas_gemvt_warp_reduce_kernelILb1ELi1024EifPKffEviiT3_lPKT2_lT1_lS5_lS6_lS2_lPT4_lS6_li
    .private_segment_fixed_size: 0
    .sgpr_count:     46
    .sgpr_spill_count: 0
    .symbol:         _ZL32rocblas_gemvt_warp_reduce_kernelILb1ELi1024EifPKffEviiT3_lPKT2_lT1_lS5_lS6_lS2_lPT4_lS6_li.kd
    .uniform_work_group_size: 1
    .uses_dynamic_stack: false
    .vgpr_count:     22
    .vgpr_spill_count: 0
    .wavefront_size: 32
    .workgroup_processor_mode: 1
  - .args:
      - .offset:         0
        .size:           4
        .value_kind:     by_value
      - .offset:         4
        .size:           4
        .value_kind:     by_value
      - .address_space:  global
        .offset:         8
        .size:           8
        .value_kind:     global_buffer
      - .offset:         16
        .size:           8
        .value_kind:     by_value
      - .address_space:  global
        .offset:         24
        .size:           8
        .value_kind:     global_buffer
      - .offset:         32
        .size:           8
        .value_kind:     by_value
      - .offset:         40
        .size:           8
        .value_kind:     by_value
      - .offset:         48
        .size:           8
        .value_kind:     by_value
      - .address_space:  global
        .offset:         56
        .size:           8
        .value_kind:     global_buffer
      - .offset:         64
        .size:           8
        .value_kind:     by_value
      - .offset:         72
        .size:           8
        .value_kind:     by_value
      - .offset:         80
        .size:           8
        .value_kind:     by_value
      - .address_space:  global
        .offset:         88
        .size:           8
        .value_kind:     global_buffer
      - .offset:         96
        .size:           8
        .value_kind:     by_value
      - .address_space:  global
        .offset:         104
        .size:           8
        .value_kind:     global_buffer
      - .offset:         112
        .size:           8
        .value_kind:     by_value
      - .offset:         120
        .size:           8
        .value_kind:     by_value
      - .offset:         128
        .size:           8
        .value_kind:     by_value
      - .offset:         136
        .size:           4
        .value_kind:     by_value
    .group_segment_fixed_size: 128
    .kernarg_segment_align: 8
    .kernarg_segment_size: 140
    .language:       OpenCL C
    .language_version:
      - 2
      - 0
    .max_flat_workgroup_size: 1024
    .name:           _ZL32rocblas_gemvt_warp_reduce_kernelILb1ELi1024ElfPKffEviiT3_lPKT2_lT1_lS5_lS6_lS2_lPT4_lS6_li
    .private_segment_fixed_size: 0
    .sgpr_count:     54
    .sgpr_spill_count: 0
    .symbol:         _ZL32rocblas_gemvt_warp_reduce_kernelILb1ELi1024ElfPKffEviiT3_lPKT2_lT1_lS5_lS6_lS2_lPT4_lS6_li.kd
    .uniform_work_group_size: 1
    .uses_dynamic_stack: false
    .vgpr_count:     23
    .vgpr_spill_count: 0
    .wavefront_size: 32
    .workgroup_processor_mode: 1
  - .args:
      - .offset:         0
        .size:           4
        .value_kind:     by_value
      - .offset:         4
        .size:           4
        .value_kind:     by_value
      - .offset:         8
        .size:           4
        .value_kind:     by_value
      - .offset:         16
        .size:           8
        .value_kind:     by_value
      - .address_space:  global
        .offset:         24
        .size:           8
        .value_kind:     global_buffer
      - .offset:         32
        .size:           8
        .value_kind:     by_value
      - .offset:         40
        .size:           4
        .value_kind:     by_value
      - .offset:         48
        .size:           8
        .value_kind:     by_value
      - .address_space:  global
        .offset:         56
        .size:           8
        .value_kind:     global_buffer
      - .offset:         64
        .size:           8
        .value_kind:     by_value
      - .offset:         72
        .size:           4
        .value_kind:     by_value
      - .offset:         80
        .size:           8
        .value_kind:     by_value
      - .offset:         88
        .size:           4
        .value_kind:     by_value
      - .offset:         96
        .size:           8
        .value_kind:     by_value
      - .address_space:  global
        .offset:         104
        .size:           8
        .value_kind:     global_buffer
      - .offset:         112
        .size:           8
        .value_kind:     by_value
      - .offset:         120
        .size:           4
        .value_kind:     by_value
      - .offset:         128
        .size:           8
        .value_kind:     by_value
      - .offset:         136
        .size:           4
        .value_kind:     by_value
    .group_segment_fixed_size: 128
    .kernarg_segment_align: 8
    .kernarg_segment_size: 140
    .language:       OpenCL C
    .language_version:
      - 2
      - 0
    .max_flat_workgroup_size: 1024
    .name:           _ZL32rocblas_gemvt_warp_reduce_kernelILb1ELi1024EifffEviiT3_lPKT2_lT1_lS3_lS4_lS0_lPT4_lS4_li
    .private_segment_fixed_size: 0
    .sgpr_count:     44
    .sgpr_spill_count: 0
    .symbol:         _ZL32rocblas_gemvt_warp_reduce_kernelILb1ELi1024EifffEviiT3_lPKT2_lT1_lS3_lS4_lS0_lPT4_lS4_li.kd
    .uniform_work_group_size: 1
    .uses_dynamic_stack: false
    .vgpr_count:     21
    .vgpr_spill_count: 0
    .wavefront_size: 32
    .workgroup_processor_mode: 1
  - .args:
      - .offset:         0
        .size:           4
        .value_kind:     by_value
      - .offset:         4
        .size:           4
        .value_kind:     by_value
      - .offset:         8
        .size:           4
        .value_kind:     by_value
      - .offset:         16
        .size:           8
        .value_kind:     by_value
      - .address_space:  global
        .offset:         24
        .size:           8
        .value_kind:     global_buffer
      - .offset:         32
        .size:           8
        .value_kind:     by_value
      - .offset:         40
        .size:           8
        .value_kind:     by_value
      - .offset:         48
        .size:           8
        .value_kind:     by_value
      - .address_space:  global
        .offset:         56
        .size:           8
        .value_kind:     global_buffer
      - .offset:         64
        .size:           8
        .value_kind:     by_value
      - .offset:         72
        .size:           8
        .value_kind:     by_value
      - .offset:         80
        .size:           8
        .value_kind:     by_value
      - .offset:         88
        .size:           4
        .value_kind:     by_value
      - .offset:         96
        .size:           8
        .value_kind:     by_value
      - .address_space:  global
        .offset:         104
        .size:           8
        .value_kind:     global_buffer
      - .offset:         112
        .size:           8
        .value_kind:     by_value
      - .offset:         120
        .size:           8
        .value_kind:     by_value
      - .offset:         128
        .size:           8
        .value_kind:     by_value
      - .offset:         136
        .size:           4
        .value_kind:     by_value
    .group_segment_fixed_size: 128
    .kernarg_segment_align: 8
    .kernarg_segment_size: 140
    .language:       OpenCL C
    .language_version:
      - 2
      - 0
    .max_flat_workgroup_size: 1024
    .name:           _ZL32rocblas_gemvt_warp_reduce_kernelILb1ELi1024ElfffEviiT3_lPKT2_lT1_lS3_lS4_lS0_lPT4_lS4_li
    .private_segment_fixed_size: 0
    .sgpr_count:     46
    .sgpr_spill_count: 0
    .symbol:         _ZL32rocblas_gemvt_warp_reduce_kernelILb1ELi1024ElfffEviiT3_lPKT2_lT1_lS3_lS4_lS0_lPT4_lS4_li.kd
    .uniform_work_group_size: 1
    .uses_dynamic_stack: false
    .vgpr_count:     22
    .vgpr_spill_count: 0
    .wavefront_size: 32
    .workgroup_processor_mode: 1
  - .args:
      - .offset:         0
        .size:           4
        .value_kind:     by_value
      - .offset:         4
        .size:           4
        .value_kind:     by_value
      - .address_space:  global
        .offset:         8
        .size:           8
        .value_kind:     global_buffer
      - .offset:         16
        .size:           8
        .value_kind:     by_value
      - .address_space:  global
        .offset:         24
        .size:           8
        .value_kind:     global_buffer
      - .offset:         32
        .size:           8
        .value_kind:     by_value
      - .offset:         40
        .size:           4
        .value_kind:     by_value
      - .offset:         48
        .size:           8
        .value_kind:     by_value
      - .address_space:  global
        .offset:         56
        .size:           8
        .value_kind:     global_buffer
      - .offset:         64
        .size:           8
        .value_kind:     by_value
      - .offset:         72
        .size:           4
        .value_kind:     by_value
      - .offset:         80
        .size:           8
        .value_kind:     by_value
      - .address_space:  global
        .offset:         88
        .size:           8
        .value_kind:     global_buffer
      - .offset:         96
        .size:           8
        .value_kind:     by_value
      - .address_space:  global
        .offset:         104
        .size:           8
        .value_kind:     global_buffer
      - .offset:         112
        .size:           8
        .value_kind:     by_value
      - .offset:         120
        .size:           4
        .value_kind:     by_value
      - .offset:         128
        .size:           8
        .value_kind:     by_value
      - .offset:         136
        .size:           4
        .value_kind:     by_value
    .group_segment_fixed_size: 0
    .kernarg_segment_align: 8
    .kernarg_segment_size: 140
    .language:       OpenCL C
    .language_version:
      - 2
      - 0
    .max_flat_workgroup_size: 768
    .name:           _ZL34rocblas_gemvn_sm_mn_batched_kernelILi32ELi24EdPKddEviiT2_lPKT1_lilS5_lilS2_lPT3_lili
    .private_segment_fixed_size: 0
    .sgpr_count:     0
    .sgpr_spill_count: 0
    .symbol:         _ZL34rocblas_gemvn_sm_mn_batched_kernelILi32ELi24EdPKddEviiT2_lPKT1_lilS5_lilS2_lPT3_lili.kd
    .uniform_work_group_size: 1
    .uses_dynamic_stack: false
    .vgpr_count:     0
    .vgpr_spill_count: 0
    .wavefront_size: 32
    .workgroup_processor_mode: 1
  - .args:
      - .offset:         0
        .size:           4
        .value_kind:     by_value
      - .offset:         4
        .size:           4
        .value_kind:     by_value
      - .offset:         8
        .size:           8
        .value_kind:     by_value
      - .offset:         16
        .size:           8
        .value_kind:     by_value
      - .address_space:  global
        .offset:         24
        .size:           8
        .value_kind:     global_buffer
      - .offset:         32
        .size:           8
        .value_kind:     by_value
      - .offset:         40
        .size:           4
        .value_kind:     by_value
      - .offset:         48
        .size:           8
        .value_kind:     by_value
      - .address_space:  global
        .offset:         56
        .size:           8
        .value_kind:     global_buffer
      - .offset:         64
        .size:           8
        .value_kind:     by_value
      - .offset:         72
        .size:           4
        .value_kind:     by_value
      - .offset:         80
        .size:           8
        .value_kind:     by_value
      - .offset:         88
        .size:           8
        .value_kind:     by_value
      - .offset:         96
        .size:           8
        .value_kind:     by_value
      - .address_space:  global
        .offset:         104
        .size:           8
        .value_kind:     global_buffer
      - .offset:         112
        .size:           8
        .value_kind:     by_value
      - .offset:         120
        .size:           4
        .value_kind:     by_value
      - .offset:         128
        .size:           8
        .value_kind:     by_value
      - .offset:         136
        .size:           4
        .value_kind:     by_value
    .group_segment_fixed_size: 0
    .kernarg_segment_align: 8
    .kernarg_segment_size: 140
    .language:       OpenCL C
    .language_version:
      - 2
      - 0
    .max_flat_workgroup_size: 768
    .name:           _ZL34rocblas_gemvn_sm_mn_batched_kernelILi32ELi24EdddEviiT2_lPKT1_lilS3_lilS0_lPT3_lili
    .private_segment_fixed_size: 0
    .sgpr_count:     0
    .sgpr_spill_count: 0
    .symbol:         _ZL34rocblas_gemvn_sm_mn_batched_kernelILi32ELi24EdddEviiT2_lPKT1_lilS3_lilS0_lPT3_lili.kd
    .uniform_work_group_size: 1
    .uses_dynamic_stack: false
    .vgpr_count:     0
    .vgpr_spill_count: 0
    .wavefront_size: 32
    .workgroup_processor_mode: 1
  - .args:
      - .offset:         0
        .size:           4
        .value_kind:     by_value
      - .offset:         4
        .size:           4
        .value_kind:     by_value
      - .address_space:  global
        .offset:         8
        .size:           8
        .value_kind:     global_buffer
      - .offset:         16
        .size:           8
        .value_kind:     by_value
      - .address_space:  global
        .offset:         24
        .size:           8
        .value_kind:     global_buffer
      - .offset:         32
        .size:           8
        .value_kind:     by_value
      - .offset:         40
        .size:           4
        .value_kind:     by_value
      - .offset:         48
        .size:           8
        .value_kind:     by_value
      - .address_space:  global
        .offset:         56
        .size:           8
        .value_kind:     global_buffer
      - .offset:         64
        .size:           8
        .value_kind:     by_value
      - .offset:         72
        .size:           4
        .value_kind:     by_value
      - .offset:         80
        .size:           8
        .value_kind:     by_value
      - .address_space:  global
        .offset:         88
        .size:           8
        .value_kind:     global_buffer
      - .offset:         96
        .size:           8
        .value_kind:     by_value
      - .address_space:  global
        .offset:         104
        .size:           8
        .value_kind:     global_buffer
      - .offset:         112
        .size:           8
        .value_kind:     by_value
      - .offset:         120
        .size:           4
        .value_kind:     by_value
      - .offset:         128
        .size:           8
        .value_kind:     by_value
      - .offset:         136
        .size:           4
        .value_kind:     by_value
      - .offset:         144
        .size:           4
        .value_kind:     hidden_block_count_x
      - .offset:         148
        .size:           4
        .value_kind:     hidden_block_count_y
      - .offset:         152
        .size:           4
        .value_kind:     hidden_block_count_z
      - .offset:         156
        .size:           2
        .value_kind:     hidden_group_size_x
      - .offset:         158
        .size:           2
        .value_kind:     hidden_group_size_y
      - .offset:         160
        .size:           2
        .value_kind:     hidden_group_size_z
      - .offset:         162
        .size:           2
        .value_kind:     hidden_remainder_x
      - .offset:         164
        .size:           2
        .value_kind:     hidden_remainder_y
      - .offset:         166
        .size:           2
        .value_kind:     hidden_remainder_z
      - .offset:         184
        .size:           8
        .value_kind:     hidden_global_offset_x
      - .offset:         192
        .size:           8
        .value_kind:     hidden_global_offset_y
      - .offset:         200
        .size:           8
        .value_kind:     hidden_global_offset_z
      - .offset:         208
        .size:           2
        .value_kind:     hidden_grid_dims
    .group_segment_fixed_size: 8192
    .kernarg_segment_align: 8
    .kernarg_segment_size: 400
    .language:       OpenCL C
    .language_version:
      - 2
      - 0
    .max_flat_workgroup_size: 256
    .name:           _ZL20rocblas_gemvn_kernelILi64ELi4EidPKddEviiT3_lPKT2_lT1_lS5_lS6_lS2_lPT4_lS6_li
    .private_segment_fixed_size: 0
    .sgpr_count:     56
    .sgpr_spill_count: 0
    .symbol:         _ZL20rocblas_gemvn_kernelILi64ELi4EidPKddEviiT3_lPKT2_lT1_lS5_lS6_lS2_lPT4_lS6_li.kd
    .uniform_work_group_size: 1
    .uses_dynamic_stack: false
    .vgpr_count:     76
    .vgpr_spill_count: 0
    .wavefront_size: 32
    .workgroup_processor_mode: 1
  - .args:
      - .offset:         0
        .size:           4
        .value_kind:     by_value
      - .offset:         4
        .size:           4
        .value_kind:     by_value
      - .address_space:  global
        .offset:         8
        .size:           8
        .value_kind:     global_buffer
      - .offset:         16
        .size:           8
        .value_kind:     by_value
      - .address_space:  global
        .offset:         24
        .size:           8
        .value_kind:     global_buffer
      - .offset:         32
        .size:           8
        .value_kind:     by_value
      - .offset:         40
        .size:           8
        .value_kind:     by_value
      - .offset:         48
        .size:           8
        .value_kind:     by_value
      - .address_space:  global
        .offset:         56
        .size:           8
        .value_kind:     global_buffer
      - .offset:         64
        .size:           8
        .value_kind:     by_value
      - .offset:         72
        .size:           8
        .value_kind:     by_value
      - .offset:         80
        .size:           8
        .value_kind:     by_value
      - .address_space:  global
        .offset:         88
        .size:           8
        .value_kind:     global_buffer
      - .offset:         96
        .size:           8
        .value_kind:     by_value
      - .address_space:  global
        .offset:         104
        .size:           8
        .value_kind:     global_buffer
      - .offset:         112
        .size:           8
        .value_kind:     by_value
      - .offset:         120
        .size:           8
        .value_kind:     by_value
      - .offset:         128
        .size:           8
        .value_kind:     by_value
      - .offset:         136
        .size:           4
        .value_kind:     by_value
      - .offset:         144
        .size:           4
        .value_kind:     hidden_block_count_x
      - .offset:         148
        .size:           4
        .value_kind:     hidden_block_count_y
      - .offset:         152
        .size:           4
        .value_kind:     hidden_block_count_z
      - .offset:         156
        .size:           2
        .value_kind:     hidden_group_size_x
      - .offset:         158
        .size:           2
        .value_kind:     hidden_group_size_y
      - .offset:         160
        .size:           2
        .value_kind:     hidden_group_size_z
      - .offset:         162
        .size:           2
        .value_kind:     hidden_remainder_x
      - .offset:         164
        .size:           2
        .value_kind:     hidden_remainder_y
      - .offset:         166
        .size:           2
        .value_kind:     hidden_remainder_z
      - .offset:         184
        .size:           8
        .value_kind:     hidden_global_offset_x
      - .offset:         192
        .size:           8
        .value_kind:     hidden_global_offset_y
      - .offset:         200
        .size:           8
        .value_kind:     hidden_global_offset_z
      - .offset:         208
        .size:           2
        .value_kind:     hidden_grid_dims
    .group_segment_fixed_size: 8192
    .kernarg_segment_align: 8
    .kernarg_segment_size: 400
    .language:       OpenCL C
    .language_version:
      - 2
      - 0
    .max_flat_workgroup_size: 256
    .name:           _ZL20rocblas_gemvn_kernelILi64ELi4EldPKddEviiT3_lPKT2_lT1_lS5_lS6_lS2_lPT4_lS6_li
    .private_segment_fixed_size: 0
    .sgpr_count:     61
    .sgpr_spill_count: 0
    .symbol:         _ZL20rocblas_gemvn_kernelILi64ELi4EldPKddEviiT3_lPKT2_lT1_lS5_lS6_lS2_lPT4_lS6_li.kd
    .uniform_work_group_size: 1
    .uses_dynamic_stack: false
    .vgpr_count:     97
    .vgpr_spill_count: 0
    .wavefront_size: 32
    .workgroup_processor_mode: 1
  - .args:
      - .offset:         0
        .size:           4
        .value_kind:     by_value
      - .offset:         4
        .size:           4
        .value_kind:     by_value
      - .offset:         8
        .size:           8
        .value_kind:     by_value
      - .offset:         16
        .size:           8
        .value_kind:     by_value
      - .address_space:  global
        .offset:         24
        .size:           8
        .value_kind:     global_buffer
      - .offset:         32
        .size:           8
        .value_kind:     by_value
      - .offset:         40
        .size:           4
        .value_kind:     by_value
      - .offset:         48
        .size:           8
        .value_kind:     by_value
      - .address_space:  global
        .offset:         56
        .size:           8
        .value_kind:     global_buffer
      - .offset:         64
        .size:           8
        .value_kind:     by_value
      - .offset:         72
        .size:           4
        .value_kind:     by_value
      - .offset:         80
        .size:           8
        .value_kind:     by_value
      - .offset:         88
        .size:           8
        .value_kind:     by_value
      - .offset:         96
        .size:           8
        .value_kind:     by_value
      - .address_space:  global
        .offset:         104
        .size:           8
        .value_kind:     global_buffer
      - .offset:         112
        .size:           8
        .value_kind:     by_value
      - .offset:         120
        .size:           4
        .value_kind:     by_value
      - .offset:         128
        .size:           8
        .value_kind:     by_value
      - .offset:         136
        .size:           4
        .value_kind:     by_value
      - .offset:         144
        .size:           4
        .value_kind:     hidden_block_count_x
      - .offset:         148
        .size:           4
        .value_kind:     hidden_block_count_y
      - .offset:         152
        .size:           4
        .value_kind:     hidden_block_count_z
      - .offset:         156
        .size:           2
        .value_kind:     hidden_group_size_x
      - .offset:         158
        .size:           2
        .value_kind:     hidden_group_size_y
      - .offset:         160
        .size:           2
        .value_kind:     hidden_group_size_z
      - .offset:         162
        .size:           2
        .value_kind:     hidden_remainder_x
      - .offset:         164
        .size:           2
        .value_kind:     hidden_remainder_y
      - .offset:         166
        .size:           2
        .value_kind:     hidden_remainder_z
      - .offset:         184
        .size:           8
        .value_kind:     hidden_global_offset_x
      - .offset:         192
        .size:           8
        .value_kind:     hidden_global_offset_y
      - .offset:         200
        .size:           8
        .value_kind:     hidden_global_offset_z
      - .offset:         208
        .size:           2
        .value_kind:     hidden_grid_dims
    .group_segment_fixed_size: 8192
    .kernarg_segment_align: 8
    .kernarg_segment_size: 400
    .language:       OpenCL C
    .language_version:
      - 2
      - 0
    .max_flat_workgroup_size: 256
    .name:           _ZL20rocblas_gemvn_kernelILi64ELi4EidddEviiT3_lPKT2_lT1_lS3_lS4_lS0_lPT4_lS4_li
    .private_segment_fixed_size: 0
    .sgpr_count:     55
    .sgpr_spill_count: 0
    .symbol:         _ZL20rocblas_gemvn_kernelILi64ELi4EidddEviiT3_lPKT2_lT1_lS3_lS4_lS0_lPT4_lS4_li.kd
    .uniform_work_group_size: 1
    .uses_dynamic_stack: false
    .vgpr_count:     71
    .vgpr_spill_count: 0
    .wavefront_size: 32
    .workgroup_processor_mode: 1
  - .args:
      - .offset:         0
        .size:           4
        .value_kind:     by_value
      - .offset:         4
        .size:           4
        .value_kind:     by_value
      - .offset:         8
        .size:           8
        .value_kind:     by_value
      - .offset:         16
        .size:           8
        .value_kind:     by_value
      - .address_space:  global
        .offset:         24
        .size:           8
        .value_kind:     global_buffer
      - .offset:         32
        .size:           8
        .value_kind:     by_value
      - .offset:         40
        .size:           8
        .value_kind:     by_value
      - .offset:         48
        .size:           8
        .value_kind:     by_value
      - .address_space:  global
        .offset:         56
        .size:           8
        .value_kind:     global_buffer
      - .offset:         64
        .size:           8
        .value_kind:     by_value
      - .offset:         72
        .size:           8
        .value_kind:     by_value
      - .offset:         80
        .size:           8
        .value_kind:     by_value
      - .offset:         88
        .size:           8
        .value_kind:     by_value
      - .offset:         96
        .size:           8
        .value_kind:     by_value
      - .address_space:  global
        .offset:         104
        .size:           8
        .value_kind:     global_buffer
      - .offset:         112
        .size:           8
        .value_kind:     by_value
      - .offset:         120
        .size:           8
        .value_kind:     by_value
      - .offset:         128
        .size:           8
        .value_kind:     by_value
      - .offset:         136
        .size:           4
        .value_kind:     by_value
      - .offset:         144
        .size:           4
        .value_kind:     hidden_block_count_x
      - .offset:         148
        .size:           4
        .value_kind:     hidden_block_count_y
      - .offset:         152
        .size:           4
        .value_kind:     hidden_block_count_z
      - .offset:         156
        .size:           2
        .value_kind:     hidden_group_size_x
      - .offset:         158
        .size:           2
        .value_kind:     hidden_group_size_y
      - .offset:         160
        .size:           2
        .value_kind:     hidden_group_size_z
      - .offset:         162
        .size:           2
        .value_kind:     hidden_remainder_x
      - .offset:         164
        .size:           2
        .value_kind:     hidden_remainder_y
      - .offset:         166
        .size:           2
        .value_kind:     hidden_remainder_z
      - .offset:         184
        .size:           8
        .value_kind:     hidden_global_offset_x
      - .offset:         192
        .size:           8
        .value_kind:     hidden_global_offset_y
      - .offset:         200
        .size:           8
        .value_kind:     hidden_global_offset_z
      - .offset:         208
        .size:           2
        .value_kind:     hidden_grid_dims
    .group_segment_fixed_size: 8192
    .kernarg_segment_align: 8
    .kernarg_segment_size: 400
    .language:       OpenCL C
    .language_version:
      - 2
      - 0
    .max_flat_workgroup_size: 256
    .name:           _ZL20rocblas_gemvn_kernelILi64ELi4EldddEviiT3_lPKT2_lT1_lS3_lS4_lS0_lPT4_lS4_li
    .private_segment_fixed_size: 0
    .sgpr_count:     60
    .sgpr_spill_count: 0
    .symbol:         _ZL20rocblas_gemvn_kernelILi64ELi4EldddEviiT3_lPKT2_lT1_lS3_lS4_lS0_lPT4_lS4_li.kd
    .uniform_work_group_size: 1
    .uses_dynamic_stack: false
    .vgpr_count:     92
    .vgpr_spill_count: 0
    .wavefront_size: 32
    .workgroup_processor_mode: 1
  - .args:
      - .offset:         0
        .size:           4
        .value_kind:     by_value
      - .address_space:  global
        .offset:         8
        .size:           8
        .value_kind:     global_buffer
      - .offset:         16
        .size:           8
        .value_kind:     by_value
      - .address_space:  global
        .offset:         24
        .size:           8
        .value_kind:     global_buffer
      - .offset:         32
        .size:           8
        .value_kind:     by_value
      - .offset:         40
        .size:           4
        .value_kind:     by_value
      - .offset:         48
        .size:           8
        .value_kind:     by_value
      - .offset:         56
        .size:           4
        .value_kind:     by_value
      - .offset:         64
        .size:           4
        .value_kind:     hidden_block_count_x
      - .offset:         68
        .size:           4
        .value_kind:     hidden_block_count_y
      - .offset:         72
        .size:           4
        .value_kind:     hidden_block_count_z
      - .offset:         76
        .size:           2
        .value_kind:     hidden_group_size_x
      - .offset:         78
        .size:           2
        .value_kind:     hidden_group_size_y
      - .offset:         80
        .size:           2
        .value_kind:     hidden_group_size_z
      - .offset:         82
        .size:           2
        .value_kind:     hidden_remainder_x
      - .offset:         84
        .size:           2
        .value_kind:     hidden_remainder_y
      - .offset:         86
        .size:           2
        .value_kind:     hidden_remainder_z
      - .offset:         104
        .size:           8
        .value_kind:     hidden_global_offset_x
      - .offset:         112
        .size:           8
        .value_kind:     hidden_global_offset_y
      - .offset:         120
        .size:           8
        .value_kind:     hidden_global_offset_z
      - .offset:         128
        .size:           2
        .value_kind:     hidden_grid_dims
    .group_segment_fixed_size: 0
    .kernarg_segment_align: 8
    .kernarg_segment_size: 320
    .language:       OpenCL C
    .language_version:
      - 2
      - 0
    .max_flat_workgroup_size: 256
    .name:           _ZL24rocblas_gemv_scal_kernelILi256EPKdPdEviT0_lT1_lili
    .private_segment_fixed_size: 0
    .sgpr_count:     24
    .sgpr_spill_count: 0
    .symbol:         _ZL24rocblas_gemv_scal_kernelILi256EPKdPdEviT0_lT1_lili.kd
    .uniform_work_group_size: 1
    .uses_dynamic_stack: false
    .vgpr_count:     9
    .vgpr_spill_count: 0
    .wavefront_size: 32
    .workgroup_processor_mode: 1
  - .args:
      - .offset:         0
        .size:           4
        .value_kind:     by_value
      - .offset:         8
        .size:           8
        .value_kind:     by_value
      - .offset:         16
        .size:           8
        .value_kind:     by_value
      - .address_space:  global
        .offset:         24
        .size:           8
        .value_kind:     global_buffer
      - .offset:         32
        .size:           8
        .value_kind:     by_value
      - .offset:         40
        .size:           4
        .value_kind:     by_value
      - .offset:         48
        .size:           8
        .value_kind:     by_value
      - .offset:         56
        .size:           4
        .value_kind:     by_value
      - .offset:         64
        .size:           4
        .value_kind:     hidden_block_count_x
      - .offset:         68
        .size:           4
        .value_kind:     hidden_block_count_y
      - .offset:         72
        .size:           4
        .value_kind:     hidden_block_count_z
      - .offset:         76
        .size:           2
        .value_kind:     hidden_group_size_x
      - .offset:         78
        .size:           2
        .value_kind:     hidden_group_size_y
      - .offset:         80
        .size:           2
        .value_kind:     hidden_group_size_z
      - .offset:         82
        .size:           2
        .value_kind:     hidden_remainder_x
      - .offset:         84
        .size:           2
        .value_kind:     hidden_remainder_y
      - .offset:         86
        .size:           2
        .value_kind:     hidden_remainder_z
      - .offset:         104
        .size:           8
        .value_kind:     hidden_global_offset_x
      - .offset:         112
        .size:           8
        .value_kind:     hidden_global_offset_y
      - .offset:         120
        .size:           8
        .value_kind:     hidden_global_offset_z
      - .offset:         128
        .size:           2
        .value_kind:     hidden_grid_dims
    .group_segment_fixed_size: 0
    .kernarg_segment_align: 8
    .kernarg_segment_size: 320
    .language:       OpenCL C
    .language_version:
      - 2
      - 0
    .max_flat_workgroup_size: 256
    .name:           _ZL24rocblas_gemv_scal_kernelILi256EdPdEviT0_lT1_lili
    .private_segment_fixed_size: 0
    .sgpr_count:     26
    .sgpr_spill_count: 0
    .symbol:         _ZL24rocblas_gemv_scal_kernelILi256EdPdEviT0_lT1_lili.kd
    .uniform_work_group_size: 1
    .uses_dynamic_stack: false
    .vgpr_count:     7
    .vgpr_spill_count: 0
    .wavefront_size: 32
    .workgroup_processor_mode: 1
  - .args:
      - .offset:         0
        .size:           4
        .value_kind:     by_value
      - .offset:         4
        .size:           4
        .value_kind:     by_value
      - .address_space:  global
        .offset:         8
        .size:           8
        .value_kind:     global_buffer
      - .offset:         16
        .size:           8
        .value_kind:     by_value
      - .address_space:  global
        .offset:         24
        .size:           8
        .value_kind:     global_buffer
      - .offset:         32
        .size:           8
        .value_kind:     by_value
      - .offset:         40
        .size:           4
        .value_kind:     by_value
      - .offset:         48
        .size:           8
        .value_kind:     by_value
      - .address_space:  global
        .offset:         56
        .size:           8
        .value_kind:     global_buffer
      - .offset:         64
        .size:           8
        .value_kind:     by_value
      - .offset:         72
        .size:           4
        .value_kind:     by_value
      - .offset:         80
        .size:           8
        .value_kind:     by_value
      - .address_space:  global
        .offset:         88
        .size:           8
        .value_kind:     global_buffer
      - .offset:         96
        .size:           8
        .value_kind:     by_value
      - .offset:         104
        .size:           4
        .value_kind:     by_value
      - .offset:         112
        .size:           8
        .value_kind:     by_value
      - .offset:         120
        .size:           4
        .value_kind:     by_value
      - .offset:         128
        .size:           4
        .value_kind:     hidden_block_count_x
      - .offset:         132
        .size:           4
        .value_kind:     hidden_block_count_y
      - .offset:         136
        .size:           4
        .value_kind:     hidden_block_count_z
      - .offset:         140
        .size:           2
        .value_kind:     hidden_group_size_x
      - .offset:         142
        .size:           2
        .value_kind:     hidden_group_size_y
      - .offset:         144
        .size:           2
        .value_kind:     hidden_group_size_z
      - .offset:         146
        .size:           2
        .value_kind:     hidden_remainder_x
      - .offset:         148
        .size:           2
        .value_kind:     hidden_remainder_y
      - .offset:         150
        .size:           2
        .value_kind:     hidden_remainder_z
      - .offset:         168
        .size:           8
        .value_kind:     hidden_global_offset_x
      - .offset:         176
        .size:           8
        .value_kind:     hidden_global_offset_y
      - .offset:         184
        .size:           8
        .value_kind:     hidden_global_offset_z
      - .offset:         192
        .size:           2
        .value_kind:     hidden_grid_dims
    .group_segment_fixed_size: 8192
    .kernarg_segment_align: 8
    .kernarg_segment_size: 384
    .language:       OpenCL C
    .language_version:
      - 2
      - 0
    .max_flat_workgroup_size: 512
    .name:           _ZL36rocblas_gemvn_double_buffered_kernelILi128ELi4ELi16EdPKddEviiT3_lPKT2_lilS5_lilPT4_lili
    .private_segment_fixed_size: 0
    .sgpr_count:     52
    .sgpr_spill_count: 0
    .symbol:         _ZL36rocblas_gemvn_double_buffered_kernelILi128ELi4ELi16EdPKddEviiT3_lPKT2_lilS5_lilPT4_lili.kd
    .uniform_work_group_size: 1
    .uses_dynamic_stack: false
    .vgpr_count:     217
    .vgpr_spill_count: 0
    .wavefront_size: 32
    .workgroup_processor_mode: 1
  - .args:
      - .offset:         0
        .size:           4
        .value_kind:     by_value
      - .offset:         4
        .size:           4
        .value_kind:     by_value
      - .offset:         8
        .size:           8
        .value_kind:     by_value
      - .offset:         16
        .size:           8
        .value_kind:     by_value
      - .address_space:  global
        .offset:         24
        .size:           8
        .value_kind:     global_buffer
      - .offset:         32
        .size:           8
        .value_kind:     by_value
      - .offset:         40
        .size:           4
        .value_kind:     by_value
      - .offset:         48
        .size:           8
        .value_kind:     by_value
      - .address_space:  global
        .offset:         56
        .size:           8
        .value_kind:     global_buffer
      - .offset:         64
        .size:           8
        .value_kind:     by_value
      - .offset:         72
        .size:           4
        .value_kind:     by_value
      - .offset:         80
        .size:           8
        .value_kind:     by_value
      - .address_space:  global
        .offset:         88
        .size:           8
        .value_kind:     global_buffer
      - .offset:         96
        .size:           8
        .value_kind:     by_value
      - .offset:         104
        .size:           4
        .value_kind:     by_value
      - .offset:         112
        .size:           8
        .value_kind:     by_value
      - .offset:         120
        .size:           4
        .value_kind:     by_value
      - .offset:         128
        .size:           4
        .value_kind:     hidden_block_count_x
      - .offset:         132
        .size:           4
        .value_kind:     hidden_block_count_y
      - .offset:         136
        .size:           4
        .value_kind:     hidden_block_count_z
      - .offset:         140
        .size:           2
        .value_kind:     hidden_group_size_x
      - .offset:         142
        .size:           2
        .value_kind:     hidden_group_size_y
      - .offset:         144
        .size:           2
        .value_kind:     hidden_group_size_z
      - .offset:         146
        .size:           2
        .value_kind:     hidden_remainder_x
      - .offset:         148
        .size:           2
        .value_kind:     hidden_remainder_y
      - .offset:         150
        .size:           2
        .value_kind:     hidden_remainder_z
      - .offset:         168
        .size:           8
        .value_kind:     hidden_global_offset_x
      - .offset:         176
        .size:           8
        .value_kind:     hidden_global_offset_y
      - .offset:         184
        .size:           8
        .value_kind:     hidden_global_offset_z
      - .offset:         192
        .size:           2
        .value_kind:     hidden_grid_dims
    .group_segment_fixed_size: 8192
    .kernarg_segment_align: 8
    .kernarg_segment_size: 384
    .language:       OpenCL C
    .language_version:
      - 2
      - 0
    .max_flat_workgroup_size: 512
    .name:           _ZL36rocblas_gemvn_double_buffered_kernelILi128ELi4ELi16EdddEviiT3_lPKT2_lilS3_lilPT4_lili
    .private_segment_fixed_size: 0
    .sgpr_count:     52
    .sgpr_spill_count: 0
    .symbol:         _ZL36rocblas_gemvn_double_buffered_kernelILi128ELi4ELi16EdddEviiT3_lPKT2_lilS3_lilPT4_lili.kd
    .uniform_work_group_size: 1
    .uses_dynamic_stack: false
    .vgpr_count:     214
    .vgpr_spill_count: 0
    .wavefront_size: 32
    .workgroup_processor_mode: 1
  - .args:
      - .offset:         0
        .size:           4
        .value_kind:     by_value
      - .offset:         4
        .size:           4
        .value_kind:     by_value
      - .address_space:  global
        .offset:         8
        .size:           8
        .value_kind:     global_buffer
      - .offset:         16
        .size:           8
        .value_kind:     by_value
      - .address_space:  global
        .offset:         24
        .size:           8
        .value_kind:     global_buffer
      - .offset:         32
        .size:           8
        .value_kind:     by_value
      - .offset:         40
        .size:           4
        .value_kind:     by_value
      - .offset:         48
        .size:           8
        .value_kind:     by_value
      - .address_space:  global
        .offset:         56
        .size:           8
        .value_kind:     global_buffer
      - .offset:         64
        .size:           8
        .value_kind:     by_value
      - .offset:         72
        .size:           4
        .value_kind:     by_value
      - .offset:         80
        .size:           8
        .value_kind:     by_value
      - .address_space:  global
        .offset:         88
        .size:           8
        .value_kind:     global_buffer
      - .offset:         96
        .size:           8
        .value_kind:     by_value
      - .address_space:  global
        .offset:         104
        .size:           8
        .value_kind:     global_buffer
      - .offset:         112
        .size:           8
        .value_kind:     by_value
      - .offset:         120
        .size:           4
        .value_kind:     by_value
      - .offset:         128
        .size:           8
        .value_kind:     by_value
      - .offset:         136
        .size:           4
        .value_kind:     by_value
      - .offset:         144
        .size:           4
        .value_kind:     hidden_block_count_x
      - .offset:         148
        .size:           4
        .value_kind:     hidden_block_count_y
      - .offset:         152
        .size:           4
        .value_kind:     hidden_block_count_z
      - .offset:         156
        .size:           2
        .value_kind:     hidden_group_size_x
      - .offset:         158
        .size:           2
        .value_kind:     hidden_group_size_y
      - .offset:         160
        .size:           2
        .value_kind:     hidden_group_size_z
      - .offset:         162
        .size:           2
        .value_kind:     hidden_remainder_x
      - .offset:         164
        .size:           2
        .value_kind:     hidden_remainder_y
      - .offset:         166
        .size:           2
        .value_kind:     hidden_remainder_z
      - .offset:         184
        .size:           8
        .value_kind:     hidden_global_offset_x
      - .offset:         192
        .size:           8
        .value_kind:     hidden_global_offset_y
      - .offset:         200
        .size:           8
        .value_kind:     hidden_global_offset_z
      - .offset:         208
        .size:           2
        .value_kind:     hidden_grid_dims
    .group_segment_fixed_size: 16384
    .kernarg_segment_align: 8
    .kernarg_segment_size: 400
    .language:       OpenCL C
    .language_version:
      - 2
      - 0
    .max_flat_workgroup_size: 512
    .name:           _ZL20rocblas_gemvn_kernelILi32ELi16EidPKddEviiT3_lPKT2_lT1_lS5_lS6_lS2_lPT4_lS6_li
    .private_segment_fixed_size: 0
    .sgpr_count:     56
    .sgpr_spill_count: 0
    .symbol:         _ZL20rocblas_gemvn_kernelILi32ELi16EidPKddEviiT3_lPKT2_lT1_lS5_lS6_lS2_lPT4_lS6_li.kd
    .uniform_work_group_size: 1
    .uses_dynamic_stack: false
    .vgpr_count:     76
    .vgpr_spill_count: 0
    .wavefront_size: 32
    .workgroup_processor_mode: 1
  - .args:
      - .offset:         0
        .size:           4
        .value_kind:     by_value
      - .offset:         4
        .size:           4
        .value_kind:     by_value
      - .address_space:  global
        .offset:         8
        .size:           8
        .value_kind:     global_buffer
      - .offset:         16
        .size:           8
        .value_kind:     by_value
      - .address_space:  global
        .offset:         24
        .size:           8
        .value_kind:     global_buffer
      - .offset:         32
        .size:           8
        .value_kind:     by_value
      - .offset:         40
        .size:           8
        .value_kind:     by_value
      - .offset:         48
        .size:           8
        .value_kind:     by_value
      - .address_space:  global
        .offset:         56
        .size:           8
        .value_kind:     global_buffer
      - .offset:         64
        .size:           8
        .value_kind:     by_value
      - .offset:         72
        .size:           8
        .value_kind:     by_value
      - .offset:         80
        .size:           8
        .value_kind:     by_value
      - .address_space:  global
        .offset:         88
        .size:           8
        .value_kind:     global_buffer
      - .offset:         96
        .size:           8
        .value_kind:     by_value
      - .address_space:  global
        .offset:         104
        .size:           8
        .value_kind:     global_buffer
      - .offset:         112
        .size:           8
        .value_kind:     by_value
      - .offset:         120
        .size:           8
        .value_kind:     by_value
      - .offset:         128
        .size:           8
        .value_kind:     by_value
      - .offset:         136
        .size:           4
        .value_kind:     by_value
      - .offset:         144
        .size:           4
        .value_kind:     hidden_block_count_x
      - .offset:         148
        .size:           4
        .value_kind:     hidden_block_count_y
      - .offset:         152
        .size:           4
        .value_kind:     hidden_block_count_z
      - .offset:         156
        .size:           2
        .value_kind:     hidden_group_size_x
      - .offset:         158
        .size:           2
        .value_kind:     hidden_group_size_y
      - .offset:         160
        .size:           2
        .value_kind:     hidden_group_size_z
      - .offset:         162
        .size:           2
        .value_kind:     hidden_remainder_x
      - .offset:         164
        .size:           2
        .value_kind:     hidden_remainder_y
      - .offset:         166
        .size:           2
        .value_kind:     hidden_remainder_z
      - .offset:         184
        .size:           8
        .value_kind:     hidden_global_offset_x
      - .offset:         192
        .size:           8
        .value_kind:     hidden_global_offset_y
      - .offset:         200
        .size:           8
        .value_kind:     hidden_global_offset_z
      - .offset:         208
        .size:           2
        .value_kind:     hidden_grid_dims
    .group_segment_fixed_size: 16384
    .kernarg_segment_align: 8
    .kernarg_segment_size: 400
    .language:       OpenCL C
    .language_version:
      - 2
      - 0
    .max_flat_workgroup_size: 512
    .name:           _ZL20rocblas_gemvn_kernelILi32ELi16EldPKddEviiT3_lPKT2_lT1_lS5_lS6_lS2_lPT4_lS6_li
    .private_segment_fixed_size: 0
    .sgpr_count:     61
    .sgpr_spill_count: 0
    .symbol:         _ZL20rocblas_gemvn_kernelILi32ELi16EldPKddEviiT3_lPKT2_lT1_lS5_lS6_lS2_lPT4_lS6_li.kd
    .uniform_work_group_size: 1
    .uses_dynamic_stack: false
    .vgpr_count:     97
    .vgpr_spill_count: 0
    .wavefront_size: 32
    .workgroup_processor_mode: 1
  - .args:
      - .offset:         0
        .size:           4
        .value_kind:     by_value
      - .offset:         4
        .size:           4
        .value_kind:     by_value
      - .offset:         8
        .size:           8
        .value_kind:     by_value
      - .offset:         16
        .size:           8
        .value_kind:     by_value
      - .address_space:  global
        .offset:         24
        .size:           8
        .value_kind:     global_buffer
      - .offset:         32
        .size:           8
        .value_kind:     by_value
      - .offset:         40
        .size:           4
        .value_kind:     by_value
      - .offset:         48
        .size:           8
        .value_kind:     by_value
      - .address_space:  global
        .offset:         56
        .size:           8
        .value_kind:     global_buffer
      - .offset:         64
        .size:           8
        .value_kind:     by_value
      - .offset:         72
        .size:           4
        .value_kind:     by_value
      - .offset:         80
        .size:           8
        .value_kind:     by_value
      - .offset:         88
        .size:           8
        .value_kind:     by_value
      - .offset:         96
        .size:           8
        .value_kind:     by_value
      - .address_space:  global
        .offset:         104
        .size:           8
        .value_kind:     global_buffer
      - .offset:         112
        .size:           8
        .value_kind:     by_value
      - .offset:         120
        .size:           4
        .value_kind:     by_value
      - .offset:         128
        .size:           8
        .value_kind:     by_value
      - .offset:         136
        .size:           4
        .value_kind:     by_value
      - .offset:         144
        .size:           4
        .value_kind:     hidden_block_count_x
      - .offset:         148
        .size:           4
        .value_kind:     hidden_block_count_y
      - .offset:         152
        .size:           4
        .value_kind:     hidden_block_count_z
      - .offset:         156
        .size:           2
        .value_kind:     hidden_group_size_x
      - .offset:         158
        .size:           2
        .value_kind:     hidden_group_size_y
      - .offset:         160
        .size:           2
        .value_kind:     hidden_group_size_z
      - .offset:         162
        .size:           2
        .value_kind:     hidden_remainder_x
      - .offset:         164
        .size:           2
        .value_kind:     hidden_remainder_y
      - .offset:         166
        .size:           2
        .value_kind:     hidden_remainder_z
      - .offset:         184
        .size:           8
        .value_kind:     hidden_global_offset_x
      - .offset:         192
        .size:           8
        .value_kind:     hidden_global_offset_y
      - .offset:         200
        .size:           8
        .value_kind:     hidden_global_offset_z
      - .offset:         208
        .size:           2
        .value_kind:     hidden_grid_dims
    .group_segment_fixed_size: 16384
    .kernarg_segment_align: 8
    .kernarg_segment_size: 400
    .language:       OpenCL C
    .language_version:
      - 2
      - 0
    .max_flat_workgroup_size: 512
    .name:           _ZL20rocblas_gemvn_kernelILi32ELi16EidddEviiT3_lPKT2_lT1_lS3_lS4_lS0_lPT4_lS4_li
    .private_segment_fixed_size: 0
    .sgpr_count:     55
    .sgpr_spill_count: 0
    .symbol:         _ZL20rocblas_gemvn_kernelILi32ELi16EidddEviiT3_lPKT2_lT1_lS3_lS4_lS0_lPT4_lS4_li.kd
    .uniform_work_group_size: 1
    .uses_dynamic_stack: false
    .vgpr_count:     71
    .vgpr_spill_count: 0
    .wavefront_size: 32
    .workgroup_processor_mode: 1
  - .args:
      - .offset:         0
        .size:           4
        .value_kind:     by_value
      - .offset:         4
        .size:           4
        .value_kind:     by_value
      - .offset:         8
        .size:           8
        .value_kind:     by_value
      - .offset:         16
        .size:           8
        .value_kind:     by_value
      - .address_space:  global
        .offset:         24
        .size:           8
        .value_kind:     global_buffer
      - .offset:         32
        .size:           8
        .value_kind:     by_value
      - .offset:         40
        .size:           8
        .value_kind:     by_value
      - .offset:         48
        .size:           8
        .value_kind:     by_value
      - .address_space:  global
        .offset:         56
        .size:           8
        .value_kind:     global_buffer
      - .offset:         64
        .size:           8
        .value_kind:     by_value
      - .offset:         72
        .size:           8
        .value_kind:     by_value
      - .offset:         80
        .size:           8
        .value_kind:     by_value
      - .offset:         88
        .size:           8
        .value_kind:     by_value
      - .offset:         96
        .size:           8
        .value_kind:     by_value
      - .address_space:  global
        .offset:         104
        .size:           8
        .value_kind:     global_buffer
      - .offset:         112
        .size:           8
        .value_kind:     by_value
      - .offset:         120
        .size:           8
        .value_kind:     by_value
      - .offset:         128
        .size:           8
        .value_kind:     by_value
      - .offset:         136
        .size:           4
        .value_kind:     by_value
      - .offset:         144
        .size:           4
        .value_kind:     hidden_block_count_x
      - .offset:         148
        .size:           4
        .value_kind:     hidden_block_count_y
      - .offset:         152
        .size:           4
        .value_kind:     hidden_block_count_z
      - .offset:         156
        .size:           2
        .value_kind:     hidden_group_size_x
      - .offset:         158
        .size:           2
        .value_kind:     hidden_group_size_y
      - .offset:         160
        .size:           2
        .value_kind:     hidden_group_size_z
      - .offset:         162
        .size:           2
        .value_kind:     hidden_remainder_x
      - .offset:         164
        .size:           2
        .value_kind:     hidden_remainder_y
      - .offset:         166
        .size:           2
        .value_kind:     hidden_remainder_z
      - .offset:         184
        .size:           8
        .value_kind:     hidden_global_offset_x
      - .offset:         192
        .size:           8
        .value_kind:     hidden_global_offset_y
      - .offset:         200
        .size:           8
        .value_kind:     hidden_global_offset_z
      - .offset:         208
        .size:           2
        .value_kind:     hidden_grid_dims
    .group_segment_fixed_size: 16384
    .kernarg_segment_align: 8
    .kernarg_segment_size: 400
    .language:       OpenCL C
    .language_version:
      - 2
      - 0
    .max_flat_workgroup_size: 512
    .name:           _ZL20rocblas_gemvn_kernelILi32ELi16EldddEviiT3_lPKT2_lT1_lS3_lS4_lS0_lPT4_lS4_li
    .private_segment_fixed_size: 0
    .sgpr_count:     60
    .sgpr_spill_count: 0
    .symbol:         _ZL20rocblas_gemvn_kernelILi32ELi16EldddEviiT3_lPKT2_lT1_lS3_lS4_lS0_lPT4_lS4_li.kd
    .uniform_work_group_size: 1
    .uses_dynamic_stack: false
    .vgpr_count:     92
    .vgpr_spill_count: 0
    .wavefront_size: 32
    .workgroup_processor_mode: 1
  - .args:
      - .offset:         0
        .size:           4
        .value_kind:     by_value
      - .offset:         4
        .size:           4
        .value_kind:     by_value
      - .address_space:  global
        .offset:         8
        .size:           8
        .value_kind:     global_buffer
      - .offset:         16
        .size:           8
        .value_kind:     by_value
      - .address_space:  global
        .offset:         24
        .size:           8
        .value_kind:     global_buffer
      - .offset:         32
        .size:           8
        .value_kind:     by_value
      - .offset:         40
        .size:           4
        .value_kind:     by_value
      - .offset:         48
        .size:           8
        .value_kind:     by_value
      - .address_space:  global
        .offset:         56
        .size:           8
        .value_kind:     global_buffer
      - .offset:         64
        .size:           8
        .value_kind:     by_value
      - .offset:         72
        .size:           4
        .value_kind:     by_value
      - .offset:         80
        .size:           8
        .value_kind:     by_value
      - .address_space:  global
        .offset:         88
        .size:           8
        .value_kind:     global_buffer
      - .offset:         96
        .size:           8
        .value_kind:     by_value
      - .address_space:  global
        .offset:         104
        .size:           8
        .value_kind:     global_buffer
      - .offset:         112
        .size:           8
        .value_kind:     by_value
      - .offset:         120
        .size:           4
        .value_kind:     by_value
      - .offset:         128
        .size:           8
        .value_kind:     by_value
      - .offset:         136
        .size:           4
        .value_kind:     by_value
      - .offset:         144
        .size:           4
        .value_kind:     hidden_block_count_x
      - .offset:         148
        .size:           4
        .value_kind:     hidden_block_count_y
      - .offset:         152
        .size:           4
        .value_kind:     hidden_block_count_z
      - .offset:         156
        .size:           2
        .value_kind:     hidden_group_size_x
      - .offset:         158
        .size:           2
        .value_kind:     hidden_group_size_y
      - .offset:         160
        .size:           2
        .value_kind:     hidden_group_size_z
      - .offset:         162
        .size:           2
        .value_kind:     hidden_remainder_x
      - .offset:         164
        .size:           2
        .value_kind:     hidden_remainder_y
      - .offset:         166
        .size:           2
        .value_kind:     hidden_remainder_z
      - .offset:         184
        .size:           8
        .value_kind:     hidden_global_offset_x
      - .offset:         192
        .size:           8
        .value_kind:     hidden_global_offset_y
      - .offset:         200
        .size:           8
        .value_kind:     hidden_global_offset_z
      - .offset:         208
        .size:           2
        .value_kind:     hidden_grid_dims
    .group_segment_fixed_size: 32768
    .kernarg_segment_align: 8
    .kernarg_segment_size: 400
    .language:       OpenCL C
    .language_version:
      - 2
      - 0
    .max_flat_workgroup_size: 1024
    .name:           _ZL20rocblas_gemvn_kernelILi64ELi16EidPKddEviiT3_lPKT2_lT1_lS5_lS6_lS2_lPT4_lS6_li
    .private_segment_fixed_size: 0
    .sgpr_count:     56
    .sgpr_spill_count: 0
    .symbol:         _ZL20rocblas_gemvn_kernelILi64ELi16EidPKddEviiT3_lPKT2_lT1_lS5_lS6_lS2_lPT4_lS6_li.kd
    .uniform_work_group_size: 1
    .uses_dynamic_stack: false
    .vgpr_count:     76
    .vgpr_spill_count: 0
    .wavefront_size: 32
    .workgroup_processor_mode: 1
  - .args:
      - .offset:         0
        .size:           4
        .value_kind:     by_value
      - .offset:         4
        .size:           4
        .value_kind:     by_value
      - .address_space:  global
        .offset:         8
        .size:           8
        .value_kind:     global_buffer
      - .offset:         16
        .size:           8
        .value_kind:     by_value
      - .address_space:  global
        .offset:         24
        .size:           8
        .value_kind:     global_buffer
      - .offset:         32
        .size:           8
        .value_kind:     by_value
      - .offset:         40
        .size:           8
        .value_kind:     by_value
      - .offset:         48
        .size:           8
        .value_kind:     by_value
      - .address_space:  global
        .offset:         56
        .size:           8
        .value_kind:     global_buffer
      - .offset:         64
        .size:           8
        .value_kind:     by_value
      - .offset:         72
        .size:           8
        .value_kind:     by_value
      - .offset:         80
        .size:           8
        .value_kind:     by_value
      - .address_space:  global
        .offset:         88
        .size:           8
        .value_kind:     global_buffer
      - .offset:         96
        .size:           8
        .value_kind:     by_value
      - .address_space:  global
        .offset:         104
        .size:           8
        .value_kind:     global_buffer
      - .offset:         112
        .size:           8
        .value_kind:     by_value
      - .offset:         120
        .size:           8
        .value_kind:     by_value
      - .offset:         128
        .size:           8
        .value_kind:     by_value
      - .offset:         136
        .size:           4
        .value_kind:     by_value
      - .offset:         144
        .size:           4
        .value_kind:     hidden_block_count_x
      - .offset:         148
        .size:           4
        .value_kind:     hidden_block_count_y
      - .offset:         152
        .size:           4
        .value_kind:     hidden_block_count_z
      - .offset:         156
        .size:           2
        .value_kind:     hidden_group_size_x
      - .offset:         158
        .size:           2
        .value_kind:     hidden_group_size_y
      - .offset:         160
        .size:           2
        .value_kind:     hidden_group_size_z
      - .offset:         162
        .size:           2
        .value_kind:     hidden_remainder_x
      - .offset:         164
        .size:           2
        .value_kind:     hidden_remainder_y
      - .offset:         166
        .size:           2
        .value_kind:     hidden_remainder_z
      - .offset:         184
        .size:           8
        .value_kind:     hidden_global_offset_x
      - .offset:         192
        .size:           8
        .value_kind:     hidden_global_offset_y
      - .offset:         200
        .size:           8
        .value_kind:     hidden_global_offset_z
      - .offset:         208
        .size:           2
        .value_kind:     hidden_grid_dims
    .group_segment_fixed_size: 32768
    .kernarg_segment_align: 8
    .kernarg_segment_size: 400
    .language:       OpenCL C
    .language_version:
      - 2
      - 0
    .max_flat_workgroup_size: 1024
    .name:           _ZL20rocblas_gemvn_kernelILi64ELi16EldPKddEviiT3_lPKT2_lT1_lS5_lS6_lS2_lPT4_lS6_li
    .private_segment_fixed_size: 0
    .sgpr_count:     61
    .sgpr_spill_count: 0
    .symbol:         _ZL20rocblas_gemvn_kernelILi64ELi16EldPKddEviiT3_lPKT2_lT1_lS5_lS6_lS2_lPT4_lS6_li.kd
    .uniform_work_group_size: 1
    .uses_dynamic_stack: false
    .vgpr_count:     97
    .vgpr_spill_count: 0
    .wavefront_size: 32
    .workgroup_processor_mode: 1
  - .args:
      - .offset:         0
        .size:           4
        .value_kind:     by_value
      - .offset:         4
        .size:           4
        .value_kind:     by_value
      - .offset:         8
        .size:           8
        .value_kind:     by_value
      - .offset:         16
        .size:           8
        .value_kind:     by_value
      - .address_space:  global
        .offset:         24
        .size:           8
        .value_kind:     global_buffer
      - .offset:         32
        .size:           8
        .value_kind:     by_value
      - .offset:         40
        .size:           4
        .value_kind:     by_value
      - .offset:         48
        .size:           8
        .value_kind:     by_value
      - .address_space:  global
        .offset:         56
        .size:           8
        .value_kind:     global_buffer
      - .offset:         64
        .size:           8
        .value_kind:     by_value
      - .offset:         72
        .size:           4
        .value_kind:     by_value
      - .offset:         80
        .size:           8
        .value_kind:     by_value
      - .offset:         88
        .size:           8
        .value_kind:     by_value
      - .offset:         96
        .size:           8
        .value_kind:     by_value
      - .address_space:  global
        .offset:         104
        .size:           8
        .value_kind:     global_buffer
      - .offset:         112
        .size:           8
        .value_kind:     by_value
      - .offset:         120
        .size:           4
        .value_kind:     by_value
      - .offset:         128
        .size:           8
        .value_kind:     by_value
      - .offset:         136
        .size:           4
        .value_kind:     by_value
      - .offset:         144
        .size:           4
        .value_kind:     hidden_block_count_x
      - .offset:         148
        .size:           4
        .value_kind:     hidden_block_count_y
      - .offset:         152
        .size:           4
        .value_kind:     hidden_block_count_z
      - .offset:         156
        .size:           2
        .value_kind:     hidden_group_size_x
      - .offset:         158
        .size:           2
        .value_kind:     hidden_group_size_y
      - .offset:         160
        .size:           2
        .value_kind:     hidden_group_size_z
      - .offset:         162
        .size:           2
        .value_kind:     hidden_remainder_x
      - .offset:         164
        .size:           2
        .value_kind:     hidden_remainder_y
      - .offset:         166
        .size:           2
        .value_kind:     hidden_remainder_z
      - .offset:         184
        .size:           8
        .value_kind:     hidden_global_offset_x
      - .offset:         192
        .size:           8
        .value_kind:     hidden_global_offset_y
      - .offset:         200
        .size:           8
        .value_kind:     hidden_global_offset_z
      - .offset:         208
        .size:           2
        .value_kind:     hidden_grid_dims
    .group_segment_fixed_size: 32768
    .kernarg_segment_align: 8
    .kernarg_segment_size: 400
    .language:       OpenCL C
    .language_version:
      - 2
      - 0
    .max_flat_workgroup_size: 1024
    .name:           _ZL20rocblas_gemvn_kernelILi64ELi16EidddEviiT3_lPKT2_lT1_lS3_lS4_lS0_lPT4_lS4_li
    .private_segment_fixed_size: 0
    .sgpr_count:     55
    .sgpr_spill_count: 0
    .symbol:         _ZL20rocblas_gemvn_kernelILi64ELi16EidddEviiT3_lPKT2_lT1_lS3_lS4_lS0_lPT4_lS4_li.kd
    .uniform_work_group_size: 1
    .uses_dynamic_stack: false
    .vgpr_count:     71
    .vgpr_spill_count: 0
    .wavefront_size: 32
    .workgroup_processor_mode: 1
  - .args:
      - .offset:         0
        .size:           4
        .value_kind:     by_value
      - .offset:         4
        .size:           4
        .value_kind:     by_value
      - .offset:         8
        .size:           8
        .value_kind:     by_value
      - .offset:         16
        .size:           8
        .value_kind:     by_value
      - .address_space:  global
        .offset:         24
        .size:           8
        .value_kind:     global_buffer
      - .offset:         32
        .size:           8
        .value_kind:     by_value
      - .offset:         40
        .size:           8
        .value_kind:     by_value
      - .offset:         48
        .size:           8
        .value_kind:     by_value
      - .address_space:  global
        .offset:         56
        .size:           8
        .value_kind:     global_buffer
      - .offset:         64
        .size:           8
        .value_kind:     by_value
      - .offset:         72
        .size:           8
        .value_kind:     by_value
      - .offset:         80
        .size:           8
        .value_kind:     by_value
      - .offset:         88
        .size:           8
        .value_kind:     by_value
      - .offset:         96
        .size:           8
        .value_kind:     by_value
      - .address_space:  global
        .offset:         104
        .size:           8
        .value_kind:     global_buffer
      - .offset:         112
        .size:           8
        .value_kind:     by_value
      - .offset:         120
        .size:           8
        .value_kind:     by_value
      - .offset:         128
        .size:           8
        .value_kind:     by_value
      - .offset:         136
        .size:           4
        .value_kind:     by_value
      - .offset:         144
        .size:           4
        .value_kind:     hidden_block_count_x
      - .offset:         148
        .size:           4
        .value_kind:     hidden_block_count_y
      - .offset:         152
        .size:           4
        .value_kind:     hidden_block_count_z
      - .offset:         156
        .size:           2
        .value_kind:     hidden_group_size_x
      - .offset:         158
        .size:           2
        .value_kind:     hidden_group_size_y
      - .offset:         160
        .size:           2
        .value_kind:     hidden_group_size_z
      - .offset:         162
        .size:           2
        .value_kind:     hidden_remainder_x
      - .offset:         164
        .size:           2
        .value_kind:     hidden_remainder_y
      - .offset:         166
        .size:           2
        .value_kind:     hidden_remainder_z
      - .offset:         184
        .size:           8
        .value_kind:     hidden_global_offset_x
      - .offset:         192
        .size:           8
        .value_kind:     hidden_global_offset_y
      - .offset:         200
        .size:           8
        .value_kind:     hidden_global_offset_z
      - .offset:         208
        .size:           2
        .value_kind:     hidden_grid_dims
    .group_segment_fixed_size: 32768
    .kernarg_segment_align: 8
    .kernarg_segment_size: 400
    .language:       OpenCL C
    .language_version:
      - 2
      - 0
    .max_flat_workgroup_size: 1024
    .name:           _ZL20rocblas_gemvn_kernelILi64ELi16EldddEviiT3_lPKT2_lT1_lS3_lS4_lS0_lPT4_lS4_li
    .private_segment_fixed_size: 0
    .sgpr_count:     60
    .sgpr_spill_count: 0
    .symbol:         _ZL20rocblas_gemvn_kernelILi64ELi16EldddEviiT3_lPKT2_lT1_lS3_lS4_lS0_lPT4_lS4_li.kd
    .uniform_work_group_size: 1
    .uses_dynamic_stack: false
    .vgpr_count:     92
    .vgpr_spill_count: 0
    .wavefront_size: 32
    .workgroup_processor_mode: 1
  - .args:
      - .offset:         0
        .size:           4
        .value_kind:     by_value
      - .offset:         4
        .size:           4
        .value_kind:     by_value
      - .address_space:  global
        .offset:         8
        .size:           8
        .value_kind:     global_buffer
      - .offset:         16
        .size:           8
        .value_kind:     by_value
      - .address_space:  global
        .offset:         24
        .size:           8
        .value_kind:     global_buffer
      - .offset:         32
        .size:           8
        .value_kind:     by_value
      - .offset:         40
        .size:           4
        .value_kind:     by_value
      - .offset:         48
        .size:           8
        .value_kind:     by_value
      - .address_space:  global
        .offset:         56
        .size:           8
        .value_kind:     global_buffer
      - .offset:         64
        .size:           8
        .value_kind:     by_value
      - .offset:         72
        .size:           4
        .value_kind:     by_value
      - .offset:         80
        .size:           8
        .value_kind:     by_value
      - .address_space:  global
        .offset:         88
        .size:           8
        .value_kind:     global_buffer
      - .offset:         96
        .size:           8
        .value_kind:     by_value
      - .address_space:  global
        .offset:         104
        .size:           8
        .value_kind:     global_buffer
      - .offset:         112
        .size:           8
        .value_kind:     by_value
      - .offset:         120
        .size:           4
        .value_kind:     by_value
      - .offset:         128
        .size:           8
        .value_kind:     by_value
    .group_segment_fixed_size: 512
    .kernarg_segment_align: 8
    .kernarg_segment_size: 136
    .language:       OpenCL C
    .language_version:
      - 2
      - 0
    .max_flat_workgroup_size: 256
    .name:           _ZL22rocblas_gemvtsm_kernelILb0ELi256EdPKddEviiT2_lPKT1_lilS5_lilS2_lPT3_lil
    .private_segment_fixed_size: 0
    .sgpr_count:     34
    .sgpr_spill_count: 0
    .symbol:         _ZL22rocblas_gemvtsm_kernelILb0ELi256EdPKddEviiT2_lPKT1_lilS5_lilS2_lPT3_lil.kd
    .uniform_work_group_size: 1
    .uses_dynamic_stack: false
    .vgpr_count:     36
    .vgpr_spill_count: 0
    .wavefront_size: 32
    .workgroup_processor_mode: 1
  - .args:
      - .offset:         0
        .size:           4
        .value_kind:     by_value
      - .offset:         4
        .size:           4
        .value_kind:     by_value
      - .offset:         8
        .size:           8
        .value_kind:     by_value
      - .offset:         16
        .size:           8
        .value_kind:     by_value
      - .address_space:  global
        .offset:         24
        .size:           8
        .value_kind:     global_buffer
      - .offset:         32
        .size:           8
        .value_kind:     by_value
      - .offset:         40
        .size:           4
        .value_kind:     by_value
      - .offset:         48
        .size:           8
        .value_kind:     by_value
      - .address_space:  global
        .offset:         56
        .size:           8
        .value_kind:     global_buffer
      - .offset:         64
        .size:           8
        .value_kind:     by_value
      - .offset:         72
        .size:           4
        .value_kind:     by_value
      - .offset:         80
        .size:           8
        .value_kind:     by_value
      - .offset:         88
        .size:           8
        .value_kind:     by_value
      - .offset:         96
        .size:           8
        .value_kind:     by_value
      - .address_space:  global
        .offset:         104
        .size:           8
        .value_kind:     global_buffer
      - .offset:         112
        .size:           8
        .value_kind:     by_value
      - .offset:         120
        .size:           4
        .value_kind:     by_value
      - .offset:         128
        .size:           8
        .value_kind:     by_value
    .group_segment_fixed_size: 512
    .kernarg_segment_align: 8
    .kernarg_segment_size: 136
    .language:       OpenCL C
    .language_version:
      - 2
      - 0
    .max_flat_workgroup_size: 256
    .name:           _ZL22rocblas_gemvtsm_kernelILb0ELi256EdddEviiT2_lPKT1_lilS3_lilS0_lPT3_lil
    .private_segment_fixed_size: 0
    .sgpr_count:     29
    .sgpr_spill_count: 0
    .symbol:         _ZL22rocblas_gemvtsm_kernelILb0ELi256EdddEviiT2_lPKT1_lilS3_lilS0_lPT3_lil.kd
    .uniform_work_group_size: 1
    .uses_dynamic_stack: false
    .vgpr_count:     36
    .vgpr_spill_count: 0
    .wavefront_size: 32
    .workgroup_processor_mode: 1
  - .args:
      - .offset:         0
        .size:           4
        .value_kind:     by_value
      - .offset:         4
        .size:           4
        .value_kind:     by_value
      - .address_space:  global
        .offset:         8
        .size:           8
        .value_kind:     global_buffer
      - .offset:         16
        .size:           8
        .value_kind:     by_value
      - .address_space:  global
        .offset:         24
        .size:           8
        .value_kind:     global_buffer
      - .offset:         32
        .size:           8
        .value_kind:     by_value
      - .offset:         40
        .size:           4
        .value_kind:     by_value
      - .offset:         48
        .size:           8
        .value_kind:     by_value
      - .address_space:  global
        .offset:         56
        .size:           8
        .value_kind:     global_buffer
      - .offset:         64
        .size:           8
        .value_kind:     by_value
      - .offset:         72
        .size:           4
        .value_kind:     by_value
      - .offset:         80
        .size:           8
        .value_kind:     by_value
      - .address_space:  global
        .offset:         88
        .size:           8
        .value_kind:     global_buffer
      - .offset:         96
        .size:           4
        .value_kind:     by_value
      - .offset:         104
        .size:           4
        .value_kind:     hidden_block_count_x
      - .offset:         108
        .size:           4
        .value_kind:     hidden_block_count_y
      - .offset:         112
        .size:           4
        .value_kind:     hidden_block_count_z
      - .offset:         116
        .size:           2
        .value_kind:     hidden_group_size_x
      - .offset:         118
        .size:           2
        .value_kind:     hidden_group_size_y
      - .offset:         120
        .size:           2
        .value_kind:     hidden_group_size_z
      - .offset:         122
        .size:           2
        .value_kind:     hidden_remainder_x
      - .offset:         124
        .size:           2
        .value_kind:     hidden_remainder_y
      - .offset:         126
        .size:           2
        .value_kind:     hidden_remainder_z
      - .offset:         144
        .size:           8
        .value_kind:     hidden_global_offset_x
      - .offset:         152
        .size:           8
        .value_kind:     hidden_global_offset_y
      - .offset:         160
        .size:           8
        .value_kind:     hidden_global_offset_z
      - .offset:         168
        .size:           2
        .value_kind:     hidden_grid_dims
    .group_segment_fixed_size: 256
    .kernarg_segment_align: 8
    .kernarg_segment_size: 360
    .language:       OpenCL C
    .language_version:
      - 2
      - 0
    .max_flat_workgroup_size: 256
    .name:           _ZL23rocblas_gemvt_sn_kernelILb0ELi256ELi4EidPKddEviiT4_lPKT3_lilS5_lilPT5_i
    .private_segment_fixed_size: 0
    .sgpr_count:     84
    .sgpr_spill_count: 0
    .symbol:         _ZL23rocblas_gemvt_sn_kernelILb0ELi256ELi4EidPKddEviiT4_lPKT3_lilS5_lilPT5_i.kd
    .uniform_work_group_size: 1
    .uses_dynamic_stack: false
    .vgpr_count:     77
    .vgpr_spill_count: 0
    .wavefront_size: 32
    .workgroup_processor_mode: 1
  - .args:
      - .offset:         0
        .size:           4
        .value_kind:     by_value
      - .offset:         4
        .size:           4
        .value_kind:     by_value
      - .address_space:  global
        .offset:         8
        .size:           8
        .value_kind:     global_buffer
      - .offset:         16
        .size:           8
        .value_kind:     by_value
      - .address_space:  global
        .offset:         24
        .size:           8
        .value_kind:     global_buffer
      - .offset:         32
        .size:           8
        .value_kind:     by_value
      - .offset:         40
        .size:           4
        .value_kind:     by_value
      - .offset:         48
        .size:           8
        .value_kind:     by_value
      - .address_space:  global
        .offset:         56
        .size:           8
        .value_kind:     global_buffer
      - .offset:         64
        .size:           8
        .value_kind:     by_value
      - .offset:         72
        .size:           4
        .value_kind:     by_value
      - .offset:         80
        .size:           8
        .value_kind:     by_value
      - .address_space:  global
        .offset:         88
        .size:           8
        .value_kind:     global_buffer
      - .offset:         96
        .size:           4
        .value_kind:     by_value
      - .offset:         104
        .size:           4
        .value_kind:     hidden_block_count_x
      - .offset:         108
        .size:           4
        .value_kind:     hidden_block_count_y
      - .offset:         112
        .size:           4
        .value_kind:     hidden_block_count_z
      - .offset:         116
        .size:           2
        .value_kind:     hidden_group_size_x
      - .offset:         118
        .size:           2
        .value_kind:     hidden_group_size_y
      - .offset:         120
        .size:           2
        .value_kind:     hidden_group_size_z
      - .offset:         122
        .size:           2
        .value_kind:     hidden_remainder_x
      - .offset:         124
        .size:           2
        .value_kind:     hidden_remainder_y
      - .offset:         126
        .size:           2
        .value_kind:     hidden_remainder_z
      - .offset:         144
        .size:           8
        .value_kind:     hidden_global_offset_x
      - .offset:         152
        .size:           8
        .value_kind:     hidden_global_offset_y
      - .offset:         160
        .size:           8
        .value_kind:     hidden_global_offset_z
      - .offset:         168
        .size:           2
        .value_kind:     hidden_grid_dims
    .group_segment_fixed_size: 256
    .kernarg_segment_align: 8
    .kernarg_segment_size: 360
    .language:       OpenCL C
    .language_version:
      - 2
      - 0
    .max_flat_workgroup_size: 256
    .name:           _ZL23rocblas_gemvt_sn_kernelILb0ELi256ELi4EldPKddEviiT4_lPKT3_lilS5_lilPT5_i
    .private_segment_fixed_size: 0
    .sgpr_count:     76
    .sgpr_spill_count: 0
    .symbol:         _ZL23rocblas_gemvt_sn_kernelILb0ELi256ELi4EldPKddEviiT4_lPKT3_lilS5_lilPT5_i.kd
    .uniform_work_group_size: 1
    .uses_dynamic_stack: false
    .vgpr_count:     80
    .vgpr_spill_count: 0
    .wavefront_size: 32
    .workgroup_processor_mode: 1
  - .args:
      - .offset:         0
        .size:           4
        .value_kind:     by_value
      - .address_space:  global
        .offset:         8
        .size:           8
        .value_kind:     global_buffer
      - .offset:         16
        .size:           8
        .value_kind:     by_value
      - .address_space:  global
        .offset:         24
        .size:           8
        .value_kind:     global_buffer
      - .offset:         32
        .size:           8
        .value_kind:     by_value
      - .offset:         40
        .size:           4
        .value_kind:     by_value
      - .offset:         48
        .size:           8
        .value_kind:     by_value
      - .actual_access:  read_only
        .address_space:  global
        .offset:         56
        .size:           8
        .value_kind:     global_buffer
      - .offset:         64
        .size:           4
        .value_kind:     by_value
      - .offset:         72
        .size:           4
        .value_kind:     hidden_block_count_x
      - .offset:         76
        .size:           4
        .value_kind:     hidden_block_count_y
      - .offset:         80
        .size:           4
        .value_kind:     hidden_block_count_z
      - .offset:         84
        .size:           2
        .value_kind:     hidden_group_size_x
      - .offset:         86
        .size:           2
        .value_kind:     hidden_group_size_y
      - .offset:         88
        .size:           2
        .value_kind:     hidden_group_size_z
      - .offset:         90
        .size:           2
        .value_kind:     hidden_remainder_x
      - .offset:         92
        .size:           2
        .value_kind:     hidden_remainder_y
      - .offset:         94
        .size:           2
        .value_kind:     hidden_remainder_z
      - .offset:         112
        .size:           8
        .value_kind:     hidden_global_offset_x
      - .offset:         120
        .size:           8
        .value_kind:     hidden_global_offset_y
      - .offset:         128
        .size:           8
        .value_kind:     hidden_global_offset_z
      - .offset:         136
        .size:           2
        .value_kind:     hidden_grid_dims
    .group_segment_fixed_size: 256
    .kernarg_segment_align: 8
    .kernarg_segment_size: 328
    .language:       OpenCL C
    .language_version:
      - 2
      - 0
    .max_flat_workgroup_size: 256
    .name:           _ZL23rocblas_gemvt_sn_reduceILi256ELi8EdPKddEviT2_lPT3_lilPT1_i
    .private_segment_fixed_size: 0
    .sgpr_count:     40
    .sgpr_spill_count: 0
    .symbol:         _ZL23rocblas_gemvt_sn_reduceILi256ELi8EdPKddEviT2_lPT3_lilPT1_i.kd
    .uniform_work_group_size: 1
    .uses_dynamic_stack: false
    .vgpr_count:     37
    .vgpr_spill_count: 0
    .wavefront_size: 32
    .workgroup_processor_mode: 1
  - .args:
      - .offset:         0
        .size:           4
        .value_kind:     by_value
      - .offset:         4
        .size:           4
        .value_kind:     by_value
      - .offset:         8
        .size:           8
        .value_kind:     by_value
      - .offset:         16
        .size:           8
        .value_kind:     by_value
      - .address_space:  global
        .offset:         24
        .size:           8
        .value_kind:     global_buffer
      - .offset:         32
        .size:           8
        .value_kind:     by_value
      - .offset:         40
        .size:           4
        .value_kind:     by_value
      - .offset:         48
        .size:           8
        .value_kind:     by_value
      - .address_space:  global
        .offset:         56
        .size:           8
        .value_kind:     global_buffer
      - .offset:         64
        .size:           8
        .value_kind:     by_value
      - .offset:         72
        .size:           4
        .value_kind:     by_value
      - .offset:         80
        .size:           8
        .value_kind:     by_value
      - .address_space:  global
        .offset:         88
        .size:           8
        .value_kind:     global_buffer
      - .offset:         96
        .size:           4
        .value_kind:     by_value
      - .offset:         104
        .size:           4
        .value_kind:     hidden_block_count_x
      - .offset:         108
        .size:           4
        .value_kind:     hidden_block_count_y
      - .offset:         112
        .size:           4
        .value_kind:     hidden_block_count_z
      - .offset:         116
        .size:           2
        .value_kind:     hidden_group_size_x
      - .offset:         118
        .size:           2
        .value_kind:     hidden_group_size_y
      - .offset:         120
        .size:           2
        .value_kind:     hidden_group_size_z
      - .offset:         122
        .size:           2
        .value_kind:     hidden_remainder_x
      - .offset:         124
        .size:           2
        .value_kind:     hidden_remainder_y
      - .offset:         126
        .size:           2
        .value_kind:     hidden_remainder_z
      - .offset:         144
        .size:           8
        .value_kind:     hidden_global_offset_x
      - .offset:         152
        .size:           8
        .value_kind:     hidden_global_offset_y
      - .offset:         160
        .size:           8
        .value_kind:     hidden_global_offset_z
      - .offset:         168
        .size:           2
        .value_kind:     hidden_grid_dims
    .group_segment_fixed_size: 256
    .kernarg_segment_align: 8
    .kernarg_segment_size: 360
    .language:       OpenCL C
    .language_version:
      - 2
      - 0
    .max_flat_workgroup_size: 256
    .name:           _ZL23rocblas_gemvt_sn_kernelILb0ELi256ELi4EidddEviiT4_lPKT3_lilS3_lilPT5_i
    .private_segment_fixed_size: 0
    .sgpr_count:     82
    .sgpr_spill_count: 0
    .symbol:         _ZL23rocblas_gemvt_sn_kernelILb0ELi256ELi4EidddEviiT4_lPKT3_lilS3_lilPT5_i.kd
    .uniform_work_group_size: 1
    .uses_dynamic_stack: false
    .vgpr_count:     75
    .vgpr_spill_count: 0
    .wavefront_size: 32
    .workgroup_processor_mode: 1
  - .args:
      - .offset:         0
        .size:           4
        .value_kind:     by_value
      - .offset:         4
        .size:           4
        .value_kind:     by_value
      - .offset:         8
        .size:           8
        .value_kind:     by_value
      - .offset:         16
        .size:           8
        .value_kind:     by_value
      - .address_space:  global
        .offset:         24
        .size:           8
        .value_kind:     global_buffer
      - .offset:         32
        .size:           8
        .value_kind:     by_value
      - .offset:         40
        .size:           4
        .value_kind:     by_value
      - .offset:         48
        .size:           8
        .value_kind:     by_value
      - .address_space:  global
        .offset:         56
        .size:           8
        .value_kind:     global_buffer
      - .offset:         64
        .size:           8
        .value_kind:     by_value
      - .offset:         72
        .size:           4
        .value_kind:     by_value
      - .offset:         80
        .size:           8
        .value_kind:     by_value
      - .address_space:  global
        .offset:         88
        .size:           8
        .value_kind:     global_buffer
      - .offset:         96
        .size:           4
        .value_kind:     by_value
      - .offset:         104
        .size:           4
        .value_kind:     hidden_block_count_x
      - .offset:         108
        .size:           4
        .value_kind:     hidden_block_count_y
      - .offset:         112
        .size:           4
        .value_kind:     hidden_block_count_z
      - .offset:         116
        .size:           2
        .value_kind:     hidden_group_size_x
      - .offset:         118
        .size:           2
        .value_kind:     hidden_group_size_y
      - .offset:         120
        .size:           2
        .value_kind:     hidden_group_size_z
      - .offset:         122
        .size:           2
        .value_kind:     hidden_remainder_x
      - .offset:         124
        .size:           2
        .value_kind:     hidden_remainder_y
      - .offset:         126
        .size:           2
        .value_kind:     hidden_remainder_z
      - .offset:         144
        .size:           8
        .value_kind:     hidden_global_offset_x
      - .offset:         152
        .size:           8
        .value_kind:     hidden_global_offset_y
      - .offset:         160
        .size:           8
        .value_kind:     hidden_global_offset_z
      - .offset:         168
        .size:           2
        .value_kind:     hidden_grid_dims
    .group_segment_fixed_size: 256
    .kernarg_segment_align: 8
    .kernarg_segment_size: 360
    .language:       OpenCL C
    .language_version:
      - 2
      - 0
    .max_flat_workgroup_size: 256
    .name:           _ZL23rocblas_gemvt_sn_kernelILb0ELi256ELi4EldddEviiT4_lPKT3_lilS3_lilPT5_i
    .private_segment_fixed_size: 0
    .sgpr_count:     76
    .sgpr_spill_count: 0
    .symbol:         _ZL23rocblas_gemvt_sn_kernelILb0ELi256ELi4EldddEviiT4_lPKT3_lilS3_lilPT5_i.kd
    .uniform_work_group_size: 1
    .uses_dynamic_stack: false
    .vgpr_count:     78
    .vgpr_spill_count: 0
    .wavefront_size: 32
    .workgroup_processor_mode: 1
  - .args:
      - .offset:         0
        .size:           4
        .value_kind:     by_value
      - .offset:         8
        .size:           8
        .value_kind:     by_value
      - .offset:         16
        .size:           8
        .value_kind:     by_value
      - .address_space:  global
        .offset:         24
        .size:           8
        .value_kind:     global_buffer
      - .offset:         32
        .size:           8
        .value_kind:     by_value
      - .offset:         40
        .size:           4
        .value_kind:     by_value
      - .offset:         48
        .size:           8
        .value_kind:     by_value
      - .actual_access:  read_only
        .address_space:  global
        .offset:         56
        .size:           8
        .value_kind:     global_buffer
      - .offset:         64
        .size:           4
        .value_kind:     by_value
      - .offset:         72
        .size:           4
        .value_kind:     hidden_block_count_x
      - .offset:         76
        .size:           4
        .value_kind:     hidden_block_count_y
      - .offset:         80
        .size:           4
        .value_kind:     hidden_block_count_z
      - .offset:         84
        .size:           2
        .value_kind:     hidden_group_size_x
      - .offset:         86
        .size:           2
        .value_kind:     hidden_group_size_y
      - .offset:         88
        .size:           2
        .value_kind:     hidden_group_size_z
      - .offset:         90
        .size:           2
        .value_kind:     hidden_remainder_x
      - .offset:         92
        .size:           2
        .value_kind:     hidden_remainder_y
      - .offset:         94
        .size:           2
        .value_kind:     hidden_remainder_z
      - .offset:         112
        .size:           8
        .value_kind:     hidden_global_offset_x
      - .offset:         120
        .size:           8
        .value_kind:     hidden_global_offset_y
      - .offset:         128
        .size:           8
        .value_kind:     hidden_global_offset_z
      - .offset:         136
        .size:           2
        .value_kind:     hidden_grid_dims
    .group_segment_fixed_size: 256
    .kernarg_segment_align: 8
    .kernarg_segment_size: 328
    .language:       OpenCL C
    .language_version:
      - 2
      - 0
    .max_flat_workgroup_size: 256
    .name:           _ZL23rocblas_gemvt_sn_reduceILi256ELi8EdddEviT2_lPT3_lilPT1_i
    .private_segment_fixed_size: 0
    .sgpr_count:     38
    .sgpr_spill_count: 0
    .symbol:         _ZL23rocblas_gemvt_sn_reduceILi256ELi8EdddEviT2_lPT3_lilPT1_i.kd
    .uniform_work_group_size: 1
    .uses_dynamic_stack: false
    .vgpr_count:     35
    .vgpr_spill_count: 0
    .wavefront_size: 32
    .workgroup_processor_mode: 1
  - .args:
      - .offset:         0
        .size:           4
        .value_kind:     by_value
      - .offset:         4
        .size:           4
        .value_kind:     by_value
      - .address_space:  global
        .offset:         8
        .size:           8
        .value_kind:     global_buffer
      - .offset:         16
        .size:           8
        .value_kind:     by_value
      - .address_space:  global
        .offset:         24
        .size:           8
        .value_kind:     global_buffer
      - .offset:         32
        .size:           8
        .value_kind:     by_value
      - .offset:         40
        .size:           4
        .value_kind:     by_value
      - .offset:         48
        .size:           8
        .value_kind:     by_value
      - .address_space:  global
        .offset:         56
        .size:           8
        .value_kind:     global_buffer
      - .offset:         64
        .size:           8
        .value_kind:     by_value
      - .offset:         72
        .size:           4
        .value_kind:     by_value
      - .offset:         80
        .size:           8
        .value_kind:     by_value
      - .address_space:  global
        .offset:         88
        .size:           8
        .value_kind:     global_buffer
      - .offset:         96
        .size:           8
        .value_kind:     by_value
      - .offset:         104
        .size:           4
        .value_kind:     by_value
      - .offset:         112
        .size:           8
        .value_kind:     by_value
      - .offset:         120
        .size:           4
        .value_kind:     by_value
      - .offset:         128
        .size:           4
        .value_kind:     hidden_block_count_x
      - .offset:         132
        .size:           4
        .value_kind:     hidden_block_count_y
      - .offset:         136
        .size:           4
        .value_kind:     hidden_block_count_z
      - .offset:         140
        .size:           2
        .value_kind:     hidden_group_size_x
      - .offset:         142
        .size:           2
        .value_kind:     hidden_group_size_y
      - .offset:         144
        .size:           2
        .value_kind:     hidden_group_size_z
      - .offset:         146
        .size:           2
        .value_kind:     hidden_remainder_x
      - .offset:         148
        .size:           2
        .value_kind:     hidden_remainder_y
      - .offset:         150
        .size:           2
        .value_kind:     hidden_remainder_z
      - .offset:         168
        .size:           8
        .value_kind:     hidden_global_offset_x
      - .offset:         176
        .size:           8
        .value_kind:     hidden_global_offset_y
      - .offset:         184
        .size:           8
        .value_kind:     hidden_global_offset_z
      - .offset:         192
        .size:           2
        .value_kind:     hidden_grid_dims
    .group_segment_fixed_size: 65536
    .kernarg_segment_align: 8
    .kernarg_segment_size: 384
    .language:       OpenCL C
    .language_version:
      - 2
      - 0
    .max_flat_workgroup_size: 512
    .name:           _ZL36rocblas_gemvt_double_buffered_kernelILb0ELi128ELi4ELi16EdPKddEviiT4_lPKT3_lilS5_lilPT5_lili
    .private_segment_fixed_size: 84
    .sgpr_count:     45
    .sgpr_spill_count: 0
    .symbol:         _ZL36rocblas_gemvt_double_buffered_kernelILb0ELi128ELi4ELi16EdPKddEviiT4_lPKT3_lilS5_lilPT5_lili.kd
    .uniform_work_group_size: 1
    .uses_dynamic_stack: false
    .vgpr_count:     256
    .vgpr_spill_count: 20
    .wavefront_size: 32
    .workgroup_processor_mode: 1
  - .args:
      - .offset:         0
        .size:           4
        .value_kind:     by_value
      - .offset:         4
        .size:           4
        .value_kind:     by_value
      - .offset:         8
        .size:           8
        .value_kind:     by_value
      - .offset:         16
        .size:           8
        .value_kind:     by_value
      - .address_space:  global
        .offset:         24
        .size:           8
        .value_kind:     global_buffer
      - .offset:         32
        .size:           8
        .value_kind:     by_value
      - .offset:         40
        .size:           4
        .value_kind:     by_value
      - .offset:         48
        .size:           8
        .value_kind:     by_value
      - .address_space:  global
        .offset:         56
        .size:           8
        .value_kind:     global_buffer
      - .offset:         64
        .size:           8
        .value_kind:     by_value
      - .offset:         72
        .size:           4
        .value_kind:     by_value
      - .offset:         80
        .size:           8
        .value_kind:     by_value
      - .address_space:  global
        .offset:         88
        .size:           8
        .value_kind:     global_buffer
      - .offset:         96
        .size:           8
        .value_kind:     by_value
      - .offset:         104
        .size:           4
        .value_kind:     by_value
      - .offset:         112
        .size:           8
        .value_kind:     by_value
      - .offset:         120
        .size:           4
        .value_kind:     by_value
      - .offset:         128
        .size:           4
        .value_kind:     hidden_block_count_x
      - .offset:         132
        .size:           4
        .value_kind:     hidden_block_count_y
      - .offset:         136
        .size:           4
        .value_kind:     hidden_block_count_z
      - .offset:         140
        .size:           2
        .value_kind:     hidden_group_size_x
      - .offset:         142
        .size:           2
        .value_kind:     hidden_group_size_y
      - .offset:         144
        .size:           2
        .value_kind:     hidden_group_size_z
      - .offset:         146
        .size:           2
        .value_kind:     hidden_remainder_x
      - .offset:         148
        .size:           2
        .value_kind:     hidden_remainder_y
      - .offset:         150
        .size:           2
        .value_kind:     hidden_remainder_z
      - .offset:         168
        .size:           8
        .value_kind:     hidden_global_offset_x
      - .offset:         176
        .size:           8
        .value_kind:     hidden_global_offset_y
      - .offset:         184
        .size:           8
        .value_kind:     hidden_global_offset_z
      - .offset:         192
        .size:           2
        .value_kind:     hidden_grid_dims
    .group_segment_fixed_size: 65536
    .kernarg_segment_align: 8
    .kernarg_segment_size: 384
    .language:       OpenCL C
    .language_version:
      - 2
      - 0
    .max_flat_workgroup_size: 512
    .name:           _ZL36rocblas_gemvt_double_buffered_kernelILb0ELi128ELi4ELi16EdddEviiT4_lPKT3_lilS3_lilPT5_lili
    .private_segment_fixed_size: 72
    .sgpr_count:     44
    .sgpr_spill_count: 0
    .symbol:         _ZL36rocblas_gemvt_double_buffered_kernelILb0ELi128ELi4ELi16EdddEviiT4_lPKT3_lilS3_lilPT5_lili.kd
    .uniform_work_group_size: 1
    .uses_dynamic_stack: false
    .vgpr_count:     256
    .vgpr_spill_count: 17
    .wavefront_size: 32
    .workgroup_processor_mode: 1
  - .args:
      - .offset:         0
        .size:           4
        .value_kind:     by_value
      - .offset:         4
        .size:           4
        .value_kind:     by_value
      - .address_space:  global
        .offset:         8
        .size:           8
        .value_kind:     global_buffer
      - .offset:         16
        .size:           8
        .value_kind:     by_value
      - .address_space:  global
        .offset:         24
        .size:           8
        .value_kind:     global_buffer
      - .offset:         32
        .size:           8
        .value_kind:     by_value
      - .offset:         40
        .size:           4
        .value_kind:     by_value
      - .offset:         48
        .size:           8
        .value_kind:     by_value
      - .address_space:  global
        .offset:         56
        .size:           8
        .value_kind:     global_buffer
      - .offset:         64
        .size:           8
        .value_kind:     by_value
      - .offset:         72
        .size:           4
        .value_kind:     by_value
      - .offset:         80
        .size:           8
        .value_kind:     by_value
      - .address_space:  global
        .offset:         88
        .size:           8
        .value_kind:     global_buffer
      - .offset:         96
        .size:           8
        .value_kind:     by_value
      - .address_space:  global
        .offset:         104
        .size:           8
        .value_kind:     global_buffer
      - .offset:         112
        .size:           8
        .value_kind:     by_value
      - .offset:         120
        .size:           4
        .value_kind:     by_value
      - .offset:         128
        .size:           8
        .value_kind:     by_value
      - .offset:         136
        .size:           4
        .value_kind:     by_value
    .group_segment_fixed_size: 256
    .kernarg_segment_align: 8
    .kernarg_segment_size: 140
    .language:       OpenCL C
    .language_version:
      - 2
      - 0
    .max_flat_workgroup_size: 256
    .name:           _ZL32rocblas_gemvt_warp_reduce_kernelILb0ELi256EidPKddEviiT3_lPKT2_lT1_lS5_lS6_lS2_lPT4_lS6_li
    .private_segment_fixed_size: 0
    .sgpr_count:     46
    .sgpr_spill_count: 0
    .symbol:         _ZL32rocblas_gemvt_warp_reduce_kernelILb0ELi256EidPKddEviiT3_lPKT2_lT1_lS5_lS6_lS2_lPT4_lS6_li.kd
    .uniform_work_group_size: 1
    .uses_dynamic_stack: false
    .vgpr_count:     28
    .vgpr_spill_count: 0
    .wavefront_size: 32
    .workgroup_processor_mode: 1
  - .args:
      - .offset:         0
        .size:           4
        .value_kind:     by_value
      - .offset:         4
        .size:           4
        .value_kind:     by_value
      - .address_space:  global
        .offset:         8
        .size:           8
        .value_kind:     global_buffer
      - .offset:         16
        .size:           8
        .value_kind:     by_value
      - .address_space:  global
        .offset:         24
        .size:           8
        .value_kind:     global_buffer
      - .offset:         32
        .size:           8
        .value_kind:     by_value
      - .offset:         40
        .size:           8
        .value_kind:     by_value
      - .offset:         48
        .size:           8
        .value_kind:     by_value
      - .address_space:  global
        .offset:         56
        .size:           8
        .value_kind:     global_buffer
      - .offset:         64
        .size:           8
        .value_kind:     by_value
      - .offset:         72
        .size:           8
        .value_kind:     by_value
      - .offset:         80
        .size:           8
        .value_kind:     by_value
      - .address_space:  global
        .offset:         88
        .size:           8
        .value_kind:     global_buffer
      - .offset:         96
        .size:           8
        .value_kind:     by_value
      - .address_space:  global
        .offset:         104
        .size:           8
        .value_kind:     global_buffer
      - .offset:         112
        .size:           8
        .value_kind:     by_value
      - .offset:         120
        .size:           8
        .value_kind:     by_value
      - .offset:         128
        .size:           8
        .value_kind:     by_value
      - .offset:         136
        .size:           4
        .value_kind:     by_value
    .group_segment_fixed_size: 256
    .kernarg_segment_align: 8
    .kernarg_segment_size: 140
    .language:       OpenCL C
    .language_version:
      - 2
      - 0
    .max_flat_workgroup_size: 256
    .name:           _ZL32rocblas_gemvt_warp_reduce_kernelILb0ELi256EldPKddEviiT3_lPKT2_lT1_lS5_lS6_lS2_lPT4_lS6_li
    .private_segment_fixed_size: 0
    .sgpr_count:     54
    .sgpr_spill_count: 0
    .symbol:         _ZL32rocblas_gemvt_warp_reduce_kernelILb0ELi256EldPKddEviiT3_lPKT2_lT1_lS5_lS6_lS2_lPT4_lS6_li.kd
    .uniform_work_group_size: 1
    .uses_dynamic_stack: false
    .vgpr_count:     29
    .vgpr_spill_count: 0
    .wavefront_size: 32
    .workgroup_processor_mode: 1
  - .args:
      - .offset:         0
        .size:           4
        .value_kind:     by_value
      - .offset:         4
        .size:           4
        .value_kind:     by_value
      - .offset:         8
        .size:           8
        .value_kind:     by_value
      - .offset:         16
        .size:           8
        .value_kind:     by_value
      - .address_space:  global
        .offset:         24
        .size:           8
        .value_kind:     global_buffer
      - .offset:         32
        .size:           8
        .value_kind:     by_value
      - .offset:         40
        .size:           4
        .value_kind:     by_value
      - .offset:         48
        .size:           8
        .value_kind:     by_value
      - .address_space:  global
        .offset:         56
        .size:           8
        .value_kind:     global_buffer
      - .offset:         64
        .size:           8
        .value_kind:     by_value
      - .offset:         72
        .size:           4
        .value_kind:     by_value
      - .offset:         80
        .size:           8
        .value_kind:     by_value
      - .offset:         88
        .size:           8
        .value_kind:     by_value
      - .offset:         96
        .size:           8
        .value_kind:     by_value
      - .address_space:  global
        .offset:         104
        .size:           8
        .value_kind:     global_buffer
      - .offset:         112
        .size:           8
        .value_kind:     by_value
      - .offset:         120
        .size:           4
        .value_kind:     by_value
      - .offset:         128
        .size:           8
        .value_kind:     by_value
      - .offset:         136
        .size:           4
        .value_kind:     by_value
    .group_segment_fixed_size: 256
    .kernarg_segment_align: 8
    .kernarg_segment_size: 140
    .language:       OpenCL C
    .language_version:
      - 2
      - 0
    .max_flat_workgroup_size: 256
    .name:           _ZL32rocblas_gemvt_warp_reduce_kernelILb0ELi256EidddEviiT3_lPKT2_lT1_lS3_lS4_lS0_lPT4_lS4_li
    .private_segment_fixed_size: 0
    .sgpr_count:     46
    .sgpr_spill_count: 0
    .symbol:         _ZL32rocblas_gemvt_warp_reduce_kernelILb0ELi256EidddEviiT3_lPKT2_lT1_lS3_lS4_lS0_lPT4_lS4_li.kd
    .uniform_work_group_size: 1
    .uses_dynamic_stack: false
    .vgpr_count:     24
    .vgpr_spill_count: 0
    .wavefront_size: 32
    .workgroup_processor_mode: 1
  - .args:
      - .offset:         0
        .size:           4
        .value_kind:     by_value
      - .offset:         4
        .size:           4
        .value_kind:     by_value
      - .offset:         8
        .size:           8
        .value_kind:     by_value
      - .offset:         16
        .size:           8
        .value_kind:     by_value
      - .address_space:  global
        .offset:         24
        .size:           8
        .value_kind:     global_buffer
      - .offset:         32
        .size:           8
        .value_kind:     by_value
      - .offset:         40
        .size:           8
        .value_kind:     by_value
      - .offset:         48
        .size:           8
        .value_kind:     by_value
      - .address_space:  global
        .offset:         56
        .size:           8
        .value_kind:     global_buffer
      - .offset:         64
        .size:           8
        .value_kind:     by_value
      - .offset:         72
        .size:           8
        .value_kind:     by_value
      - .offset:         80
        .size:           8
        .value_kind:     by_value
      - .offset:         88
        .size:           8
        .value_kind:     by_value
      - .offset:         96
        .size:           8
        .value_kind:     by_value
      - .address_space:  global
        .offset:         104
        .size:           8
        .value_kind:     global_buffer
      - .offset:         112
        .size:           8
        .value_kind:     by_value
      - .offset:         120
        .size:           8
        .value_kind:     by_value
      - .offset:         128
        .size:           8
        .value_kind:     by_value
      - .offset:         136
        .size:           4
        .value_kind:     by_value
    .group_segment_fixed_size: 256
    .kernarg_segment_align: 8
    .kernarg_segment_size: 140
    .language:       OpenCL C
    .language_version:
      - 2
      - 0
    .max_flat_workgroup_size: 256
    .name:           _ZL32rocblas_gemvt_warp_reduce_kernelILb0ELi256EldddEviiT3_lPKT2_lT1_lS3_lS4_lS0_lPT4_lS4_li
    .private_segment_fixed_size: 0
    .sgpr_count:     48
    .sgpr_spill_count: 0
    .symbol:         _ZL32rocblas_gemvt_warp_reduce_kernelILb0ELi256EldddEviiT3_lPKT2_lT1_lS3_lS4_lS0_lPT4_lS4_li.kd
    .uniform_work_group_size: 1
    .uses_dynamic_stack: false
    .vgpr_count:     25
    .vgpr_spill_count: 0
    .wavefront_size: 32
    .workgroup_processor_mode: 1
  - .args:
      - .offset:         0
        .size:           4
        .value_kind:     by_value
      - .offset:         4
        .size:           4
        .value_kind:     by_value
      - .address_space:  global
        .offset:         8
        .size:           8
        .value_kind:     global_buffer
      - .offset:         16
        .size:           8
        .value_kind:     by_value
      - .address_space:  global
        .offset:         24
        .size:           8
        .value_kind:     global_buffer
      - .offset:         32
        .size:           8
        .value_kind:     by_value
      - .offset:         40
        .size:           4
        .value_kind:     by_value
      - .offset:         48
        .size:           8
        .value_kind:     by_value
      - .address_space:  global
        .offset:         56
        .size:           8
        .value_kind:     global_buffer
      - .offset:         64
        .size:           8
        .value_kind:     by_value
      - .offset:         72
        .size:           4
        .value_kind:     by_value
      - .offset:         80
        .size:           8
        .value_kind:     by_value
      - .address_space:  global
        .offset:         88
        .size:           8
        .value_kind:     global_buffer
      - .offset:         96
        .size:           8
        .value_kind:     by_value
      - .address_space:  global
        .offset:         104
        .size:           8
        .value_kind:     global_buffer
      - .offset:         112
        .size:           8
        .value_kind:     by_value
      - .offset:         120
        .size:           4
        .value_kind:     by_value
      - .offset:         128
        .size:           8
        .value_kind:     by_value
      - .offset:         136
        .size:           4
        .value_kind:     by_value
    .group_segment_fixed_size: 2048
    .kernarg_segment_align: 8
    .kernarg_segment_size: 140
    .language:       OpenCL C
    .language_version:
      - 2
      - 0
    .max_flat_workgroup_size: 256
    .name:           _ZL20rocblas_gemvt_kernelILb0ELi256EdPKddEviiT2_lPKT1_lilS5_lilS2_lPT3_lili
    .private_segment_fixed_size: 0
    .sgpr_count:     54
    .sgpr_spill_count: 0
    .symbol:         _ZL20rocblas_gemvt_kernelILb0ELi256EdPKddEviiT2_lPKT1_lilS5_lilS2_lPT3_lili.kd
    .uniform_work_group_size: 1
    .uses_dynamic_stack: false
    .vgpr_count:     24
    .vgpr_spill_count: 0
    .wavefront_size: 32
    .workgroup_processor_mode: 1
  - .args:
      - .offset:         0
        .size:           4
        .value_kind:     by_value
      - .offset:         4
        .size:           4
        .value_kind:     by_value
      - .offset:         8
        .size:           8
        .value_kind:     by_value
      - .offset:         16
        .size:           8
        .value_kind:     by_value
      - .address_space:  global
        .offset:         24
        .size:           8
        .value_kind:     global_buffer
      - .offset:         32
        .size:           8
        .value_kind:     by_value
      - .offset:         40
        .size:           4
        .value_kind:     by_value
      - .offset:         48
        .size:           8
        .value_kind:     by_value
      - .address_space:  global
        .offset:         56
        .size:           8
        .value_kind:     global_buffer
      - .offset:         64
        .size:           8
        .value_kind:     by_value
      - .offset:         72
        .size:           4
        .value_kind:     by_value
      - .offset:         80
        .size:           8
        .value_kind:     by_value
      - .offset:         88
        .size:           8
        .value_kind:     by_value
      - .offset:         96
        .size:           8
        .value_kind:     by_value
      - .address_space:  global
        .offset:         104
        .size:           8
        .value_kind:     global_buffer
      - .offset:         112
        .size:           8
        .value_kind:     by_value
      - .offset:         120
        .size:           4
        .value_kind:     by_value
      - .offset:         128
        .size:           8
        .value_kind:     by_value
      - .offset:         136
        .size:           4
        .value_kind:     by_value
    .group_segment_fixed_size: 2048
    .kernarg_segment_align: 8
    .kernarg_segment_size: 140
    .language:       OpenCL C
    .language_version:
      - 2
      - 0
    .max_flat_workgroup_size: 256
    .name:           _ZL20rocblas_gemvt_kernelILb0ELi256EdddEviiT2_lPKT1_lilS3_lilS0_lPT3_lili
    .private_segment_fixed_size: 0
    .sgpr_count:     52
    .sgpr_spill_count: 0
    .symbol:         _ZL20rocblas_gemvt_kernelILb0ELi256EdddEviiT2_lPKT1_lilS3_lilS0_lPT3_lili.kd
    .uniform_work_group_size: 1
    .uses_dynamic_stack: false
    .vgpr_count:     20
    .vgpr_spill_count: 0
    .wavefront_size: 32
    .workgroup_processor_mode: 1
  - .args:
      - .offset:         0
        .size:           4
        .value_kind:     by_value
      - .offset:         4
        .size:           4
        .value_kind:     by_value
      - .address_space:  global
        .offset:         8
        .size:           8
        .value_kind:     global_buffer
      - .offset:         16
        .size:           8
        .value_kind:     by_value
      - .address_space:  global
        .offset:         24
        .size:           8
        .value_kind:     global_buffer
      - .offset:         32
        .size:           8
        .value_kind:     by_value
      - .offset:         40
        .size:           4
        .value_kind:     by_value
      - .offset:         48
        .size:           8
        .value_kind:     by_value
      - .address_space:  global
        .offset:         56
        .size:           8
        .value_kind:     global_buffer
      - .offset:         64
        .size:           8
        .value_kind:     by_value
      - .offset:         72
        .size:           4
        .value_kind:     by_value
      - .offset:         80
        .size:           8
        .value_kind:     by_value
      - .address_space:  global
        .offset:         88
        .size:           8
        .value_kind:     global_buffer
      - .offset:         96
        .size:           8
        .value_kind:     by_value
      - .address_space:  global
        .offset:         104
        .size:           8
        .value_kind:     global_buffer
      - .offset:         112
        .size:           8
        .value_kind:     by_value
      - .offset:         120
        .size:           4
        .value_kind:     by_value
      - .offset:         128
        .size:           8
        .value_kind:     by_value
      - .offset:         136
        .size:           4
        .value_kind:     by_value
    .group_segment_fixed_size: 256
    .kernarg_segment_align: 8
    .kernarg_segment_size: 140
    .language:       OpenCL C
    .language_version:
      - 2
      - 0
    .max_flat_workgroup_size: 1024
    .name:           _ZL32rocblas_gemvt_warp_reduce_kernelILb0ELi1024EidPKddEviiT3_lPKT2_lT1_lS5_lS6_lS2_lPT4_lS6_li
    .private_segment_fixed_size: 0
    .sgpr_count:     46
    .sgpr_spill_count: 0
    .symbol:         _ZL32rocblas_gemvt_warp_reduce_kernelILb0ELi1024EidPKddEviiT3_lPKT2_lT1_lS5_lS6_lS2_lPT4_lS6_li.kd
    .uniform_work_group_size: 1
    .uses_dynamic_stack: false
    .vgpr_count:     28
    .vgpr_spill_count: 0
    .wavefront_size: 32
    .workgroup_processor_mode: 1
  - .args:
      - .offset:         0
        .size:           4
        .value_kind:     by_value
      - .offset:         4
        .size:           4
        .value_kind:     by_value
      - .address_space:  global
        .offset:         8
        .size:           8
        .value_kind:     global_buffer
      - .offset:         16
        .size:           8
        .value_kind:     by_value
      - .address_space:  global
        .offset:         24
        .size:           8
        .value_kind:     global_buffer
      - .offset:         32
        .size:           8
        .value_kind:     by_value
      - .offset:         40
        .size:           8
        .value_kind:     by_value
      - .offset:         48
        .size:           8
        .value_kind:     by_value
      - .address_space:  global
        .offset:         56
        .size:           8
        .value_kind:     global_buffer
      - .offset:         64
        .size:           8
        .value_kind:     by_value
      - .offset:         72
        .size:           8
        .value_kind:     by_value
      - .offset:         80
        .size:           8
        .value_kind:     by_value
      - .address_space:  global
        .offset:         88
        .size:           8
        .value_kind:     global_buffer
      - .offset:         96
        .size:           8
        .value_kind:     by_value
      - .address_space:  global
        .offset:         104
        .size:           8
        .value_kind:     global_buffer
      - .offset:         112
        .size:           8
        .value_kind:     by_value
      - .offset:         120
        .size:           8
        .value_kind:     by_value
      - .offset:         128
        .size:           8
        .value_kind:     by_value
      - .offset:         136
        .size:           4
        .value_kind:     by_value
    .group_segment_fixed_size: 256
    .kernarg_segment_align: 8
    .kernarg_segment_size: 140
    .language:       OpenCL C
    .language_version:
      - 2
      - 0
    .max_flat_workgroup_size: 1024
    .name:           _ZL32rocblas_gemvt_warp_reduce_kernelILb0ELi1024EldPKddEviiT3_lPKT2_lT1_lS5_lS6_lS2_lPT4_lS6_li
    .private_segment_fixed_size: 0
    .sgpr_count:     54
    .sgpr_spill_count: 0
    .symbol:         _ZL32rocblas_gemvt_warp_reduce_kernelILb0ELi1024EldPKddEviiT3_lPKT2_lT1_lS5_lS6_lS2_lPT4_lS6_li.kd
    .uniform_work_group_size: 1
    .uses_dynamic_stack: false
    .vgpr_count:     29
    .vgpr_spill_count: 0
    .wavefront_size: 32
    .workgroup_processor_mode: 1
  - .args:
      - .offset:         0
        .size:           4
        .value_kind:     by_value
      - .offset:         4
        .size:           4
        .value_kind:     by_value
      - .offset:         8
        .size:           8
        .value_kind:     by_value
      - .offset:         16
        .size:           8
        .value_kind:     by_value
      - .address_space:  global
        .offset:         24
        .size:           8
        .value_kind:     global_buffer
      - .offset:         32
        .size:           8
        .value_kind:     by_value
      - .offset:         40
        .size:           4
        .value_kind:     by_value
      - .offset:         48
        .size:           8
        .value_kind:     by_value
      - .address_space:  global
        .offset:         56
        .size:           8
        .value_kind:     global_buffer
      - .offset:         64
        .size:           8
        .value_kind:     by_value
      - .offset:         72
        .size:           4
        .value_kind:     by_value
      - .offset:         80
        .size:           8
        .value_kind:     by_value
      - .offset:         88
        .size:           8
        .value_kind:     by_value
      - .offset:         96
        .size:           8
        .value_kind:     by_value
      - .address_space:  global
        .offset:         104
        .size:           8
        .value_kind:     global_buffer
      - .offset:         112
        .size:           8
        .value_kind:     by_value
      - .offset:         120
        .size:           4
        .value_kind:     by_value
      - .offset:         128
        .size:           8
        .value_kind:     by_value
      - .offset:         136
        .size:           4
        .value_kind:     by_value
    .group_segment_fixed_size: 256
    .kernarg_segment_align: 8
    .kernarg_segment_size: 140
    .language:       OpenCL C
    .language_version:
      - 2
      - 0
    .max_flat_workgroup_size: 1024
    .name:           _ZL32rocblas_gemvt_warp_reduce_kernelILb0ELi1024EidddEviiT3_lPKT2_lT1_lS3_lS4_lS0_lPT4_lS4_li
    .private_segment_fixed_size: 0
    .sgpr_count:     44
    .sgpr_spill_count: 0
    .symbol:         _ZL32rocblas_gemvt_warp_reduce_kernelILb0ELi1024EidddEviiT3_lPKT2_lT1_lS3_lS4_lS0_lPT4_lS4_li.kd
    .uniform_work_group_size: 1
    .uses_dynamic_stack: false
    .vgpr_count:     24
    .vgpr_spill_count: 0
    .wavefront_size: 32
    .workgroup_processor_mode: 1
  - .args:
      - .offset:         0
        .size:           4
        .value_kind:     by_value
      - .offset:         4
        .size:           4
        .value_kind:     by_value
      - .offset:         8
        .size:           8
        .value_kind:     by_value
      - .offset:         16
        .size:           8
        .value_kind:     by_value
      - .address_space:  global
        .offset:         24
        .size:           8
        .value_kind:     global_buffer
      - .offset:         32
        .size:           8
        .value_kind:     by_value
      - .offset:         40
        .size:           8
        .value_kind:     by_value
      - .offset:         48
        .size:           8
        .value_kind:     by_value
      - .address_space:  global
        .offset:         56
        .size:           8
        .value_kind:     global_buffer
      - .offset:         64
        .size:           8
        .value_kind:     by_value
      - .offset:         72
        .size:           8
        .value_kind:     by_value
      - .offset:         80
        .size:           8
        .value_kind:     by_value
      - .offset:         88
        .size:           8
        .value_kind:     by_value
      - .offset:         96
        .size:           8
        .value_kind:     by_value
      - .address_space:  global
        .offset:         104
        .size:           8
        .value_kind:     global_buffer
      - .offset:         112
        .size:           8
        .value_kind:     by_value
      - .offset:         120
        .size:           8
        .value_kind:     by_value
      - .offset:         128
        .size:           8
        .value_kind:     by_value
      - .offset:         136
        .size:           4
        .value_kind:     by_value
    .group_segment_fixed_size: 256
    .kernarg_segment_align: 8
    .kernarg_segment_size: 140
    .language:       OpenCL C
    .language_version:
      - 2
      - 0
    .max_flat_workgroup_size: 1024
    .name:           _ZL32rocblas_gemvt_warp_reduce_kernelILb0ELi1024EldddEviiT3_lPKT2_lT1_lS3_lS4_lS0_lPT4_lS4_li
    .private_segment_fixed_size: 0
    .sgpr_count:     48
    .sgpr_spill_count: 0
    .symbol:         _ZL32rocblas_gemvt_warp_reduce_kernelILb0ELi1024EldddEviiT3_lPKT2_lT1_lS3_lS4_lS0_lPT4_lS4_li.kd
    .uniform_work_group_size: 1
    .uses_dynamic_stack: false
    .vgpr_count:     25
    .vgpr_spill_count: 0
    .wavefront_size: 32
    .workgroup_processor_mode: 1
  - .args:
      - .offset:         0
        .size:           4
        .value_kind:     by_value
      - .offset:         4
        .size:           4
        .value_kind:     by_value
      - .address_space:  global
        .offset:         8
        .size:           8
        .value_kind:     global_buffer
      - .offset:         16
        .size:           8
        .value_kind:     by_value
      - .address_space:  global
        .offset:         24
        .size:           8
        .value_kind:     global_buffer
      - .offset:         32
        .size:           8
        .value_kind:     by_value
      - .offset:         40
        .size:           4
        .value_kind:     by_value
      - .offset:         48
        .size:           8
        .value_kind:     by_value
      - .address_space:  global
        .offset:         56
        .size:           8
        .value_kind:     global_buffer
      - .offset:         64
        .size:           8
        .value_kind:     by_value
      - .offset:         72
        .size:           4
        .value_kind:     by_value
      - .offset:         80
        .size:           8
        .value_kind:     by_value
      - .address_space:  global
        .offset:         88
        .size:           8
        .value_kind:     global_buffer
      - .offset:         96
        .size:           8
        .value_kind:     by_value
      - .address_space:  global
        .offset:         104
        .size:           8
        .value_kind:     global_buffer
      - .offset:         112
        .size:           8
        .value_kind:     by_value
      - .offset:         120
        .size:           4
        .value_kind:     by_value
      - .offset:         128
        .size:           8
        .value_kind:     by_value
    .group_segment_fixed_size: 512
    .kernarg_segment_align: 8
    .kernarg_segment_size: 136
    .language:       OpenCL C
    .language_version:
      - 2
      - 0
    .max_flat_workgroup_size: 256
    .name:           _ZL22rocblas_gemvtsm_kernelILb1ELi256EdPKddEviiT2_lPKT1_lilS5_lilS2_lPT3_lil
    .private_segment_fixed_size: 0
    .sgpr_count:     34
    .sgpr_spill_count: 0
    .symbol:         _ZL22rocblas_gemvtsm_kernelILb1ELi256EdPKddEviiT2_lPKT1_lilS5_lilS2_lPT3_lil.kd
    .uniform_work_group_size: 1
    .uses_dynamic_stack: false
    .vgpr_count:     36
    .vgpr_spill_count: 0
    .wavefront_size: 32
    .workgroup_processor_mode: 1
  - .args:
      - .offset:         0
        .size:           4
        .value_kind:     by_value
      - .offset:         4
        .size:           4
        .value_kind:     by_value
      - .offset:         8
        .size:           8
        .value_kind:     by_value
      - .offset:         16
        .size:           8
        .value_kind:     by_value
      - .address_space:  global
        .offset:         24
        .size:           8
        .value_kind:     global_buffer
      - .offset:         32
        .size:           8
        .value_kind:     by_value
      - .offset:         40
        .size:           4
        .value_kind:     by_value
      - .offset:         48
        .size:           8
        .value_kind:     by_value
      - .address_space:  global
        .offset:         56
        .size:           8
        .value_kind:     global_buffer
      - .offset:         64
        .size:           8
        .value_kind:     by_value
      - .offset:         72
        .size:           4
        .value_kind:     by_value
      - .offset:         80
        .size:           8
        .value_kind:     by_value
      - .offset:         88
        .size:           8
        .value_kind:     by_value
      - .offset:         96
        .size:           8
        .value_kind:     by_value
      - .address_space:  global
        .offset:         104
        .size:           8
        .value_kind:     global_buffer
      - .offset:         112
        .size:           8
        .value_kind:     by_value
      - .offset:         120
        .size:           4
        .value_kind:     by_value
      - .offset:         128
        .size:           8
        .value_kind:     by_value
    .group_segment_fixed_size: 512
    .kernarg_segment_align: 8
    .kernarg_segment_size: 136
    .language:       OpenCL C
    .language_version:
      - 2
      - 0
    .max_flat_workgroup_size: 256
    .name:           _ZL22rocblas_gemvtsm_kernelILb1ELi256EdddEviiT2_lPKT1_lilS3_lilS0_lPT3_lil
    .private_segment_fixed_size: 0
    .sgpr_count:     29
    .sgpr_spill_count: 0
    .symbol:         _ZL22rocblas_gemvtsm_kernelILb1ELi256EdddEviiT2_lPKT1_lilS3_lilS0_lPT3_lil.kd
    .uniform_work_group_size: 1
    .uses_dynamic_stack: false
    .vgpr_count:     36
    .vgpr_spill_count: 0
    .wavefront_size: 32
    .workgroup_processor_mode: 1
  - .args:
      - .offset:         0
        .size:           4
        .value_kind:     by_value
      - .offset:         4
        .size:           4
        .value_kind:     by_value
      - .address_space:  global
        .offset:         8
        .size:           8
        .value_kind:     global_buffer
      - .offset:         16
        .size:           8
        .value_kind:     by_value
      - .address_space:  global
        .offset:         24
        .size:           8
        .value_kind:     global_buffer
      - .offset:         32
        .size:           8
        .value_kind:     by_value
      - .offset:         40
        .size:           4
        .value_kind:     by_value
      - .offset:         48
        .size:           8
        .value_kind:     by_value
      - .address_space:  global
        .offset:         56
        .size:           8
        .value_kind:     global_buffer
      - .offset:         64
        .size:           8
        .value_kind:     by_value
      - .offset:         72
        .size:           4
        .value_kind:     by_value
      - .offset:         80
        .size:           8
        .value_kind:     by_value
      - .address_space:  global
        .offset:         88
        .size:           8
        .value_kind:     global_buffer
      - .offset:         96
        .size:           4
        .value_kind:     by_value
      - .offset:         104
        .size:           4
        .value_kind:     hidden_block_count_x
      - .offset:         108
        .size:           4
        .value_kind:     hidden_block_count_y
      - .offset:         112
        .size:           4
        .value_kind:     hidden_block_count_z
      - .offset:         116
        .size:           2
        .value_kind:     hidden_group_size_x
      - .offset:         118
        .size:           2
        .value_kind:     hidden_group_size_y
      - .offset:         120
        .size:           2
        .value_kind:     hidden_group_size_z
      - .offset:         122
        .size:           2
        .value_kind:     hidden_remainder_x
      - .offset:         124
        .size:           2
        .value_kind:     hidden_remainder_y
      - .offset:         126
        .size:           2
        .value_kind:     hidden_remainder_z
      - .offset:         144
        .size:           8
        .value_kind:     hidden_global_offset_x
      - .offset:         152
        .size:           8
        .value_kind:     hidden_global_offset_y
      - .offset:         160
        .size:           8
        .value_kind:     hidden_global_offset_z
      - .offset:         168
        .size:           2
        .value_kind:     hidden_grid_dims
    .group_segment_fixed_size: 256
    .kernarg_segment_align: 8
    .kernarg_segment_size: 360
    .language:       OpenCL C
    .language_version:
      - 2
      - 0
    .max_flat_workgroup_size: 256
    .name:           _ZL23rocblas_gemvt_sn_kernelILb1ELi256ELi4EidPKddEviiT4_lPKT3_lilS5_lilPT5_i
    .private_segment_fixed_size: 0
    .sgpr_count:     84
    .sgpr_spill_count: 0
    .symbol:         _ZL23rocblas_gemvt_sn_kernelILb1ELi256ELi4EidPKddEviiT4_lPKT3_lilS5_lilPT5_i.kd
    .uniform_work_group_size: 1
    .uses_dynamic_stack: false
    .vgpr_count:     77
    .vgpr_spill_count: 0
    .wavefront_size: 32
    .workgroup_processor_mode: 1
  - .args:
      - .offset:         0
        .size:           4
        .value_kind:     by_value
      - .offset:         4
        .size:           4
        .value_kind:     by_value
      - .address_space:  global
        .offset:         8
        .size:           8
        .value_kind:     global_buffer
      - .offset:         16
        .size:           8
        .value_kind:     by_value
      - .address_space:  global
        .offset:         24
        .size:           8
        .value_kind:     global_buffer
      - .offset:         32
        .size:           8
        .value_kind:     by_value
      - .offset:         40
        .size:           4
        .value_kind:     by_value
      - .offset:         48
        .size:           8
        .value_kind:     by_value
      - .address_space:  global
        .offset:         56
        .size:           8
        .value_kind:     global_buffer
      - .offset:         64
        .size:           8
        .value_kind:     by_value
      - .offset:         72
        .size:           4
        .value_kind:     by_value
      - .offset:         80
        .size:           8
        .value_kind:     by_value
      - .address_space:  global
        .offset:         88
        .size:           8
        .value_kind:     global_buffer
      - .offset:         96
        .size:           4
        .value_kind:     by_value
      - .offset:         104
        .size:           4
        .value_kind:     hidden_block_count_x
      - .offset:         108
        .size:           4
        .value_kind:     hidden_block_count_y
      - .offset:         112
        .size:           4
        .value_kind:     hidden_block_count_z
      - .offset:         116
        .size:           2
        .value_kind:     hidden_group_size_x
      - .offset:         118
        .size:           2
        .value_kind:     hidden_group_size_y
      - .offset:         120
        .size:           2
        .value_kind:     hidden_group_size_z
      - .offset:         122
        .size:           2
        .value_kind:     hidden_remainder_x
      - .offset:         124
        .size:           2
        .value_kind:     hidden_remainder_y
      - .offset:         126
        .size:           2
        .value_kind:     hidden_remainder_z
      - .offset:         144
        .size:           8
        .value_kind:     hidden_global_offset_x
      - .offset:         152
        .size:           8
        .value_kind:     hidden_global_offset_y
      - .offset:         160
        .size:           8
        .value_kind:     hidden_global_offset_z
      - .offset:         168
        .size:           2
        .value_kind:     hidden_grid_dims
    .group_segment_fixed_size: 256
    .kernarg_segment_align: 8
    .kernarg_segment_size: 360
    .language:       OpenCL C
    .language_version:
      - 2
      - 0
    .max_flat_workgroup_size: 256
    .name:           _ZL23rocblas_gemvt_sn_kernelILb1ELi256ELi4EldPKddEviiT4_lPKT3_lilS5_lilPT5_i
    .private_segment_fixed_size: 0
    .sgpr_count:     76
    .sgpr_spill_count: 0
    .symbol:         _ZL23rocblas_gemvt_sn_kernelILb1ELi256ELi4EldPKddEviiT4_lPKT3_lilS5_lilPT5_i.kd
    .uniform_work_group_size: 1
    .uses_dynamic_stack: false
    .vgpr_count:     80
    .vgpr_spill_count: 0
    .wavefront_size: 32
    .workgroup_processor_mode: 1
  - .args:
      - .offset:         0
        .size:           4
        .value_kind:     by_value
      - .offset:         4
        .size:           4
        .value_kind:     by_value
      - .offset:         8
        .size:           8
        .value_kind:     by_value
      - .offset:         16
        .size:           8
        .value_kind:     by_value
      - .address_space:  global
        .offset:         24
        .size:           8
        .value_kind:     global_buffer
      - .offset:         32
        .size:           8
        .value_kind:     by_value
      - .offset:         40
        .size:           4
        .value_kind:     by_value
      - .offset:         48
        .size:           8
        .value_kind:     by_value
      - .address_space:  global
        .offset:         56
        .size:           8
        .value_kind:     global_buffer
      - .offset:         64
        .size:           8
        .value_kind:     by_value
      - .offset:         72
        .size:           4
        .value_kind:     by_value
      - .offset:         80
        .size:           8
        .value_kind:     by_value
      - .address_space:  global
        .offset:         88
        .size:           8
        .value_kind:     global_buffer
      - .offset:         96
        .size:           4
        .value_kind:     by_value
      - .offset:         104
        .size:           4
        .value_kind:     hidden_block_count_x
      - .offset:         108
        .size:           4
        .value_kind:     hidden_block_count_y
      - .offset:         112
        .size:           4
        .value_kind:     hidden_block_count_z
      - .offset:         116
        .size:           2
        .value_kind:     hidden_group_size_x
      - .offset:         118
        .size:           2
        .value_kind:     hidden_group_size_y
      - .offset:         120
        .size:           2
        .value_kind:     hidden_group_size_z
      - .offset:         122
        .size:           2
        .value_kind:     hidden_remainder_x
      - .offset:         124
        .size:           2
        .value_kind:     hidden_remainder_y
      - .offset:         126
        .size:           2
        .value_kind:     hidden_remainder_z
      - .offset:         144
        .size:           8
        .value_kind:     hidden_global_offset_x
      - .offset:         152
        .size:           8
        .value_kind:     hidden_global_offset_y
      - .offset:         160
        .size:           8
        .value_kind:     hidden_global_offset_z
      - .offset:         168
        .size:           2
        .value_kind:     hidden_grid_dims
    .group_segment_fixed_size: 256
    .kernarg_segment_align: 8
    .kernarg_segment_size: 360
    .language:       OpenCL C
    .language_version:
      - 2
      - 0
    .max_flat_workgroup_size: 256
    .name:           _ZL23rocblas_gemvt_sn_kernelILb1ELi256ELi4EidddEviiT4_lPKT3_lilS3_lilPT5_i
    .private_segment_fixed_size: 0
    .sgpr_count:     82
    .sgpr_spill_count: 0
    .symbol:         _ZL23rocblas_gemvt_sn_kernelILb1ELi256ELi4EidddEviiT4_lPKT3_lilS3_lilPT5_i.kd
    .uniform_work_group_size: 1
    .uses_dynamic_stack: false
    .vgpr_count:     75
    .vgpr_spill_count: 0
    .wavefront_size: 32
    .workgroup_processor_mode: 1
  - .args:
      - .offset:         0
        .size:           4
        .value_kind:     by_value
      - .offset:         4
        .size:           4
        .value_kind:     by_value
      - .offset:         8
        .size:           8
        .value_kind:     by_value
      - .offset:         16
        .size:           8
        .value_kind:     by_value
      - .address_space:  global
        .offset:         24
        .size:           8
        .value_kind:     global_buffer
      - .offset:         32
        .size:           8
        .value_kind:     by_value
      - .offset:         40
        .size:           4
        .value_kind:     by_value
      - .offset:         48
        .size:           8
        .value_kind:     by_value
      - .address_space:  global
        .offset:         56
        .size:           8
        .value_kind:     global_buffer
      - .offset:         64
        .size:           8
        .value_kind:     by_value
      - .offset:         72
        .size:           4
        .value_kind:     by_value
      - .offset:         80
        .size:           8
        .value_kind:     by_value
      - .address_space:  global
        .offset:         88
        .size:           8
        .value_kind:     global_buffer
      - .offset:         96
        .size:           4
        .value_kind:     by_value
      - .offset:         104
        .size:           4
        .value_kind:     hidden_block_count_x
      - .offset:         108
        .size:           4
        .value_kind:     hidden_block_count_y
      - .offset:         112
        .size:           4
        .value_kind:     hidden_block_count_z
      - .offset:         116
        .size:           2
        .value_kind:     hidden_group_size_x
      - .offset:         118
        .size:           2
        .value_kind:     hidden_group_size_y
      - .offset:         120
        .size:           2
        .value_kind:     hidden_group_size_z
      - .offset:         122
        .size:           2
        .value_kind:     hidden_remainder_x
      - .offset:         124
        .size:           2
        .value_kind:     hidden_remainder_y
      - .offset:         126
        .size:           2
        .value_kind:     hidden_remainder_z
      - .offset:         144
        .size:           8
        .value_kind:     hidden_global_offset_x
      - .offset:         152
        .size:           8
        .value_kind:     hidden_global_offset_y
      - .offset:         160
        .size:           8
        .value_kind:     hidden_global_offset_z
      - .offset:         168
        .size:           2
        .value_kind:     hidden_grid_dims
    .group_segment_fixed_size: 256
    .kernarg_segment_align: 8
    .kernarg_segment_size: 360
    .language:       OpenCL C
    .language_version:
      - 2
      - 0
    .max_flat_workgroup_size: 256
    .name:           _ZL23rocblas_gemvt_sn_kernelILb1ELi256ELi4EldddEviiT4_lPKT3_lilS3_lilPT5_i
    .private_segment_fixed_size: 0
    .sgpr_count:     76
    .sgpr_spill_count: 0
    .symbol:         _ZL23rocblas_gemvt_sn_kernelILb1ELi256ELi4EldddEviiT4_lPKT3_lilS3_lilPT5_i.kd
    .uniform_work_group_size: 1
    .uses_dynamic_stack: false
    .vgpr_count:     78
    .vgpr_spill_count: 0
    .wavefront_size: 32
    .workgroup_processor_mode: 1
  - .args:
      - .offset:         0
        .size:           4
        .value_kind:     by_value
      - .offset:         4
        .size:           4
        .value_kind:     by_value
      - .address_space:  global
        .offset:         8
        .size:           8
        .value_kind:     global_buffer
      - .offset:         16
        .size:           8
        .value_kind:     by_value
      - .address_space:  global
        .offset:         24
        .size:           8
        .value_kind:     global_buffer
      - .offset:         32
        .size:           8
        .value_kind:     by_value
      - .offset:         40
        .size:           4
        .value_kind:     by_value
      - .offset:         48
        .size:           8
        .value_kind:     by_value
      - .address_space:  global
        .offset:         56
        .size:           8
        .value_kind:     global_buffer
      - .offset:         64
        .size:           8
        .value_kind:     by_value
      - .offset:         72
        .size:           4
        .value_kind:     by_value
      - .offset:         80
        .size:           8
        .value_kind:     by_value
      - .address_space:  global
        .offset:         88
        .size:           8
        .value_kind:     global_buffer
      - .offset:         96
        .size:           8
        .value_kind:     by_value
      - .offset:         104
        .size:           4
        .value_kind:     by_value
      - .offset:         112
        .size:           8
        .value_kind:     by_value
      - .offset:         120
        .size:           4
        .value_kind:     by_value
      - .offset:         128
        .size:           4
        .value_kind:     hidden_block_count_x
      - .offset:         132
        .size:           4
        .value_kind:     hidden_block_count_y
      - .offset:         136
        .size:           4
        .value_kind:     hidden_block_count_z
      - .offset:         140
        .size:           2
        .value_kind:     hidden_group_size_x
      - .offset:         142
        .size:           2
        .value_kind:     hidden_group_size_y
      - .offset:         144
        .size:           2
        .value_kind:     hidden_group_size_z
      - .offset:         146
        .size:           2
        .value_kind:     hidden_remainder_x
      - .offset:         148
        .size:           2
        .value_kind:     hidden_remainder_y
      - .offset:         150
        .size:           2
        .value_kind:     hidden_remainder_z
      - .offset:         168
        .size:           8
        .value_kind:     hidden_global_offset_x
      - .offset:         176
        .size:           8
        .value_kind:     hidden_global_offset_y
      - .offset:         184
        .size:           8
        .value_kind:     hidden_global_offset_z
      - .offset:         192
        .size:           2
        .value_kind:     hidden_grid_dims
    .group_segment_fixed_size: 65536
    .kernarg_segment_align: 8
    .kernarg_segment_size: 384
    .language:       OpenCL C
    .language_version:
      - 2
      - 0
    .max_flat_workgroup_size: 512
    .name:           _ZL36rocblas_gemvt_double_buffered_kernelILb1ELi128ELi4ELi16EdPKddEviiT4_lPKT3_lilS5_lilPT5_lili
    .private_segment_fixed_size: 84
    .sgpr_count:     45
    .sgpr_spill_count: 0
    .symbol:         _ZL36rocblas_gemvt_double_buffered_kernelILb1ELi128ELi4ELi16EdPKddEviiT4_lPKT3_lilS5_lilPT5_lili.kd
    .uniform_work_group_size: 1
    .uses_dynamic_stack: false
    .vgpr_count:     256
    .vgpr_spill_count: 20
    .wavefront_size: 32
    .workgroup_processor_mode: 1
  - .args:
      - .offset:         0
        .size:           4
        .value_kind:     by_value
      - .offset:         4
        .size:           4
        .value_kind:     by_value
      - .offset:         8
        .size:           8
        .value_kind:     by_value
      - .offset:         16
        .size:           8
        .value_kind:     by_value
      - .address_space:  global
        .offset:         24
        .size:           8
        .value_kind:     global_buffer
      - .offset:         32
        .size:           8
        .value_kind:     by_value
      - .offset:         40
        .size:           4
        .value_kind:     by_value
      - .offset:         48
        .size:           8
        .value_kind:     by_value
      - .address_space:  global
        .offset:         56
        .size:           8
        .value_kind:     global_buffer
      - .offset:         64
        .size:           8
        .value_kind:     by_value
      - .offset:         72
        .size:           4
        .value_kind:     by_value
      - .offset:         80
        .size:           8
        .value_kind:     by_value
      - .address_space:  global
        .offset:         88
        .size:           8
        .value_kind:     global_buffer
      - .offset:         96
        .size:           8
        .value_kind:     by_value
      - .offset:         104
        .size:           4
        .value_kind:     by_value
      - .offset:         112
        .size:           8
        .value_kind:     by_value
      - .offset:         120
        .size:           4
        .value_kind:     by_value
      - .offset:         128
        .size:           4
        .value_kind:     hidden_block_count_x
      - .offset:         132
        .size:           4
        .value_kind:     hidden_block_count_y
      - .offset:         136
        .size:           4
        .value_kind:     hidden_block_count_z
      - .offset:         140
        .size:           2
        .value_kind:     hidden_group_size_x
      - .offset:         142
        .size:           2
        .value_kind:     hidden_group_size_y
      - .offset:         144
        .size:           2
        .value_kind:     hidden_group_size_z
      - .offset:         146
        .size:           2
        .value_kind:     hidden_remainder_x
      - .offset:         148
        .size:           2
        .value_kind:     hidden_remainder_y
      - .offset:         150
        .size:           2
        .value_kind:     hidden_remainder_z
      - .offset:         168
        .size:           8
        .value_kind:     hidden_global_offset_x
      - .offset:         176
        .size:           8
        .value_kind:     hidden_global_offset_y
      - .offset:         184
        .size:           8
        .value_kind:     hidden_global_offset_z
      - .offset:         192
        .size:           2
        .value_kind:     hidden_grid_dims
    .group_segment_fixed_size: 65536
    .kernarg_segment_align: 8
    .kernarg_segment_size: 384
    .language:       OpenCL C
    .language_version:
      - 2
      - 0
    .max_flat_workgroup_size: 512
    .name:           _ZL36rocblas_gemvt_double_buffered_kernelILb1ELi128ELi4ELi16EdddEviiT4_lPKT3_lilS3_lilPT5_lili
    .private_segment_fixed_size: 72
    .sgpr_count:     44
    .sgpr_spill_count: 0
    .symbol:         _ZL36rocblas_gemvt_double_buffered_kernelILb1ELi128ELi4ELi16EdddEviiT4_lPKT3_lilS3_lilPT5_lili.kd
    .uniform_work_group_size: 1
    .uses_dynamic_stack: false
    .vgpr_count:     256
    .vgpr_spill_count: 17
    .wavefront_size: 32
    .workgroup_processor_mode: 1
  - .args:
      - .offset:         0
        .size:           4
        .value_kind:     by_value
      - .offset:         4
        .size:           4
        .value_kind:     by_value
      - .address_space:  global
        .offset:         8
        .size:           8
        .value_kind:     global_buffer
      - .offset:         16
        .size:           8
        .value_kind:     by_value
      - .address_space:  global
        .offset:         24
        .size:           8
        .value_kind:     global_buffer
      - .offset:         32
        .size:           8
        .value_kind:     by_value
      - .offset:         40
        .size:           4
        .value_kind:     by_value
      - .offset:         48
        .size:           8
        .value_kind:     by_value
      - .address_space:  global
        .offset:         56
        .size:           8
        .value_kind:     global_buffer
      - .offset:         64
        .size:           8
        .value_kind:     by_value
      - .offset:         72
        .size:           4
        .value_kind:     by_value
      - .offset:         80
        .size:           8
        .value_kind:     by_value
      - .address_space:  global
        .offset:         88
        .size:           8
        .value_kind:     global_buffer
      - .offset:         96
        .size:           8
        .value_kind:     by_value
      - .address_space:  global
        .offset:         104
        .size:           8
        .value_kind:     global_buffer
      - .offset:         112
        .size:           8
        .value_kind:     by_value
      - .offset:         120
        .size:           4
        .value_kind:     by_value
      - .offset:         128
        .size:           8
        .value_kind:     by_value
      - .offset:         136
        .size:           4
        .value_kind:     by_value
    .group_segment_fixed_size: 2048
    .kernarg_segment_align: 8
    .kernarg_segment_size: 140
    .language:       OpenCL C
    .language_version:
      - 2
      - 0
    .max_flat_workgroup_size: 256
    .name:           _ZL20rocblas_gemvt_kernelILb1ELi256EdPKddEviiT2_lPKT1_lilS5_lilS2_lPT3_lili
    .private_segment_fixed_size: 0
    .sgpr_count:     54
    .sgpr_spill_count: 0
    .symbol:         _ZL20rocblas_gemvt_kernelILb1ELi256EdPKddEviiT2_lPKT1_lilS5_lilS2_lPT3_lili.kd
    .uniform_work_group_size: 1
    .uses_dynamic_stack: false
    .vgpr_count:     24
    .vgpr_spill_count: 0
    .wavefront_size: 32
    .workgroup_processor_mode: 1
  - .args:
      - .offset:         0
        .size:           4
        .value_kind:     by_value
      - .offset:         4
        .size:           4
        .value_kind:     by_value
      - .offset:         8
        .size:           8
        .value_kind:     by_value
      - .offset:         16
        .size:           8
        .value_kind:     by_value
      - .address_space:  global
        .offset:         24
        .size:           8
        .value_kind:     global_buffer
      - .offset:         32
        .size:           8
        .value_kind:     by_value
      - .offset:         40
        .size:           4
        .value_kind:     by_value
      - .offset:         48
        .size:           8
        .value_kind:     by_value
      - .address_space:  global
        .offset:         56
        .size:           8
        .value_kind:     global_buffer
      - .offset:         64
        .size:           8
        .value_kind:     by_value
      - .offset:         72
        .size:           4
        .value_kind:     by_value
      - .offset:         80
        .size:           8
        .value_kind:     by_value
      - .offset:         88
        .size:           8
        .value_kind:     by_value
      - .offset:         96
        .size:           8
        .value_kind:     by_value
      - .address_space:  global
        .offset:         104
        .size:           8
        .value_kind:     global_buffer
      - .offset:         112
        .size:           8
        .value_kind:     by_value
      - .offset:         120
        .size:           4
        .value_kind:     by_value
      - .offset:         128
        .size:           8
        .value_kind:     by_value
      - .offset:         136
        .size:           4
        .value_kind:     by_value
    .group_segment_fixed_size: 2048
    .kernarg_segment_align: 8
    .kernarg_segment_size: 140
    .language:       OpenCL C
    .language_version:
      - 2
      - 0
    .max_flat_workgroup_size: 256
    .name:           _ZL20rocblas_gemvt_kernelILb1ELi256EdddEviiT2_lPKT1_lilS3_lilS0_lPT3_lili
    .private_segment_fixed_size: 0
    .sgpr_count:     52
    .sgpr_spill_count: 0
    .symbol:         _ZL20rocblas_gemvt_kernelILb1ELi256EdddEviiT2_lPKT1_lilS3_lilS0_lPT3_lili.kd
    .uniform_work_group_size: 1
    .uses_dynamic_stack: false
    .vgpr_count:     20
    .vgpr_spill_count: 0
    .wavefront_size: 32
    .workgroup_processor_mode: 1
  - .args:
      - .offset:         0
        .size:           4
        .value_kind:     by_value
      - .offset:         4
        .size:           4
        .value_kind:     by_value
      - .address_space:  global
        .offset:         8
        .size:           8
        .value_kind:     global_buffer
      - .offset:         16
        .size:           8
        .value_kind:     by_value
      - .address_space:  global
        .offset:         24
        .size:           8
        .value_kind:     global_buffer
      - .offset:         32
        .size:           8
        .value_kind:     by_value
      - .offset:         40
        .size:           4
        .value_kind:     by_value
      - .offset:         48
        .size:           8
        .value_kind:     by_value
      - .address_space:  global
        .offset:         56
        .size:           8
        .value_kind:     global_buffer
      - .offset:         64
        .size:           8
        .value_kind:     by_value
      - .offset:         72
        .size:           4
        .value_kind:     by_value
      - .offset:         80
        .size:           8
        .value_kind:     by_value
      - .address_space:  global
        .offset:         88
        .size:           8
        .value_kind:     global_buffer
      - .offset:         96
        .size:           8
        .value_kind:     by_value
      - .address_space:  global
        .offset:         104
        .size:           8
        .value_kind:     global_buffer
      - .offset:         112
        .size:           8
        .value_kind:     by_value
      - .offset:         120
        .size:           4
        .value_kind:     by_value
      - .offset:         128
        .size:           8
        .value_kind:     by_value
      - .offset:         136
        .size:           4
        .value_kind:     by_value
    .group_segment_fixed_size: 256
    .kernarg_segment_align: 8
    .kernarg_segment_size: 140
    .language:       OpenCL C
    .language_version:
      - 2
      - 0
    .max_flat_workgroup_size: 1024
    .name:           _ZL32rocblas_gemvt_warp_reduce_kernelILb1ELi1024EidPKddEviiT3_lPKT2_lT1_lS5_lS6_lS2_lPT4_lS6_li
    .private_segment_fixed_size: 0
    .sgpr_count:     46
    .sgpr_spill_count: 0
    .symbol:         _ZL32rocblas_gemvt_warp_reduce_kernelILb1ELi1024EidPKddEviiT3_lPKT2_lT1_lS5_lS6_lS2_lPT4_lS6_li.kd
    .uniform_work_group_size: 1
    .uses_dynamic_stack: false
    .vgpr_count:     28
    .vgpr_spill_count: 0
    .wavefront_size: 32
    .workgroup_processor_mode: 1
  - .args:
      - .offset:         0
        .size:           4
        .value_kind:     by_value
      - .offset:         4
        .size:           4
        .value_kind:     by_value
      - .address_space:  global
        .offset:         8
        .size:           8
        .value_kind:     global_buffer
      - .offset:         16
        .size:           8
        .value_kind:     by_value
      - .address_space:  global
        .offset:         24
        .size:           8
        .value_kind:     global_buffer
      - .offset:         32
        .size:           8
        .value_kind:     by_value
      - .offset:         40
        .size:           8
        .value_kind:     by_value
      - .offset:         48
        .size:           8
        .value_kind:     by_value
      - .address_space:  global
        .offset:         56
        .size:           8
        .value_kind:     global_buffer
      - .offset:         64
        .size:           8
        .value_kind:     by_value
      - .offset:         72
        .size:           8
        .value_kind:     by_value
      - .offset:         80
        .size:           8
        .value_kind:     by_value
      - .address_space:  global
        .offset:         88
        .size:           8
        .value_kind:     global_buffer
      - .offset:         96
        .size:           8
        .value_kind:     by_value
      - .address_space:  global
        .offset:         104
        .size:           8
        .value_kind:     global_buffer
      - .offset:         112
        .size:           8
        .value_kind:     by_value
      - .offset:         120
        .size:           8
        .value_kind:     by_value
      - .offset:         128
        .size:           8
        .value_kind:     by_value
      - .offset:         136
        .size:           4
        .value_kind:     by_value
    .group_segment_fixed_size: 256
    .kernarg_segment_align: 8
    .kernarg_segment_size: 140
    .language:       OpenCL C
    .language_version:
      - 2
      - 0
    .max_flat_workgroup_size: 1024
    .name:           _ZL32rocblas_gemvt_warp_reduce_kernelILb1ELi1024EldPKddEviiT3_lPKT2_lT1_lS5_lS6_lS2_lPT4_lS6_li
    .private_segment_fixed_size: 0
    .sgpr_count:     54
    .sgpr_spill_count: 0
    .symbol:         _ZL32rocblas_gemvt_warp_reduce_kernelILb1ELi1024EldPKddEviiT3_lPKT2_lT1_lS5_lS6_lS2_lPT4_lS6_li.kd
    .uniform_work_group_size: 1
    .uses_dynamic_stack: false
    .vgpr_count:     29
    .vgpr_spill_count: 0
    .wavefront_size: 32
    .workgroup_processor_mode: 1
  - .args:
      - .offset:         0
        .size:           4
        .value_kind:     by_value
      - .offset:         4
        .size:           4
        .value_kind:     by_value
      - .offset:         8
        .size:           8
        .value_kind:     by_value
      - .offset:         16
        .size:           8
        .value_kind:     by_value
      - .address_space:  global
        .offset:         24
        .size:           8
        .value_kind:     global_buffer
      - .offset:         32
        .size:           8
        .value_kind:     by_value
      - .offset:         40
        .size:           4
        .value_kind:     by_value
      - .offset:         48
        .size:           8
        .value_kind:     by_value
      - .address_space:  global
        .offset:         56
        .size:           8
        .value_kind:     global_buffer
      - .offset:         64
        .size:           8
        .value_kind:     by_value
      - .offset:         72
        .size:           4
        .value_kind:     by_value
      - .offset:         80
        .size:           8
        .value_kind:     by_value
      - .offset:         88
        .size:           8
        .value_kind:     by_value
      - .offset:         96
        .size:           8
        .value_kind:     by_value
      - .address_space:  global
        .offset:         104
        .size:           8
        .value_kind:     global_buffer
      - .offset:         112
        .size:           8
        .value_kind:     by_value
      - .offset:         120
        .size:           4
        .value_kind:     by_value
      - .offset:         128
        .size:           8
        .value_kind:     by_value
      - .offset:         136
        .size:           4
        .value_kind:     by_value
    .group_segment_fixed_size: 256
    .kernarg_segment_align: 8
    .kernarg_segment_size: 140
    .language:       OpenCL C
    .language_version:
      - 2
      - 0
    .max_flat_workgroup_size: 1024
    .name:           _ZL32rocblas_gemvt_warp_reduce_kernelILb1ELi1024EidddEviiT3_lPKT2_lT1_lS3_lS4_lS0_lPT4_lS4_li
    .private_segment_fixed_size: 0
    .sgpr_count:     44
    .sgpr_spill_count: 0
    .symbol:         _ZL32rocblas_gemvt_warp_reduce_kernelILb1ELi1024EidddEviiT3_lPKT2_lT1_lS3_lS4_lS0_lPT4_lS4_li.kd
    .uniform_work_group_size: 1
    .uses_dynamic_stack: false
    .vgpr_count:     24
    .vgpr_spill_count: 0
    .wavefront_size: 32
    .workgroup_processor_mode: 1
  - .args:
      - .offset:         0
        .size:           4
        .value_kind:     by_value
      - .offset:         4
        .size:           4
        .value_kind:     by_value
      - .offset:         8
        .size:           8
        .value_kind:     by_value
      - .offset:         16
        .size:           8
        .value_kind:     by_value
      - .address_space:  global
        .offset:         24
        .size:           8
        .value_kind:     global_buffer
      - .offset:         32
        .size:           8
        .value_kind:     by_value
      - .offset:         40
        .size:           8
        .value_kind:     by_value
      - .offset:         48
        .size:           8
        .value_kind:     by_value
      - .address_space:  global
        .offset:         56
        .size:           8
        .value_kind:     global_buffer
      - .offset:         64
        .size:           8
        .value_kind:     by_value
      - .offset:         72
        .size:           8
        .value_kind:     by_value
      - .offset:         80
        .size:           8
        .value_kind:     by_value
      - .offset:         88
        .size:           8
        .value_kind:     by_value
      - .offset:         96
        .size:           8
        .value_kind:     by_value
      - .address_space:  global
        .offset:         104
        .size:           8
        .value_kind:     global_buffer
      - .offset:         112
        .size:           8
        .value_kind:     by_value
      - .offset:         120
        .size:           8
        .value_kind:     by_value
      - .offset:         128
        .size:           8
        .value_kind:     by_value
      - .offset:         136
        .size:           4
        .value_kind:     by_value
    .group_segment_fixed_size: 256
    .kernarg_segment_align: 8
    .kernarg_segment_size: 140
    .language:       OpenCL C
    .language_version:
      - 2
      - 0
    .max_flat_workgroup_size: 1024
    .name:           _ZL32rocblas_gemvt_warp_reduce_kernelILb1ELi1024EldddEviiT3_lPKT2_lT1_lS3_lS4_lS0_lPT4_lS4_li
    .private_segment_fixed_size: 0
    .sgpr_count:     48
    .sgpr_spill_count: 0
    .symbol:         _ZL32rocblas_gemvt_warp_reduce_kernelILb1ELi1024EldddEviiT3_lPKT2_lT1_lS3_lS4_lS0_lPT4_lS4_li.kd
    .uniform_work_group_size: 1
    .uses_dynamic_stack: false
    .vgpr_count:     25
    .vgpr_spill_count: 0
    .wavefront_size: 32
    .workgroup_processor_mode: 1
  - .args:
      - .offset:         0
        .size:           4
        .value_kind:     by_value
      - .offset:         4
        .size:           4
        .value_kind:     by_value
      - .address_space:  global
        .offset:         8
        .size:           8
        .value_kind:     global_buffer
      - .offset:         16
        .size:           8
        .value_kind:     by_value
      - .address_space:  global
        .offset:         24
        .size:           8
        .value_kind:     global_buffer
      - .offset:         32
        .size:           8
        .value_kind:     by_value
      - .offset:         40
        .size:           4
        .value_kind:     by_value
      - .offset:         48
        .size:           8
        .value_kind:     by_value
      - .address_space:  global
        .offset:         56
        .size:           8
        .value_kind:     global_buffer
      - .offset:         64
        .size:           8
        .value_kind:     by_value
      - .offset:         72
        .size:           4
        .value_kind:     by_value
      - .offset:         80
        .size:           8
        .value_kind:     by_value
      - .address_space:  global
        .offset:         88
        .size:           8
        .value_kind:     global_buffer
      - .offset:         96
        .size:           8
        .value_kind:     by_value
      - .address_space:  global
        .offset:         104
        .size:           8
        .value_kind:     global_buffer
      - .offset:         112
        .size:           8
        .value_kind:     by_value
      - .offset:         120
        .size:           4
        .value_kind:     by_value
      - .offset:         128
        .size:           8
        .value_kind:     by_value
      - .offset:         136
        .size:           4
        .value_kind:     by_value
    .group_segment_fixed_size: 0
    .kernarg_segment_align: 8
    .kernarg_segment_size: 140
    .language:       OpenCL C
    .language_version:
      - 2
      - 0
    .max_flat_workgroup_size: 768
    .name:           _ZL34rocblas_gemvn_sm_mn_batched_kernelILi32ELi24E19rocblas_complex_numIfEPKS1_S1_EviiT2_lPKT1_lilS7_lilS4_lPT3_lili
    .private_segment_fixed_size: 0
    .sgpr_count:     0
    .sgpr_spill_count: 0
    .symbol:         _ZL34rocblas_gemvn_sm_mn_batched_kernelILi32ELi24E19rocblas_complex_numIfEPKS1_S1_EviiT2_lPKT1_lilS7_lilS4_lPT3_lili.kd
    .uniform_work_group_size: 1
    .uses_dynamic_stack: false
    .vgpr_count:     0
    .vgpr_spill_count: 0
    .wavefront_size: 32
    .workgroup_processor_mode: 1
  - .args:
      - .offset:         0
        .size:           4
        .value_kind:     by_value
      - .offset:         4
        .size:           4
        .value_kind:     by_value
      - .offset:         8
        .size:           8
        .value_kind:     by_value
      - .offset:         16
        .size:           8
        .value_kind:     by_value
      - .address_space:  global
        .offset:         24
        .size:           8
        .value_kind:     global_buffer
      - .offset:         32
        .size:           8
        .value_kind:     by_value
      - .offset:         40
        .size:           4
        .value_kind:     by_value
      - .offset:         48
        .size:           8
        .value_kind:     by_value
      - .address_space:  global
        .offset:         56
        .size:           8
        .value_kind:     global_buffer
      - .offset:         64
        .size:           8
        .value_kind:     by_value
      - .offset:         72
        .size:           4
        .value_kind:     by_value
      - .offset:         80
        .size:           8
        .value_kind:     by_value
      - .offset:         88
        .size:           8
        .value_kind:     by_value
      - .offset:         96
        .size:           8
        .value_kind:     by_value
      - .address_space:  global
        .offset:         104
        .size:           8
        .value_kind:     global_buffer
      - .offset:         112
        .size:           8
        .value_kind:     by_value
      - .offset:         120
        .size:           4
        .value_kind:     by_value
      - .offset:         128
        .size:           8
        .value_kind:     by_value
      - .offset:         136
        .size:           4
        .value_kind:     by_value
    .group_segment_fixed_size: 0
    .kernarg_segment_align: 8
    .kernarg_segment_size: 140
    .language:       OpenCL C
    .language_version:
      - 2
      - 0
    .max_flat_workgroup_size: 768
    .name:           _ZL34rocblas_gemvn_sm_mn_batched_kernelILi32ELi24E19rocblas_complex_numIfES1_S1_EviiT2_lPKT1_lilS5_lilS2_lPT3_lili
    .private_segment_fixed_size: 0
    .sgpr_count:     0
    .sgpr_spill_count: 0
    .symbol:         _ZL34rocblas_gemvn_sm_mn_batched_kernelILi32ELi24E19rocblas_complex_numIfES1_S1_EviiT2_lPKT1_lilS5_lilS2_lPT3_lili.kd
    .uniform_work_group_size: 1
    .uses_dynamic_stack: false
    .vgpr_count:     0
    .vgpr_spill_count: 0
    .wavefront_size: 32
    .workgroup_processor_mode: 1
  - .args:
      - .offset:         0
        .size:           4
        .value_kind:     by_value
      - .offset:         4
        .size:           4
        .value_kind:     by_value
      - .address_space:  global
        .offset:         8
        .size:           8
        .value_kind:     global_buffer
      - .offset:         16
        .size:           8
        .value_kind:     by_value
      - .address_space:  global
        .offset:         24
        .size:           8
        .value_kind:     global_buffer
      - .offset:         32
        .size:           8
        .value_kind:     by_value
      - .offset:         40
        .size:           4
        .value_kind:     by_value
      - .offset:         48
        .size:           8
        .value_kind:     by_value
      - .address_space:  global
        .offset:         56
        .size:           8
        .value_kind:     global_buffer
      - .offset:         64
        .size:           8
        .value_kind:     by_value
      - .offset:         72
        .size:           4
        .value_kind:     by_value
      - .offset:         80
        .size:           8
        .value_kind:     by_value
      - .address_space:  global
        .offset:         88
        .size:           8
        .value_kind:     global_buffer
      - .offset:         96
        .size:           8
        .value_kind:     by_value
      - .address_space:  global
        .offset:         104
        .size:           8
        .value_kind:     global_buffer
      - .offset:         112
        .size:           8
        .value_kind:     by_value
      - .offset:         120
        .size:           4
        .value_kind:     by_value
      - .offset:         128
        .size:           8
        .value_kind:     by_value
      - .offset:         136
        .size:           4
        .value_kind:     by_value
      - .offset:         144
        .size:           4
        .value_kind:     hidden_block_count_x
      - .offset:         148
        .size:           4
        .value_kind:     hidden_block_count_y
      - .offset:         152
        .size:           4
        .value_kind:     hidden_block_count_z
      - .offset:         156
        .size:           2
        .value_kind:     hidden_group_size_x
      - .offset:         158
        .size:           2
        .value_kind:     hidden_group_size_y
      - .offset:         160
        .size:           2
        .value_kind:     hidden_group_size_z
      - .offset:         162
        .size:           2
        .value_kind:     hidden_remainder_x
      - .offset:         164
        .size:           2
        .value_kind:     hidden_remainder_y
      - .offset:         166
        .size:           2
        .value_kind:     hidden_remainder_z
      - .offset:         184
        .size:           8
        .value_kind:     hidden_global_offset_x
      - .offset:         192
        .size:           8
        .value_kind:     hidden_global_offset_y
      - .offset:         200
        .size:           8
        .value_kind:     hidden_global_offset_z
      - .offset:         208
        .size:           2
        .value_kind:     hidden_grid_dims
    .group_segment_fixed_size: 8192
    .kernarg_segment_align: 8
    .kernarg_segment_size: 400
    .language:       OpenCL C
    .language_version:
      - 2
      - 0
    .max_flat_workgroup_size: 256
    .name:           _ZL20rocblas_gemvn_kernelILi64ELi4Ei19rocblas_complex_numIfEPKS1_S1_EviiT3_lPKT2_lT1_lS7_lS8_lS4_lPT4_lS8_li
    .private_segment_fixed_size: 0
    .sgpr_count:     59
    .sgpr_spill_count: 0
    .symbol:         _ZL20rocblas_gemvn_kernelILi64ELi4Ei19rocblas_complex_numIfEPKS1_S1_EviiT3_lPKT2_lT1_lS7_lS8_lS4_lPT4_lS8_li.kd
    .uniform_work_group_size: 1
    .uses_dynamic_stack: false
    .vgpr_count:     73
    .vgpr_spill_count: 0
    .wavefront_size: 32
    .workgroup_processor_mode: 1
  - .args:
      - .offset:         0
        .size:           4
        .value_kind:     by_value
      - .offset:         4
        .size:           4
        .value_kind:     by_value
      - .address_space:  global
        .offset:         8
        .size:           8
        .value_kind:     global_buffer
      - .offset:         16
        .size:           8
        .value_kind:     by_value
      - .address_space:  global
        .offset:         24
        .size:           8
        .value_kind:     global_buffer
      - .offset:         32
        .size:           8
        .value_kind:     by_value
      - .offset:         40
        .size:           8
        .value_kind:     by_value
      - .offset:         48
        .size:           8
        .value_kind:     by_value
      - .address_space:  global
        .offset:         56
        .size:           8
        .value_kind:     global_buffer
      - .offset:         64
        .size:           8
        .value_kind:     by_value
      - .offset:         72
        .size:           8
        .value_kind:     by_value
      - .offset:         80
        .size:           8
        .value_kind:     by_value
      - .address_space:  global
        .offset:         88
        .size:           8
        .value_kind:     global_buffer
      - .offset:         96
        .size:           8
        .value_kind:     by_value
      - .address_space:  global
        .offset:         104
        .size:           8
        .value_kind:     global_buffer
      - .offset:         112
        .size:           8
        .value_kind:     by_value
      - .offset:         120
        .size:           8
        .value_kind:     by_value
      - .offset:         128
        .size:           8
        .value_kind:     by_value
      - .offset:         136
        .size:           4
        .value_kind:     by_value
      - .offset:         144
        .size:           4
        .value_kind:     hidden_block_count_x
      - .offset:         148
        .size:           4
        .value_kind:     hidden_block_count_y
      - .offset:         152
        .size:           4
        .value_kind:     hidden_block_count_z
      - .offset:         156
        .size:           2
        .value_kind:     hidden_group_size_x
      - .offset:         158
        .size:           2
        .value_kind:     hidden_group_size_y
      - .offset:         160
        .size:           2
        .value_kind:     hidden_group_size_z
      - .offset:         162
        .size:           2
        .value_kind:     hidden_remainder_x
      - .offset:         164
        .size:           2
        .value_kind:     hidden_remainder_y
      - .offset:         166
        .size:           2
        .value_kind:     hidden_remainder_z
      - .offset:         184
        .size:           8
        .value_kind:     hidden_global_offset_x
      - .offset:         192
        .size:           8
        .value_kind:     hidden_global_offset_y
      - .offset:         200
        .size:           8
        .value_kind:     hidden_global_offset_z
      - .offset:         208
        .size:           2
        .value_kind:     hidden_grid_dims
    .group_segment_fixed_size: 8192
    .kernarg_segment_align: 8
    .kernarg_segment_size: 400
    .language:       OpenCL C
    .language_version:
      - 2
      - 0
    .max_flat_workgroup_size: 256
    .name:           _ZL20rocblas_gemvn_kernelILi64ELi4El19rocblas_complex_numIfEPKS1_S1_EviiT3_lPKT2_lT1_lS7_lS8_lS4_lPT4_lS8_li
    .private_segment_fixed_size: 0
    .sgpr_count:     64
    .sgpr_spill_count: 0
    .symbol:         _ZL20rocblas_gemvn_kernelILi64ELi4El19rocblas_complex_numIfEPKS1_S1_EviiT3_lPKT2_lT1_lS7_lS8_lS4_lPT4_lS8_li.kd
    .uniform_work_group_size: 1
    .uses_dynamic_stack: false
    .vgpr_count:     82
    .vgpr_spill_count: 0
    .wavefront_size: 32
    .workgroup_processor_mode: 1
  - .args:
      - .offset:         0
        .size:           4
        .value_kind:     by_value
      - .offset:         4
        .size:           4
        .value_kind:     by_value
      - .offset:         8
        .size:           8
        .value_kind:     by_value
      - .offset:         16
        .size:           8
        .value_kind:     by_value
      - .address_space:  global
        .offset:         24
        .size:           8
        .value_kind:     global_buffer
      - .offset:         32
        .size:           8
        .value_kind:     by_value
      - .offset:         40
        .size:           4
        .value_kind:     by_value
      - .offset:         48
        .size:           8
        .value_kind:     by_value
      - .address_space:  global
        .offset:         56
        .size:           8
        .value_kind:     global_buffer
      - .offset:         64
        .size:           8
        .value_kind:     by_value
      - .offset:         72
        .size:           4
        .value_kind:     by_value
      - .offset:         80
        .size:           8
        .value_kind:     by_value
      - .offset:         88
        .size:           8
        .value_kind:     by_value
      - .offset:         96
        .size:           8
        .value_kind:     by_value
      - .address_space:  global
        .offset:         104
        .size:           8
        .value_kind:     global_buffer
      - .offset:         112
        .size:           8
        .value_kind:     by_value
      - .offset:         120
        .size:           4
        .value_kind:     by_value
      - .offset:         128
        .size:           8
        .value_kind:     by_value
      - .offset:         136
        .size:           4
        .value_kind:     by_value
      - .offset:         144
        .size:           4
        .value_kind:     hidden_block_count_x
      - .offset:         148
        .size:           4
        .value_kind:     hidden_block_count_y
      - .offset:         152
        .size:           4
        .value_kind:     hidden_block_count_z
      - .offset:         156
        .size:           2
        .value_kind:     hidden_group_size_x
      - .offset:         158
        .size:           2
        .value_kind:     hidden_group_size_y
      - .offset:         160
        .size:           2
        .value_kind:     hidden_group_size_z
      - .offset:         162
        .size:           2
        .value_kind:     hidden_remainder_x
      - .offset:         164
        .size:           2
        .value_kind:     hidden_remainder_y
      - .offset:         166
        .size:           2
        .value_kind:     hidden_remainder_z
      - .offset:         184
        .size:           8
        .value_kind:     hidden_global_offset_x
      - .offset:         192
        .size:           8
        .value_kind:     hidden_global_offset_y
      - .offset:         200
        .size:           8
        .value_kind:     hidden_global_offset_z
      - .offset:         208
        .size:           2
        .value_kind:     hidden_grid_dims
    .group_segment_fixed_size: 8192
    .kernarg_segment_align: 8
    .kernarg_segment_size: 400
    .language:       OpenCL C
    .language_version:
      - 2
      - 0
    .max_flat_workgroup_size: 256
    .name:           _ZL20rocblas_gemvn_kernelILi64ELi4Ei19rocblas_complex_numIfES1_S1_EviiT3_lPKT2_lT1_lS5_lS6_lS2_lPT4_lS6_li
    .private_segment_fixed_size: 0
    .sgpr_count:     54
    .sgpr_spill_count: 0
    .symbol:         _ZL20rocblas_gemvn_kernelILi64ELi4Ei19rocblas_complex_numIfES1_S1_EviiT3_lPKT2_lT1_lS5_lS6_lS2_lPT4_lS6_li.kd
    .uniform_work_group_size: 1
    .uses_dynamic_stack: false
    .vgpr_count:     72
    .vgpr_spill_count: 0
    .wavefront_size: 32
    .workgroup_processor_mode: 1
  - .args:
      - .offset:         0
        .size:           4
        .value_kind:     by_value
      - .offset:         4
        .size:           4
        .value_kind:     by_value
      - .offset:         8
        .size:           8
        .value_kind:     by_value
      - .offset:         16
        .size:           8
        .value_kind:     by_value
      - .address_space:  global
        .offset:         24
        .size:           8
        .value_kind:     global_buffer
      - .offset:         32
        .size:           8
        .value_kind:     by_value
      - .offset:         40
        .size:           8
        .value_kind:     by_value
      - .offset:         48
        .size:           8
        .value_kind:     by_value
      - .address_space:  global
        .offset:         56
        .size:           8
        .value_kind:     global_buffer
      - .offset:         64
        .size:           8
        .value_kind:     by_value
      - .offset:         72
        .size:           8
        .value_kind:     by_value
      - .offset:         80
        .size:           8
        .value_kind:     by_value
      - .offset:         88
        .size:           8
        .value_kind:     by_value
      - .offset:         96
        .size:           8
        .value_kind:     by_value
      - .address_space:  global
        .offset:         104
        .size:           8
        .value_kind:     global_buffer
      - .offset:         112
        .size:           8
        .value_kind:     by_value
      - .offset:         120
        .size:           8
        .value_kind:     by_value
      - .offset:         128
        .size:           8
        .value_kind:     by_value
      - .offset:         136
        .size:           4
        .value_kind:     by_value
      - .offset:         144
        .size:           4
        .value_kind:     hidden_block_count_x
      - .offset:         148
        .size:           4
        .value_kind:     hidden_block_count_y
      - .offset:         152
        .size:           4
        .value_kind:     hidden_block_count_z
      - .offset:         156
        .size:           2
        .value_kind:     hidden_group_size_x
      - .offset:         158
        .size:           2
        .value_kind:     hidden_group_size_y
      - .offset:         160
        .size:           2
        .value_kind:     hidden_group_size_z
      - .offset:         162
        .size:           2
        .value_kind:     hidden_remainder_x
      - .offset:         164
        .size:           2
        .value_kind:     hidden_remainder_y
      - .offset:         166
        .size:           2
        .value_kind:     hidden_remainder_z
      - .offset:         184
        .size:           8
        .value_kind:     hidden_global_offset_x
      - .offset:         192
        .size:           8
        .value_kind:     hidden_global_offset_y
      - .offset:         200
        .size:           8
        .value_kind:     hidden_global_offset_z
      - .offset:         208
        .size:           2
        .value_kind:     hidden_grid_dims
    .group_segment_fixed_size: 8192
    .kernarg_segment_align: 8
    .kernarg_segment_size: 400
    .language:       OpenCL C
    .language_version:
      - 2
      - 0
    .max_flat_workgroup_size: 256
    .name:           _ZL20rocblas_gemvn_kernelILi64ELi4El19rocblas_complex_numIfES1_S1_EviiT3_lPKT2_lT1_lS5_lS6_lS2_lPT4_lS6_li
    .private_segment_fixed_size: 0
    .sgpr_count:     59
    .sgpr_spill_count: 0
    .symbol:         _ZL20rocblas_gemvn_kernelILi64ELi4El19rocblas_complex_numIfES1_S1_EviiT3_lPKT2_lT1_lS5_lS6_lS2_lPT4_lS6_li.kd
    .uniform_work_group_size: 1
    .uses_dynamic_stack: false
    .vgpr_count:     81
    .vgpr_spill_count: 0
    .wavefront_size: 32
    .workgroup_processor_mode: 1
  - .args:
      - .offset:         0
        .size:           4
        .value_kind:     by_value
      - .offset:         4
        .size:           4
        .value_kind:     by_value
      - .address_space:  global
        .offset:         8
        .size:           8
        .value_kind:     global_buffer
      - .offset:         16
        .size:           8
        .value_kind:     by_value
      - .address_space:  global
        .offset:         24
        .size:           8
        .value_kind:     global_buffer
      - .offset:         32
        .size:           8
        .value_kind:     by_value
      - .offset:         40
        .size:           4
        .value_kind:     by_value
      - .offset:         48
        .size:           8
        .value_kind:     by_value
      - .address_space:  global
        .offset:         56
        .size:           8
        .value_kind:     global_buffer
      - .offset:         64
        .size:           8
        .value_kind:     by_value
      - .offset:         72
        .size:           4
        .value_kind:     by_value
      - .offset:         80
        .size:           8
        .value_kind:     by_value
      - .address_space:  global
        .offset:         88
        .size:           8
        .value_kind:     global_buffer
      - .offset:         96
        .size:           8
        .value_kind:     by_value
      - .address_space:  global
        .offset:         104
        .size:           8
        .value_kind:     global_buffer
      - .offset:         112
        .size:           8
        .value_kind:     by_value
      - .offset:         120
        .size:           4
        .value_kind:     by_value
      - .offset:         128
        .size:           8
        .value_kind:     by_value
      - .offset:         136
        .size:           4
        .value_kind:     by_value
      - .offset:         144
        .size:           4
        .value_kind:     hidden_block_count_x
      - .offset:         148
        .size:           4
        .value_kind:     hidden_block_count_y
      - .offset:         152
        .size:           4
        .value_kind:     hidden_block_count_z
      - .offset:         156
        .size:           2
        .value_kind:     hidden_group_size_x
      - .offset:         158
        .size:           2
        .value_kind:     hidden_group_size_y
      - .offset:         160
        .size:           2
        .value_kind:     hidden_group_size_z
      - .offset:         162
        .size:           2
        .value_kind:     hidden_remainder_x
      - .offset:         164
        .size:           2
        .value_kind:     hidden_remainder_y
      - .offset:         166
        .size:           2
        .value_kind:     hidden_remainder_z
      - .offset:         184
        .size:           8
        .value_kind:     hidden_global_offset_x
      - .offset:         192
        .size:           8
        .value_kind:     hidden_global_offset_y
      - .offset:         200
        .size:           8
        .value_kind:     hidden_global_offset_z
      - .offset:         208
        .size:           2
        .value_kind:     hidden_grid_dims
    .group_segment_fixed_size: 16384
    .kernarg_segment_align: 8
    .kernarg_segment_size: 400
    .language:       OpenCL C
    .language_version:
      - 2
      - 0
    .max_flat_workgroup_size: 512
    .name:           _ZL20rocblas_gemvn_kernelILi32ELi16Ei19rocblas_complex_numIfEPKS1_S1_EviiT3_lPKT2_lT1_lS7_lS8_lS4_lPT4_lS8_li
    .private_segment_fixed_size: 0
    .sgpr_count:     59
    .sgpr_spill_count: 0
    .symbol:         _ZL20rocblas_gemvn_kernelILi32ELi16Ei19rocblas_complex_numIfEPKS1_S1_EviiT3_lPKT2_lT1_lS7_lS8_lS4_lPT4_lS8_li.kd
    .uniform_work_group_size: 1
    .uses_dynamic_stack: false
    .vgpr_count:     73
    .vgpr_spill_count: 0
    .wavefront_size: 32
    .workgroup_processor_mode: 1
  - .args:
      - .offset:         0
        .size:           4
        .value_kind:     by_value
      - .offset:         4
        .size:           4
        .value_kind:     by_value
      - .address_space:  global
        .offset:         8
        .size:           8
        .value_kind:     global_buffer
      - .offset:         16
        .size:           8
        .value_kind:     by_value
      - .address_space:  global
        .offset:         24
        .size:           8
        .value_kind:     global_buffer
      - .offset:         32
        .size:           8
        .value_kind:     by_value
      - .offset:         40
        .size:           8
        .value_kind:     by_value
      - .offset:         48
        .size:           8
        .value_kind:     by_value
      - .address_space:  global
        .offset:         56
        .size:           8
        .value_kind:     global_buffer
      - .offset:         64
        .size:           8
        .value_kind:     by_value
      - .offset:         72
        .size:           8
        .value_kind:     by_value
      - .offset:         80
        .size:           8
        .value_kind:     by_value
      - .address_space:  global
        .offset:         88
        .size:           8
        .value_kind:     global_buffer
      - .offset:         96
        .size:           8
        .value_kind:     by_value
      - .address_space:  global
        .offset:         104
        .size:           8
        .value_kind:     global_buffer
      - .offset:         112
        .size:           8
        .value_kind:     by_value
      - .offset:         120
        .size:           8
        .value_kind:     by_value
      - .offset:         128
        .size:           8
        .value_kind:     by_value
      - .offset:         136
        .size:           4
        .value_kind:     by_value
      - .offset:         144
        .size:           4
        .value_kind:     hidden_block_count_x
      - .offset:         148
        .size:           4
        .value_kind:     hidden_block_count_y
      - .offset:         152
        .size:           4
        .value_kind:     hidden_block_count_z
      - .offset:         156
        .size:           2
        .value_kind:     hidden_group_size_x
      - .offset:         158
        .size:           2
        .value_kind:     hidden_group_size_y
      - .offset:         160
        .size:           2
        .value_kind:     hidden_group_size_z
      - .offset:         162
        .size:           2
        .value_kind:     hidden_remainder_x
      - .offset:         164
        .size:           2
        .value_kind:     hidden_remainder_y
      - .offset:         166
        .size:           2
        .value_kind:     hidden_remainder_z
      - .offset:         184
        .size:           8
        .value_kind:     hidden_global_offset_x
      - .offset:         192
        .size:           8
        .value_kind:     hidden_global_offset_y
      - .offset:         200
        .size:           8
        .value_kind:     hidden_global_offset_z
      - .offset:         208
        .size:           2
        .value_kind:     hidden_grid_dims
    .group_segment_fixed_size: 16384
    .kernarg_segment_align: 8
    .kernarg_segment_size: 400
    .language:       OpenCL C
    .language_version:
      - 2
      - 0
    .max_flat_workgroup_size: 512
    .name:           _ZL20rocblas_gemvn_kernelILi32ELi16El19rocblas_complex_numIfEPKS1_S1_EviiT3_lPKT2_lT1_lS7_lS8_lS4_lPT4_lS8_li
    .private_segment_fixed_size: 0
    .sgpr_count:     64
    .sgpr_spill_count: 0
    .symbol:         _ZL20rocblas_gemvn_kernelILi32ELi16El19rocblas_complex_numIfEPKS1_S1_EviiT3_lPKT2_lT1_lS7_lS8_lS4_lPT4_lS8_li.kd
    .uniform_work_group_size: 1
    .uses_dynamic_stack: false
    .vgpr_count:     82
    .vgpr_spill_count: 0
    .wavefront_size: 32
    .workgroup_processor_mode: 1
  - .args:
      - .offset:         0
        .size:           4
        .value_kind:     by_value
      - .offset:         4
        .size:           4
        .value_kind:     by_value
      - .offset:         8
        .size:           8
        .value_kind:     by_value
      - .offset:         16
        .size:           8
        .value_kind:     by_value
      - .address_space:  global
        .offset:         24
        .size:           8
        .value_kind:     global_buffer
      - .offset:         32
        .size:           8
        .value_kind:     by_value
      - .offset:         40
        .size:           4
        .value_kind:     by_value
      - .offset:         48
        .size:           8
        .value_kind:     by_value
      - .address_space:  global
        .offset:         56
        .size:           8
        .value_kind:     global_buffer
      - .offset:         64
        .size:           8
        .value_kind:     by_value
      - .offset:         72
        .size:           4
        .value_kind:     by_value
      - .offset:         80
        .size:           8
        .value_kind:     by_value
      - .offset:         88
        .size:           8
        .value_kind:     by_value
      - .offset:         96
        .size:           8
        .value_kind:     by_value
      - .address_space:  global
        .offset:         104
        .size:           8
        .value_kind:     global_buffer
      - .offset:         112
        .size:           8
        .value_kind:     by_value
      - .offset:         120
        .size:           4
        .value_kind:     by_value
      - .offset:         128
        .size:           8
        .value_kind:     by_value
      - .offset:         136
        .size:           4
        .value_kind:     by_value
      - .offset:         144
        .size:           4
        .value_kind:     hidden_block_count_x
      - .offset:         148
        .size:           4
        .value_kind:     hidden_block_count_y
      - .offset:         152
        .size:           4
        .value_kind:     hidden_block_count_z
      - .offset:         156
        .size:           2
        .value_kind:     hidden_group_size_x
      - .offset:         158
        .size:           2
        .value_kind:     hidden_group_size_y
      - .offset:         160
        .size:           2
        .value_kind:     hidden_group_size_z
      - .offset:         162
        .size:           2
        .value_kind:     hidden_remainder_x
      - .offset:         164
        .size:           2
        .value_kind:     hidden_remainder_y
      - .offset:         166
        .size:           2
        .value_kind:     hidden_remainder_z
      - .offset:         184
        .size:           8
        .value_kind:     hidden_global_offset_x
      - .offset:         192
        .size:           8
        .value_kind:     hidden_global_offset_y
      - .offset:         200
        .size:           8
        .value_kind:     hidden_global_offset_z
      - .offset:         208
        .size:           2
        .value_kind:     hidden_grid_dims
    .group_segment_fixed_size: 16384
    .kernarg_segment_align: 8
    .kernarg_segment_size: 400
    .language:       OpenCL C
    .language_version:
      - 2
      - 0
    .max_flat_workgroup_size: 512
    .name:           _ZL20rocblas_gemvn_kernelILi32ELi16Ei19rocblas_complex_numIfES1_S1_EviiT3_lPKT2_lT1_lS5_lS6_lS2_lPT4_lS6_li
    .private_segment_fixed_size: 0
    .sgpr_count:     54
    .sgpr_spill_count: 0
    .symbol:         _ZL20rocblas_gemvn_kernelILi32ELi16Ei19rocblas_complex_numIfES1_S1_EviiT3_lPKT2_lT1_lS5_lS6_lS2_lPT4_lS6_li.kd
    .uniform_work_group_size: 1
    .uses_dynamic_stack: false
    .vgpr_count:     72
    .vgpr_spill_count: 0
    .wavefront_size: 32
    .workgroup_processor_mode: 1
  - .args:
      - .offset:         0
        .size:           4
        .value_kind:     by_value
      - .offset:         4
        .size:           4
        .value_kind:     by_value
      - .offset:         8
        .size:           8
        .value_kind:     by_value
      - .offset:         16
        .size:           8
        .value_kind:     by_value
      - .address_space:  global
        .offset:         24
        .size:           8
        .value_kind:     global_buffer
      - .offset:         32
        .size:           8
        .value_kind:     by_value
      - .offset:         40
        .size:           8
        .value_kind:     by_value
      - .offset:         48
        .size:           8
        .value_kind:     by_value
      - .address_space:  global
        .offset:         56
        .size:           8
        .value_kind:     global_buffer
      - .offset:         64
        .size:           8
        .value_kind:     by_value
      - .offset:         72
        .size:           8
        .value_kind:     by_value
      - .offset:         80
        .size:           8
        .value_kind:     by_value
      - .offset:         88
        .size:           8
        .value_kind:     by_value
      - .offset:         96
        .size:           8
        .value_kind:     by_value
      - .address_space:  global
        .offset:         104
        .size:           8
        .value_kind:     global_buffer
      - .offset:         112
        .size:           8
        .value_kind:     by_value
      - .offset:         120
        .size:           8
        .value_kind:     by_value
      - .offset:         128
        .size:           8
        .value_kind:     by_value
      - .offset:         136
        .size:           4
        .value_kind:     by_value
      - .offset:         144
        .size:           4
        .value_kind:     hidden_block_count_x
      - .offset:         148
        .size:           4
        .value_kind:     hidden_block_count_y
      - .offset:         152
        .size:           4
        .value_kind:     hidden_block_count_z
      - .offset:         156
        .size:           2
        .value_kind:     hidden_group_size_x
      - .offset:         158
        .size:           2
        .value_kind:     hidden_group_size_y
      - .offset:         160
        .size:           2
        .value_kind:     hidden_group_size_z
      - .offset:         162
        .size:           2
        .value_kind:     hidden_remainder_x
      - .offset:         164
        .size:           2
        .value_kind:     hidden_remainder_y
      - .offset:         166
        .size:           2
        .value_kind:     hidden_remainder_z
      - .offset:         184
        .size:           8
        .value_kind:     hidden_global_offset_x
      - .offset:         192
        .size:           8
        .value_kind:     hidden_global_offset_y
      - .offset:         200
        .size:           8
        .value_kind:     hidden_global_offset_z
      - .offset:         208
        .size:           2
        .value_kind:     hidden_grid_dims
    .group_segment_fixed_size: 16384
    .kernarg_segment_align: 8
    .kernarg_segment_size: 400
    .language:       OpenCL C
    .language_version:
      - 2
      - 0
    .max_flat_workgroup_size: 512
    .name:           _ZL20rocblas_gemvn_kernelILi32ELi16El19rocblas_complex_numIfES1_S1_EviiT3_lPKT2_lT1_lS5_lS6_lS2_lPT4_lS6_li
    .private_segment_fixed_size: 0
    .sgpr_count:     59
    .sgpr_spill_count: 0
    .symbol:         _ZL20rocblas_gemvn_kernelILi32ELi16El19rocblas_complex_numIfES1_S1_EviiT3_lPKT2_lT1_lS5_lS6_lS2_lPT4_lS6_li.kd
    .uniform_work_group_size: 1
    .uses_dynamic_stack: false
    .vgpr_count:     81
    .vgpr_spill_count: 0
    .wavefront_size: 32
    .workgroup_processor_mode: 1
  - .args:
      - .offset:         0
        .size:           4
        .value_kind:     by_value
      - .offset:         4
        .size:           4
        .value_kind:     by_value
      - .address_space:  global
        .offset:         8
        .size:           8
        .value_kind:     global_buffer
      - .offset:         16
        .size:           8
        .value_kind:     by_value
      - .address_space:  global
        .offset:         24
        .size:           8
        .value_kind:     global_buffer
      - .offset:         32
        .size:           8
        .value_kind:     by_value
      - .offset:         40
        .size:           4
        .value_kind:     by_value
      - .offset:         48
        .size:           8
        .value_kind:     by_value
      - .address_space:  global
        .offset:         56
        .size:           8
        .value_kind:     global_buffer
      - .offset:         64
        .size:           8
        .value_kind:     by_value
      - .offset:         72
        .size:           4
        .value_kind:     by_value
      - .offset:         80
        .size:           8
        .value_kind:     by_value
      - .address_space:  global
        .offset:         88
        .size:           8
        .value_kind:     global_buffer
      - .offset:         96
        .size:           8
        .value_kind:     by_value
      - .address_space:  global
        .offset:         104
        .size:           8
        .value_kind:     global_buffer
      - .offset:         112
        .size:           8
        .value_kind:     by_value
      - .offset:         120
        .size:           4
        .value_kind:     by_value
      - .offset:         128
        .size:           8
        .value_kind:     by_value
      - .offset:         136
        .size:           4
        .value_kind:     by_value
      - .offset:         144
        .size:           4
        .value_kind:     hidden_block_count_x
      - .offset:         148
        .size:           4
        .value_kind:     hidden_block_count_y
      - .offset:         152
        .size:           4
        .value_kind:     hidden_block_count_z
      - .offset:         156
        .size:           2
        .value_kind:     hidden_group_size_x
      - .offset:         158
        .size:           2
        .value_kind:     hidden_group_size_y
      - .offset:         160
        .size:           2
        .value_kind:     hidden_group_size_z
      - .offset:         162
        .size:           2
        .value_kind:     hidden_remainder_x
      - .offset:         164
        .size:           2
        .value_kind:     hidden_remainder_y
      - .offset:         166
        .size:           2
        .value_kind:     hidden_remainder_z
      - .offset:         184
        .size:           8
        .value_kind:     hidden_global_offset_x
      - .offset:         192
        .size:           8
        .value_kind:     hidden_global_offset_y
      - .offset:         200
        .size:           8
        .value_kind:     hidden_global_offset_z
      - .offset:         208
        .size:           2
        .value_kind:     hidden_grid_dims
    .group_segment_fixed_size: 32768
    .kernarg_segment_align: 8
    .kernarg_segment_size: 400
    .language:       OpenCL C
    .language_version:
      - 2
      - 0
    .max_flat_workgroup_size: 1024
    .name:           _ZL20rocblas_gemvn_kernelILi64ELi16Ei19rocblas_complex_numIfEPKS1_S1_EviiT3_lPKT2_lT1_lS7_lS8_lS4_lPT4_lS8_li
    .private_segment_fixed_size: 0
    .sgpr_count:     59
    .sgpr_spill_count: 0
    .symbol:         _ZL20rocblas_gemvn_kernelILi64ELi16Ei19rocblas_complex_numIfEPKS1_S1_EviiT3_lPKT2_lT1_lS7_lS8_lS4_lPT4_lS8_li.kd
    .uniform_work_group_size: 1
    .uses_dynamic_stack: false
    .vgpr_count:     73
    .vgpr_spill_count: 0
    .wavefront_size: 32
    .workgroup_processor_mode: 1
  - .args:
      - .offset:         0
        .size:           4
        .value_kind:     by_value
      - .offset:         4
        .size:           4
        .value_kind:     by_value
      - .address_space:  global
        .offset:         8
        .size:           8
        .value_kind:     global_buffer
      - .offset:         16
        .size:           8
        .value_kind:     by_value
      - .address_space:  global
        .offset:         24
        .size:           8
        .value_kind:     global_buffer
      - .offset:         32
        .size:           8
        .value_kind:     by_value
      - .offset:         40
        .size:           8
        .value_kind:     by_value
      - .offset:         48
        .size:           8
        .value_kind:     by_value
      - .address_space:  global
        .offset:         56
        .size:           8
        .value_kind:     global_buffer
      - .offset:         64
        .size:           8
        .value_kind:     by_value
      - .offset:         72
        .size:           8
        .value_kind:     by_value
      - .offset:         80
        .size:           8
        .value_kind:     by_value
      - .address_space:  global
        .offset:         88
        .size:           8
        .value_kind:     global_buffer
      - .offset:         96
        .size:           8
        .value_kind:     by_value
      - .address_space:  global
        .offset:         104
        .size:           8
        .value_kind:     global_buffer
      - .offset:         112
        .size:           8
        .value_kind:     by_value
      - .offset:         120
        .size:           8
        .value_kind:     by_value
      - .offset:         128
        .size:           8
        .value_kind:     by_value
      - .offset:         136
        .size:           4
        .value_kind:     by_value
      - .offset:         144
        .size:           4
        .value_kind:     hidden_block_count_x
      - .offset:         148
        .size:           4
        .value_kind:     hidden_block_count_y
      - .offset:         152
        .size:           4
        .value_kind:     hidden_block_count_z
      - .offset:         156
        .size:           2
        .value_kind:     hidden_group_size_x
      - .offset:         158
        .size:           2
        .value_kind:     hidden_group_size_y
      - .offset:         160
        .size:           2
        .value_kind:     hidden_group_size_z
      - .offset:         162
        .size:           2
        .value_kind:     hidden_remainder_x
      - .offset:         164
        .size:           2
        .value_kind:     hidden_remainder_y
      - .offset:         166
        .size:           2
        .value_kind:     hidden_remainder_z
      - .offset:         184
        .size:           8
        .value_kind:     hidden_global_offset_x
      - .offset:         192
        .size:           8
        .value_kind:     hidden_global_offset_y
      - .offset:         200
        .size:           8
        .value_kind:     hidden_global_offset_z
      - .offset:         208
        .size:           2
        .value_kind:     hidden_grid_dims
    .group_segment_fixed_size: 32768
    .kernarg_segment_align: 8
    .kernarg_segment_size: 400
    .language:       OpenCL C
    .language_version:
      - 2
      - 0
    .max_flat_workgroup_size: 1024
    .name:           _ZL20rocblas_gemvn_kernelILi64ELi16El19rocblas_complex_numIfEPKS1_S1_EviiT3_lPKT2_lT1_lS7_lS8_lS4_lPT4_lS8_li
    .private_segment_fixed_size: 0
    .sgpr_count:     64
    .sgpr_spill_count: 0
    .symbol:         _ZL20rocblas_gemvn_kernelILi64ELi16El19rocblas_complex_numIfEPKS1_S1_EviiT3_lPKT2_lT1_lS7_lS8_lS4_lPT4_lS8_li.kd
    .uniform_work_group_size: 1
    .uses_dynamic_stack: false
    .vgpr_count:     82
    .vgpr_spill_count: 0
    .wavefront_size: 32
    .workgroup_processor_mode: 1
  - .args:
      - .offset:         0
        .size:           4
        .value_kind:     by_value
      - .offset:         4
        .size:           4
        .value_kind:     by_value
      - .offset:         8
        .size:           8
        .value_kind:     by_value
      - .offset:         16
        .size:           8
        .value_kind:     by_value
      - .address_space:  global
        .offset:         24
        .size:           8
        .value_kind:     global_buffer
      - .offset:         32
        .size:           8
        .value_kind:     by_value
      - .offset:         40
        .size:           4
        .value_kind:     by_value
      - .offset:         48
        .size:           8
        .value_kind:     by_value
      - .address_space:  global
        .offset:         56
        .size:           8
        .value_kind:     global_buffer
      - .offset:         64
        .size:           8
        .value_kind:     by_value
      - .offset:         72
        .size:           4
        .value_kind:     by_value
      - .offset:         80
        .size:           8
        .value_kind:     by_value
      - .offset:         88
        .size:           8
        .value_kind:     by_value
      - .offset:         96
        .size:           8
        .value_kind:     by_value
      - .address_space:  global
        .offset:         104
        .size:           8
        .value_kind:     global_buffer
      - .offset:         112
        .size:           8
        .value_kind:     by_value
      - .offset:         120
        .size:           4
        .value_kind:     by_value
      - .offset:         128
        .size:           8
        .value_kind:     by_value
      - .offset:         136
        .size:           4
        .value_kind:     by_value
      - .offset:         144
        .size:           4
        .value_kind:     hidden_block_count_x
      - .offset:         148
        .size:           4
        .value_kind:     hidden_block_count_y
      - .offset:         152
        .size:           4
        .value_kind:     hidden_block_count_z
      - .offset:         156
        .size:           2
        .value_kind:     hidden_group_size_x
      - .offset:         158
        .size:           2
        .value_kind:     hidden_group_size_y
      - .offset:         160
        .size:           2
        .value_kind:     hidden_group_size_z
      - .offset:         162
        .size:           2
        .value_kind:     hidden_remainder_x
      - .offset:         164
        .size:           2
        .value_kind:     hidden_remainder_y
      - .offset:         166
        .size:           2
        .value_kind:     hidden_remainder_z
      - .offset:         184
        .size:           8
        .value_kind:     hidden_global_offset_x
      - .offset:         192
        .size:           8
        .value_kind:     hidden_global_offset_y
      - .offset:         200
        .size:           8
        .value_kind:     hidden_global_offset_z
      - .offset:         208
        .size:           2
        .value_kind:     hidden_grid_dims
    .group_segment_fixed_size: 32768
    .kernarg_segment_align: 8
    .kernarg_segment_size: 400
    .language:       OpenCL C
    .language_version:
      - 2
      - 0
    .max_flat_workgroup_size: 1024
    .name:           _ZL20rocblas_gemvn_kernelILi64ELi16Ei19rocblas_complex_numIfES1_S1_EviiT3_lPKT2_lT1_lS5_lS6_lS2_lPT4_lS6_li
    .private_segment_fixed_size: 0
    .sgpr_count:     54
    .sgpr_spill_count: 0
    .symbol:         _ZL20rocblas_gemvn_kernelILi64ELi16Ei19rocblas_complex_numIfES1_S1_EviiT3_lPKT2_lT1_lS5_lS6_lS2_lPT4_lS6_li.kd
    .uniform_work_group_size: 1
    .uses_dynamic_stack: false
    .vgpr_count:     72
    .vgpr_spill_count: 0
    .wavefront_size: 32
    .workgroup_processor_mode: 1
  - .args:
      - .offset:         0
        .size:           4
        .value_kind:     by_value
      - .offset:         4
        .size:           4
        .value_kind:     by_value
      - .offset:         8
        .size:           8
        .value_kind:     by_value
      - .offset:         16
        .size:           8
        .value_kind:     by_value
      - .address_space:  global
        .offset:         24
        .size:           8
        .value_kind:     global_buffer
      - .offset:         32
        .size:           8
        .value_kind:     by_value
      - .offset:         40
        .size:           8
        .value_kind:     by_value
      - .offset:         48
        .size:           8
        .value_kind:     by_value
      - .address_space:  global
        .offset:         56
        .size:           8
        .value_kind:     global_buffer
      - .offset:         64
        .size:           8
        .value_kind:     by_value
      - .offset:         72
        .size:           8
        .value_kind:     by_value
      - .offset:         80
        .size:           8
        .value_kind:     by_value
      - .offset:         88
        .size:           8
        .value_kind:     by_value
      - .offset:         96
        .size:           8
        .value_kind:     by_value
      - .address_space:  global
        .offset:         104
        .size:           8
        .value_kind:     global_buffer
      - .offset:         112
        .size:           8
        .value_kind:     by_value
      - .offset:         120
        .size:           8
        .value_kind:     by_value
      - .offset:         128
        .size:           8
        .value_kind:     by_value
      - .offset:         136
        .size:           4
        .value_kind:     by_value
      - .offset:         144
        .size:           4
        .value_kind:     hidden_block_count_x
      - .offset:         148
        .size:           4
        .value_kind:     hidden_block_count_y
      - .offset:         152
        .size:           4
        .value_kind:     hidden_block_count_z
      - .offset:         156
        .size:           2
        .value_kind:     hidden_group_size_x
      - .offset:         158
        .size:           2
        .value_kind:     hidden_group_size_y
      - .offset:         160
        .size:           2
        .value_kind:     hidden_group_size_z
      - .offset:         162
        .size:           2
        .value_kind:     hidden_remainder_x
      - .offset:         164
        .size:           2
        .value_kind:     hidden_remainder_y
      - .offset:         166
        .size:           2
        .value_kind:     hidden_remainder_z
      - .offset:         184
        .size:           8
        .value_kind:     hidden_global_offset_x
      - .offset:         192
        .size:           8
        .value_kind:     hidden_global_offset_y
      - .offset:         200
        .size:           8
        .value_kind:     hidden_global_offset_z
      - .offset:         208
        .size:           2
        .value_kind:     hidden_grid_dims
    .group_segment_fixed_size: 32768
    .kernarg_segment_align: 8
    .kernarg_segment_size: 400
    .language:       OpenCL C
    .language_version:
      - 2
      - 0
    .max_flat_workgroup_size: 1024
    .name:           _ZL20rocblas_gemvn_kernelILi64ELi16El19rocblas_complex_numIfES1_S1_EviiT3_lPKT2_lT1_lS5_lS6_lS2_lPT4_lS6_li
    .private_segment_fixed_size: 0
    .sgpr_count:     59
    .sgpr_spill_count: 0
    .symbol:         _ZL20rocblas_gemvn_kernelILi64ELi16El19rocblas_complex_numIfES1_S1_EviiT3_lPKT2_lT1_lS5_lS6_lS2_lPT4_lS6_li.kd
    .uniform_work_group_size: 1
    .uses_dynamic_stack: false
    .vgpr_count:     81
    .vgpr_spill_count: 0
    .wavefront_size: 32
    .workgroup_processor_mode: 1
  - .args:
      - .offset:         0
        .size:           4
        .value_kind:     by_value
      - .offset:         4
        .size:           4
        .value_kind:     by_value
      - .address_space:  global
        .offset:         8
        .size:           8
        .value_kind:     global_buffer
      - .offset:         16
        .size:           8
        .value_kind:     by_value
      - .address_space:  global
        .offset:         24
        .size:           8
        .value_kind:     global_buffer
      - .offset:         32
        .size:           8
        .value_kind:     by_value
      - .offset:         40
        .size:           4
        .value_kind:     by_value
      - .offset:         48
        .size:           8
        .value_kind:     by_value
      - .address_space:  global
        .offset:         56
        .size:           8
        .value_kind:     global_buffer
      - .offset:         64
        .size:           8
        .value_kind:     by_value
      - .offset:         72
        .size:           4
        .value_kind:     by_value
      - .offset:         80
        .size:           8
        .value_kind:     by_value
      - .address_space:  global
        .offset:         88
        .size:           8
        .value_kind:     global_buffer
      - .offset:         96
        .size:           8
        .value_kind:     by_value
      - .address_space:  global
        .offset:         104
        .size:           8
        .value_kind:     global_buffer
      - .offset:         112
        .size:           8
        .value_kind:     by_value
      - .offset:         120
        .size:           4
        .value_kind:     by_value
      - .offset:         128
        .size:           8
        .value_kind:     by_value
    .group_segment_fixed_size: 512
    .kernarg_segment_align: 8
    .kernarg_segment_size: 136
    .language:       OpenCL C
    .language_version:
      - 2
      - 0
    .max_flat_workgroup_size: 256
    .name:           _ZL22rocblas_gemvtsm_kernelILb0ELi256E19rocblas_complex_numIfEPKS1_S1_EviiT2_lPKT1_lilS7_lilS4_lPT3_lil
    .private_segment_fixed_size: 0
    .sgpr_count:     34
    .sgpr_spill_count: 0
    .symbol:         _ZL22rocblas_gemvtsm_kernelILb0ELi256E19rocblas_complex_numIfEPKS1_S1_EviiT2_lPKT1_lilS7_lilS4_lPT3_lil.kd
    .uniform_work_group_size: 1
    .uses_dynamic_stack: false
    .vgpr_count:     51
    .vgpr_spill_count: 0
    .wavefront_size: 32
    .workgroup_processor_mode: 1
  - .args:
      - .offset:         0
        .size:           4
        .value_kind:     by_value
      - .offset:         4
        .size:           4
        .value_kind:     by_value
      - .offset:         8
        .size:           8
        .value_kind:     by_value
      - .offset:         16
        .size:           8
        .value_kind:     by_value
      - .address_space:  global
        .offset:         24
        .size:           8
        .value_kind:     global_buffer
      - .offset:         32
        .size:           8
        .value_kind:     by_value
      - .offset:         40
        .size:           4
        .value_kind:     by_value
      - .offset:         48
        .size:           8
        .value_kind:     by_value
      - .address_space:  global
        .offset:         56
        .size:           8
        .value_kind:     global_buffer
      - .offset:         64
        .size:           8
        .value_kind:     by_value
      - .offset:         72
        .size:           4
        .value_kind:     by_value
      - .offset:         80
        .size:           8
        .value_kind:     by_value
      - .offset:         88
        .size:           8
        .value_kind:     by_value
      - .offset:         96
        .size:           8
        .value_kind:     by_value
      - .address_space:  global
        .offset:         104
        .size:           8
        .value_kind:     global_buffer
      - .offset:         112
        .size:           8
        .value_kind:     by_value
      - .offset:         120
        .size:           4
        .value_kind:     by_value
      - .offset:         128
        .size:           8
        .value_kind:     by_value
    .group_segment_fixed_size: 512
    .kernarg_segment_align: 8
    .kernarg_segment_size: 136
    .language:       OpenCL C
    .language_version:
      - 2
      - 0
    .max_flat_workgroup_size: 256
    .name:           _ZL22rocblas_gemvtsm_kernelILb0ELi256E19rocblas_complex_numIfES1_S1_EviiT2_lPKT1_lilS5_lilS2_lPT3_lil
    .private_segment_fixed_size: 0
    .sgpr_count:     29
    .sgpr_spill_count: 0
    .symbol:         _ZL22rocblas_gemvtsm_kernelILb0ELi256E19rocblas_complex_numIfES1_S1_EviiT2_lPKT1_lilS5_lilS2_lPT3_lil.kd
    .uniform_work_group_size: 1
    .uses_dynamic_stack: false
    .vgpr_count:     51
    .vgpr_spill_count: 0
    .wavefront_size: 32
    .workgroup_processor_mode: 1
  - .args:
      - .offset:         0
        .size:           4
        .value_kind:     by_value
      - .offset:         4
        .size:           4
        .value_kind:     by_value
      - .address_space:  global
        .offset:         8
        .size:           8
        .value_kind:     global_buffer
      - .offset:         16
        .size:           8
        .value_kind:     by_value
      - .address_space:  global
        .offset:         24
        .size:           8
        .value_kind:     global_buffer
      - .offset:         32
        .size:           8
        .value_kind:     by_value
      - .offset:         40
        .size:           4
        .value_kind:     by_value
      - .offset:         48
        .size:           8
        .value_kind:     by_value
      - .address_space:  global
        .offset:         56
        .size:           8
        .value_kind:     global_buffer
      - .offset:         64
        .size:           8
        .value_kind:     by_value
      - .offset:         72
        .size:           4
        .value_kind:     by_value
      - .offset:         80
        .size:           8
        .value_kind:     by_value
      - .address_space:  global
        .offset:         88
        .size:           8
        .value_kind:     global_buffer
      - .offset:         96
        .size:           4
        .value_kind:     by_value
      - .offset:         104
        .size:           4
        .value_kind:     hidden_block_count_x
      - .offset:         108
        .size:           4
        .value_kind:     hidden_block_count_y
      - .offset:         112
        .size:           4
        .value_kind:     hidden_block_count_z
      - .offset:         116
        .size:           2
        .value_kind:     hidden_group_size_x
      - .offset:         118
        .size:           2
        .value_kind:     hidden_group_size_y
      - .offset:         120
        .size:           2
        .value_kind:     hidden_group_size_z
      - .offset:         122
        .size:           2
        .value_kind:     hidden_remainder_x
      - .offset:         124
        .size:           2
        .value_kind:     hidden_remainder_y
      - .offset:         126
        .size:           2
        .value_kind:     hidden_remainder_z
      - .offset:         144
        .size:           8
        .value_kind:     hidden_global_offset_x
      - .offset:         152
        .size:           8
        .value_kind:     hidden_global_offset_y
      - .offset:         160
        .size:           8
        .value_kind:     hidden_global_offset_z
      - .offset:         168
        .size:           2
        .value_kind:     hidden_grid_dims
    .group_segment_fixed_size: 256
    .kernarg_segment_align: 8
    .kernarg_segment_size: 360
    .language:       OpenCL C
    .language_version:
      - 2
      - 0
    .max_flat_workgroup_size: 256
    .name:           _ZL23rocblas_gemvt_sn_kernelILb0ELi256ELi4Ei19rocblas_complex_numIfEPKS1_S1_EviiT4_lPKT3_lilS7_lilPT5_i
    .private_segment_fixed_size: 48
    .sgpr_count:     80
    .sgpr_spill_count: 0
    .symbol:         _ZL23rocblas_gemvt_sn_kernelILb0ELi256ELi4Ei19rocblas_complex_numIfEPKS1_S1_EviiT4_lPKT3_lilS7_lilPT5_i.kd
    .uniform_work_group_size: 1
    .uses_dynamic_stack: false
    .vgpr_count:     86
    .vgpr_spill_count: 0
    .wavefront_size: 32
    .workgroup_processor_mode: 1
  - .args:
      - .offset:         0
        .size:           4
        .value_kind:     by_value
      - .offset:         4
        .size:           4
        .value_kind:     by_value
      - .address_space:  global
        .offset:         8
        .size:           8
        .value_kind:     global_buffer
      - .offset:         16
        .size:           8
        .value_kind:     by_value
      - .address_space:  global
        .offset:         24
        .size:           8
        .value_kind:     global_buffer
      - .offset:         32
        .size:           8
        .value_kind:     by_value
      - .offset:         40
        .size:           4
        .value_kind:     by_value
      - .offset:         48
        .size:           8
        .value_kind:     by_value
      - .address_space:  global
        .offset:         56
        .size:           8
        .value_kind:     global_buffer
      - .offset:         64
        .size:           8
        .value_kind:     by_value
      - .offset:         72
        .size:           4
        .value_kind:     by_value
      - .offset:         80
        .size:           8
        .value_kind:     by_value
      - .address_space:  global
        .offset:         88
        .size:           8
        .value_kind:     global_buffer
      - .offset:         96
        .size:           4
        .value_kind:     by_value
      - .offset:         104
        .size:           4
        .value_kind:     hidden_block_count_x
      - .offset:         108
        .size:           4
        .value_kind:     hidden_block_count_y
      - .offset:         112
        .size:           4
        .value_kind:     hidden_block_count_z
      - .offset:         116
        .size:           2
        .value_kind:     hidden_group_size_x
      - .offset:         118
        .size:           2
        .value_kind:     hidden_group_size_y
      - .offset:         120
        .size:           2
        .value_kind:     hidden_group_size_z
      - .offset:         122
        .size:           2
        .value_kind:     hidden_remainder_x
      - .offset:         124
        .size:           2
        .value_kind:     hidden_remainder_y
      - .offset:         126
        .size:           2
        .value_kind:     hidden_remainder_z
      - .offset:         144
        .size:           8
        .value_kind:     hidden_global_offset_x
      - .offset:         152
        .size:           8
        .value_kind:     hidden_global_offset_y
      - .offset:         160
        .size:           8
        .value_kind:     hidden_global_offset_z
      - .offset:         168
        .size:           2
        .value_kind:     hidden_grid_dims
    .group_segment_fixed_size: 256
    .kernarg_segment_align: 8
    .kernarg_segment_size: 360
    .language:       OpenCL C
    .language_version:
      - 2
      - 0
    .max_flat_workgroup_size: 256
    .name:           _ZL23rocblas_gemvt_sn_kernelILb0ELi256ELi4El19rocblas_complex_numIfEPKS1_S1_EviiT4_lPKT3_lilS7_lilPT5_i
    .private_segment_fixed_size: 48
    .sgpr_count:     76
    .sgpr_spill_count: 0
    .symbol:         _ZL23rocblas_gemvt_sn_kernelILb0ELi256ELi4El19rocblas_complex_numIfEPKS1_S1_EviiT4_lPKT3_lilS7_lilPT5_i.kd
    .uniform_work_group_size: 1
    .uses_dynamic_stack: false
    .vgpr_count:     93
    .vgpr_spill_count: 0
    .wavefront_size: 32
    .workgroup_processor_mode: 1
  - .args:
      - .offset:         0
        .size:           4
        .value_kind:     by_value
      - .address_space:  global
        .offset:         8
        .size:           8
        .value_kind:     global_buffer
      - .offset:         16
        .size:           8
        .value_kind:     by_value
      - .address_space:  global
        .offset:         24
        .size:           8
        .value_kind:     global_buffer
      - .offset:         32
        .size:           8
        .value_kind:     by_value
      - .offset:         40
        .size:           4
        .value_kind:     by_value
      - .offset:         48
        .size:           8
        .value_kind:     by_value
      - .actual_access:  read_only
        .address_space:  global
        .offset:         56
        .size:           8
        .value_kind:     global_buffer
      - .offset:         64
        .size:           4
        .value_kind:     by_value
      - .offset:         72
        .size:           4
        .value_kind:     hidden_block_count_x
      - .offset:         76
        .size:           4
        .value_kind:     hidden_block_count_y
      - .offset:         80
        .size:           4
        .value_kind:     hidden_block_count_z
      - .offset:         84
        .size:           2
        .value_kind:     hidden_group_size_x
      - .offset:         86
        .size:           2
        .value_kind:     hidden_group_size_y
      - .offset:         88
        .size:           2
        .value_kind:     hidden_group_size_z
      - .offset:         90
        .size:           2
        .value_kind:     hidden_remainder_x
      - .offset:         92
        .size:           2
        .value_kind:     hidden_remainder_y
      - .offset:         94
        .size:           2
        .value_kind:     hidden_remainder_z
      - .offset:         112
        .size:           8
        .value_kind:     hidden_global_offset_x
      - .offset:         120
        .size:           8
        .value_kind:     hidden_global_offset_y
      - .offset:         128
        .size:           8
        .value_kind:     hidden_global_offset_z
      - .offset:         136
        .size:           2
        .value_kind:     hidden_grid_dims
    .group_segment_fixed_size: 256
    .kernarg_segment_align: 8
    .kernarg_segment_size: 328
    .language:       OpenCL C
    .language_version:
      - 2
      - 0
    .max_flat_workgroup_size: 256
    .name:           _ZL23rocblas_gemvt_sn_reduceILi256ELi8E19rocblas_complex_numIfEPKS1_S1_EviT2_lPT3_lilPT1_i
    .private_segment_fixed_size: 0
    .sgpr_count:     40
    .sgpr_spill_count: 0
    .symbol:         _ZL23rocblas_gemvt_sn_reduceILi256ELi8E19rocblas_complex_numIfEPKS1_S1_EviT2_lPT3_lilPT1_i.kd
    .uniform_work_group_size: 1
    .uses_dynamic_stack: false
    .vgpr_count:     36
    .vgpr_spill_count: 0
    .wavefront_size: 32
    .workgroup_processor_mode: 1
  - .args:
      - .offset:         0
        .size:           4
        .value_kind:     by_value
      - .offset:         4
        .size:           4
        .value_kind:     by_value
      - .offset:         8
        .size:           8
        .value_kind:     by_value
      - .offset:         16
        .size:           8
        .value_kind:     by_value
      - .address_space:  global
        .offset:         24
        .size:           8
        .value_kind:     global_buffer
      - .offset:         32
        .size:           8
        .value_kind:     by_value
      - .offset:         40
        .size:           4
        .value_kind:     by_value
      - .offset:         48
        .size:           8
        .value_kind:     by_value
      - .address_space:  global
        .offset:         56
        .size:           8
        .value_kind:     global_buffer
      - .offset:         64
        .size:           8
        .value_kind:     by_value
      - .offset:         72
        .size:           4
        .value_kind:     by_value
      - .offset:         80
        .size:           8
        .value_kind:     by_value
      - .address_space:  global
        .offset:         88
        .size:           8
        .value_kind:     global_buffer
      - .offset:         96
        .size:           4
        .value_kind:     by_value
      - .offset:         104
        .size:           4
        .value_kind:     hidden_block_count_x
      - .offset:         108
        .size:           4
        .value_kind:     hidden_block_count_y
      - .offset:         112
        .size:           4
        .value_kind:     hidden_block_count_z
      - .offset:         116
        .size:           2
        .value_kind:     hidden_group_size_x
      - .offset:         118
        .size:           2
        .value_kind:     hidden_group_size_y
      - .offset:         120
        .size:           2
        .value_kind:     hidden_group_size_z
      - .offset:         122
        .size:           2
        .value_kind:     hidden_remainder_x
      - .offset:         124
        .size:           2
        .value_kind:     hidden_remainder_y
      - .offset:         126
        .size:           2
        .value_kind:     hidden_remainder_z
      - .offset:         144
        .size:           8
        .value_kind:     hidden_global_offset_x
      - .offset:         152
        .size:           8
        .value_kind:     hidden_global_offset_y
      - .offset:         160
        .size:           8
        .value_kind:     hidden_global_offset_z
      - .offset:         168
        .size:           2
        .value_kind:     hidden_grid_dims
    .group_segment_fixed_size: 256
    .kernarg_segment_align: 8
    .kernarg_segment_size: 360
    .language:       OpenCL C
    .language_version:
      - 2
      - 0
    .max_flat_workgroup_size: 256
    .name:           _ZL23rocblas_gemvt_sn_kernelILb0ELi256ELi4Ei19rocblas_complex_numIfES1_S1_EviiT4_lPKT3_lilS5_lilPT5_i
    .private_segment_fixed_size: 48
    .sgpr_count:     78
    .sgpr_spill_count: 0
    .symbol:         _ZL23rocblas_gemvt_sn_kernelILb0ELi256ELi4Ei19rocblas_complex_numIfES1_S1_EviiT4_lPKT3_lilS5_lilPT5_i.kd
    .uniform_work_group_size: 1
    .uses_dynamic_stack: false
    .vgpr_count:     84
    .vgpr_spill_count: 0
    .wavefront_size: 32
    .workgroup_processor_mode: 1
  - .args:
      - .offset:         0
        .size:           4
        .value_kind:     by_value
      - .offset:         4
        .size:           4
        .value_kind:     by_value
      - .offset:         8
        .size:           8
        .value_kind:     by_value
      - .offset:         16
        .size:           8
        .value_kind:     by_value
      - .address_space:  global
        .offset:         24
        .size:           8
        .value_kind:     global_buffer
      - .offset:         32
        .size:           8
        .value_kind:     by_value
      - .offset:         40
        .size:           4
        .value_kind:     by_value
      - .offset:         48
        .size:           8
        .value_kind:     by_value
      - .address_space:  global
        .offset:         56
        .size:           8
        .value_kind:     global_buffer
      - .offset:         64
        .size:           8
        .value_kind:     by_value
      - .offset:         72
        .size:           4
        .value_kind:     by_value
      - .offset:         80
        .size:           8
        .value_kind:     by_value
      - .address_space:  global
        .offset:         88
        .size:           8
        .value_kind:     global_buffer
      - .offset:         96
        .size:           4
        .value_kind:     by_value
      - .offset:         104
        .size:           4
        .value_kind:     hidden_block_count_x
      - .offset:         108
        .size:           4
        .value_kind:     hidden_block_count_y
      - .offset:         112
        .size:           4
        .value_kind:     hidden_block_count_z
      - .offset:         116
        .size:           2
        .value_kind:     hidden_group_size_x
      - .offset:         118
        .size:           2
        .value_kind:     hidden_group_size_y
      - .offset:         120
        .size:           2
        .value_kind:     hidden_group_size_z
      - .offset:         122
        .size:           2
        .value_kind:     hidden_remainder_x
      - .offset:         124
        .size:           2
        .value_kind:     hidden_remainder_y
      - .offset:         126
        .size:           2
        .value_kind:     hidden_remainder_z
      - .offset:         144
        .size:           8
        .value_kind:     hidden_global_offset_x
      - .offset:         152
        .size:           8
        .value_kind:     hidden_global_offset_y
      - .offset:         160
        .size:           8
        .value_kind:     hidden_global_offset_z
      - .offset:         168
        .size:           2
        .value_kind:     hidden_grid_dims
    .group_segment_fixed_size: 256
    .kernarg_segment_align: 8
    .kernarg_segment_size: 360
    .language:       OpenCL C
    .language_version:
      - 2
      - 0
    .max_flat_workgroup_size: 256
    .name:           _ZL23rocblas_gemvt_sn_kernelILb0ELi256ELi4El19rocblas_complex_numIfES1_S1_EviiT4_lPKT3_lilS5_lilPT5_i
    .private_segment_fixed_size: 48
    .sgpr_count:     76
    .sgpr_spill_count: 0
    .symbol:         _ZL23rocblas_gemvt_sn_kernelILb0ELi256ELi4El19rocblas_complex_numIfES1_S1_EviiT4_lPKT3_lilS5_lilPT5_i.kd
    .uniform_work_group_size: 1
    .uses_dynamic_stack: false
    .vgpr_count:     91
    .vgpr_spill_count: 0
    .wavefront_size: 32
    .workgroup_processor_mode: 1
  - .args:
      - .offset:         0
        .size:           4
        .value_kind:     by_value
      - .offset:         4
        .size:           8
        .value_kind:     by_value
      - .offset:         16
        .size:           8
        .value_kind:     by_value
      - .address_space:  global
        .offset:         24
        .size:           8
        .value_kind:     global_buffer
      - .offset:         32
        .size:           8
        .value_kind:     by_value
      - .offset:         40
        .size:           4
        .value_kind:     by_value
      - .offset:         48
        .size:           8
        .value_kind:     by_value
      - .actual_access:  read_only
        .address_space:  global
        .offset:         56
        .size:           8
        .value_kind:     global_buffer
      - .offset:         64
        .size:           4
        .value_kind:     by_value
      - .offset:         72
        .size:           4
        .value_kind:     hidden_block_count_x
      - .offset:         76
        .size:           4
        .value_kind:     hidden_block_count_y
      - .offset:         80
        .size:           4
        .value_kind:     hidden_block_count_z
      - .offset:         84
        .size:           2
        .value_kind:     hidden_group_size_x
      - .offset:         86
        .size:           2
        .value_kind:     hidden_group_size_y
      - .offset:         88
        .size:           2
        .value_kind:     hidden_group_size_z
      - .offset:         90
        .size:           2
        .value_kind:     hidden_remainder_x
      - .offset:         92
        .size:           2
        .value_kind:     hidden_remainder_y
      - .offset:         94
        .size:           2
        .value_kind:     hidden_remainder_z
      - .offset:         112
        .size:           8
        .value_kind:     hidden_global_offset_x
      - .offset:         120
        .size:           8
        .value_kind:     hidden_global_offset_y
      - .offset:         128
        .size:           8
        .value_kind:     hidden_global_offset_z
      - .offset:         136
        .size:           2
        .value_kind:     hidden_grid_dims
    .group_segment_fixed_size: 256
    .kernarg_segment_align: 8
    .kernarg_segment_size: 328
    .language:       OpenCL C
    .language_version:
      - 2
      - 0
    .max_flat_workgroup_size: 256
    .name:           _ZL23rocblas_gemvt_sn_reduceILi256ELi8E19rocblas_complex_numIfES1_S1_EviT2_lPT3_lilPT1_i
    .private_segment_fixed_size: 0
    .sgpr_count:     38
    .sgpr_spill_count: 0
    .symbol:         _ZL23rocblas_gemvt_sn_reduceILi256ELi8E19rocblas_complex_numIfES1_S1_EviT2_lPT3_lilPT1_i.kd
    .uniform_work_group_size: 1
    .uses_dynamic_stack: false
    .vgpr_count:     34
    .vgpr_spill_count: 0
    .wavefront_size: 32
    .workgroup_processor_mode: 1
  - .args:
      - .offset:         0
        .size:           4
        .value_kind:     by_value
      - .offset:         4
        .size:           4
        .value_kind:     by_value
      - .address_space:  global
        .offset:         8
        .size:           8
        .value_kind:     global_buffer
      - .offset:         16
        .size:           8
        .value_kind:     by_value
      - .address_space:  global
        .offset:         24
        .size:           8
        .value_kind:     global_buffer
      - .offset:         32
        .size:           8
        .value_kind:     by_value
      - .offset:         40
        .size:           4
        .value_kind:     by_value
      - .offset:         48
        .size:           8
        .value_kind:     by_value
      - .address_space:  global
        .offset:         56
        .size:           8
        .value_kind:     global_buffer
      - .offset:         64
        .size:           8
        .value_kind:     by_value
      - .offset:         72
        .size:           4
        .value_kind:     by_value
      - .offset:         80
        .size:           8
        .value_kind:     by_value
      - .address_space:  global
        .offset:         88
        .size:           8
        .value_kind:     global_buffer
      - .offset:         96
        .size:           8
        .value_kind:     by_value
      - .address_space:  global
        .offset:         104
        .size:           8
        .value_kind:     global_buffer
      - .offset:         112
        .size:           8
        .value_kind:     by_value
      - .offset:         120
        .size:           4
        .value_kind:     by_value
      - .offset:         128
        .size:           8
        .value_kind:     by_value
      - .offset:         136
        .size:           4
        .value_kind:     by_value
    .group_segment_fixed_size: 256
    .kernarg_segment_align: 8
    .kernarg_segment_size: 140
    .language:       OpenCL C
    .language_version:
      - 2
      - 0
    .max_flat_workgroup_size: 256
    .name:           _ZL32rocblas_gemvt_warp_reduce_kernelILb0ELi256Ei19rocblas_complex_numIfEPKS1_S1_EviiT3_lPKT2_lT1_lS7_lS8_lS4_lPT4_lS8_li
    .private_segment_fixed_size: 0
    .sgpr_count:     50
    .sgpr_spill_count: 0
    .symbol:         _ZL32rocblas_gemvt_warp_reduce_kernelILb0ELi256Ei19rocblas_complex_numIfEPKS1_S1_EviiT3_lPKT2_lT1_lS7_lS8_lS4_lPT4_lS8_li.kd
    .uniform_work_group_size: 1
    .uses_dynamic_stack: false
    .vgpr_count:     24
    .vgpr_spill_count: 0
    .wavefront_size: 32
    .workgroup_processor_mode: 1
  - .args:
      - .offset:         0
        .size:           4
        .value_kind:     by_value
      - .offset:         4
        .size:           4
        .value_kind:     by_value
      - .address_space:  global
        .offset:         8
        .size:           8
        .value_kind:     global_buffer
      - .offset:         16
        .size:           8
        .value_kind:     by_value
      - .address_space:  global
        .offset:         24
        .size:           8
        .value_kind:     global_buffer
      - .offset:         32
        .size:           8
        .value_kind:     by_value
      - .offset:         40
        .size:           8
        .value_kind:     by_value
      - .offset:         48
        .size:           8
        .value_kind:     by_value
      - .address_space:  global
        .offset:         56
        .size:           8
        .value_kind:     global_buffer
      - .offset:         64
        .size:           8
        .value_kind:     by_value
      - .offset:         72
        .size:           8
        .value_kind:     by_value
      - .offset:         80
        .size:           8
        .value_kind:     by_value
      - .address_space:  global
        .offset:         88
        .size:           8
        .value_kind:     global_buffer
      - .offset:         96
        .size:           8
        .value_kind:     by_value
      - .address_space:  global
        .offset:         104
        .size:           8
        .value_kind:     global_buffer
      - .offset:         112
        .size:           8
        .value_kind:     by_value
      - .offset:         120
        .size:           8
        .value_kind:     by_value
      - .offset:         128
        .size:           8
        .value_kind:     by_value
      - .offset:         136
        .size:           4
        .value_kind:     by_value
    .group_segment_fixed_size: 256
    .kernarg_segment_align: 8
    .kernarg_segment_size: 140
    .language:       OpenCL C
    .language_version:
      - 2
      - 0
    .max_flat_workgroup_size: 256
    .name:           _ZL32rocblas_gemvt_warp_reduce_kernelILb0ELi256El19rocblas_complex_numIfEPKS1_S1_EviiT3_lPKT2_lT1_lS7_lS8_lS4_lPT4_lS8_li
    .private_segment_fixed_size: 0
    .sgpr_count:     54
    .sgpr_spill_count: 0
    .symbol:         _ZL32rocblas_gemvt_warp_reduce_kernelILb0ELi256El19rocblas_complex_numIfEPKS1_S1_EviiT3_lPKT2_lT1_lS7_lS8_lS4_lPT4_lS8_li.kd
    .uniform_work_group_size: 1
    .uses_dynamic_stack: false
    .vgpr_count:     26
    .vgpr_spill_count: 0
    .wavefront_size: 32
    .workgroup_processor_mode: 1
  - .args:
      - .offset:         0
        .size:           4
        .value_kind:     by_value
      - .offset:         4
        .size:           4
        .value_kind:     by_value
      - .offset:         8
        .size:           8
        .value_kind:     by_value
      - .offset:         16
        .size:           8
        .value_kind:     by_value
      - .address_space:  global
        .offset:         24
        .size:           8
        .value_kind:     global_buffer
      - .offset:         32
        .size:           8
        .value_kind:     by_value
      - .offset:         40
        .size:           4
        .value_kind:     by_value
      - .offset:         48
        .size:           8
        .value_kind:     by_value
      - .address_space:  global
        .offset:         56
        .size:           8
        .value_kind:     global_buffer
      - .offset:         64
        .size:           8
        .value_kind:     by_value
      - .offset:         72
        .size:           4
        .value_kind:     by_value
      - .offset:         80
        .size:           8
        .value_kind:     by_value
      - .offset:         88
        .size:           8
        .value_kind:     by_value
      - .offset:         96
        .size:           8
        .value_kind:     by_value
      - .address_space:  global
        .offset:         104
        .size:           8
        .value_kind:     global_buffer
      - .offset:         112
        .size:           8
        .value_kind:     by_value
      - .offset:         120
        .size:           4
        .value_kind:     by_value
      - .offset:         128
        .size:           8
        .value_kind:     by_value
      - .offset:         136
        .size:           4
        .value_kind:     by_value
    .group_segment_fixed_size: 256
    .kernarg_segment_align: 8
    .kernarg_segment_size: 140
    .language:       OpenCL C
    .language_version:
      - 2
      - 0
    .max_flat_workgroup_size: 256
    .name:           _ZL32rocblas_gemvt_warp_reduce_kernelILb0ELi256Ei19rocblas_complex_numIfES1_S1_EviiT3_lPKT2_lT1_lS5_lS6_lS2_lPT4_lS6_li
    .private_segment_fixed_size: 0
    .sgpr_count:     44
    .sgpr_spill_count: 0
    .symbol:         _ZL32rocblas_gemvt_warp_reduce_kernelILb0ELi256Ei19rocblas_complex_numIfES1_S1_EviiT3_lPKT2_lT1_lS5_lS6_lS2_lPT4_lS6_li.kd
    .uniform_work_group_size: 1
    .uses_dynamic_stack: false
    .vgpr_count:     24
    .vgpr_spill_count: 0
    .wavefront_size: 32
    .workgroup_processor_mode: 1
  - .args:
      - .offset:         0
        .size:           4
        .value_kind:     by_value
      - .offset:         4
        .size:           4
        .value_kind:     by_value
      - .offset:         8
        .size:           8
        .value_kind:     by_value
      - .offset:         16
        .size:           8
        .value_kind:     by_value
      - .address_space:  global
        .offset:         24
        .size:           8
        .value_kind:     global_buffer
      - .offset:         32
        .size:           8
        .value_kind:     by_value
      - .offset:         40
        .size:           8
        .value_kind:     by_value
      - .offset:         48
        .size:           8
        .value_kind:     by_value
      - .address_space:  global
        .offset:         56
        .size:           8
        .value_kind:     global_buffer
      - .offset:         64
        .size:           8
        .value_kind:     by_value
      - .offset:         72
        .size:           8
        .value_kind:     by_value
      - .offset:         80
        .size:           8
        .value_kind:     by_value
      - .offset:         88
        .size:           8
        .value_kind:     by_value
      - .offset:         96
        .size:           8
        .value_kind:     by_value
      - .address_space:  global
        .offset:         104
        .size:           8
        .value_kind:     global_buffer
      - .offset:         112
        .size:           8
        .value_kind:     by_value
      - .offset:         120
        .size:           8
        .value_kind:     by_value
      - .offset:         128
        .size:           8
        .value_kind:     by_value
      - .offset:         136
        .size:           4
        .value_kind:     by_value
    .group_segment_fixed_size: 256
    .kernarg_segment_align: 8
    .kernarg_segment_size: 140
    .language:       OpenCL C
    .language_version:
      - 2
      - 0
    .max_flat_workgroup_size: 256
    .name:           _ZL32rocblas_gemvt_warp_reduce_kernelILb0ELi256El19rocblas_complex_numIfES1_S1_EviiT3_lPKT2_lT1_lS5_lS6_lS2_lPT4_lS6_li
    .private_segment_fixed_size: 0
    .sgpr_count:     50
    .sgpr_spill_count: 0
    .symbol:         _ZL32rocblas_gemvt_warp_reduce_kernelILb0ELi256El19rocblas_complex_numIfES1_S1_EviiT3_lPKT2_lT1_lS5_lS6_lS2_lPT4_lS6_li.kd
    .uniform_work_group_size: 1
    .uses_dynamic_stack: false
    .vgpr_count:     26
    .vgpr_spill_count: 0
    .wavefront_size: 32
    .workgroup_processor_mode: 1
  - .args:
      - .offset:         0
        .size:           4
        .value_kind:     by_value
      - .offset:         4
        .size:           4
        .value_kind:     by_value
      - .address_space:  global
        .offset:         8
        .size:           8
        .value_kind:     global_buffer
      - .offset:         16
        .size:           8
        .value_kind:     by_value
      - .address_space:  global
        .offset:         24
        .size:           8
        .value_kind:     global_buffer
      - .offset:         32
        .size:           8
        .value_kind:     by_value
      - .offset:         40
        .size:           4
        .value_kind:     by_value
      - .offset:         48
        .size:           8
        .value_kind:     by_value
      - .address_space:  global
        .offset:         56
        .size:           8
        .value_kind:     global_buffer
      - .offset:         64
        .size:           8
        .value_kind:     by_value
      - .offset:         72
        .size:           4
        .value_kind:     by_value
      - .offset:         80
        .size:           8
        .value_kind:     by_value
      - .address_space:  global
        .offset:         88
        .size:           8
        .value_kind:     global_buffer
      - .offset:         96
        .size:           8
        .value_kind:     by_value
      - .address_space:  global
        .offset:         104
        .size:           8
        .value_kind:     global_buffer
      - .offset:         112
        .size:           8
        .value_kind:     by_value
      - .offset:         120
        .size:           4
        .value_kind:     by_value
      - .offset:         128
        .size:           8
        .value_kind:     by_value
      - .offset:         136
        .size:           4
        .value_kind:     by_value
    .group_segment_fixed_size: 2048
    .kernarg_segment_align: 8
    .kernarg_segment_size: 140
    .language:       OpenCL C
    .language_version:
      - 2
      - 0
    .max_flat_workgroup_size: 256
    .name:           _ZL20rocblas_gemvt_kernelILb0ELi256E19rocblas_complex_numIfEPKS1_S1_EviiT2_lPKT1_lilS7_lilS4_lPT3_lili
    .private_segment_fixed_size: 0
    .sgpr_count:     54
    .sgpr_spill_count: 0
    .symbol:         _ZL20rocblas_gemvt_kernelILb0ELi256E19rocblas_complex_numIfEPKS1_S1_EviiT2_lPKT1_lilS7_lilS4_lPT3_lili.kd
    .uniform_work_group_size: 1
    .uses_dynamic_stack: false
    .vgpr_count:     23
    .vgpr_spill_count: 0
    .wavefront_size: 32
    .workgroup_processor_mode: 1
  - .args:
      - .offset:         0
        .size:           4
        .value_kind:     by_value
      - .offset:         4
        .size:           4
        .value_kind:     by_value
      - .offset:         8
        .size:           8
        .value_kind:     by_value
      - .offset:         16
        .size:           8
        .value_kind:     by_value
      - .address_space:  global
        .offset:         24
        .size:           8
        .value_kind:     global_buffer
      - .offset:         32
        .size:           8
        .value_kind:     by_value
      - .offset:         40
        .size:           4
        .value_kind:     by_value
      - .offset:         48
        .size:           8
        .value_kind:     by_value
      - .address_space:  global
        .offset:         56
        .size:           8
        .value_kind:     global_buffer
      - .offset:         64
        .size:           8
        .value_kind:     by_value
      - .offset:         72
        .size:           4
        .value_kind:     by_value
      - .offset:         80
        .size:           8
        .value_kind:     by_value
      - .offset:         88
        .size:           8
        .value_kind:     by_value
      - .offset:         96
        .size:           8
        .value_kind:     by_value
      - .address_space:  global
        .offset:         104
        .size:           8
        .value_kind:     global_buffer
      - .offset:         112
        .size:           8
        .value_kind:     by_value
      - .offset:         120
        .size:           4
        .value_kind:     by_value
      - .offset:         128
        .size:           8
        .value_kind:     by_value
      - .offset:         136
        .size:           4
        .value_kind:     by_value
    .group_segment_fixed_size: 2048
    .kernarg_segment_align: 8
    .kernarg_segment_size: 140
    .language:       OpenCL C
    .language_version:
      - 2
      - 0
    .max_flat_workgroup_size: 256
    .name:           _ZL20rocblas_gemvt_kernelILb0ELi256E19rocblas_complex_numIfES1_S1_EviiT2_lPKT1_lilS5_lilS2_lPT3_lili
    .private_segment_fixed_size: 0
    .sgpr_count:     52
    .sgpr_spill_count: 0
    .symbol:         _ZL20rocblas_gemvt_kernelILb0ELi256E19rocblas_complex_numIfES1_S1_EviiT2_lPKT1_lilS5_lilS2_lPT3_lili.kd
    .uniform_work_group_size: 1
    .uses_dynamic_stack: false
    .vgpr_count:     21
    .vgpr_spill_count: 0
    .wavefront_size: 32
    .workgroup_processor_mode: 1
  - .args:
      - .offset:         0
        .size:           4
        .value_kind:     by_value
      - .offset:         4
        .size:           4
        .value_kind:     by_value
      - .address_space:  global
        .offset:         8
        .size:           8
        .value_kind:     global_buffer
      - .offset:         16
        .size:           8
        .value_kind:     by_value
      - .address_space:  global
        .offset:         24
        .size:           8
        .value_kind:     global_buffer
      - .offset:         32
        .size:           8
        .value_kind:     by_value
      - .offset:         40
        .size:           4
        .value_kind:     by_value
      - .offset:         48
        .size:           8
        .value_kind:     by_value
      - .address_space:  global
        .offset:         56
        .size:           8
        .value_kind:     global_buffer
      - .offset:         64
        .size:           8
        .value_kind:     by_value
      - .offset:         72
        .size:           4
        .value_kind:     by_value
      - .offset:         80
        .size:           8
        .value_kind:     by_value
      - .address_space:  global
        .offset:         88
        .size:           8
        .value_kind:     global_buffer
      - .offset:         96
        .size:           8
        .value_kind:     by_value
      - .address_space:  global
        .offset:         104
        .size:           8
        .value_kind:     global_buffer
      - .offset:         112
        .size:           8
        .value_kind:     by_value
      - .offset:         120
        .size:           4
        .value_kind:     by_value
      - .offset:         128
        .size:           8
        .value_kind:     by_value
      - .offset:         136
        .size:           4
        .value_kind:     by_value
    .group_segment_fixed_size: 256
    .kernarg_segment_align: 8
    .kernarg_segment_size: 140
    .language:       OpenCL C
    .language_version:
      - 2
      - 0
    .max_flat_workgroup_size: 1024
    .name:           _ZL32rocblas_gemvt_warp_reduce_kernelILb0ELi1024Ei19rocblas_complex_numIfEPKS1_S1_EviiT3_lPKT2_lT1_lS7_lS8_lS4_lPT4_lS8_li
    .private_segment_fixed_size: 0
    .sgpr_count:     48
    .sgpr_spill_count: 0
    .symbol:         _ZL32rocblas_gemvt_warp_reduce_kernelILb0ELi1024Ei19rocblas_complex_numIfEPKS1_S1_EviiT3_lPKT2_lT1_lS7_lS8_lS4_lPT4_lS8_li.kd
    .uniform_work_group_size: 1
    .uses_dynamic_stack: false
    .vgpr_count:     24
    .vgpr_spill_count: 0
    .wavefront_size: 32
    .workgroup_processor_mode: 1
  - .args:
      - .offset:         0
        .size:           4
        .value_kind:     by_value
      - .offset:         4
        .size:           4
        .value_kind:     by_value
      - .address_space:  global
        .offset:         8
        .size:           8
        .value_kind:     global_buffer
      - .offset:         16
        .size:           8
        .value_kind:     by_value
      - .address_space:  global
        .offset:         24
        .size:           8
        .value_kind:     global_buffer
      - .offset:         32
        .size:           8
        .value_kind:     by_value
      - .offset:         40
        .size:           8
        .value_kind:     by_value
      - .offset:         48
        .size:           8
        .value_kind:     by_value
      - .address_space:  global
        .offset:         56
        .size:           8
        .value_kind:     global_buffer
      - .offset:         64
        .size:           8
        .value_kind:     by_value
      - .offset:         72
        .size:           8
        .value_kind:     by_value
      - .offset:         80
        .size:           8
        .value_kind:     by_value
      - .address_space:  global
        .offset:         88
        .size:           8
        .value_kind:     global_buffer
      - .offset:         96
        .size:           8
        .value_kind:     by_value
      - .address_space:  global
        .offset:         104
        .size:           8
        .value_kind:     global_buffer
      - .offset:         112
        .size:           8
        .value_kind:     by_value
      - .offset:         120
        .size:           8
        .value_kind:     by_value
      - .offset:         128
        .size:           8
        .value_kind:     by_value
      - .offset:         136
        .size:           4
        .value_kind:     by_value
    .group_segment_fixed_size: 256
    .kernarg_segment_align: 8
    .kernarg_segment_size: 140
    .language:       OpenCL C
    .language_version:
      - 2
      - 0
    .max_flat_workgroup_size: 1024
    .name:           _ZL32rocblas_gemvt_warp_reduce_kernelILb0ELi1024El19rocblas_complex_numIfEPKS1_S1_EviiT3_lPKT2_lT1_lS7_lS8_lS4_lPT4_lS8_li
    .private_segment_fixed_size: 0
    .sgpr_count:     54
    .sgpr_spill_count: 0
    .symbol:         _ZL32rocblas_gemvt_warp_reduce_kernelILb0ELi1024El19rocblas_complex_numIfEPKS1_S1_EviiT3_lPKT2_lT1_lS7_lS8_lS4_lPT4_lS8_li.kd
    .uniform_work_group_size: 1
    .uses_dynamic_stack: false
    .vgpr_count:     26
    .vgpr_spill_count: 0
    .wavefront_size: 32
    .workgroup_processor_mode: 1
  - .args:
      - .offset:         0
        .size:           4
        .value_kind:     by_value
      - .offset:         4
        .size:           4
        .value_kind:     by_value
      - .offset:         8
        .size:           8
        .value_kind:     by_value
      - .offset:         16
        .size:           8
        .value_kind:     by_value
      - .address_space:  global
        .offset:         24
        .size:           8
        .value_kind:     global_buffer
      - .offset:         32
        .size:           8
        .value_kind:     by_value
      - .offset:         40
        .size:           4
        .value_kind:     by_value
      - .offset:         48
        .size:           8
        .value_kind:     by_value
      - .address_space:  global
        .offset:         56
        .size:           8
        .value_kind:     global_buffer
      - .offset:         64
        .size:           8
        .value_kind:     by_value
      - .offset:         72
        .size:           4
        .value_kind:     by_value
      - .offset:         80
        .size:           8
        .value_kind:     by_value
      - .offset:         88
        .size:           8
        .value_kind:     by_value
      - .offset:         96
        .size:           8
        .value_kind:     by_value
      - .address_space:  global
        .offset:         104
        .size:           8
        .value_kind:     global_buffer
      - .offset:         112
        .size:           8
        .value_kind:     by_value
      - .offset:         120
        .size:           4
        .value_kind:     by_value
      - .offset:         128
        .size:           8
        .value_kind:     by_value
      - .offset:         136
        .size:           4
        .value_kind:     by_value
    .group_segment_fixed_size: 256
    .kernarg_segment_align: 8
    .kernarg_segment_size: 140
    .language:       OpenCL C
    .language_version:
      - 2
      - 0
    .max_flat_workgroup_size: 1024
    .name:           _ZL32rocblas_gemvt_warp_reduce_kernelILb0ELi1024Ei19rocblas_complex_numIfES1_S1_EviiT3_lPKT2_lT1_lS5_lS6_lS2_lPT4_lS6_li
    .private_segment_fixed_size: 0
    .sgpr_count:     44
    .sgpr_spill_count: 0
    .symbol:         _ZL32rocblas_gemvt_warp_reduce_kernelILb0ELi1024Ei19rocblas_complex_numIfES1_S1_EviiT3_lPKT2_lT1_lS5_lS6_lS2_lPT4_lS6_li.kd
    .uniform_work_group_size: 1
    .uses_dynamic_stack: false
    .vgpr_count:     24
    .vgpr_spill_count: 0
    .wavefront_size: 32
    .workgroup_processor_mode: 1
  - .args:
      - .offset:         0
        .size:           4
        .value_kind:     by_value
      - .offset:         4
        .size:           4
        .value_kind:     by_value
      - .offset:         8
        .size:           8
        .value_kind:     by_value
      - .offset:         16
        .size:           8
        .value_kind:     by_value
      - .address_space:  global
        .offset:         24
        .size:           8
        .value_kind:     global_buffer
      - .offset:         32
        .size:           8
        .value_kind:     by_value
      - .offset:         40
        .size:           8
        .value_kind:     by_value
      - .offset:         48
        .size:           8
        .value_kind:     by_value
      - .address_space:  global
        .offset:         56
        .size:           8
        .value_kind:     global_buffer
      - .offset:         64
        .size:           8
        .value_kind:     by_value
      - .offset:         72
        .size:           8
        .value_kind:     by_value
      - .offset:         80
        .size:           8
        .value_kind:     by_value
      - .offset:         88
        .size:           8
        .value_kind:     by_value
      - .offset:         96
        .size:           8
        .value_kind:     by_value
      - .address_space:  global
        .offset:         104
        .size:           8
        .value_kind:     global_buffer
      - .offset:         112
        .size:           8
        .value_kind:     by_value
      - .offset:         120
        .size:           8
        .value_kind:     by_value
      - .offset:         128
        .size:           8
        .value_kind:     by_value
      - .offset:         136
        .size:           4
        .value_kind:     by_value
    .group_segment_fixed_size: 256
    .kernarg_segment_align: 8
    .kernarg_segment_size: 140
    .language:       OpenCL C
    .language_version:
      - 2
      - 0
    .max_flat_workgroup_size: 1024
    .name:           _ZL32rocblas_gemvt_warp_reduce_kernelILb0ELi1024El19rocblas_complex_numIfES1_S1_EviiT3_lPKT2_lT1_lS5_lS6_lS2_lPT4_lS6_li
    .private_segment_fixed_size: 0
    .sgpr_count:     48
    .sgpr_spill_count: 0
    .symbol:         _ZL32rocblas_gemvt_warp_reduce_kernelILb0ELi1024El19rocblas_complex_numIfES1_S1_EviiT3_lPKT2_lT1_lS5_lS6_lS2_lPT4_lS6_li.kd
    .uniform_work_group_size: 1
    .uses_dynamic_stack: false
    .vgpr_count:     26
    .vgpr_spill_count: 0
    .wavefront_size: 32
    .workgroup_processor_mode: 1
  - .args:
      - .offset:         0
        .size:           4
        .value_kind:     by_value
      - .offset:         4
        .size:           4
        .value_kind:     by_value
      - .address_space:  global
        .offset:         8
        .size:           8
        .value_kind:     global_buffer
      - .offset:         16
        .size:           8
        .value_kind:     by_value
      - .address_space:  global
        .offset:         24
        .size:           8
        .value_kind:     global_buffer
      - .offset:         32
        .size:           8
        .value_kind:     by_value
      - .offset:         40
        .size:           4
        .value_kind:     by_value
      - .offset:         48
        .size:           8
        .value_kind:     by_value
      - .address_space:  global
        .offset:         56
        .size:           8
        .value_kind:     global_buffer
      - .offset:         64
        .size:           8
        .value_kind:     by_value
      - .offset:         72
        .size:           4
        .value_kind:     by_value
      - .offset:         80
        .size:           8
        .value_kind:     by_value
      - .address_space:  global
        .offset:         88
        .size:           8
        .value_kind:     global_buffer
      - .offset:         96
        .size:           8
        .value_kind:     by_value
      - .address_space:  global
        .offset:         104
        .size:           8
        .value_kind:     global_buffer
      - .offset:         112
        .size:           8
        .value_kind:     by_value
      - .offset:         120
        .size:           4
        .value_kind:     by_value
      - .offset:         128
        .size:           8
        .value_kind:     by_value
    .group_segment_fixed_size: 512
    .kernarg_segment_align: 8
    .kernarg_segment_size: 136
    .language:       OpenCL C
    .language_version:
      - 2
      - 0
    .max_flat_workgroup_size: 256
    .name:           _ZL22rocblas_gemvtsm_kernelILb1ELi256E19rocblas_complex_numIfEPKS1_S1_EviiT2_lPKT1_lilS7_lilS4_lPT3_lil
    .private_segment_fixed_size: 0
    .sgpr_count:     34
    .sgpr_spill_count: 0
    .symbol:         _ZL22rocblas_gemvtsm_kernelILb1ELi256E19rocblas_complex_numIfEPKS1_S1_EviiT2_lPKT1_lilS7_lilS4_lPT3_lil.kd
    .uniform_work_group_size: 1
    .uses_dynamic_stack: false
    .vgpr_count:     51
    .vgpr_spill_count: 0
    .wavefront_size: 32
    .workgroup_processor_mode: 1
  - .args:
      - .offset:         0
        .size:           4
        .value_kind:     by_value
      - .offset:         4
        .size:           4
        .value_kind:     by_value
      - .offset:         8
        .size:           8
        .value_kind:     by_value
      - .offset:         16
        .size:           8
        .value_kind:     by_value
      - .address_space:  global
        .offset:         24
        .size:           8
        .value_kind:     global_buffer
      - .offset:         32
        .size:           8
        .value_kind:     by_value
      - .offset:         40
        .size:           4
        .value_kind:     by_value
      - .offset:         48
        .size:           8
        .value_kind:     by_value
      - .address_space:  global
        .offset:         56
        .size:           8
        .value_kind:     global_buffer
      - .offset:         64
        .size:           8
        .value_kind:     by_value
      - .offset:         72
        .size:           4
        .value_kind:     by_value
      - .offset:         80
        .size:           8
        .value_kind:     by_value
      - .offset:         88
        .size:           8
        .value_kind:     by_value
      - .offset:         96
        .size:           8
        .value_kind:     by_value
      - .address_space:  global
        .offset:         104
        .size:           8
        .value_kind:     global_buffer
      - .offset:         112
        .size:           8
        .value_kind:     by_value
      - .offset:         120
        .size:           4
        .value_kind:     by_value
      - .offset:         128
        .size:           8
        .value_kind:     by_value
    .group_segment_fixed_size: 512
    .kernarg_segment_align: 8
    .kernarg_segment_size: 136
    .language:       OpenCL C
    .language_version:
      - 2
      - 0
    .max_flat_workgroup_size: 256
    .name:           _ZL22rocblas_gemvtsm_kernelILb1ELi256E19rocblas_complex_numIfES1_S1_EviiT2_lPKT1_lilS5_lilS2_lPT3_lil
    .private_segment_fixed_size: 0
    .sgpr_count:     29
    .sgpr_spill_count: 0
    .symbol:         _ZL22rocblas_gemvtsm_kernelILb1ELi256E19rocblas_complex_numIfES1_S1_EviiT2_lPKT1_lilS5_lilS2_lPT3_lil.kd
    .uniform_work_group_size: 1
    .uses_dynamic_stack: false
    .vgpr_count:     51
    .vgpr_spill_count: 0
    .wavefront_size: 32
    .workgroup_processor_mode: 1
  - .args:
      - .offset:         0
        .size:           4
        .value_kind:     by_value
      - .offset:         4
        .size:           4
        .value_kind:     by_value
      - .address_space:  global
        .offset:         8
        .size:           8
        .value_kind:     global_buffer
      - .offset:         16
        .size:           8
        .value_kind:     by_value
      - .address_space:  global
        .offset:         24
        .size:           8
        .value_kind:     global_buffer
      - .offset:         32
        .size:           8
        .value_kind:     by_value
      - .offset:         40
        .size:           4
        .value_kind:     by_value
      - .offset:         48
        .size:           8
        .value_kind:     by_value
      - .address_space:  global
        .offset:         56
        .size:           8
        .value_kind:     global_buffer
      - .offset:         64
        .size:           8
        .value_kind:     by_value
      - .offset:         72
        .size:           4
        .value_kind:     by_value
      - .offset:         80
        .size:           8
        .value_kind:     by_value
      - .address_space:  global
        .offset:         88
        .size:           8
        .value_kind:     global_buffer
      - .offset:         96
        .size:           4
        .value_kind:     by_value
      - .offset:         104
        .size:           4
        .value_kind:     hidden_block_count_x
      - .offset:         108
        .size:           4
        .value_kind:     hidden_block_count_y
      - .offset:         112
        .size:           4
        .value_kind:     hidden_block_count_z
      - .offset:         116
        .size:           2
        .value_kind:     hidden_group_size_x
      - .offset:         118
        .size:           2
        .value_kind:     hidden_group_size_y
      - .offset:         120
        .size:           2
        .value_kind:     hidden_group_size_z
      - .offset:         122
        .size:           2
        .value_kind:     hidden_remainder_x
      - .offset:         124
        .size:           2
        .value_kind:     hidden_remainder_y
      - .offset:         126
        .size:           2
        .value_kind:     hidden_remainder_z
      - .offset:         144
        .size:           8
        .value_kind:     hidden_global_offset_x
      - .offset:         152
        .size:           8
        .value_kind:     hidden_global_offset_y
      - .offset:         160
        .size:           8
        .value_kind:     hidden_global_offset_z
      - .offset:         168
        .size:           2
        .value_kind:     hidden_grid_dims
    .group_segment_fixed_size: 256
    .kernarg_segment_align: 8
    .kernarg_segment_size: 360
    .language:       OpenCL C
    .language_version:
      - 2
      - 0
    .max_flat_workgroup_size: 256
    .name:           _ZL23rocblas_gemvt_sn_kernelILb1ELi256ELi4Ei19rocblas_complex_numIfEPKS1_S1_EviiT4_lPKT3_lilS7_lilPT5_i
    .private_segment_fixed_size: 48
    .sgpr_count:     80
    .sgpr_spill_count: 0
    .symbol:         _ZL23rocblas_gemvt_sn_kernelILb1ELi256ELi4Ei19rocblas_complex_numIfEPKS1_S1_EviiT4_lPKT3_lilS7_lilPT5_i.kd
    .uniform_work_group_size: 1
    .uses_dynamic_stack: false
    .vgpr_count:     88
    .vgpr_spill_count: 0
    .wavefront_size: 32
    .workgroup_processor_mode: 1
  - .args:
      - .offset:         0
        .size:           4
        .value_kind:     by_value
      - .offset:         4
        .size:           4
        .value_kind:     by_value
      - .address_space:  global
        .offset:         8
        .size:           8
        .value_kind:     global_buffer
      - .offset:         16
        .size:           8
        .value_kind:     by_value
      - .address_space:  global
        .offset:         24
        .size:           8
        .value_kind:     global_buffer
      - .offset:         32
        .size:           8
        .value_kind:     by_value
      - .offset:         40
        .size:           4
        .value_kind:     by_value
      - .offset:         48
        .size:           8
        .value_kind:     by_value
      - .address_space:  global
        .offset:         56
        .size:           8
        .value_kind:     global_buffer
      - .offset:         64
        .size:           8
        .value_kind:     by_value
      - .offset:         72
        .size:           4
        .value_kind:     by_value
      - .offset:         80
        .size:           8
        .value_kind:     by_value
      - .address_space:  global
        .offset:         88
        .size:           8
        .value_kind:     global_buffer
      - .offset:         96
        .size:           4
        .value_kind:     by_value
      - .offset:         104
        .size:           4
        .value_kind:     hidden_block_count_x
      - .offset:         108
        .size:           4
        .value_kind:     hidden_block_count_y
      - .offset:         112
        .size:           4
        .value_kind:     hidden_block_count_z
      - .offset:         116
        .size:           2
        .value_kind:     hidden_group_size_x
      - .offset:         118
        .size:           2
        .value_kind:     hidden_group_size_y
      - .offset:         120
        .size:           2
        .value_kind:     hidden_group_size_z
      - .offset:         122
        .size:           2
        .value_kind:     hidden_remainder_x
      - .offset:         124
        .size:           2
        .value_kind:     hidden_remainder_y
      - .offset:         126
        .size:           2
        .value_kind:     hidden_remainder_z
      - .offset:         144
        .size:           8
        .value_kind:     hidden_global_offset_x
      - .offset:         152
        .size:           8
        .value_kind:     hidden_global_offset_y
      - .offset:         160
        .size:           8
        .value_kind:     hidden_global_offset_z
      - .offset:         168
        .size:           2
        .value_kind:     hidden_grid_dims
    .group_segment_fixed_size: 256
    .kernarg_segment_align: 8
    .kernarg_segment_size: 360
    .language:       OpenCL C
    .language_version:
      - 2
      - 0
    .max_flat_workgroup_size: 256
    .name:           _ZL23rocblas_gemvt_sn_kernelILb1ELi256ELi4El19rocblas_complex_numIfEPKS1_S1_EviiT4_lPKT3_lilS7_lilPT5_i
    .private_segment_fixed_size: 48
    .sgpr_count:     72
    .sgpr_spill_count: 0
    .symbol:         _ZL23rocblas_gemvt_sn_kernelILb1ELi256ELi4El19rocblas_complex_numIfEPKS1_S1_EviiT4_lPKT3_lilS7_lilPT5_i.kd
    .uniform_work_group_size: 1
    .uses_dynamic_stack: false
    .vgpr_count:     81
    .vgpr_spill_count: 0
    .wavefront_size: 32
    .workgroup_processor_mode: 1
  - .args:
      - .offset:         0
        .size:           4
        .value_kind:     by_value
      - .offset:         4
        .size:           4
        .value_kind:     by_value
      - .offset:         8
        .size:           8
        .value_kind:     by_value
      - .offset:         16
        .size:           8
        .value_kind:     by_value
      - .address_space:  global
        .offset:         24
        .size:           8
        .value_kind:     global_buffer
      - .offset:         32
        .size:           8
        .value_kind:     by_value
      - .offset:         40
        .size:           4
        .value_kind:     by_value
      - .offset:         48
        .size:           8
        .value_kind:     by_value
      - .address_space:  global
        .offset:         56
        .size:           8
        .value_kind:     global_buffer
      - .offset:         64
        .size:           8
        .value_kind:     by_value
      - .offset:         72
        .size:           4
        .value_kind:     by_value
      - .offset:         80
        .size:           8
        .value_kind:     by_value
      - .address_space:  global
        .offset:         88
        .size:           8
        .value_kind:     global_buffer
      - .offset:         96
        .size:           4
        .value_kind:     by_value
      - .offset:         104
        .size:           4
        .value_kind:     hidden_block_count_x
      - .offset:         108
        .size:           4
        .value_kind:     hidden_block_count_y
      - .offset:         112
        .size:           4
        .value_kind:     hidden_block_count_z
      - .offset:         116
        .size:           2
        .value_kind:     hidden_group_size_x
      - .offset:         118
        .size:           2
        .value_kind:     hidden_group_size_y
      - .offset:         120
        .size:           2
        .value_kind:     hidden_group_size_z
      - .offset:         122
        .size:           2
        .value_kind:     hidden_remainder_x
      - .offset:         124
        .size:           2
        .value_kind:     hidden_remainder_y
      - .offset:         126
        .size:           2
        .value_kind:     hidden_remainder_z
      - .offset:         144
        .size:           8
        .value_kind:     hidden_global_offset_x
      - .offset:         152
        .size:           8
        .value_kind:     hidden_global_offset_y
      - .offset:         160
        .size:           8
        .value_kind:     hidden_global_offset_z
      - .offset:         168
        .size:           2
        .value_kind:     hidden_grid_dims
    .group_segment_fixed_size: 256
    .kernarg_segment_align: 8
    .kernarg_segment_size: 360
    .language:       OpenCL C
    .language_version:
      - 2
      - 0
    .max_flat_workgroup_size: 256
    .name:           _ZL23rocblas_gemvt_sn_kernelILb1ELi256ELi4Ei19rocblas_complex_numIfES1_S1_EviiT4_lPKT3_lilS5_lilPT5_i
    .private_segment_fixed_size: 48
    .sgpr_count:     78
    .sgpr_spill_count: 0
    .symbol:         _ZL23rocblas_gemvt_sn_kernelILb1ELi256ELi4Ei19rocblas_complex_numIfES1_S1_EviiT4_lPKT3_lilS5_lilPT5_i.kd
    .uniform_work_group_size: 1
    .uses_dynamic_stack: false
    .vgpr_count:     86
    .vgpr_spill_count: 0
    .wavefront_size: 32
    .workgroup_processor_mode: 1
  - .args:
      - .offset:         0
        .size:           4
        .value_kind:     by_value
      - .offset:         4
        .size:           4
        .value_kind:     by_value
      - .offset:         8
        .size:           8
        .value_kind:     by_value
      - .offset:         16
        .size:           8
        .value_kind:     by_value
      - .address_space:  global
        .offset:         24
        .size:           8
        .value_kind:     global_buffer
      - .offset:         32
        .size:           8
        .value_kind:     by_value
      - .offset:         40
        .size:           4
        .value_kind:     by_value
      - .offset:         48
        .size:           8
        .value_kind:     by_value
      - .address_space:  global
        .offset:         56
        .size:           8
        .value_kind:     global_buffer
      - .offset:         64
        .size:           8
        .value_kind:     by_value
      - .offset:         72
        .size:           4
        .value_kind:     by_value
      - .offset:         80
        .size:           8
        .value_kind:     by_value
      - .address_space:  global
        .offset:         88
        .size:           8
        .value_kind:     global_buffer
      - .offset:         96
        .size:           4
        .value_kind:     by_value
      - .offset:         104
        .size:           4
        .value_kind:     hidden_block_count_x
      - .offset:         108
        .size:           4
        .value_kind:     hidden_block_count_y
      - .offset:         112
        .size:           4
        .value_kind:     hidden_block_count_z
      - .offset:         116
        .size:           2
        .value_kind:     hidden_group_size_x
      - .offset:         118
        .size:           2
        .value_kind:     hidden_group_size_y
      - .offset:         120
        .size:           2
        .value_kind:     hidden_group_size_z
      - .offset:         122
        .size:           2
        .value_kind:     hidden_remainder_x
      - .offset:         124
        .size:           2
        .value_kind:     hidden_remainder_y
      - .offset:         126
        .size:           2
        .value_kind:     hidden_remainder_z
      - .offset:         144
        .size:           8
        .value_kind:     hidden_global_offset_x
      - .offset:         152
        .size:           8
        .value_kind:     hidden_global_offset_y
      - .offset:         160
        .size:           8
        .value_kind:     hidden_global_offset_z
      - .offset:         168
        .size:           2
        .value_kind:     hidden_grid_dims
    .group_segment_fixed_size: 256
    .kernarg_segment_align: 8
    .kernarg_segment_size: 360
    .language:       OpenCL C
    .language_version:
      - 2
      - 0
    .max_flat_workgroup_size: 256
    .name:           _ZL23rocblas_gemvt_sn_kernelILb1ELi256ELi4El19rocblas_complex_numIfES1_S1_EviiT4_lPKT3_lilS5_lilPT5_i
    .private_segment_fixed_size: 48
    .sgpr_count:     72
    .sgpr_spill_count: 0
    .symbol:         _ZL23rocblas_gemvt_sn_kernelILb1ELi256ELi4El19rocblas_complex_numIfES1_S1_EviiT4_lPKT3_lilS5_lilPT5_i.kd
    .uniform_work_group_size: 1
    .uses_dynamic_stack: false
    .vgpr_count:     93
    .vgpr_spill_count: 0
    .wavefront_size: 32
    .workgroup_processor_mode: 1
  - .args:
      - .offset:         0
        .size:           4
        .value_kind:     by_value
      - .offset:         4
        .size:           4
        .value_kind:     by_value
      - .address_space:  global
        .offset:         8
        .size:           8
        .value_kind:     global_buffer
      - .offset:         16
        .size:           8
        .value_kind:     by_value
      - .address_space:  global
        .offset:         24
        .size:           8
        .value_kind:     global_buffer
      - .offset:         32
        .size:           8
        .value_kind:     by_value
      - .offset:         40
        .size:           4
        .value_kind:     by_value
      - .offset:         48
        .size:           8
        .value_kind:     by_value
      - .address_space:  global
        .offset:         56
        .size:           8
        .value_kind:     global_buffer
      - .offset:         64
        .size:           8
        .value_kind:     by_value
      - .offset:         72
        .size:           4
        .value_kind:     by_value
      - .offset:         80
        .size:           8
        .value_kind:     by_value
      - .address_space:  global
        .offset:         88
        .size:           8
        .value_kind:     global_buffer
      - .offset:         96
        .size:           8
        .value_kind:     by_value
      - .address_space:  global
        .offset:         104
        .size:           8
        .value_kind:     global_buffer
      - .offset:         112
        .size:           8
        .value_kind:     by_value
      - .offset:         120
        .size:           4
        .value_kind:     by_value
      - .offset:         128
        .size:           8
        .value_kind:     by_value
      - .offset:         136
        .size:           4
        .value_kind:     by_value
    .group_segment_fixed_size: 2048
    .kernarg_segment_align: 8
    .kernarg_segment_size: 140
    .language:       OpenCL C
    .language_version:
      - 2
      - 0
    .max_flat_workgroup_size: 256
    .name:           _ZL20rocblas_gemvt_kernelILb1ELi256E19rocblas_complex_numIfEPKS1_S1_EviiT2_lPKT1_lilS7_lilS4_lPT3_lili
    .private_segment_fixed_size: 0
    .sgpr_count:     54
    .sgpr_spill_count: 0
    .symbol:         _ZL20rocblas_gemvt_kernelILb1ELi256E19rocblas_complex_numIfEPKS1_S1_EviiT2_lPKT1_lilS7_lilS4_lPT3_lili.kd
    .uniform_work_group_size: 1
    .uses_dynamic_stack: false
    .vgpr_count:     23
    .vgpr_spill_count: 0
    .wavefront_size: 32
    .workgroup_processor_mode: 1
  - .args:
      - .offset:         0
        .size:           4
        .value_kind:     by_value
      - .offset:         4
        .size:           4
        .value_kind:     by_value
      - .offset:         8
        .size:           8
        .value_kind:     by_value
      - .offset:         16
        .size:           8
        .value_kind:     by_value
      - .address_space:  global
        .offset:         24
        .size:           8
        .value_kind:     global_buffer
      - .offset:         32
        .size:           8
        .value_kind:     by_value
      - .offset:         40
        .size:           4
        .value_kind:     by_value
      - .offset:         48
        .size:           8
        .value_kind:     by_value
      - .address_space:  global
        .offset:         56
        .size:           8
        .value_kind:     global_buffer
      - .offset:         64
        .size:           8
        .value_kind:     by_value
      - .offset:         72
        .size:           4
        .value_kind:     by_value
      - .offset:         80
        .size:           8
        .value_kind:     by_value
      - .offset:         88
        .size:           8
        .value_kind:     by_value
      - .offset:         96
        .size:           8
        .value_kind:     by_value
      - .address_space:  global
        .offset:         104
        .size:           8
        .value_kind:     global_buffer
      - .offset:         112
        .size:           8
        .value_kind:     by_value
      - .offset:         120
        .size:           4
        .value_kind:     by_value
      - .offset:         128
        .size:           8
        .value_kind:     by_value
      - .offset:         136
        .size:           4
        .value_kind:     by_value
    .group_segment_fixed_size: 2048
    .kernarg_segment_align: 8
    .kernarg_segment_size: 140
    .language:       OpenCL C
    .language_version:
      - 2
      - 0
    .max_flat_workgroup_size: 256
    .name:           _ZL20rocblas_gemvt_kernelILb1ELi256E19rocblas_complex_numIfES1_S1_EviiT2_lPKT1_lilS5_lilS2_lPT3_lili
    .private_segment_fixed_size: 0
    .sgpr_count:     52
    .sgpr_spill_count: 0
    .symbol:         _ZL20rocblas_gemvt_kernelILb1ELi256E19rocblas_complex_numIfES1_S1_EviiT2_lPKT1_lilS5_lilS2_lPT3_lili.kd
    .uniform_work_group_size: 1
    .uses_dynamic_stack: false
    .vgpr_count:     21
    .vgpr_spill_count: 0
    .wavefront_size: 32
    .workgroup_processor_mode: 1
  - .args:
      - .offset:         0
        .size:           4
        .value_kind:     by_value
      - .offset:         4
        .size:           4
        .value_kind:     by_value
      - .address_space:  global
        .offset:         8
        .size:           8
        .value_kind:     global_buffer
      - .offset:         16
        .size:           8
        .value_kind:     by_value
      - .address_space:  global
        .offset:         24
        .size:           8
        .value_kind:     global_buffer
      - .offset:         32
        .size:           8
        .value_kind:     by_value
      - .offset:         40
        .size:           4
        .value_kind:     by_value
      - .offset:         48
        .size:           8
        .value_kind:     by_value
      - .address_space:  global
        .offset:         56
        .size:           8
        .value_kind:     global_buffer
      - .offset:         64
        .size:           8
        .value_kind:     by_value
      - .offset:         72
        .size:           4
        .value_kind:     by_value
      - .offset:         80
        .size:           8
        .value_kind:     by_value
      - .address_space:  global
        .offset:         88
        .size:           8
        .value_kind:     global_buffer
      - .offset:         96
        .size:           8
        .value_kind:     by_value
      - .address_space:  global
        .offset:         104
        .size:           8
        .value_kind:     global_buffer
      - .offset:         112
        .size:           8
        .value_kind:     by_value
      - .offset:         120
        .size:           4
        .value_kind:     by_value
      - .offset:         128
        .size:           8
        .value_kind:     by_value
      - .offset:         136
        .size:           4
        .value_kind:     by_value
    .group_segment_fixed_size: 256
    .kernarg_segment_align: 8
    .kernarg_segment_size: 140
    .language:       OpenCL C
    .language_version:
      - 2
      - 0
    .max_flat_workgroup_size: 1024
    .name:           _ZL32rocblas_gemvt_warp_reduce_kernelILb1ELi1024Ei19rocblas_complex_numIfEPKS1_S1_EviiT3_lPKT2_lT1_lS7_lS8_lS4_lPT4_lS8_li
    .private_segment_fixed_size: 0
    .sgpr_count:     48
    .sgpr_spill_count: 0
    .symbol:         _ZL32rocblas_gemvt_warp_reduce_kernelILb1ELi1024Ei19rocblas_complex_numIfEPKS1_S1_EviiT3_lPKT2_lT1_lS7_lS8_lS4_lPT4_lS8_li.kd
    .uniform_work_group_size: 1
    .uses_dynamic_stack: false
    .vgpr_count:     24
    .vgpr_spill_count: 0
    .wavefront_size: 32
    .workgroup_processor_mode: 1
  - .args:
      - .offset:         0
        .size:           4
        .value_kind:     by_value
      - .offset:         4
        .size:           4
        .value_kind:     by_value
      - .address_space:  global
        .offset:         8
        .size:           8
        .value_kind:     global_buffer
      - .offset:         16
        .size:           8
        .value_kind:     by_value
      - .address_space:  global
        .offset:         24
        .size:           8
        .value_kind:     global_buffer
      - .offset:         32
        .size:           8
        .value_kind:     by_value
      - .offset:         40
        .size:           8
        .value_kind:     by_value
      - .offset:         48
        .size:           8
        .value_kind:     by_value
      - .address_space:  global
        .offset:         56
        .size:           8
        .value_kind:     global_buffer
      - .offset:         64
        .size:           8
        .value_kind:     by_value
      - .offset:         72
        .size:           8
        .value_kind:     by_value
      - .offset:         80
        .size:           8
        .value_kind:     by_value
      - .address_space:  global
        .offset:         88
        .size:           8
        .value_kind:     global_buffer
      - .offset:         96
        .size:           8
        .value_kind:     by_value
      - .address_space:  global
        .offset:         104
        .size:           8
        .value_kind:     global_buffer
      - .offset:         112
        .size:           8
        .value_kind:     by_value
      - .offset:         120
        .size:           8
        .value_kind:     by_value
      - .offset:         128
        .size:           8
        .value_kind:     by_value
      - .offset:         136
        .size:           4
        .value_kind:     by_value
    .group_segment_fixed_size: 256
    .kernarg_segment_align: 8
    .kernarg_segment_size: 140
    .language:       OpenCL C
    .language_version:
      - 2
      - 0
    .max_flat_workgroup_size: 1024
    .name:           _ZL32rocblas_gemvt_warp_reduce_kernelILb1ELi1024El19rocblas_complex_numIfEPKS1_S1_EviiT3_lPKT2_lT1_lS7_lS8_lS4_lPT4_lS8_li
    .private_segment_fixed_size: 0
    .sgpr_count:     54
    .sgpr_spill_count: 0
    .symbol:         _ZL32rocblas_gemvt_warp_reduce_kernelILb1ELi1024El19rocblas_complex_numIfEPKS1_S1_EviiT3_lPKT2_lT1_lS7_lS8_lS4_lPT4_lS8_li.kd
    .uniform_work_group_size: 1
    .uses_dynamic_stack: false
    .vgpr_count:     26
    .vgpr_spill_count: 0
    .wavefront_size: 32
    .workgroup_processor_mode: 1
  - .args:
      - .offset:         0
        .size:           4
        .value_kind:     by_value
      - .offset:         4
        .size:           4
        .value_kind:     by_value
      - .offset:         8
        .size:           8
        .value_kind:     by_value
      - .offset:         16
        .size:           8
        .value_kind:     by_value
      - .address_space:  global
        .offset:         24
        .size:           8
        .value_kind:     global_buffer
      - .offset:         32
        .size:           8
        .value_kind:     by_value
      - .offset:         40
        .size:           4
        .value_kind:     by_value
      - .offset:         48
        .size:           8
        .value_kind:     by_value
      - .address_space:  global
        .offset:         56
        .size:           8
        .value_kind:     global_buffer
      - .offset:         64
        .size:           8
        .value_kind:     by_value
      - .offset:         72
        .size:           4
        .value_kind:     by_value
      - .offset:         80
        .size:           8
        .value_kind:     by_value
      - .offset:         88
        .size:           8
        .value_kind:     by_value
      - .offset:         96
        .size:           8
        .value_kind:     by_value
      - .address_space:  global
        .offset:         104
        .size:           8
        .value_kind:     global_buffer
      - .offset:         112
        .size:           8
        .value_kind:     by_value
      - .offset:         120
        .size:           4
        .value_kind:     by_value
      - .offset:         128
        .size:           8
        .value_kind:     by_value
      - .offset:         136
        .size:           4
        .value_kind:     by_value
    .group_segment_fixed_size: 256
    .kernarg_segment_align: 8
    .kernarg_segment_size: 140
    .language:       OpenCL C
    .language_version:
      - 2
      - 0
    .max_flat_workgroup_size: 1024
    .name:           _ZL32rocblas_gemvt_warp_reduce_kernelILb1ELi1024Ei19rocblas_complex_numIfES1_S1_EviiT3_lPKT2_lT1_lS5_lS6_lS2_lPT4_lS6_li
    .private_segment_fixed_size: 0
    .sgpr_count:     44
    .sgpr_spill_count: 0
    .symbol:         _ZL32rocblas_gemvt_warp_reduce_kernelILb1ELi1024Ei19rocblas_complex_numIfES1_S1_EviiT3_lPKT2_lT1_lS5_lS6_lS2_lPT4_lS6_li.kd
    .uniform_work_group_size: 1
    .uses_dynamic_stack: false
    .vgpr_count:     24
    .vgpr_spill_count: 0
    .wavefront_size: 32
    .workgroup_processor_mode: 1
  - .args:
      - .offset:         0
        .size:           4
        .value_kind:     by_value
      - .offset:         4
        .size:           4
        .value_kind:     by_value
      - .offset:         8
        .size:           8
        .value_kind:     by_value
      - .offset:         16
        .size:           8
        .value_kind:     by_value
      - .address_space:  global
        .offset:         24
        .size:           8
        .value_kind:     global_buffer
      - .offset:         32
        .size:           8
        .value_kind:     by_value
      - .offset:         40
        .size:           8
        .value_kind:     by_value
      - .offset:         48
        .size:           8
        .value_kind:     by_value
      - .address_space:  global
        .offset:         56
        .size:           8
        .value_kind:     global_buffer
      - .offset:         64
        .size:           8
        .value_kind:     by_value
      - .offset:         72
        .size:           8
        .value_kind:     by_value
      - .offset:         80
        .size:           8
        .value_kind:     by_value
      - .offset:         88
        .size:           8
        .value_kind:     by_value
      - .offset:         96
        .size:           8
        .value_kind:     by_value
      - .address_space:  global
        .offset:         104
        .size:           8
        .value_kind:     global_buffer
      - .offset:         112
        .size:           8
        .value_kind:     by_value
      - .offset:         120
        .size:           8
        .value_kind:     by_value
      - .offset:         128
        .size:           8
        .value_kind:     by_value
      - .offset:         136
        .size:           4
        .value_kind:     by_value
    .group_segment_fixed_size: 256
    .kernarg_segment_align: 8
    .kernarg_segment_size: 140
    .language:       OpenCL C
    .language_version:
      - 2
      - 0
    .max_flat_workgroup_size: 1024
    .name:           _ZL32rocblas_gemvt_warp_reduce_kernelILb1ELi1024El19rocblas_complex_numIfES1_S1_EviiT3_lPKT2_lT1_lS5_lS6_lS2_lPT4_lS6_li
    .private_segment_fixed_size: 0
    .sgpr_count:     48
    .sgpr_spill_count: 0
    .symbol:         _ZL32rocblas_gemvt_warp_reduce_kernelILb1ELi1024El19rocblas_complex_numIfES1_S1_EviiT3_lPKT2_lT1_lS5_lS6_lS2_lPT4_lS6_li.kd
    .uniform_work_group_size: 1
    .uses_dynamic_stack: false
    .vgpr_count:     26
    .vgpr_spill_count: 0
    .wavefront_size: 32
    .workgroup_processor_mode: 1
  - .args:
      - .offset:         0
        .size:           4
        .value_kind:     by_value
      - .offset:         4
        .size:           4
        .value_kind:     by_value
      - .address_space:  global
        .offset:         8
        .size:           8
        .value_kind:     global_buffer
      - .offset:         16
        .size:           8
        .value_kind:     by_value
      - .address_space:  global
        .offset:         24
        .size:           8
        .value_kind:     global_buffer
      - .offset:         32
        .size:           8
        .value_kind:     by_value
      - .offset:         40
        .size:           4
        .value_kind:     by_value
      - .offset:         48
        .size:           8
        .value_kind:     by_value
      - .address_space:  global
        .offset:         56
        .size:           8
        .value_kind:     global_buffer
      - .offset:         64
        .size:           8
        .value_kind:     by_value
      - .offset:         72
        .size:           4
        .value_kind:     by_value
      - .offset:         80
        .size:           8
        .value_kind:     by_value
      - .address_space:  global
        .offset:         88
        .size:           8
        .value_kind:     global_buffer
      - .offset:         96
        .size:           8
        .value_kind:     by_value
      - .address_space:  global
        .offset:         104
        .size:           8
        .value_kind:     global_buffer
      - .offset:         112
        .size:           8
        .value_kind:     by_value
      - .offset:         120
        .size:           4
        .value_kind:     by_value
      - .offset:         128
        .size:           8
        .value_kind:     by_value
      - .offset:         136
        .size:           4
        .value_kind:     by_value
    .group_segment_fixed_size: 0
    .kernarg_segment_align: 8
    .kernarg_segment_size: 140
    .language:       OpenCL C
    .language_version:
      - 2
      - 0
    .max_flat_workgroup_size: 768
    .name:           _ZL34rocblas_gemvn_sm_mn_batched_kernelILi32ELi24E19rocblas_complex_numIdEPKS1_S1_EviiT2_lPKT1_lilS7_lilS4_lPT3_lili
    .private_segment_fixed_size: 0
    .sgpr_count:     0
    .sgpr_spill_count: 0
    .symbol:         _ZL34rocblas_gemvn_sm_mn_batched_kernelILi32ELi24E19rocblas_complex_numIdEPKS1_S1_EviiT2_lPKT1_lilS7_lilS4_lPT3_lili.kd
    .uniform_work_group_size: 1
    .uses_dynamic_stack: false
    .vgpr_count:     0
    .vgpr_spill_count: 0
    .wavefront_size: 32
    .workgroup_processor_mode: 1
  - .args:
      - .offset:         0
        .size:           4
        .value_kind:     by_value
      - .offset:         4
        .size:           4
        .value_kind:     by_value
      - .offset:         8
        .size:           16
        .value_kind:     by_value
      - .offset:         24
        .size:           8
        .value_kind:     by_value
      - .address_space:  global
        .offset:         32
        .size:           8
        .value_kind:     global_buffer
      - .offset:         40
        .size:           8
        .value_kind:     by_value
      - .offset:         48
        .size:           4
        .value_kind:     by_value
      - .offset:         56
        .size:           8
        .value_kind:     by_value
      - .address_space:  global
        .offset:         64
        .size:           8
        .value_kind:     global_buffer
      - .offset:         72
        .size:           8
        .value_kind:     by_value
      - .offset:         80
        .size:           4
        .value_kind:     by_value
      - .offset:         88
        .size:           8
        .value_kind:     by_value
      - .offset:         96
        .size:           16
        .value_kind:     by_value
      - .offset:         112
        .size:           8
        .value_kind:     by_value
      - .address_space:  global
        .offset:         120
        .size:           8
        .value_kind:     global_buffer
      - .offset:         128
        .size:           8
        .value_kind:     by_value
      - .offset:         136
        .size:           4
        .value_kind:     by_value
      - .offset:         144
        .size:           8
        .value_kind:     by_value
      - .offset:         152
        .size:           4
        .value_kind:     by_value
    .group_segment_fixed_size: 0
    .kernarg_segment_align: 8
    .kernarg_segment_size: 156
    .language:       OpenCL C
    .language_version:
      - 2
      - 0
    .max_flat_workgroup_size: 768
    .name:           _ZL34rocblas_gemvn_sm_mn_batched_kernelILi32ELi24E19rocblas_complex_numIdES1_S1_EviiT2_lPKT1_lilS5_lilS2_lPT3_lili
    .private_segment_fixed_size: 0
    .sgpr_count:     0
    .sgpr_spill_count: 0
    .symbol:         _ZL34rocblas_gemvn_sm_mn_batched_kernelILi32ELi24E19rocblas_complex_numIdES1_S1_EviiT2_lPKT1_lilS5_lilS2_lPT3_lili.kd
    .uniform_work_group_size: 1
    .uses_dynamic_stack: false
    .vgpr_count:     0
    .vgpr_spill_count: 0
    .wavefront_size: 32
    .workgroup_processor_mode: 1
  - .args:
      - .offset:         0
        .size:           4
        .value_kind:     by_value
      - .offset:         4
        .size:           4
        .value_kind:     by_value
      - .address_space:  global
        .offset:         8
        .size:           8
        .value_kind:     global_buffer
      - .offset:         16
        .size:           8
        .value_kind:     by_value
      - .address_space:  global
        .offset:         24
        .size:           8
        .value_kind:     global_buffer
      - .offset:         32
        .size:           8
        .value_kind:     by_value
      - .offset:         40
        .size:           4
        .value_kind:     by_value
      - .offset:         48
        .size:           8
        .value_kind:     by_value
      - .address_space:  global
        .offset:         56
        .size:           8
        .value_kind:     global_buffer
      - .offset:         64
        .size:           8
        .value_kind:     by_value
      - .offset:         72
        .size:           4
        .value_kind:     by_value
      - .offset:         80
        .size:           8
        .value_kind:     by_value
      - .address_space:  global
        .offset:         88
        .size:           8
        .value_kind:     global_buffer
      - .offset:         96
        .size:           8
        .value_kind:     by_value
      - .address_space:  global
        .offset:         104
        .size:           8
        .value_kind:     global_buffer
      - .offset:         112
        .size:           8
        .value_kind:     by_value
      - .offset:         120
        .size:           4
        .value_kind:     by_value
      - .offset:         128
        .size:           8
        .value_kind:     by_value
      - .offset:         136
        .size:           4
        .value_kind:     by_value
      - .offset:         144
        .size:           4
        .value_kind:     hidden_block_count_x
      - .offset:         148
        .size:           4
        .value_kind:     hidden_block_count_y
      - .offset:         152
        .size:           4
        .value_kind:     hidden_block_count_z
      - .offset:         156
        .size:           2
        .value_kind:     hidden_group_size_x
      - .offset:         158
        .size:           2
        .value_kind:     hidden_group_size_y
      - .offset:         160
        .size:           2
        .value_kind:     hidden_group_size_z
      - .offset:         162
        .size:           2
        .value_kind:     hidden_remainder_x
      - .offset:         164
        .size:           2
        .value_kind:     hidden_remainder_y
      - .offset:         166
        .size:           2
        .value_kind:     hidden_remainder_z
      - .offset:         184
        .size:           8
        .value_kind:     hidden_global_offset_x
      - .offset:         192
        .size:           8
        .value_kind:     hidden_global_offset_y
      - .offset:         200
        .size:           8
        .value_kind:     hidden_global_offset_z
      - .offset:         208
        .size:           2
        .value_kind:     hidden_grid_dims
    .group_segment_fixed_size: 4096
    .kernarg_segment_align: 8
    .kernarg_segment_size: 400
    .language:       OpenCL C
    .language_version:
      - 2
      - 0
    .max_flat_workgroup_size: 256
    .name:           _ZL20rocblas_gemvn_kernelILi64ELi4Ei19rocblas_complex_numIdEPKS1_S1_EviiT3_lPKT2_lT1_lS7_lS8_lS4_lPT4_lS8_li
    .private_segment_fixed_size: 0
    .sgpr_count:     48
    .sgpr_spill_count: 0
    .symbol:         _ZL20rocblas_gemvn_kernelILi64ELi4Ei19rocblas_complex_numIdEPKS1_S1_EviiT3_lPKT2_lT1_lS7_lS8_lS4_lPT4_lS8_li.kd
    .uniform_work_group_size: 1
    .uses_dynamic_stack: false
    .vgpr_count:     39
    .vgpr_spill_count: 0
    .wavefront_size: 32
    .workgroup_processor_mode: 1
  - .args:
      - .offset:         0
        .size:           4
        .value_kind:     by_value
      - .offset:         4
        .size:           4
        .value_kind:     by_value
      - .address_space:  global
        .offset:         8
        .size:           8
        .value_kind:     global_buffer
      - .offset:         16
        .size:           8
        .value_kind:     by_value
      - .address_space:  global
        .offset:         24
        .size:           8
        .value_kind:     global_buffer
      - .offset:         32
        .size:           8
        .value_kind:     by_value
      - .offset:         40
        .size:           8
        .value_kind:     by_value
      - .offset:         48
        .size:           8
        .value_kind:     by_value
      - .address_space:  global
        .offset:         56
        .size:           8
        .value_kind:     global_buffer
      - .offset:         64
        .size:           8
        .value_kind:     by_value
      - .offset:         72
        .size:           8
        .value_kind:     by_value
      - .offset:         80
        .size:           8
        .value_kind:     by_value
      - .address_space:  global
        .offset:         88
        .size:           8
        .value_kind:     global_buffer
      - .offset:         96
        .size:           8
        .value_kind:     by_value
      - .address_space:  global
        .offset:         104
        .size:           8
        .value_kind:     global_buffer
      - .offset:         112
        .size:           8
        .value_kind:     by_value
      - .offset:         120
        .size:           8
        .value_kind:     by_value
      - .offset:         128
        .size:           8
        .value_kind:     by_value
      - .offset:         136
        .size:           4
        .value_kind:     by_value
      - .offset:         144
        .size:           4
        .value_kind:     hidden_block_count_x
      - .offset:         148
        .size:           4
        .value_kind:     hidden_block_count_y
      - .offset:         152
        .size:           4
        .value_kind:     hidden_block_count_z
      - .offset:         156
        .size:           2
        .value_kind:     hidden_group_size_x
      - .offset:         158
        .size:           2
        .value_kind:     hidden_group_size_y
      - .offset:         160
        .size:           2
        .value_kind:     hidden_group_size_z
      - .offset:         162
        .size:           2
        .value_kind:     hidden_remainder_x
      - .offset:         164
        .size:           2
        .value_kind:     hidden_remainder_y
      - .offset:         166
        .size:           2
        .value_kind:     hidden_remainder_z
      - .offset:         184
        .size:           8
        .value_kind:     hidden_global_offset_x
      - .offset:         192
        .size:           8
        .value_kind:     hidden_global_offset_y
      - .offset:         200
        .size:           8
        .value_kind:     hidden_global_offset_z
      - .offset:         208
        .size:           2
        .value_kind:     hidden_grid_dims
    .group_segment_fixed_size: 4096
    .kernarg_segment_align: 8
    .kernarg_segment_size: 400
    .language:       OpenCL C
    .language_version:
      - 2
      - 0
    .max_flat_workgroup_size: 256
    .name:           _ZL20rocblas_gemvn_kernelILi64ELi4El19rocblas_complex_numIdEPKS1_S1_EviiT3_lPKT2_lT1_lS7_lS8_lS4_lPT4_lS8_li
    .private_segment_fixed_size: 0
    .sgpr_count:     54
    .sgpr_spill_count: 0
    .symbol:         _ZL20rocblas_gemvn_kernelILi64ELi4El19rocblas_complex_numIdEPKS1_S1_EviiT3_lPKT2_lT1_lS7_lS8_lS4_lPT4_lS8_li.kd
    .uniform_work_group_size: 1
    .uses_dynamic_stack: false
    .vgpr_count:     42
    .vgpr_spill_count: 0
    .wavefront_size: 32
    .workgroup_processor_mode: 1
  - .args:
      - .offset:         0
        .size:           4
        .value_kind:     by_value
      - .offset:         4
        .size:           4
        .value_kind:     by_value
      - .offset:         8
        .size:           16
        .value_kind:     by_value
      - .offset:         24
        .size:           8
        .value_kind:     by_value
      - .address_space:  global
        .offset:         32
        .size:           8
        .value_kind:     global_buffer
      - .offset:         40
        .size:           8
        .value_kind:     by_value
      - .offset:         48
        .size:           4
        .value_kind:     by_value
      - .offset:         56
        .size:           8
        .value_kind:     by_value
      - .address_space:  global
        .offset:         64
        .size:           8
        .value_kind:     global_buffer
      - .offset:         72
        .size:           8
        .value_kind:     by_value
      - .offset:         80
        .size:           4
        .value_kind:     by_value
      - .offset:         88
        .size:           8
        .value_kind:     by_value
      - .offset:         96
        .size:           16
        .value_kind:     by_value
      - .offset:         112
        .size:           8
        .value_kind:     by_value
      - .address_space:  global
        .offset:         120
        .size:           8
        .value_kind:     global_buffer
      - .offset:         128
        .size:           8
        .value_kind:     by_value
      - .offset:         136
        .size:           4
        .value_kind:     by_value
      - .offset:         144
        .size:           8
        .value_kind:     by_value
      - .offset:         152
        .size:           4
        .value_kind:     by_value
      - .offset:         160
        .size:           4
        .value_kind:     hidden_block_count_x
      - .offset:         164
        .size:           4
        .value_kind:     hidden_block_count_y
      - .offset:         168
        .size:           4
        .value_kind:     hidden_block_count_z
      - .offset:         172
        .size:           2
        .value_kind:     hidden_group_size_x
      - .offset:         174
        .size:           2
        .value_kind:     hidden_group_size_y
      - .offset:         176
        .size:           2
        .value_kind:     hidden_group_size_z
      - .offset:         178
        .size:           2
        .value_kind:     hidden_remainder_x
      - .offset:         180
        .size:           2
        .value_kind:     hidden_remainder_y
      - .offset:         182
        .size:           2
        .value_kind:     hidden_remainder_z
      - .offset:         200
        .size:           8
        .value_kind:     hidden_global_offset_x
      - .offset:         208
        .size:           8
        .value_kind:     hidden_global_offset_y
      - .offset:         216
        .size:           8
        .value_kind:     hidden_global_offset_z
      - .offset:         224
        .size:           2
        .value_kind:     hidden_grid_dims
    .group_segment_fixed_size: 4096
    .kernarg_segment_align: 8
    .kernarg_segment_size: 416
    .language:       OpenCL C
    .language_version:
      - 2
      - 0
    .max_flat_workgroup_size: 256
    .name:           _ZL20rocblas_gemvn_kernelILi64ELi4Ei19rocblas_complex_numIdES1_S1_EviiT3_lPKT2_lT1_lS5_lS6_lS2_lPT4_lS6_li
    .private_segment_fixed_size: 0
    .sgpr_count:     51
    .sgpr_spill_count: 0
    .symbol:         _ZL20rocblas_gemvn_kernelILi64ELi4Ei19rocblas_complex_numIdES1_S1_EviiT3_lPKT2_lT1_lS5_lS6_lS2_lPT4_lS6_li.kd
    .uniform_work_group_size: 1
    .uses_dynamic_stack: false
    .vgpr_count:     32
    .vgpr_spill_count: 0
    .wavefront_size: 32
    .workgroup_processor_mode: 1
  - .args:
      - .offset:         0
        .size:           4
        .value_kind:     by_value
      - .offset:         4
        .size:           4
        .value_kind:     by_value
      - .offset:         8
        .size:           16
        .value_kind:     by_value
      - .offset:         24
        .size:           8
        .value_kind:     by_value
      - .address_space:  global
        .offset:         32
        .size:           8
        .value_kind:     global_buffer
      - .offset:         40
        .size:           8
        .value_kind:     by_value
      - .offset:         48
        .size:           8
        .value_kind:     by_value
      - .offset:         56
        .size:           8
        .value_kind:     by_value
      - .address_space:  global
        .offset:         64
        .size:           8
        .value_kind:     global_buffer
      - .offset:         72
        .size:           8
        .value_kind:     by_value
      - .offset:         80
        .size:           8
        .value_kind:     by_value
      - .offset:         88
        .size:           8
        .value_kind:     by_value
      - .offset:         96
        .size:           16
        .value_kind:     by_value
      - .offset:         112
        .size:           8
        .value_kind:     by_value
      - .address_space:  global
        .offset:         120
        .size:           8
        .value_kind:     global_buffer
      - .offset:         128
        .size:           8
        .value_kind:     by_value
      - .offset:         136
        .size:           8
        .value_kind:     by_value
      - .offset:         144
        .size:           8
        .value_kind:     by_value
      - .offset:         152
        .size:           4
        .value_kind:     by_value
      - .offset:         160
        .size:           4
        .value_kind:     hidden_block_count_x
      - .offset:         164
        .size:           4
        .value_kind:     hidden_block_count_y
      - .offset:         168
        .size:           4
        .value_kind:     hidden_block_count_z
      - .offset:         172
        .size:           2
        .value_kind:     hidden_group_size_x
      - .offset:         174
        .size:           2
        .value_kind:     hidden_group_size_y
      - .offset:         176
        .size:           2
        .value_kind:     hidden_group_size_z
      - .offset:         178
        .size:           2
        .value_kind:     hidden_remainder_x
      - .offset:         180
        .size:           2
        .value_kind:     hidden_remainder_y
      - .offset:         182
        .size:           2
        .value_kind:     hidden_remainder_z
      - .offset:         200
        .size:           8
        .value_kind:     hidden_global_offset_x
      - .offset:         208
        .size:           8
        .value_kind:     hidden_global_offset_y
      - .offset:         216
        .size:           8
        .value_kind:     hidden_global_offset_z
      - .offset:         224
        .size:           2
        .value_kind:     hidden_grid_dims
    .group_segment_fixed_size: 4096
    .kernarg_segment_align: 8
    .kernarg_segment_size: 416
    .language:       OpenCL C
    .language_version:
      - 2
      - 0
    .max_flat_workgroup_size: 256
    .name:           _ZL20rocblas_gemvn_kernelILi64ELi4El19rocblas_complex_numIdES1_S1_EviiT3_lPKT2_lT1_lS5_lS6_lS2_lPT4_lS6_li
    .private_segment_fixed_size: 0
    .sgpr_count:     56
    .sgpr_spill_count: 0
    .symbol:         _ZL20rocblas_gemvn_kernelILi64ELi4El19rocblas_complex_numIdES1_S1_EviiT3_lPKT2_lT1_lS5_lS6_lS2_lPT4_lS6_li.kd
    .uniform_work_group_size: 1
    .uses_dynamic_stack: false
    .vgpr_count:     33
    .vgpr_spill_count: 0
    .wavefront_size: 32
    .workgroup_processor_mode: 1
  - .args:
      - .offset:         0
        .size:           4
        .value_kind:     by_value
      - .offset:         4
        .size:           4
        .value_kind:     by_value
      - .address_space:  global
        .offset:         8
        .size:           8
        .value_kind:     global_buffer
      - .offset:         16
        .size:           8
        .value_kind:     by_value
      - .address_space:  global
        .offset:         24
        .size:           8
        .value_kind:     global_buffer
      - .offset:         32
        .size:           8
        .value_kind:     by_value
      - .offset:         40
        .size:           4
        .value_kind:     by_value
      - .offset:         48
        .size:           8
        .value_kind:     by_value
      - .address_space:  global
        .offset:         56
        .size:           8
        .value_kind:     global_buffer
      - .offset:         64
        .size:           8
        .value_kind:     by_value
      - .offset:         72
        .size:           4
        .value_kind:     by_value
      - .offset:         80
        .size:           8
        .value_kind:     by_value
      - .address_space:  global
        .offset:         88
        .size:           8
        .value_kind:     global_buffer
      - .offset:         96
        .size:           8
        .value_kind:     by_value
      - .address_space:  global
        .offset:         104
        .size:           8
        .value_kind:     global_buffer
      - .offset:         112
        .size:           8
        .value_kind:     by_value
      - .offset:         120
        .size:           4
        .value_kind:     by_value
      - .offset:         128
        .size:           8
        .value_kind:     by_value
      - .offset:         136
        .size:           4
        .value_kind:     by_value
      - .offset:         144
        .size:           4
        .value_kind:     hidden_block_count_x
      - .offset:         148
        .size:           4
        .value_kind:     hidden_block_count_y
      - .offset:         152
        .size:           4
        .value_kind:     hidden_block_count_z
      - .offset:         156
        .size:           2
        .value_kind:     hidden_group_size_x
      - .offset:         158
        .size:           2
        .value_kind:     hidden_group_size_y
      - .offset:         160
        .size:           2
        .value_kind:     hidden_group_size_z
      - .offset:         162
        .size:           2
        .value_kind:     hidden_remainder_x
      - .offset:         164
        .size:           2
        .value_kind:     hidden_remainder_y
      - .offset:         166
        .size:           2
        .value_kind:     hidden_remainder_z
      - .offset:         184
        .size:           8
        .value_kind:     hidden_global_offset_x
      - .offset:         192
        .size:           8
        .value_kind:     hidden_global_offset_y
      - .offset:         200
        .size:           8
        .value_kind:     hidden_global_offset_z
      - .offset:         208
        .size:           2
        .value_kind:     hidden_grid_dims
    .group_segment_fixed_size: 8192
    .kernarg_segment_align: 8
    .kernarg_segment_size: 400
    .language:       OpenCL C
    .language_version:
      - 2
      - 0
    .max_flat_workgroup_size: 512
    .name:           _ZL20rocblas_gemvn_kernelILi32ELi16Ei19rocblas_complex_numIdEPKS1_S1_EviiT3_lPKT2_lT1_lS7_lS8_lS4_lPT4_lS8_li
    .private_segment_fixed_size: 0
    .sgpr_count:     48
    .sgpr_spill_count: 0
    .symbol:         _ZL20rocblas_gemvn_kernelILi32ELi16Ei19rocblas_complex_numIdEPKS1_S1_EviiT3_lPKT2_lT1_lS7_lS8_lS4_lPT4_lS8_li.kd
    .uniform_work_group_size: 1
    .uses_dynamic_stack: false
    .vgpr_count:     41
    .vgpr_spill_count: 0
    .wavefront_size: 32
    .workgroup_processor_mode: 1
  - .args:
      - .offset:         0
        .size:           4
        .value_kind:     by_value
      - .offset:         4
        .size:           4
        .value_kind:     by_value
      - .address_space:  global
        .offset:         8
        .size:           8
        .value_kind:     global_buffer
      - .offset:         16
        .size:           8
        .value_kind:     by_value
      - .address_space:  global
        .offset:         24
        .size:           8
        .value_kind:     global_buffer
      - .offset:         32
        .size:           8
        .value_kind:     by_value
      - .offset:         40
        .size:           8
        .value_kind:     by_value
      - .offset:         48
        .size:           8
        .value_kind:     by_value
      - .address_space:  global
        .offset:         56
        .size:           8
        .value_kind:     global_buffer
      - .offset:         64
        .size:           8
        .value_kind:     by_value
      - .offset:         72
        .size:           8
        .value_kind:     by_value
      - .offset:         80
        .size:           8
        .value_kind:     by_value
      - .address_space:  global
        .offset:         88
        .size:           8
        .value_kind:     global_buffer
      - .offset:         96
        .size:           8
        .value_kind:     by_value
      - .address_space:  global
        .offset:         104
        .size:           8
        .value_kind:     global_buffer
      - .offset:         112
        .size:           8
        .value_kind:     by_value
      - .offset:         120
        .size:           8
        .value_kind:     by_value
      - .offset:         128
        .size:           8
        .value_kind:     by_value
      - .offset:         136
        .size:           4
        .value_kind:     by_value
      - .offset:         144
        .size:           4
        .value_kind:     hidden_block_count_x
      - .offset:         148
        .size:           4
        .value_kind:     hidden_block_count_y
      - .offset:         152
        .size:           4
        .value_kind:     hidden_block_count_z
      - .offset:         156
        .size:           2
        .value_kind:     hidden_group_size_x
      - .offset:         158
        .size:           2
        .value_kind:     hidden_group_size_y
      - .offset:         160
        .size:           2
        .value_kind:     hidden_group_size_z
      - .offset:         162
        .size:           2
        .value_kind:     hidden_remainder_x
      - .offset:         164
        .size:           2
        .value_kind:     hidden_remainder_y
      - .offset:         166
        .size:           2
        .value_kind:     hidden_remainder_z
      - .offset:         184
        .size:           8
        .value_kind:     hidden_global_offset_x
      - .offset:         192
        .size:           8
        .value_kind:     hidden_global_offset_y
      - .offset:         200
        .size:           8
        .value_kind:     hidden_global_offset_z
      - .offset:         208
        .size:           2
        .value_kind:     hidden_grid_dims
    .group_segment_fixed_size: 8192
    .kernarg_segment_align: 8
    .kernarg_segment_size: 400
    .language:       OpenCL C
    .language_version:
      - 2
      - 0
    .max_flat_workgroup_size: 512
    .name:           _ZL20rocblas_gemvn_kernelILi32ELi16El19rocblas_complex_numIdEPKS1_S1_EviiT3_lPKT2_lT1_lS7_lS8_lS4_lPT4_lS8_li
    .private_segment_fixed_size: 0
    .sgpr_count:     54
    .sgpr_spill_count: 0
    .symbol:         _ZL20rocblas_gemvn_kernelILi32ELi16El19rocblas_complex_numIdEPKS1_S1_EviiT3_lPKT2_lT1_lS7_lS8_lS4_lPT4_lS8_li.kd
    .uniform_work_group_size: 1
    .uses_dynamic_stack: false
    .vgpr_count:     42
    .vgpr_spill_count: 0
    .wavefront_size: 32
    .workgroup_processor_mode: 1
  - .args:
      - .offset:         0
        .size:           4
        .value_kind:     by_value
      - .offset:         4
        .size:           4
        .value_kind:     by_value
      - .offset:         8
        .size:           16
        .value_kind:     by_value
      - .offset:         24
        .size:           8
        .value_kind:     by_value
      - .address_space:  global
        .offset:         32
        .size:           8
        .value_kind:     global_buffer
      - .offset:         40
        .size:           8
        .value_kind:     by_value
      - .offset:         48
        .size:           4
        .value_kind:     by_value
      - .offset:         56
        .size:           8
        .value_kind:     by_value
      - .address_space:  global
        .offset:         64
        .size:           8
        .value_kind:     global_buffer
      - .offset:         72
        .size:           8
        .value_kind:     by_value
      - .offset:         80
        .size:           4
        .value_kind:     by_value
      - .offset:         88
        .size:           8
        .value_kind:     by_value
      - .offset:         96
        .size:           16
        .value_kind:     by_value
      - .offset:         112
        .size:           8
        .value_kind:     by_value
      - .address_space:  global
        .offset:         120
        .size:           8
        .value_kind:     global_buffer
      - .offset:         128
        .size:           8
        .value_kind:     by_value
      - .offset:         136
        .size:           4
        .value_kind:     by_value
      - .offset:         144
        .size:           8
        .value_kind:     by_value
      - .offset:         152
        .size:           4
        .value_kind:     by_value
      - .offset:         160
        .size:           4
        .value_kind:     hidden_block_count_x
      - .offset:         164
        .size:           4
        .value_kind:     hidden_block_count_y
      - .offset:         168
        .size:           4
        .value_kind:     hidden_block_count_z
      - .offset:         172
        .size:           2
        .value_kind:     hidden_group_size_x
      - .offset:         174
        .size:           2
        .value_kind:     hidden_group_size_y
      - .offset:         176
        .size:           2
        .value_kind:     hidden_group_size_z
      - .offset:         178
        .size:           2
        .value_kind:     hidden_remainder_x
      - .offset:         180
        .size:           2
        .value_kind:     hidden_remainder_y
      - .offset:         182
        .size:           2
        .value_kind:     hidden_remainder_z
      - .offset:         200
        .size:           8
        .value_kind:     hidden_global_offset_x
      - .offset:         208
        .size:           8
        .value_kind:     hidden_global_offset_y
      - .offset:         216
        .size:           8
        .value_kind:     hidden_global_offset_z
      - .offset:         224
        .size:           2
        .value_kind:     hidden_grid_dims
    .group_segment_fixed_size: 8192
    .kernarg_segment_align: 8
    .kernarg_segment_size: 416
    .language:       OpenCL C
    .language_version:
      - 2
      - 0
    .max_flat_workgroup_size: 512
    .name:           _ZL20rocblas_gemvn_kernelILi32ELi16Ei19rocblas_complex_numIdES1_S1_EviiT3_lPKT2_lT1_lS5_lS6_lS2_lPT4_lS6_li
    .private_segment_fixed_size: 0
    .sgpr_count:     51
    .sgpr_spill_count: 0
    .symbol:         _ZL20rocblas_gemvn_kernelILi32ELi16Ei19rocblas_complex_numIdES1_S1_EviiT3_lPKT2_lT1_lS5_lS6_lS2_lPT4_lS6_li.kd
    .uniform_work_group_size: 1
    .uses_dynamic_stack: false
    .vgpr_count:     32
    .vgpr_spill_count: 0
    .wavefront_size: 32
    .workgroup_processor_mode: 1
  - .args:
      - .offset:         0
        .size:           4
        .value_kind:     by_value
      - .offset:         4
        .size:           4
        .value_kind:     by_value
      - .offset:         8
        .size:           16
        .value_kind:     by_value
      - .offset:         24
        .size:           8
        .value_kind:     by_value
      - .address_space:  global
        .offset:         32
        .size:           8
        .value_kind:     global_buffer
      - .offset:         40
        .size:           8
        .value_kind:     by_value
      - .offset:         48
        .size:           8
        .value_kind:     by_value
      - .offset:         56
        .size:           8
        .value_kind:     by_value
      - .address_space:  global
        .offset:         64
        .size:           8
        .value_kind:     global_buffer
      - .offset:         72
        .size:           8
        .value_kind:     by_value
      - .offset:         80
        .size:           8
        .value_kind:     by_value
      - .offset:         88
        .size:           8
        .value_kind:     by_value
      - .offset:         96
        .size:           16
        .value_kind:     by_value
      - .offset:         112
        .size:           8
        .value_kind:     by_value
      - .address_space:  global
        .offset:         120
        .size:           8
        .value_kind:     global_buffer
      - .offset:         128
        .size:           8
        .value_kind:     by_value
      - .offset:         136
        .size:           8
        .value_kind:     by_value
      - .offset:         144
        .size:           8
        .value_kind:     by_value
      - .offset:         152
        .size:           4
        .value_kind:     by_value
      - .offset:         160
        .size:           4
        .value_kind:     hidden_block_count_x
      - .offset:         164
        .size:           4
        .value_kind:     hidden_block_count_y
      - .offset:         168
        .size:           4
        .value_kind:     hidden_block_count_z
      - .offset:         172
        .size:           2
        .value_kind:     hidden_group_size_x
      - .offset:         174
        .size:           2
        .value_kind:     hidden_group_size_y
      - .offset:         176
        .size:           2
        .value_kind:     hidden_group_size_z
      - .offset:         178
        .size:           2
        .value_kind:     hidden_remainder_x
      - .offset:         180
        .size:           2
        .value_kind:     hidden_remainder_y
      - .offset:         182
        .size:           2
        .value_kind:     hidden_remainder_z
      - .offset:         200
        .size:           8
        .value_kind:     hidden_global_offset_x
      - .offset:         208
        .size:           8
        .value_kind:     hidden_global_offset_y
      - .offset:         216
        .size:           8
        .value_kind:     hidden_global_offset_z
      - .offset:         224
        .size:           2
        .value_kind:     hidden_grid_dims
    .group_segment_fixed_size: 8192
    .kernarg_segment_align: 8
    .kernarg_segment_size: 416
    .language:       OpenCL C
    .language_version:
      - 2
      - 0
    .max_flat_workgroup_size: 512
    .name:           _ZL20rocblas_gemvn_kernelILi32ELi16El19rocblas_complex_numIdES1_S1_EviiT3_lPKT2_lT1_lS5_lS6_lS2_lPT4_lS6_li
    .private_segment_fixed_size: 0
    .sgpr_count:     56
    .sgpr_spill_count: 0
    .symbol:         _ZL20rocblas_gemvn_kernelILi32ELi16El19rocblas_complex_numIdES1_S1_EviiT3_lPKT2_lT1_lS5_lS6_lS2_lPT4_lS6_li.kd
    .uniform_work_group_size: 1
    .uses_dynamic_stack: false
    .vgpr_count:     33
    .vgpr_spill_count: 0
    .wavefront_size: 32
    .workgroup_processor_mode: 1
  - .args:
      - .offset:         0
        .size:           4
        .value_kind:     by_value
      - .offset:         4
        .size:           4
        .value_kind:     by_value
      - .address_space:  global
        .offset:         8
        .size:           8
        .value_kind:     global_buffer
      - .offset:         16
        .size:           8
        .value_kind:     by_value
      - .address_space:  global
        .offset:         24
        .size:           8
        .value_kind:     global_buffer
      - .offset:         32
        .size:           8
        .value_kind:     by_value
      - .offset:         40
        .size:           4
        .value_kind:     by_value
      - .offset:         48
        .size:           8
        .value_kind:     by_value
      - .address_space:  global
        .offset:         56
        .size:           8
        .value_kind:     global_buffer
      - .offset:         64
        .size:           8
        .value_kind:     by_value
      - .offset:         72
        .size:           4
        .value_kind:     by_value
      - .offset:         80
        .size:           8
        .value_kind:     by_value
      - .address_space:  global
        .offset:         88
        .size:           8
        .value_kind:     global_buffer
      - .offset:         96
        .size:           8
        .value_kind:     by_value
      - .address_space:  global
        .offset:         104
        .size:           8
        .value_kind:     global_buffer
      - .offset:         112
        .size:           8
        .value_kind:     by_value
      - .offset:         120
        .size:           4
        .value_kind:     by_value
      - .offset:         128
        .size:           8
        .value_kind:     by_value
      - .offset:         136
        .size:           4
        .value_kind:     by_value
      - .offset:         144
        .size:           4
        .value_kind:     hidden_block_count_x
      - .offset:         148
        .size:           4
        .value_kind:     hidden_block_count_y
      - .offset:         152
        .size:           4
        .value_kind:     hidden_block_count_z
      - .offset:         156
        .size:           2
        .value_kind:     hidden_group_size_x
      - .offset:         158
        .size:           2
        .value_kind:     hidden_group_size_y
      - .offset:         160
        .size:           2
        .value_kind:     hidden_group_size_z
      - .offset:         162
        .size:           2
        .value_kind:     hidden_remainder_x
      - .offset:         164
        .size:           2
        .value_kind:     hidden_remainder_y
      - .offset:         166
        .size:           2
        .value_kind:     hidden_remainder_z
      - .offset:         184
        .size:           8
        .value_kind:     hidden_global_offset_x
      - .offset:         192
        .size:           8
        .value_kind:     hidden_global_offset_y
      - .offset:         200
        .size:           8
        .value_kind:     hidden_global_offset_z
      - .offset:         208
        .size:           2
        .value_kind:     hidden_grid_dims
    .group_segment_fixed_size: 16384
    .kernarg_segment_align: 8
    .kernarg_segment_size: 400
    .language:       OpenCL C
    .language_version:
      - 2
      - 0
    .max_flat_workgroup_size: 1024
    .name:           _ZL20rocblas_gemvn_kernelILi64ELi16Ei19rocblas_complex_numIdEPKS1_S1_EviiT3_lPKT2_lT1_lS7_lS8_lS4_lPT4_lS8_li
    .private_segment_fixed_size: 0
    .sgpr_count:     48
    .sgpr_spill_count: 0
    .symbol:         _ZL20rocblas_gemvn_kernelILi64ELi16Ei19rocblas_complex_numIdEPKS1_S1_EviiT3_lPKT2_lT1_lS7_lS8_lS4_lPT4_lS8_li.kd
    .uniform_work_group_size: 1
    .uses_dynamic_stack: false
    .vgpr_count:     39
    .vgpr_spill_count: 0
    .wavefront_size: 32
    .workgroup_processor_mode: 1
  - .args:
      - .offset:         0
        .size:           4
        .value_kind:     by_value
      - .offset:         4
        .size:           4
        .value_kind:     by_value
      - .address_space:  global
        .offset:         8
        .size:           8
        .value_kind:     global_buffer
      - .offset:         16
        .size:           8
        .value_kind:     by_value
      - .address_space:  global
        .offset:         24
        .size:           8
        .value_kind:     global_buffer
      - .offset:         32
        .size:           8
        .value_kind:     by_value
      - .offset:         40
        .size:           8
        .value_kind:     by_value
      - .offset:         48
        .size:           8
        .value_kind:     by_value
      - .address_space:  global
        .offset:         56
        .size:           8
        .value_kind:     global_buffer
      - .offset:         64
        .size:           8
        .value_kind:     by_value
      - .offset:         72
        .size:           8
        .value_kind:     by_value
      - .offset:         80
        .size:           8
        .value_kind:     by_value
      - .address_space:  global
        .offset:         88
        .size:           8
        .value_kind:     global_buffer
      - .offset:         96
        .size:           8
        .value_kind:     by_value
      - .address_space:  global
        .offset:         104
        .size:           8
        .value_kind:     global_buffer
      - .offset:         112
        .size:           8
        .value_kind:     by_value
      - .offset:         120
        .size:           8
        .value_kind:     by_value
      - .offset:         128
        .size:           8
        .value_kind:     by_value
      - .offset:         136
        .size:           4
        .value_kind:     by_value
      - .offset:         144
        .size:           4
        .value_kind:     hidden_block_count_x
      - .offset:         148
        .size:           4
        .value_kind:     hidden_block_count_y
      - .offset:         152
        .size:           4
        .value_kind:     hidden_block_count_z
      - .offset:         156
        .size:           2
        .value_kind:     hidden_group_size_x
      - .offset:         158
        .size:           2
        .value_kind:     hidden_group_size_y
      - .offset:         160
        .size:           2
        .value_kind:     hidden_group_size_z
      - .offset:         162
        .size:           2
        .value_kind:     hidden_remainder_x
      - .offset:         164
        .size:           2
        .value_kind:     hidden_remainder_y
      - .offset:         166
        .size:           2
        .value_kind:     hidden_remainder_z
      - .offset:         184
        .size:           8
        .value_kind:     hidden_global_offset_x
      - .offset:         192
        .size:           8
        .value_kind:     hidden_global_offset_y
      - .offset:         200
        .size:           8
        .value_kind:     hidden_global_offset_z
      - .offset:         208
        .size:           2
        .value_kind:     hidden_grid_dims
    .group_segment_fixed_size: 16384
    .kernarg_segment_align: 8
    .kernarg_segment_size: 400
    .language:       OpenCL C
    .language_version:
      - 2
      - 0
    .max_flat_workgroup_size: 1024
    .name:           _ZL20rocblas_gemvn_kernelILi64ELi16El19rocblas_complex_numIdEPKS1_S1_EviiT3_lPKT2_lT1_lS7_lS8_lS4_lPT4_lS8_li
    .private_segment_fixed_size: 0
    .sgpr_count:     54
    .sgpr_spill_count: 0
    .symbol:         _ZL20rocblas_gemvn_kernelILi64ELi16El19rocblas_complex_numIdEPKS1_S1_EviiT3_lPKT2_lT1_lS7_lS8_lS4_lPT4_lS8_li.kd
    .uniform_work_group_size: 1
    .uses_dynamic_stack: false
    .vgpr_count:     42
    .vgpr_spill_count: 0
    .wavefront_size: 32
    .workgroup_processor_mode: 1
  - .args:
      - .offset:         0
        .size:           4
        .value_kind:     by_value
      - .offset:         4
        .size:           4
        .value_kind:     by_value
      - .offset:         8
        .size:           16
        .value_kind:     by_value
      - .offset:         24
        .size:           8
        .value_kind:     by_value
      - .address_space:  global
        .offset:         32
        .size:           8
        .value_kind:     global_buffer
      - .offset:         40
        .size:           8
        .value_kind:     by_value
      - .offset:         48
        .size:           4
        .value_kind:     by_value
      - .offset:         56
        .size:           8
        .value_kind:     by_value
      - .address_space:  global
        .offset:         64
        .size:           8
        .value_kind:     global_buffer
      - .offset:         72
        .size:           8
        .value_kind:     by_value
      - .offset:         80
        .size:           4
        .value_kind:     by_value
      - .offset:         88
        .size:           8
        .value_kind:     by_value
      - .offset:         96
        .size:           16
        .value_kind:     by_value
      - .offset:         112
        .size:           8
        .value_kind:     by_value
      - .address_space:  global
        .offset:         120
        .size:           8
        .value_kind:     global_buffer
      - .offset:         128
        .size:           8
        .value_kind:     by_value
      - .offset:         136
        .size:           4
        .value_kind:     by_value
      - .offset:         144
        .size:           8
        .value_kind:     by_value
      - .offset:         152
        .size:           4
        .value_kind:     by_value
      - .offset:         160
        .size:           4
        .value_kind:     hidden_block_count_x
      - .offset:         164
        .size:           4
        .value_kind:     hidden_block_count_y
      - .offset:         168
        .size:           4
        .value_kind:     hidden_block_count_z
      - .offset:         172
        .size:           2
        .value_kind:     hidden_group_size_x
      - .offset:         174
        .size:           2
        .value_kind:     hidden_group_size_y
      - .offset:         176
        .size:           2
        .value_kind:     hidden_group_size_z
      - .offset:         178
        .size:           2
        .value_kind:     hidden_remainder_x
      - .offset:         180
        .size:           2
        .value_kind:     hidden_remainder_y
      - .offset:         182
        .size:           2
        .value_kind:     hidden_remainder_z
      - .offset:         200
        .size:           8
        .value_kind:     hidden_global_offset_x
      - .offset:         208
        .size:           8
        .value_kind:     hidden_global_offset_y
      - .offset:         216
        .size:           8
        .value_kind:     hidden_global_offset_z
      - .offset:         224
        .size:           2
        .value_kind:     hidden_grid_dims
    .group_segment_fixed_size: 16384
    .kernarg_segment_align: 8
    .kernarg_segment_size: 416
    .language:       OpenCL C
    .language_version:
      - 2
      - 0
    .max_flat_workgroup_size: 1024
    .name:           _ZL20rocblas_gemvn_kernelILi64ELi16Ei19rocblas_complex_numIdES1_S1_EviiT3_lPKT2_lT1_lS5_lS6_lS2_lPT4_lS6_li
    .private_segment_fixed_size: 0
    .sgpr_count:     51
    .sgpr_spill_count: 0
    .symbol:         _ZL20rocblas_gemvn_kernelILi64ELi16Ei19rocblas_complex_numIdES1_S1_EviiT3_lPKT2_lT1_lS5_lS6_lS2_lPT4_lS6_li.kd
    .uniform_work_group_size: 1
    .uses_dynamic_stack: false
    .vgpr_count:     30
    .vgpr_spill_count: 0
    .wavefront_size: 32
    .workgroup_processor_mode: 1
  - .args:
      - .offset:         0
        .size:           4
        .value_kind:     by_value
      - .offset:         4
        .size:           4
        .value_kind:     by_value
      - .offset:         8
        .size:           16
        .value_kind:     by_value
      - .offset:         24
        .size:           8
        .value_kind:     by_value
      - .address_space:  global
        .offset:         32
        .size:           8
        .value_kind:     global_buffer
      - .offset:         40
        .size:           8
        .value_kind:     by_value
      - .offset:         48
        .size:           8
        .value_kind:     by_value
      - .offset:         56
        .size:           8
        .value_kind:     by_value
      - .address_space:  global
        .offset:         64
        .size:           8
        .value_kind:     global_buffer
      - .offset:         72
        .size:           8
        .value_kind:     by_value
      - .offset:         80
        .size:           8
        .value_kind:     by_value
      - .offset:         88
        .size:           8
        .value_kind:     by_value
      - .offset:         96
        .size:           16
        .value_kind:     by_value
      - .offset:         112
        .size:           8
        .value_kind:     by_value
      - .address_space:  global
        .offset:         120
        .size:           8
        .value_kind:     global_buffer
      - .offset:         128
        .size:           8
        .value_kind:     by_value
      - .offset:         136
        .size:           8
        .value_kind:     by_value
      - .offset:         144
        .size:           8
        .value_kind:     by_value
      - .offset:         152
        .size:           4
        .value_kind:     by_value
      - .offset:         160
        .size:           4
        .value_kind:     hidden_block_count_x
      - .offset:         164
        .size:           4
        .value_kind:     hidden_block_count_y
      - .offset:         168
        .size:           4
        .value_kind:     hidden_block_count_z
      - .offset:         172
        .size:           2
        .value_kind:     hidden_group_size_x
      - .offset:         174
        .size:           2
        .value_kind:     hidden_group_size_y
      - .offset:         176
        .size:           2
        .value_kind:     hidden_group_size_z
      - .offset:         178
        .size:           2
        .value_kind:     hidden_remainder_x
      - .offset:         180
        .size:           2
        .value_kind:     hidden_remainder_y
      - .offset:         182
        .size:           2
        .value_kind:     hidden_remainder_z
      - .offset:         200
        .size:           8
        .value_kind:     hidden_global_offset_x
      - .offset:         208
        .size:           8
        .value_kind:     hidden_global_offset_y
      - .offset:         216
        .size:           8
        .value_kind:     hidden_global_offset_z
      - .offset:         224
        .size:           2
        .value_kind:     hidden_grid_dims
    .group_segment_fixed_size: 16384
    .kernarg_segment_align: 8
    .kernarg_segment_size: 416
    .language:       OpenCL C
    .language_version:
      - 2
      - 0
    .max_flat_workgroup_size: 1024
    .name:           _ZL20rocblas_gemvn_kernelILi64ELi16El19rocblas_complex_numIdES1_S1_EviiT3_lPKT2_lT1_lS5_lS6_lS2_lPT4_lS6_li
    .private_segment_fixed_size: 0
    .sgpr_count:     56
    .sgpr_spill_count: 0
    .symbol:         _ZL20rocblas_gemvn_kernelILi64ELi16El19rocblas_complex_numIdES1_S1_EviiT3_lPKT2_lT1_lS5_lS6_lS2_lPT4_lS6_li.kd
    .uniform_work_group_size: 1
    .uses_dynamic_stack: false
    .vgpr_count:     33
    .vgpr_spill_count: 0
    .wavefront_size: 32
    .workgroup_processor_mode: 1
  - .args:
      - .offset:         0
        .size:           4
        .value_kind:     by_value
      - .offset:         4
        .size:           4
        .value_kind:     by_value
      - .address_space:  global
        .offset:         8
        .size:           8
        .value_kind:     global_buffer
      - .offset:         16
        .size:           8
        .value_kind:     by_value
      - .address_space:  global
        .offset:         24
        .size:           8
        .value_kind:     global_buffer
      - .offset:         32
        .size:           8
        .value_kind:     by_value
      - .offset:         40
        .size:           4
        .value_kind:     by_value
      - .offset:         48
        .size:           8
        .value_kind:     by_value
      - .address_space:  global
        .offset:         56
        .size:           8
        .value_kind:     global_buffer
      - .offset:         64
        .size:           8
        .value_kind:     by_value
      - .offset:         72
        .size:           4
        .value_kind:     by_value
      - .offset:         80
        .size:           8
        .value_kind:     by_value
      - .address_space:  global
        .offset:         88
        .size:           8
        .value_kind:     global_buffer
      - .offset:         96
        .size:           8
        .value_kind:     by_value
      - .address_space:  global
        .offset:         104
        .size:           8
        .value_kind:     global_buffer
      - .offset:         112
        .size:           8
        .value_kind:     by_value
      - .offset:         120
        .size:           4
        .value_kind:     by_value
      - .offset:         128
        .size:           8
        .value_kind:     by_value
    .group_segment_fixed_size: 1024
    .kernarg_segment_align: 8
    .kernarg_segment_size: 136
    .language:       OpenCL C
    .language_version:
      - 2
      - 0
    .max_flat_workgroup_size: 256
    .name:           _ZL22rocblas_gemvtsm_kernelILb0ELi256E19rocblas_complex_numIdEPKS1_S1_EviiT2_lPKT1_lilS7_lilS4_lPT3_lil
    .private_segment_fixed_size: 0
    .sgpr_count:     40
    .sgpr_spill_count: 0
    .symbol:         _ZL22rocblas_gemvtsm_kernelILb0ELi256E19rocblas_complex_numIdEPKS1_S1_EviiT2_lPKT1_lilS7_lilS4_lPT3_lil.kd
    .uniform_work_group_size: 1
    .uses_dynamic_stack: false
    .vgpr_count:     62
    .vgpr_spill_count: 0
    .wavefront_size: 32
    .workgroup_processor_mode: 1
  - .args:
      - .offset:         0
        .size:           4
        .value_kind:     by_value
      - .offset:         4
        .size:           4
        .value_kind:     by_value
      - .offset:         8
        .size:           16
        .value_kind:     by_value
      - .offset:         24
        .size:           8
        .value_kind:     by_value
      - .address_space:  global
        .offset:         32
        .size:           8
        .value_kind:     global_buffer
      - .offset:         40
        .size:           8
        .value_kind:     by_value
      - .offset:         48
        .size:           4
        .value_kind:     by_value
      - .offset:         56
        .size:           8
        .value_kind:     by_value
      - .address_space:  global
        .offset:         64
        .size:           8
        .value_kind:     global_buffer
      - .offset:         72
        .size:           8
        .value_kind:     by_value
      - .offset:         80
        .size:           4
        .value_kind:     by_value
      - .offset:         88
        .size:           8
        .value_kind:     by_value
      - .offset:         96
        .size:           16
        .value_kind:     by_value
      - .offset:         112
        .size:           8
        .value_kind:     by_value
      - .address_space:  global
        .offset:         120
        .size:           8
        .value_kind:     global_buffer
      - .offset:         128
        .size:           8
        .value_kind:     by_value
      - .offset:         136
        .size:           4
        .value_kind:     by_value
      - .offset:         144
        .size:           8
        .value_kind:     by_value
    .group_segment_fixed_size: 1024
    .kernarg_segment_align: 8
    .kernarg_segment_size: 152
    .language:       OpenCL C
    .language_version:
      - 2
      - 0
    .max_flat_workgroup_size: 256
    .name:           _ZL22rocblas_gemvtsm_kernelILb0ELi256E19rocblas_complex_numIdES1_S1_EviiT2_lPKT1_lilS5_lilS2_lPT3_lil
    .private_segment_fixed_size: 0
    .sgpr_count:     34
    .sgpr_spill_count: 0
    .symbol:         _ZL22rocblas_gemvtsm_kernelILb0ELi256E19rocblas_complex_numIdES1_S1_EviiT2_lPKT1_lilS5_lilS2_lPT3_lil.kd
    .uniform_work_group_size: 1
    .uses_dynamic_stack: false
    .vgpr_count:     62
    .vgpr_spill_count: 0
    .wavefront_size: 32
    .workgroup_processor_mode: 1
  - .args:
      - .offset:         0
        .size:           4
        .value_kind:     by_value
      - .offset:         4
        .size:           4
        .value_kind:     by_value
      - .address_space:  global
        .offset:         8
        .size:           8
        .value_kind:     global_buffer
      - .offset:         16
        .size:           8
        .value_kind:     by_value
      - .address_space:  global
        .offset:         24
        .size:           8
        .value_kind:     global_buffer
      - .offset:         32
        .size:           8
        .value_kind:     by_value
      - .offset:         40
        .size:           4
        .value_kind:     by_value
      - .offset:         48
        .size:           8
        .value_kind:     by_value
      - .address_space:  global
        .offset:         56
        .size:           8
        .value_kind:     global_buffer
      - .offset:         64
        .size:           8
        .value_kind:     by_value
      - .offset:         72
        .size:           4
        .value_kind:     by_value
      - .offset:         80
        .size:           8
        .value_kind:     by_value
      - .address_space:  global
        .offset:         88
        .size:           8
        .value_kind:     global_buffer
      - .offset:         96
        .size:           4
        .value_kind:     by_value
      - .offset:         104
        .size:           4
        .value_kind:     hidden_block_count_x
      - .offset:         108
        .size:           4
        .value_kind:     hidden_block_count_y
      - .offset:         112
        .size:           4
        .value_kind:     hidden_block_count_z
      - .offset:         116
        .size:           2
        .value_kind:     hidden_group_size_x
      - .offset:         118
        .size:           2
        .value_kind:     hidden_group_size_y
      - .offset:         120
        .size:           2
        .value_kind:     hidden_group_size_z
      - .offset:         122
        .size:           2
        .value_kind:     hidden_remainder_x
      - .offset:         124
        .size:           2
        .value_kind:     hidden_remainder_y
      - .offset:         126
        .size:           2
        .value_kind:     hidden_remainder_z
      - .offset:         144
        .size:           8
        .value_kind:     hidden_global_offset_x
      - .offset:         152
        .size:           8
        .value_kind:     hidden_global_offset_y
      - .offset:         160
        .size:           8
        .value_kind:     hidden_global_offset_z
      - .offset:         168
        .size:           2
        .value_kind:     hidden_grid_dims
    .group_segment_fixed_size: 512
    .kernarg_segment_align: 8
    .kernarg_segment_size: 360
    .language:       OpenCL C
    .language_version:
      - 2
      - 0
    .max_flat_workgroup_size: 256
    .name:           _ZL23rocblas_gemvt_sn_kernelILb0ELi256ELi4Ei19rocblas_complex_numIdEPKS1_S1_EviiT4_lPKT3_lilS7_lilPT5_i
    .private_segment_fixed_size: 80
    .sgpr_count:     82
    .sgpr_spill_count: 0
    .symbol:         _ZL23rocblas_gemvt_sn_kernelILb0ELi256ELi4Ei19rocblas_complex_numIdEPKS1_S1_EviiT4_lPKT3_lilS7_lilPT5_i.kd
    .uniform_work_group_size: 1
    .uses_dynamic_stack: false
    .vgpr_count:     113
    .vgpr_spill_count: 0
    .wavefront_size: 32
    .workgroup_processor_mode: 1
  - .args:
      - .offset:         0
        .size:           4
        .value_kind:     by_value
      - .offset:         4
        .size:           4
        .value_kind:     by_value
      - .address_space:  global
        .offset:         8
        .size:           8
        .value_kind:     global_buffer
      - .offset:         16
        .size:           8
        .value_kind:     by_value
      - .address_space:  global
        .offset:         24
        .size:           8
        .value_kind:     global_buffer
      - .offset:         32
        .size:           8
        .value_kind:     by_value
      - .offset:         40
        .size:           4
        .value_kind:     by_value
      - .offset:         48
        .size:           8
        .value_kind:     by_value
      - .address_space:  global
        .offset:         56
        .size:           8
        .value_kind:     global_buffer
      - .offset:         64
        .size:           8
        .value_kind:     by_value
      - .offset:         72
        .size:           4
        .value_kind:     by_value
      - .offset:         80
        .size:           8
        .value_kind:     by_value
      - .address_space:  global
        .offset:         88
        .size:           8
        .value_kind:     global_buffer
      - .offset:         96
        .size:           4
        .value_kind:     by_value
      - .offset:         104
        .size:           4
        .value_kind:     hidden_block_count_x
      - .offset:         108
        .size:           4
        .value_kind:     hidden_block_count_y
      - .offset:         112
        .size:           4
        .value_kind:     hidden_block_count_z
      - .offset:         116
        .size:           2
        .value_kind:     hidden_group_size_x
      - .offset:         118
        .size:           2
        .value_kind:     hidden_group_size_y
      - .offset:         120
        .size:           2
        .value_kind:     hidden_group_size_z
      - .offset:         122
        .size:           2
        .value_kind:     hidden_remainder_x
      - .offset:         124
        .size:           2
        .value_kind:     hidden_remainder_y
      - .offset:         126
        .size:           2
        .value_kind:     hidden_remainder_z
      - .offset:         144
        .size:           8
        .value_kind:     hidden_global_offset_x
      - .offset:         152
        .size:           8
        .value_kind:     hidden_global_offset_y
      - .offset:         160
        .size:           8
        .value_kind:     hidden_global_offset_z
      - .offset:         168
        .size:           2
        .value_kind:     hidden_grid_dims
    .group_segment_fixed_size: 512
    .kernarg_segment_align: 8
    .kernarg_segment_size: 360
    .language:       OpenCL C
    .language_version:
      - 2
      - 0
    .max_flat_workgroup_size: 256
    .name:           _ZL23rocblas_gemvt_sn_kernelILb0ELi256ELi4El19rocblas_complex_numIdEPKS1_S1_EviiT4_lPKT3_lilS7_lilPT5_i
    .private_segment_fixed_size: 80
    .sgpr_count:     78
    .sgpr_spill_count: 0
    .symbol:         _ZL23rocblas_gemvt_sn_kernelILb0ELi256ELi4El19rocblas_complex_numIdEPKS1_S1_EviiT4_lPKT3_lilS7_lilPT5_i.kd
    .uniform_work_group_size: 1
    .uses_dynamic_stack: false
    .vgpr_count:     116
    .vgpr_spill_count: 0
    .wavefront_size: 32
    .workgroup_processor_mode: 1
  - .args:
      - .offset:         0
        .size:           4
        .value_kind:     by_value
      - .address_space:  global
        .offset:         8
        .size:           8
        .value_kind:     global_buffer
      - .offset:         16
        .size:           8
        .value_kind:     by_value
      - .address_space:  global
        .offset:         24
        .size:           8
        .value_kind:     global_buffer
      - .offset:         32
        .size:           8
        .value_kind:     by_value
      - .offset:         40
        .size:           4
        .value_kind:     by_value
      - .offset:         48
        .size:           8
        .value_kind:     by_value
      - .actual_access:  read_only
        .address_space:  global
        .offset:         56
        .size:           8
        .value_kind:     global_buffer
      - .offset:         64
        .size:           4
        .value_kind:     by_value
      - .offset:         72
        .size:           4
        .value_kind:     hidden_block_count_x
      - .offset:         76
        .size:           4
        .value_kind:     hidden_block_count_y
      - .offset:         80
        .size:           4
        .value_kind:     hidden_block_count_z
      - .offset:         84
        .size:           2
        .value_kind:     hidden_group_size_x
      - .offset:         86
        .size:           2
        .value_kind:     hidden_group_size_y
      - .offset:         88
        .size:           2
        .value_kind:     hidden_group_size_z
      - .offset:         90
        .size:           2
        .value_kind:     hidden_remainder_x
      - .offset:         92
        .size:           2
        .value_kind:     hidden_remainder_y
      - .offset:         94
        .size:           2
        .value_kind:     hidden_remainder_z
      - .offset:         112
        .size:           8
        .value_kind:     hidden_global_offset_x
      - .offset:         120
        .size:           8
        .value_kind:     hidden_global_offset_y
      - .offset:         128
        .size:           8
        .value_kind:     hidden_global_offset_z
      - .offset:         136
        .size:           2
        .value_kind:     hidden_grid_dims
    .group_segment_fixed_size: 512
    .kernarg_segment_align: 8
    .kernarg_segment_size: 328
    .language:       OpenCL C
    .language_version:
      - 2
      - 0
    .max_flat_workgroup_size: 256
    .name:           _ZL23rocblas_gemvt_sn_reduceILi256ELi8E19rocblas_complex_numIdEPKS1_S1_EviT2_lPT3_lilPT1_i
    .private_segment_fixed_size: 0
    .sgpr_count:     40
    .sgpr_spill_count: 0
    .symbol:         _ZL23rocblas_gemvt_sn_reduceILi256ELi8E19rocblas_complex_numIdEPKS1_S1_EviT2_lPT3_lilPT1_i.kd
    .uniform_work_group_size: 1
    .uses_dynamic_stack: false
    .vgpr_count:     59
    .vgpr_spill_count: 0
    .wavefront_size: 32
    .workgroup_processor_mode: 1
  - .args:
      - .offset:         0
        .size:           4
        .value_kind:     by_value
      - .offset:         4
        .size:           4
        .value_kind:     by_value
      - .offset:         8
        .size:           16
        .value_kind:     by_value
      - .offset:         24
        .size:           8
        .value_kind:     by_value
      - .address_space:  global
        .offset:         32
        .size:           8
        .value_kind:     global_buffer
      - .offset:         40
        .size:           8
        .value_kind:     by_value
      - .offset:         48
        .size:           4
        .value_kind:     by_value
      - .offset:         56
        .size:           8
        .value_kind:     by_value
      - .address_space:  global
        .offset:         64
        .size:           8
        .value_kind:     global_buffer
      - .offset:         72
        .size:           8
        .value_kind:     by_value
      - .offset:         80
        .size:           4
        .value_kind:     by_value
      - .offset:         88
        .size:           8
        .value_kind:     by_value
      - .address_space:  global
        .offset:         96
        .size:           8
        .value_kind:     global_buffer
      - .offset:         104
        .size:           4
        .value_kind:     by_value
      - .offset:         112
        .size:           4
        .value_kind:     hidden_block_count_x
      - .offset:         116
        .size:           4
        .value_kind:     hidden_block_count_y
      - .offset:         120
        .size:           4
        .value_kind:     hidden_block_count_z
      - .offset:         124
        .size:           2
        .value_kind:     hidden_group_size_x
      - .offset:         126
        .size:           2
        .value_kind:     hidden_group_size_y
      - .offset:         128
        .size:           2
        .value_kind:     hidden_group_size_z
      - .offset:         130
        .size:           2
        .value_kind:     hidden_remainder_x
      - .offset:         132
        .size:           2
        .value_kind:     hidden_remainder_y
      - .offset:         134
        .size:           2
        .value_kind:     hidden_remainder_z
      - .offset:         152
        .size:           8
        .value_kind:     hidden_global_offset_x
      - .offset:         160
        .size:           8
        .value_kind:     hidden_global_offset_y
      - .offset:         168
        .size:           8
        .value_kind:     hidden_global_offset_z
      - .offset:         176
        .size:           2
        .value_kind:     hidden_grid_dims
    .group_segment_fixed_size: 512
    .kernarg_segment_align: 8
    .kernarg_segment_size: 368
    .language:       OpenCL C
    .language_version:
      - 2
      - 0
    .max_flat_workgroup_size: 256
    .name:           _ZL23rocblas_gemvt_sn_kernelILb0ELi256ELi4Ei19rocblas_complex_numIdES1_S1_EviiT4_lPKT3_lilS5_lilPT5_i
    .private_segment_fixed_size: 80
    .sgpr_count:     84
    .sgpr_spill_count: 0
    .symbol:         _ZL23rocblas_gemvt_sn_kernelILb0ELi256ELi4Ei19rocblas_complex_numIdES1_S1_EviiT4_lPKT3_lilS5_lilPT5_i.kd
    .uniform_work_group_size: 1
    .uses_dynamic_stack: false
    .vgpr_count:     129
    .vgpr_spill_count: 0
    .wavefront_size: 32
    .workgroup_processor_mode: 1
  - .args:
      - .offset:         0
        .size:           4
        .value_kind:     by_value
      - .offset:         4
        .size:           4
        .value_kind:     by_value
      - .offset:         8
        .size:           16
        .value_kind:     by_value
      - .offset:         24
        .size:           8
        .value_kind:     by_value
      - .address_space:  global
        .offset:         32
        .size:           8
        .value_kind:     global_buffer
      - .offset:         40
        .size:           8
        .value_kind:     by_value
      - .offset:         48
        .size:           4
        .value_kind:     by_value
      - .offset:         56
        .size:           8
        .value_kind:     by_value
      - .address_space:  global
        .offset:         64
        .size:           8
        .value_kind:     global_buffer
      - .offset:         72
        .size:           8
        .value_kind:     by_value
      - .offset:         80
        .size:           4
        .value_kind:     by_value
      - .offset:         88
        .size:           8
        .value_kind:     by_value
      - .address_space:  global
        .offset:         96
        .size:           8
        .value_kind:     global_buffer
      - .offset:         104
        .size:           4
        .value_kind:     by_value
      - .offset:         112
        .size:           4
        .value_kind:     hidden_block_count_x
      - .offset:         116
        .size:           4
        .value_kind:     hidden_block_count_y
      - .offset:         120
        .size:           4
        .value_kind:     hidden_block_count_z
      - .offset:         124
        .size:           2
        .value_kind:     hidden_group_size_x
      - .offset:         126
        .size:           2
        .value_kind:     hidden_group_size_y
      - .offset:         128
        .size:           2
        .value_kind:     hidden_group_size_z
      - .offset:         130
        .size:           2
        .value_kind:     hidden_remainder_x
      - .offset:         132
        .size:           2
        .value_kind:     hidden_remainder_y
      - .offset:         134
        .size:           2
        .value_kind:     hidden_remainder_z
      - .offset:         152
        .size:           8
        .value_kind:     hidden_global_offset_x
      - .offset:         160
        .size:           8
        .value_kind:     hidden_global_offset_y
      - .offset:         168
        .size:           8
        .value_kind:     hidden_global_offset_z
      - .offset:         176
        .size:           2
        .value_kind:     hidden_grid_dims
    .group_segment_fixed_size: 512
    .kernarg_segment_align: 8
    .kernarg_segment_size: 368
    .language:       OpenCL C
    .language_version:
      - 2
      - 0
    .max_flat_workgroup_size: 256
    .name:           _ZL23rocblas_gemvt_sn_kernelILb0ELi256ELi4El19rocblas_complex_numIdES1_S1_EviiT4_lPKT3_lilS5_lilPT5_i
    .private_segment_fixed_size: 80
    .sgpr_count:     78
    .sgpr_spill_count: 0
    .symbol:         _ZL23rocblas_gemvt_sn_kernelILb0ELi256ELi4El19rocblas_complex_numIdES1_S1_EviiT4_lPKT3_lilS5_lilPT5_i.kd
    .uniform_work_group_size: 1
    .uses_dynamic_stack: false
    .vgpr_count:     134
    .vgpr_spill_count: 0
    .wavefront_size: 32
    .workgroup_processor_mode: 1
  - .args:
      - .offset:         0
        .size:           4
        .value_kind:     by_value
      - .offset:         8
        .size:           16
        .value_kind:     by_value
      - .offset:         24
        .size:           8
        .value_kind:     by_value
      - .address_space:  global
        .offset:         32
        .size:           8
        .value_kind:     global_buffer
      - .offset:         40
        .size:           8
        .value_kind:     by_value
      - .offset:         48
        .size:           4
        .value_kind:     by_value
      - .offset:         56
        .size:           8
        .value_kind:     by_value
      - .actual_access:  read_only
        .address_space:  global
        .offset:         64
        .size:           8
        .value_kind:     global_buffer
      - .offset:         72
        .size:           4
        .value_kind:     by_value
      - .offset:         80
        .size:           4
        .value_kind:     hidden_block_count_x
      - .offset:         84
        .size:           4
        .value_kind:     hidden_block_count_y
      - .offset:         88
        .size:           4
        .value_kind:     hidden_block_count_z
      - .offset:         92
        .size:           2
        .value_kind:     hidden_group_size_x
      - .offset:         94
        .size:           2
        .value_kind:     hidden_group_size_y
      - .offset:         96
        .size:           2
        .value_kind:     hidden_group_size_z
      - .offset:         98
        .size:           2
        .value_kind:     hidden_remainder_x
      - .offset:         100
        .size:           2
        .value_kind:     hidden_remainder_y
      - .offset:         102
        .size:           2
        .value_kind:     hidden_remainder_z
      - .offset:         120
        .size:           8
        .value_kind:     hidden_global_offset_x
      - .offset:         128
        .size:           8
        .value_kind:     hidden_global_offset_y
      - .offset:         136
        .size:           8
        .value_kind:     hidden_global_offset_z
      - .offset:         144
        .size:           2
        .value_kind:     hidden_grid_dims
    .group_segment_fixed_size: 512
    .kernarg_segment_align: 8
    .kernarg_segment_size: 336
    .language:       OpenCL C
    .language_version:
      - 2
      - 0
    .max_flat_workgroup_size: 256
    .name:           _ZL23rocblas_gemvt_sn_reduceILi256ELi8E19rocblas_complex_numIdES1_S1_EviT2_lPT3_lilPT1_i
    .private_segment_fixed_size: 0
    .sgpr_count:     40
    .sgpr_spill_count: 0
    .symbol:         _ZL23rocblas_gemvt_sn_reduceILi256ELi8E19rocblas_complex_numIdES1_S1_EviT2_lPT3_lilPT1_i.kd
    .uniform_work_group_size: 1
    .uses_dynamic_stack: false
    .vgpr_count:     54
    .vgpr_spill_count: 0
    .wavefront_size: 32
    .workgroup_processor_mode: 1
  - .args:
      - .offset:         0
        .size:           4
        .value_kind:     by_value
      - .offset:         4
        .size:           4
        .value_kind:     by_value
      - .address_space:  global
        .offset:         8
        .size:           8
        .value_kind:     global_buffer
      - .offset:         16
        .size:           8
        .value_kind:     by_value
      - .address_space:  global
        .offset:         24
        .size:           8
        .value_kind:     global_buffer
      - .offset:         32
        .size:           8
        .value_kind:     by_value
      - .offset:         40
        .size:           4
        .value_kind:     by_value
      - .offset:         48
        .size:           8
        .value_kind:     by_value
      - .address_space:  global
        .offset:         56
        .size:           8
        .value_kind:     global_buffer
      - .offset:         64
        .size:           8
        .value_kind:     by_value
      - .offset:         72
        .size:           4
        .value_kind:     by_value
      - .offset:         80
        .size:           8
        .value_kind:     by_value
      - .address_space:  global
        .offset:         88
        .size:           8
        .value_kind:     global_buffer
      - .offset:         96
        .size:           8
        .value_kind:     by_value
      - .address_space:  global
        .offset:         104
        .size:           8
        .value_kind:     global_buffer
      - .offset:         112
        .size:           8
        .value_kind:     by_value
      - .offset:         120
        .size:           4
        .value_kind:     by_value
      - .offset:         128
        .size:           8
        .value_kind:     by_value
      - .offset:         136
        .size:           4
        .value_kind:     by_value
    .group_segment_fixed_size: 512
    .kernarg_segment_align: 8
    .kernarg_segment_size: 140
    .language:       OpenCL C
    .language_version:
      - 2
      - 0
    .max_flat_workgroup_size: 256
    .name:           _ZL32rocblas_gemvt_warp_reduce_kernelILb0ELi256Ei19rocblas_complex_numIdEPKS1_S1_EviiT3_lPKT2_lT1_lS7_lS8_lS4_lPT4_lS8_li
    .private_segment_fixed_size: 0
    .sgpr_count:     46
    .sgpr_spill_count: 0
    .symbol:         _ZL32rocblas_gemvt_warp_reduce_kernelILb0ELi256Ei19rocblas_complex_numIdEPKS1_S1_EviiT3_lPKT2_lT1_lS7_lS8_lS4_lPT4_lS8_li.kd
    .uniform_work_group_size: 1
    .uses_dynamic_stack: false
    .vgpr_count:     39
    .vgpr_spill_count: 0
    .wavefront_size: 32
    .workgroup_processor_mode: 1
  - .args:
      - .offset:         0
        .size:           4
        .value_kind:     by_value
      - .offset:         4
        .size:           4
        .value_kind:     by_value
      - .address_space:  global
        .offset:         8
        .size:           8
        .value_kind:     global_buffer
      - .offset:         16
        .size:           8
        .value_kind:     by_value
      - .address_space:  global
        .offset:         24
        .size:           8
        .value_kind:     global_buffer
      - .offset:         32
        .size:           8
        .value_kind:     by_value
      - .offset:         40
        .size:           8
        .value_kind:     by_value
      - .offset:         48
        .size:           8
        .value_kind:     by_value
      - .address_space:  global
        .offset:         56
        .size:           8
        .value_kind:     global_buffer
      - .offset:         64
        .size:           8
        .value_kind:     by_value
      - .offset:         72
        .size:           8
        .value_kind:     by_value
      - .offset:         80
        .size:           8
        .value_kind:     by_value
      - .address_space:  global
        .offset:         88
        .size:           8
        .value_kind:     global_buffer
      - .offset:         96
        .size:           8
        .value_kind:     by_value
      - .address_space:  global
        .offset:         104
        .size:           8
        .value_kind:     global_buffer
      - .offset:         112
        .size:           8
        .value_kind:     by_value
      - .offset:         120
        .size:           8
        .value_kind:     by_value
      - .offset:         128
        .size:           8
        .value_kind:     by_value
      - .offset:         136
        .size:           4
        .value_kind:     by_value
    .group_segment_fixed_size: 512
    .kernarg_segment_align: 8
    .kernarg_segment_size: 140
    .language:       OpenCL C
    .language_version:
      - 2
      - 0
    .max_flat_workgroup_size: 256
    .name:           _ZL32rocblas_gemvt_warp_reduce_kernelILb0ELi256El19rocblas_complex_numIdEPKS1_S1_EviiT3_lPKT2_lT1_lS7_lS8_lS4_lPT4_lS8_li
    .private_segment_fixed_size: 0
    .sgpr_count:     54
    .sgpr_spill_count: 0
    .symbol:         _ZL32rocblas_gemvt_warp_reduce_kernelILb0ELi256El19rocblas_complex_numIdEPKS1_S1_EviiT3_lPKT2_lT1_lS7_lS8_lS4_lPT4_lS8_li.kd
    .uniform_work_group_size: 1
    .uses_dynamic_stack: false
    .vgpr_count:     40
    .vgpr_spill_count: 0
    .wavefront_size: 32
    .workgroup_processor_mode: 1
  - .args:
      - .offset:         0
        .size:           4
        .value_kind:     by_value
      - .offset:         4
        .size:           4
        .value_kind:     by_value
      - .offset:         8
        .size:           16
        .value_kind:     by_value
      - .offset:         24
        .size:           8
        .value_kind:     by_value
      - .address_space:  global
        .offset:         32
        .size:           8
        .value_kind:     global_buffer
      - .offset:         40
        .size:           8
        .value_kind:     by_value
      - .offset:         48
        .size:           4
        .value_kind:     by_value
      - .offset:         56
        .size:           8
        .value_kind:     by_value
      - .address_space:  global
        .offset:         64
        .size:           8
        .value_kind:     global_buffer
      - .offset:         72
        .size:           8
        .value_kind:     by_value
      - .offset:         80
        .size:           4
        .value_kind:     by_value
      - .offset:         88
        .size:           8
        .value_kind:     by_value
      - .offset:         96
        .size:           16
        .value_kind:     by_value
      - .offset:         112
        .size:           8
        .value_kind:     by_value
      - .address_space:  global
        .offset:         120
        .size:           8
        .value_kind:     global_buffer
      - .offset:         128
        .size:           8
        .value_kind:     by_value
      - .offset:         136
        .size:           4
        .value_kind:     by_value
      - .offset:         144
        .size:           8
        .value_kind:     by_value
      - .offset:         152
        .size:           4
        .value_kind:     by_value
    .group_segment_fixed_size: 512
    .kernarg_segment_align: 8
    .kernarg_segment_size: 156
    .language:       OpenCL C
    .language_version:
      - 2
      - 0
    .max_flat_workgroup_size: 256
    .name:           _ZL32rocblas_gemvt_warp_reduce_kernelILb0ELi256Ei19rocblas_complex_numIdES1_S1_EviiT3_lPKT2_lT1_lS5_lS6_lS2_lPT4_lS6_li
    .private_segment_fixed_size: 0
    .sgpr_count:     50
    .sgpr_spill_count: 0
    .symbol:         _ZL32rocblas_gemvt_warp_reduce_kernelILb0ELi256Ei19rocblas_complex_numIdES1_S1_EviiT3_lPKT2_lT1_lS5_lS6_lS2_lPT4_lS6_li.kd
    .uniform_work_group_size: 1
    .uses_dynamic_stack: false
    .vgpr_count:     32
    .vgpr_spill_count: 0
    .wavefront_size: 32
    .workgroup_processor_mode: 1
  - .args:
      - .offset:         0
        .size:           4
        .value_kind:     by_value
      - .offset:         4
        .size:           4
        .value_kind:     by_value
      - .offset:         8
        .size:           16
        .value_kind:     by_value
      - .offset:         24
        .size:           8
        .value_kind:     by_value
      - .address_space:  global
        .offset:         32
        .size:           8
        .value_kind:     global_buffer
      - .offset:         40
        .size:           8
        .value_kind:     by_value
      - .offset:         48
        .size:           8
        .value_kind:     by_value
      - .offset:         56
        .size:           8
        .value_kind:     by_value
      - .address_space:  global
        .offset:         64
        .size:           8
        .value_kind:     global_buffer
      - .offset:         72
        .size:           8
        .value_kind:     by_value
      - .offset:         80
        .size:           8
        .value_kind:     by_value
      - .offset:         88
        .size:           8
        .value_kind:     by_value
      - .offset:         96
        .size:           16
        .value_kind:     by_value
      - .offset:         112
        .size:           8
        .value_kind:     by_value
      - .address_space:  global
        .offset:         120
        .size:           8
        .value_kind:     global_buffer
      - .offset:         128
        .size:           8
        .value_kind:     by_value
      - .offset:         136
        .size:           8
        .value_kind:     by_value
      - .offset:         144
        .size:           8
        .value_kind:     by_value
      - .offset:         152
        .size:           4
        .value_kind:     by_value
    .group_segment_fixed_size: 512
    .kernarg_segment_align: 8
    .kernarg_segment_size: 156
    .language:       OpenCL C
    .language_version:
      - 2
      - 0
    .max_flat_workgroup_size: 256
    .name:           _ZL32rocblas_gemvt_warp_reduce_kernelILb0ELi256El19rocblas_complex_numIdES1_S1_EviiT3_lPKT2_lT1_lS5_lS6_lS2_lPT4_lS6_li
    .private_segment_fixed_size: 0
    .sgpr_count:     52
    .sgpr_spill_count: 0
    .symbol:         _ZL32rocblas_gemvt_warp_reduce_kernelILb0ELi256El19rocblas_complex_numIdES1_S1_EviiT3_lPKT2_lT1_lS5_lS6_lS2_lPT4_lS6_li.kd
    .uniform_work_group_size: 1
    .uses_dynamic_stack: false
    .vgpr_count:     33
    .vgpr_spill_count: 0
    .wavefront_size: 32
    .workgroup_processor_mode: 1
  - .args:
      - .offset:         0
        .size:           4
        .value_kind:     by_value
      - .offset:         4
        .size:           4
        .value_kind:     by_value
      - .address_space:  global
        .offset:         8
        .size:           8
        .value_kind:     global_buffer
      - .offset:         16
        .size:           8
        .value_kind:     by_value
      - .address_space:  global
        .offset:         24
        .size:           8
        .value_kind:     global_buffer
      - .offset:         32
        .size:           8
        .value_kind:     by_value
      - .offset:         40
        .size:           4
        .value_kind:     by_value
      - .offset:         48
        .size:           8
        .value_kind:     by_value
      - .address_space:  global
        .offset:         56
        .size:           8
        .value_kind:     global_buffer
      - .offset:         64
        .size:           8
        .value_kind:     by_value
      - .offset:         72
        .size:           4
        .value_kind:     by_value
      - .offset:         80
        .size:           8
        .value_kind:     by_value
      - .address_space:  global
        .offset:         88
        .size:           8
        .value_kind:     global_buffer
      - .offset:         96
        .size:           8
        .value_kind:     by_value
      - .address_space:  global
        .offset:         104
        .size:           8
        .value_kind:     global_buffer
      - .offset:         112
        .size:           8
        .value_kind:     by_value
      - .offset:         120
        .size:           4
        .value_kind:     by_value
      - .offset:         128
        .size:           8
        .value_kind:     by_value
      - .offset:         136
        .size:           4
        .value_kind:     by_value
    .group_segment_fixed_size: 4096
    .kernarg_segment_align: 8
    .kernarg_segment_size: 140
    .language:       OpenCL C
    .language_version:
      - 2
      - 0
    .max_flat_workgroup_size: 256
    .name:           _ZL20rocblas_gemvt_kernelILb0ELi256E19rocblas_complex_numIdEPKS1_S1_EviiT2_lPKT1_lilS7_lilS4_lPT3_lili
    .private_segment_fixed_size: 0
    .sgpr_count:     52
    .sgpr_spill_count: 0
    .symbol:         _ZL20rocblas_gemvt_kernelILb0ELi256E19rocblas_complex_numIdEPKS1_S1_EviiT2_lPKT1_lilS7_lilS4_lPT3_lili.kd
    .uniform_work_group_size: 1
    .uses_dynamic_stack: false
    .vgpr_count:     36
    .vgpr_spill_count: 0
    .wavefront_size: 32
    .workgroup_processor_mode: 1
  - .args:
      - .offset:         0
        .size:           4
        .value_kind:     by_value
      - .offset:         4
        .size:           4
        .value_kind:     by_value
      - .offset:         8
        .size:           16
        .value_kind:     by_value
      - .offset:         24
        .size:           8
        .value_kind:     by_value
      - .address_space:  global
        .offset:         32
        .size:           8
        .value_kind:     global_buffer
      - .offset:         40
        .size:           8
        .value_kind:     by_value
      - .offset:         48
        .size:           4
        .value_kind:     by_value
      - .offset:         56
        .size:           8
        .value_kind:     by_value
      - .address_space:  global
        .offset:         64
        .size:           8
        .value_kind:     global_buffer
      - .offset:         72
        .size:           8
        .value_kind:     by_value
      - .offset:         80
        .size:           4
        .value_kind:     by_value
      - .offset:         88
        .size:           8
        .value_kind:     by_value
      - .offset:         96
        .size:           16
        .value_kind:     by_value
      - .offset:         112
        .size:           8
        .value_kind:     by_value
      - .address_space:  global
        .offset:         120
        .size:           8
        .value_kind:     global_buffer
      - .offset:         128
        .size:           8
        .value_kind:     by_value
      - .offset:         136
        .size:           4
        .value_kind:     by_value
      - .offset:         144
        .size:           8
        .value_kind:     by_value
      - .offset:         152
        .size:           4
        .value_kind:     by_value
    .group_segment_fixed_size: 4096
    .kernarg_segment_align: 8
    .kernarg_segment_size: 156
    .language:       OpenCL C
    .language_version:
      - 2
      - 0
    .max_flat_workgroup_size: 256
    .name:           _ZL20rocblas_gemvt_kernelILb0ELi256E19rocblas_complex_numIdES1_S1_EviiT2_lPKT1_lilS5_lilS2_lPT3_lili
    .private_segment_fixed_size: 0
    .sgpr_count:     57
    .sgpr_spill_count: 0
    .symbol:         _ZL20rocblas_gemvt_kernelILb0ELi256E19rocblas_complex_numIdES1_S1_EviiT2_lPKT1_lilS5_lilS2_lPT3_lili.kd
    .uniform_work_group_size: 1
    .uses_dynamic_stack: false
    .vgpr_count:     28
    .vgpr_spill_count: 0
    .wavefront_size: 32
    .workgroup_processor_mode: 1
  - .args:
      - .offset:         0
        .size:           4
        .value_kind:     by_value
      - .offset:         4
        .size:           4
        .value_kind:     by_value
      - .address_space:  global
        .offset:         8
        .size:           8
        .value_kind:     global_buffer
      - .offset:         16
        .size:           8
        .value_kind:     by_value
      - .address_space:  global
        .offset:         24
        .size:           8
        .value_kind:     global_buffer
      - .offset:         32
        .size:           8
        .value_kind:     by_value
      - .offset:         40
        .size:           4
        .value_kind:     by_value
      - .offset:         48
        .size:           8
        .value_kind:     by_value
      - .address_space:  global
        .offset:         56
        .size:           8
        .value_kind:     global_buffer
      - .offset:         64
        .size:           8
        .value_kind:     by_value
      - .offset:         72
        .size:           4
        .value_kind:     by_value
      - .offset:         80
        .size:           8
        .value_kind:     by_value
      - .address_space:  global
        .offset:         88
        .size:           8
        .value_kind:     global_buffer
      - .offset:         96
        .size:           8
        .value_kind:     by_value
      - .address_space:  global
        .offset:         104
        .size:           8
        .value_kind:     global_buffer
      - .offset:         112
        .size:           8
        .value_kind:     by_value
      - .offset:         120
        .size:           4
        .value_kind:     by_value
      - .offset:         128
        .size:           8
        .value_kind:     by_value
      - .offset:         136
        .size:           4
        .value_kind:     by_value
    .group_segment_fixed_size: 512
    .kernarg_segment_align: 8
    .kernarg_segment_size: 140
    .language:       OpenCL C
    .language_version:
      - 2
      - 0
    .max_flat_workgroup_size: 1024
    .name:           _ZL32rocblas_gemvt_warp_reduce_kernelILb0ELi1024Ei19rocblas_complex_numIdEPKS1_S1_EviiT3_lPKT2_lT1_lS7_lS8_lS4_lPT4_lS8_li
    .private_segment_fixed_size: 0
    .sgpr_count:     46
    .sgpr_spill_count: 0
    .symbol:         _ZL32rocblas_gemvt_warp_reduce_kernelILb0ELi1024Ei19rocblas_complex_numIdEPKS1_S1_EviiT3_lPKT2_lT1_lS7_lS8_lS4_lPT4_lS8_li.kd
    .uniform_work_group_size: 1
    .uses_dynamic_stack: false
    .vgpr_count:     39
    .vgpr_spill_count: 0
    .wavefront_size: 32
    .workgroup_processor_mode: 1
  - .args:
      - .offset:         0
        .size:           4
        .value_kind:     by_value
      - .offset:         4
        .size:           4
        .value_kind:     by_value
      - .address_space:  global
        .offset:         8
        .size:           8
        .value_kind:     global_buffer
      - .offset:         16
        .size:           8
        .value_kind:     by_value
      - .address_space:  global
        .offset:         24
        .size:           8
        .value_kind:     global_buffer
      - .offset:         32
        .size:           8
        .value_kind:     by_value
      - .offset:         40
        .size:           8
        .value_kind:     by_value
      - .offset:         48
        .size:           8
        .value_kind:     by_value
      - .address_space:  global
        .offset:         56
        .size:           8
        .value_kind:     global_buffer
      - .offset:         64
        .size:           8
        .value_kind:     by_value
      - .offset:         72
        .size:           8
        .value_kind:     by_value
      - .offset:         80
        .size:           8
        .value_kind:     by_value
      - .address_space:  global
        .offset:         88
        .size:           8
        .value_kind:     global_buffer
      - .offset:         96
        .size:           8
        .value_kind:     by_value
      - .address_space:  global
        .offset:         104
        .size:           8
        .value_kind:     global_buffer
      - .offset:         112
        .size:           8
        .value_kind:     by_value
      - .offset:         120
        .size:           8
        .value_kind:     by_value
      - .offset:         128
        .size:           8
        .value_kind:     by_value
      - .offset:         136
        .size:           4
        .value_kind:     by_value
    .group_segment_fixed_size: 512
    .kernarg_segment_align: 8
    .kernarg_segment_size: 140
    .language:       OpenCL C
    .language_version:
      - 2
      - 0
    .max_flat_workgroup_size: 1024
    .name:           _ZL32rocblas_gemvt_warp_reduce_kernelILb0ELi1024El19rocblas_complex_numIdEPKS1_S1_EviiT3_lPKT2_lT1_lS7_lS8_lS4_lPT4_lS8_li
    .private_segment_fixed_size: 0
    .sgpr_count:     54
    .sgpr_spill_count: 0
    .symbol:         _ZL32rocblas_gemvt_warp_reduce_kernelILb0ELi1024El19rocblas_complex_numIdEPKS1_S1_EviiT3_lPKT2_lT1_lS7_lS8_lS4_lPT4_lS8_li.kd
    .uniform_work_group_size: 1
    .uses_dynamic_stack: false
    .vgpr_count:     40
    .vgpr_spill_count: 0
    .wavefront_size: 32
    .workgroup_processor_mode: 1
  - .args:
      - .offset:         0
        .size:           4
        .value_kind:     by_value
      - .offset:         4
        .size:           4
        .value_kind:     by_value
      - .offset:         8
        .size:           16
        .value_kind:     by_value
      - .offset:         24
        .size:           8
        .value_kind:     by_value
      - .address_space:  global
        .offset:         32
        .size:           8
        .value_kind:     global_buffer
      - .offset:         40
        .size:           8
        .value_kind:     by_value
      - .offset:         48
        .size:           4
        .value_kind:     by_value
      - .offset:         56
        .size:           8
        .value_kind:     by_value
      - .address_space:  global
        .offset:         64
        .size:           8
        .value_kind:     global_buffer
      - .offset:         72
        .size:           8
        .value_kind:     by_value
      - .offset:         80
        .size:           4
        .value_kind:     by_value
      - .offset:         88
        .size:           8
        .value_kind:     by_value
      - .offset:         96
        .size:           16
        .value_kind:     by_value
      - .offset:         112
        .size:           8
        .value_kind:     by_value
      - .address_space:  global
        .offset:         120
        .size:           8
        .value_kind:     global_buffer
      - .offset:         128
        .size:           8
        .value_kind:     by_value
      - .offset:         136
        .size:           4
        .value_kind:     by_value
      - .offset:         144
        .size:           8
        .value_kind:     by_value
      - .offset:         152
        .size:           4
        .value_kind:     by_value
    .group_segment_fixed_size: 512
    .kernarg_segment_align: 8
    .kernarg_segment_size: 156
    .language:       OpenCL C
    .language_version:
      - 2
      - 0
    .max_flat_workgroup_size: 1024
    .name:           _ZL32rocblas_gemvt_warp_reduce_kernelILb0ELi1024Ei19rocblas_complex_numIdES1_S1_EviiT3_lPKT2_lT1_lS5_lS6_lS2_lPT4_lS6_li
    .private_segment_fixed_size: 0
    .sgpr_count:     51
    .sgpr_spill_count: 0
    .symbol:         _ZL32rocblas_gemvt_warp_reduce_kernelILb0ELi1024Ei19rocblas_complex_numIdES1_S1_EviiT3_lPKT2_lT1_lS5_lS6_lS2_lPT4_lS6_li.kd
    .uniform_work_group_size: 1
    .uses_dynamic_stack: false
    .vgpr_count:     32
    .vgpr_spill_count: 0
    .wavefront_size: 32
    .workgroup_processor_mode: 1
  - .args:
      - .offset:         0
        .size:           4
        .value_kind:     by_value
      - .offset:         4
        .size:           4
        .value_kind:     by_value
      - .offset:         8
        .size:           16
        .value_kind:     by_value
      - .offset:         24
        .size:           8
        .value_kind:     by_value
      - .address_space:  global
        .offset:         32
        .size:           8
        .value_kind:     global_buffer
      - .offset:         40
        .size:           8
        .value_kind:     by_value
      - .offset:         48
        .size:           8
        .value_kind:     by_value
      - .offset:         56
        .size:           8
        .value_kind:     by_value
      - .address_space:  global
        .offset:         64
        .size:           8
        .value_kind:     global_buffer
      - .offset:         72
        .size:           8
        .value_kind:     by_value
      - .offset:         80
        .size:           8
        .value_kind:     by_value
      - .offset:         88
        .size:           8
        .value_kind:     by_value
      - .offset:         96
        .size:           16
        .value_kind:     by_value
      - .offset:         112
        .size:           8
        .value_kind:     by_value
      - .address_space:  global
        .offset:         120
        .size:           8
        .value_kind:     global_buffer
      - .offset:         128
        .size:           8
        .value_kind:     by_value
      - .offset:         136
        .size:           8
        .value_kind:     by_value
      - .offset:         144
        .size:           8
        .value_kind:     by_value
      - .offset:         152
        .size:           4
        .value_kind:     by_value
    .group_segment_fixed_size: 512
    .kernarg_segment_align: 8
    .kernarg_segment_size: 156
    .language:       OpenCL C
    .language_version:
      - 2
      - 0
    .max_flat_workgroup_size: 1024
    .name:           _ZL32rocblas_gemvt_warp_reduce_kernelILb0ELi1024El19rocblas_complex_numIdES1_S1_EviiT3_lPKT2_lT1_lS5_lS6_lS2_lPT4_lS6_li
    .private_segment_fixed_size: 0
    .sgpr_count:     52
    .sgpr_spill_count: 0
    .symbol:         _ZL32rocblas_gemvt_warp_reduce_kernelILb0ELi1024El19rocblas_complex_numIdES1_S1_EviiT3_lPKT2_lT1_lS5_lS6_lS2_lPT4_lS6_li.kd
    .uniform_work_group_size: 1
    .uses_dynamic_stack: false
    .vgpr_count:     33
    .vgpr_spill_count: 0
    .wavefront_size: 32
    .workgroup_processor_mode: 1
  - .args:
      - .offset:         0
        .size:           4
        .value_kind:     by_value
      - .offset:         4
        .size:           4
        .value_kind:     by_value
      - .address_space:  global
        .offset:         8
        .size:           8
        .value_kind:     global_buffer
      - .offset:         16
        .size:           8
        .value_kind:     by_value
      - .address_space:  global
        .offset:         24
        .size:           8
        .value_kind:     global_buffer
      - .offset:         32
        .size:           8
        .value_kind:     by_value
      - .offset:         40
        .size:           4
        .value_kind:     by_value
      - .offset:         48
        .size:           8
        .value_kind:     by_value
      - .address_space:  global
        .offset:         56
        .size:           8
        .value_kind:     global_buffer
      - .offset:         64
        .size:           8
        .value_kind:     by_value
      - .offset:         72
        .size:           4
        .value_kind:     by_value
      - .offset:         80
        .size:           8
        .value_kind:     by_value
      - .address_space:  global
        .offset:         88
        .size:           8
        .value_kind:     global_buffer
      - .offset:         96
        .size:           8
        .value_kind:     by_value
      - .address_space:  global
        .offset:         104
        .size:           8
        .value_kind:     global_buffer
      - .offset:         112
        .size:           8
        .value_kind:     by_value
      - .offset:         120
        .size:           4
        .value_kind:     by_value
      - .offset:         128
        .size:           8
        .value_kind:     by_value
    .group_segment_fixed_size: 1024
    .kernarg_segment_align: 8
    .kernarg_segment_size: 136
    .language:       OpenCL C
    .language_version:
      - 2
      - 0
    .max_flat_workgroup_size: 256
    .name:           _ZL22rocblas_gemvtsm_kernelILb1ELi256E19rocblas_complex_numIdEPKS1_S1_EviiT2_lPKT1_lilS7_lilS4_lPT3_lil
    .private_segment_fixed_size: 0
    .sgpr_count:     40
    .sgpr_spill_count: 0
    .symbol:         _ZL22rocblas_gemvtsm_kernelILb1ELi256E19rocblas_complex_numIdEPKS1_S1_EviiT2_lPKT1_lilS7_lilS4_lPT3_lil.kd
    .uniform_work_group_size: 1
    .uses_dynamic_stack: false
    .vgpr_count:     62
    .vgpr_spill_count: 0
    .wavefront_size: 32
    .workgroup_processor_mode: 1
  - .args:
      - .offset:         0
        .size:           4
        .value_kind:     by_value
      - .offset:         4
        .size:           4
        .value_kind:     by_value
      - .offset:         8
        .size:           16
        .value_kind:     by_value
      - .offset:         24
        .size:           8
        .value_kind:     by_value
      - .address_space:  global
        .offset:         32
        .size:           8
        .value_kind:     global_buffer
      - .offset:         40
        .size:           8
        .value_kind:     by_value
      - .offset:         48
        .size:           4
        .value_kind:     by_value
      - .offset:         56
        .size:           8
        .value_kind:     by_value
      - .address_space:  global
        .offset:         64
        .size:           8
        .value_kind:     global_buffer
      - .offset:         72
        .size:           8
        .value_kind:     by_value
      - .offset:         80
        .size:           4
        .value_kind:     by_value
      - .offset:         88
        .size:           8
        .value_kind:     by_value
      - .offset:         96
        .size:           16
        .value_kind:     by_value
      - .offset:         112
        .size:           8
        .value_kind:     by_value
      - .address_space:  global
        .offset:         120
        .size:           8
        .value_kind:     global_buffer
      - .offset:         128
        .size:           8
        .value_kind:     by_value
      - .offset:         136
        .size:           4
        .value_kind:     by_value
      - .offset:         144
        .size:           8
        .value_kind:     by_value
    .group_segment_fixed_size: 1024
    .kernarg_segment_align: 8
    .kernarg_segment_size: 152
    .language:       OpenCL C
    .language_version:
      - 2
      - 0
    .max_flat_workgroup_size: 256
    .name:           _ZL22rocblas_gemvtsm_kernelILb1ELi256E19rocblas_complex_numIdES1_S1_EviiT2_lPKT1_lilS5_lilS2_lPT3_lil
    .private_segment_fixed_size: 0
    .sgpr_count:     34
    .sgpr_spill_count: 0
    .symbol:         _ZL22rocblas_gemvtsm_kernelILb1ELi256E19rocblas_complex_numIdES1_S1_EviiT2_lPKT1_lilS5_lilS2_lPT3_lil.kd
    .uniform_work_group_size: 1
    .uses_dynamic_stack: false
    .vgpr_count:     62
    .vgpr_spill_count: 0
    .wavefront_size: 32
    .workgroup_processor_mode: 1
  - .args:
      - .offset:         0
        .size:           4
        .value_kind:     by_value
      - .offset:         4
        .size:           4
        .value_kind:     by_value
      - .address_space:  global
        .offset:         8
        .size:           8
        .value_kind:     global_buffer
      - .offset:         16
        .size:           8
        .value_kind:     by_value
      - .address_space:  global
        .offset:         24
        .size:           8
        .value_kind:     global_buffer
      - .offset:         32
        .size:           8
        .value_kind:     by_value
      - .offset:         40
        .size:           4
        .value_kind:     by_value
      - .offset:         48
        .size:           8
        .value_kind:     by_value
      - .address_space:  global
        .offset:         56
        .size:           8
        .value_kind:     global_buffer
      - .offset:         64
        .size:           8
        .value_kind:     by_value
      - .offset:         72
        .size:           4
        .value_kind:     by_value
      - .offset:         80
        .size:           8
        .value_kind:     by_value
      - .address_space:  global
        .offset:         88
        .size:           8
        .value_kind:     global_buffer
      - .offset:         96
        .size:           4
        .value_kind:     by_value
      - .offset:         104
        .size:           4
        .value_kind:     hidden_block_count_x
      - .offset:         108
        .size:           4
        .value_kind:     hidden_block_count_y
      - .offset:         112
        .size:           4
        .value_kind:     hidden_block_count_z
      - .offset:         116
        .size:           2
        .value_kind:     hidden_group_size_x
      - .offset:         118
        .size:           2
        .value_kind:     hidden_group_size_y
      - .offset:         120
        .size:           2
        .value_kind:     hidden_group_size_z
      - .offset:         122
        .size:           2
        .value_kind:     hidden_remainder_x
      - .offset:         124
        .size:           2
        .value_kind:     hidden_remainder_y
      - .offset:         126
        .size:           2
        .value_kind:     hidden_remainder_z
      - .offset:         144
        .size:           8
        .value_kind:     hidden_global_offset_x
      - .offset:         152
        .size:           8
        .value_kind:     hidden_global_offset_y
      - .offset:         160
        .size:           8
        .value_kind:     hidden_global_offset_z
      - .offset:         168
        .size:           2
        .value_kind:     hidden_grid_dims
    .group_segment_fixed_size: 512
    .kernarg_segment_align: 8
    .kernarg_segment_size: 360
    .language:       OpenCL C
    .language_version:
      - 2
      - 0
    .max_flat_workgroup_size: 256
    .name:           _ZL23rocblas_gemvt_sn_kernelILb1ELi256ELi4Ei19rocblas_complex_numIdEPKS1_S1_EviiT4_lPKT3_lilS7_lilPT5_i
    .private_segment_fixed_size: 80
    .sgpr_count:     82
    .sgpr_spill_count: 0
    .symbol:         _ZL23rocblas_gemvt_sn_kernelILb1ELi256ELi4Ei19rocblas_complex_numIdEPKS1_S1_EviiT4_lPKT3_lilS7_lilPT5_i.kd
    .uniform_work_group_size: 1
    .uses_dynamic_stack: false
    .vgpr_count:     113
    .vgpr_spill_count: 0
    .wavefront_size: 32
    .workgroup_processor_mode: 1
  - .args:
      - .offset:         0
        .size:           4
        .value_kind:     by_value
      - .offset:         4
        .size:           4
        .value_kind:     by_value
      - .address_space:  global
        .offset:         8
        .size:           8
        .value_kind:     global_buffer
      - .offset:         16
        .size:           8
        .value_kind:     by_value
      - .address_space:  global
        .offset:         24
        .size:           8
        .value_kind:     global_buffer
      - .offset:         32
        .size:           8
        .value_kind:     by_value
      - .offset:         40
        .size:           4
        .value_kind:     by_value
      - .offset:         48
        .size:           8
        .value_kind:     by_value
      - .address_space:  global
        .offset:         56
        .size:           8
        .value_kind:     global_buffer
      - .offset:         64
        .size:           8
        .value_kind:     by_value
      - .offset:         72
        .size:           4
        .value_kind:     by_value
      - .offset:         80
        .size:           8
        .value_kind:     by_value
      - .address_space:  global
        .offset:         88
        .size:           8
        .value_kind:     global_buffer
      - .offset:         96
        .size:           4
        .value_kind:     by_value
      - .offset:         104
        .size:           4
        .value_kind:     hidden_block_count_x
      - .offset:         108
        .size:           4
        .value_kind:     hidden_block_count_y
      - .offset:         112
        .size:           4
        .value_kind:     hidden_block_count_z
      - .offset:         116
        .size:           2
        .value_kind:     hidden_group_size_x
      - .offset:         118
        .size:           2
        .value_kind:     hidden_group_size_y
      - .offset:         120
        .size:           2
        .value_kind:     hidden_group_size_z
      - .offset:         122
        .size:           2
        .value_kind:     hidden_remainder_x
      - .offset:         124
        .size:           2
        .value_kind:     hidden_remainder_y
      - .offset:         126
        .size:           2
        .value_kind:     hidden_remainder_z
      - .offset:         144
        .size:           8
        .value_kind:     hidden_global_offset_x
      - .offset:         152
        .size:           8
        .value_kind:     hidden_global_offset_y
      - .offset:         160
        .size:           8
        .value_kind:     hidden_global_offset_z
      - .offset:         168
        .size:           2
        .value_kind:     hidden_grid_dims
    .group_segment_fixed_size: 512
    .kernarg_segment_align: 8
    .kernarg_segment_size: 360
    .language:       OpenCL C
    .language_version:
      - 2
      - 0
    .max_flat_workgroup_size: 256
    .name:           _ZL23rocblas_gemvt_sn_kernelILb1ELi256ELi4El19rocblas_complex_numIdEPKS1_S1_EviiT4_lPKT3_lilS7_lilPT5_i
    .private_segment_fixed_size: 80
    .sgpr_count:     78
    .sgpr_spill_count: 0
    .symbol:         _ZL23rocblas_gemvt_sn_kernelILb1ELi256ELi4El19rocblas_complex_numIdEPKS1_S1_EviiT4_lPKT3_lilS7_lilPT5_i.kd
    .uniform_work_group_size: 1
    .uses_dynamic_stack: false
    .vgpr_count:     116
    .vgpr_spill_count: 0
    .wavefront_size: 32
    .workgroup_processor_mode: 1
  - .args:
      - .offset:         0
        .size:           4
        .value_kind:     by_value
      - .offset:         4
        .size:           4
        .value_kind:     by_value
      - .offset:         8
        .size:           16
        .value_kind:     by_value
      - .offset:         24
        .size:           8
        .value_kind:     by_value
      - .address_space:  global
        .offset:         32
        .size:           8
        .value_kind:     global_buffer
      - .offset:         40
        .size:           8
        .value_kind:     by_value
      - .offset:         48
        .size:           4
        .value_kind:     by_value
      - .offset:         56
        .size:           8
        .value_kind:     by_value
      - .address_space:  global
        .offset:         64
        .size:           8
        .value_kind:     global_buffer
      - .offset:         72
        .size:           8
        .value_kind:     by_value
      - .offset:         80
        .size:           4
        .value_kind:     by_value
      - .offset:         88
        .size:           8
        .value_kind:     by_value
      - .address_space:  global
        .offset:         96
        .size:           8
        .value_kind:     global_buffer
      - .offset:         104
        .size:           4
        .value_kind:     by_value
      - .offset:         112
        .size:           4
        .value_kind:     hidden_block_count_x
      - .offset:         116
        .size:           4
        .value_kind:     hidden_block_count_y
      - .offset:         120
        .size:           4
        .value_kind:     hidden_block_count_z
      - .offset:         124
        .size:           2
        .value_kind:     hidden_group_size_x
      - .offset:         126
        .size:           2
        .value_kind:     hidden_group_size_y
      - .offset:         128
        .size:           2
        .value_kind:     hidden_group_size_z
      - .offset:         130
        .size:           2
        .value_kind:     hidden_remainder_x
      - .offset:         132
        .size:           2
        .value_kind:     hidden_remainder_y
      - .offset:         134
        .size:           2
        .value_kind:     hidden_remainder_z
      - .offset:         152
        .size:           8
        .value_kind:     hidden_global_offset_x
      - .offset:         160
        .size:           8
        .value_kind:     hidden_global_offset_y
      - .offset:         168
        .size:           8
        .value_kind:     hidden_global_offset_z
      - .offset:         176
        .size:           2
        .value_kind:     hidden_grid_dims
    .group_segment_fixed_size: 512
    .kernarg_segment_align: 8
    .kernarg_segment_size: 368
    .language:       OpenCL C
    .language_version:
      - 2
      - 0
    .max_flat_workgroup_size: 256
    .name:           _ZL23rocblas_gemvt_sn_kernelILb1ELi256ELi4Ei19rocblas_complex_numIdES1_S1_EviiT4_lPKT3_lilS5_lilPT5_i
    .private_segment_fixed_size: 80
    .sgpr_count:     84
    .sgpr_spill_count: 0
    .symbol:         _ZL23rocblas_gemvt_sn_kernelILb1ELi256ELi4Ei19rocblas_complex_numIdES1_S1_EviiT4_lPKT3_lilS5_lilPT5_i.kd
    .uniform_work_group_size: 1
    .uses_dynamic_stack: false
    .vgpr_count:     129
    .vgpr_spill_count: 0
    .wavefront_size: 32
    .workgroup_processor_mode: 1
  - .args:
      - .offset:         0
        .size:           4
        .value_kind:     by_value
      - .offset:         4
        .size:           4
        .value_kind:     by_value
      - .offset:         8
        .size:           16
        .value_kind:     by_value
      - .offset:         24
        .size:           8
        .value_kind:     by_value
      - .address_space:  global
        .offset:         32
        .size:           8
        .value_kind:     global_buffer
      - .offset:         40
        .size:           8
        .value_kind:     by_value
      - .offset:         48
        .size:           4
        .value_kind:     by_value
      - .offset:         56
        .size:           8
        .value_kind:     by_value
      - .address_space:  global
        .offset:         64
        .size:           8
        .value_kind:     global_buffer
      - .offset:         72
        .size:           8
        .value_kind:     by_value
      - .offset:         80
        .size:           4
        .value_kind:     by_value
      - .offset:         88
        .size:           8
        .value_kind:     by_value
      - .address_space:  global
        .offset:         96
        .size:           8
        .value_kind:     global_buffer
      - .offset:         104
        .size:           4
        .value_kind:     by_value
      - .offset:         112
        .size:           4
        .value_kind:     hidden_block_count_x
      - .offset:         116
        .size:           4
        .value_kind:     hidden_block_count_y
      - .offset:         120
        .size:           4
        .value_kind:     hidden_block_count_z
      - .offset:         124
        .size:           2
        .value_kind:     hidden_group_size_x
      - .offset:         126
        .size:           2
        .value_kind:     hidden_group_size_y
      - .offset:         128
        .size:           2
        .value_kind:     hidden_group_size_z
      - .offset:         130
        .size:           2
        .value_kind:     hidden_remainder_x
      - .offset:         132
        .size:           2
        .value_kind:     hidden_remainder_y
      - .offset:         134
        .size:           2
        .value_kind:     hidden_remainder_z
      - .offset:         152
        .size:           8
        .value_kind:     hidden_global_offset_x
      - .offset:         160
        .size:           8
        .value_kind:     hidden_global_offset_y
      - .offset:         168
        .size:           8
        .value_kind:     hidden_global_offset_z
      - .offset:         176
        .size:           2
        .value_kind:     hidden_grid_dims
    .group_segment_fixed_size: 512
    .kernarg_segment_align: 8
    .kernarg_segment_size: 368
    .language:       OpenCL C
    .language_version:
      - 2
      - 0
    .max_flat_workgroup_size: 256
    .name:           _ZL23rocblas_gemvt_sn_kernelILb1ELi256ELi4El19rocblas_complex_numIdES1_S1_EviiT4_lPKT3_lilS5_lilPT5_i
    .private_segment_fixed_size: 80
    .sgpr_count:     78
    .sgpr_spill_count: 0
    .symbol:         _ZL23rocblas_gemvt_sn_kernelILb1ELi256ELi4El19rocblas_complex_numIdES1_S1_EviiT4_lPKT3_lilS5_lilPT5_i.kd
    .uniform_work_group_size: 1
    .uses_dynamic_stack: false
    .vgpr_count:     134
    .vgpr_spill_count: 0
    .wavefront_size: 32
    .workgroup_processor_mode: 1
  - .args:
      - .offset:         0
        .size:           4
        .value_kind:     by_value
      - .offset:         4
        .size:           4
        .value_kind:     by_value
      - .address_space:  global
        .offset:         8
        .size:           8
        .value_kind:     global_buffer
      - .offset:         16
        .size:           8
        .value_kind:     by_value
      - .address_space:  global
        .offset:         24
        .size:           8
        .value_kind:     global_buffer
      - .offset:         32
        .size:           8
        .value_kind:     by_value
      - .offset:         40
        .size:           4
        .value_kind:     by_value
      - .offset:         48
        .size:           8
        .value_kind:     by_value
      - .address_space:  global
        .offset:         56
        .size:           8
        .value_kind:     global_buffer
      - .offset:         64
        .size:           8
        .value_kind:     by_value
      - .offset:         72
        .size:           4
        .value_kind:     by_value
      - .offset:         80
        .size:           8
        .value_kind:     by_value
      - .address_space:  global
        .offset:         88
        .size:           8
        .value_kind:     global_buffer
      - .offset:         96
        .size:           8
        .value_kind:     by_value
      - .address_space:  global
        .offset:         104
        .size:           8
        .value_kind:     global_buffer
      - .offset:         112
        .size:           8
        .value_kind:     by_value
      - .offset:         120
        .size:           4
        .value_kind:     by_value
      - .offset:         128
        .size:           8
        .value_kind:     by_value
      - .offset:         136
        .size:           4
        .value_kind:     by_value
    .group_segment_fixed_size: 4096
    .kernarg_segment_align: 8
    .kernarg_segment_size: 140
    .language:       OpenCL C
    .language_version:
      - 2
      - 0
    .max_flat_workgroup_size: 256
    .name:           _ZL20rocblas_gemvt_kernelILb1ELi256E19rocblas_complex_numIdEPKS1_S1_EviiT2_lPKT1_lilS7_lilS4_lPT3_lili
    .private_segment_fixed_size: 0
    .sgpr_count:     52
    .sgpr_spill_count: 0
    .symbol:         _ZL20rocblas_gemvt_kernelILb1ELi256E19rocblas_complex_numIdEPKS1_S1_EviiT2_lPKT1_lilS7_lilS4_lPT3_lili.kd
    .uniform_work_group_size: 1
    .uses_dynamic_stack: false
    .vgpr_count:     36
    .vgpr_spill_count: 0
    .wavefront_size: 32
    .workgroup_processor_mode: 1
  - .args:
      - .offset:         0
        .size:           4
        .value_kind:     by_value
      - .offset:         4
        .size:           4
        .value_kind:     by_value
      - .offset:         8
        .size:           16
        .value_kind:     by_value
      - .offset:         24
        .size:           8
        .value_kind:     by_value
      - .address_space:  global
        .offset:         32
        .size:           8
        .value_kind:     global_buffer
      - .offset:         40
        .size:           8
        .value_kind:     by_value
      - .offset:         48
        .size:           4
        .value_kind:     by_value
      - .offset:         56
        .size:           8
        .value_kind:     by_value
      - .address_space:  global
        .offset:         64
        .size:           8
        .value_kind:     global_buffer
      - .offset:         72
        .size:           8
        .value_kind:     by_value
      - .offset:         80
        .size:           4
        .value_kind:     by_value
      - .offset:         88
        .size:           8
        .value_kind:     by_value
      - .offset:         96
        .size:           16
        .value_kind:     by_value
      - .offset:         112
        .size:           8
        .value_kind:     by_value
      - .address_space:  global
        .offset:         120
        .size:           8
        .value_kind:     global_buffer
      - .offset:         128
        .size:           8
        .value_kind:     by_value
      - .offset:         136
        .size:           4
        .value_kind:     by_value
      - .offset:         144
        .size:           8
        .value_kind:     by_value
      - .offset:         152
        .size:           4
        .value_kind:     by_value
    .group_segment_fixed_size: 4096
    .kernarg_segment_align: 8
    .kernarg_segment_size: 156
    .language:       OpenCL C
    .language_version:
      - 2
      - 0
    .max_flat_workgroup_size: 256
    .name:           _ZL20rocblas_gemvt_kernelILb1ELi256E19rocblas_complex_numIdES1_S1_EviiT2_lPKT1_lilS5_lilS2_lPT3_lili
    .private_segment_fixed_size: 0
    .sgpr_count:     57
    .sgpr_spill_count: 0
    .symbol:         _ZL20rocblas_gemvt_kernelILb1ELi256E19rocblas_complex_numIdES1_S1_EviiT2_lPKT1_lilS5_lilS2_lPT3_lili.kd
    .uniform_work_group_size: 1
    .uses_dynamic_stack: false
    .vgpr_count:     28
    .vgpr_spill_count: 0
    .wavefront_size: 32
    .workgroup_processor_mode: 1
  - .args:
      - .offset:         0
        .size:           4
        .value_kind:     by_value
      - .offset:         4
        .size:           4
        .value_kind:     by_value
      - .address_space:  global
        .offset:         8
        .size:           8
        .value_kind:     global_buffer
      - .offset:         16
        .size:           8
        .value_kind:     by_value
      - .address_space:  global
        .offset:         24
        .size:           8
        .value_kind:     global_buffer
      - .offset:         32
        .size:           8
        .value_kind:     by_value
      - .offset:         40
        .size:           4
        .value_kind:     by_value
      - .offset:         48
        .size:           8
        .value_kind:     by_value
      - .address_space:  global
        .offset:         56
        .size:           8
        .value_kind:     global_buffer
      - .offset:         64
        .size:           8
        .value_kind:     by_value
      - .offset:         72
        .size:           4
        .value_kind:     by_value
      - .offset:         80
        .size:           8
        .value_kind:     by_value
      - .address_space:  global
        .offset:         88
        .size:           8
        .value_kind:     global_buffer
      - .offset:         96
        .size:           8
        .value_kind:     by_value
      - .address_space:  global
        .offset:         104
        .size:           8
        .value_kind:     global_buffer
      - .offset:         112
        .size:           8
        .value_kind:     by_value
      - .offset:         120
        .size:           4
        .value_kind:     by_value
      - .offset:         128
        .size:           8
        .value_kind:     by_value
      - .offset:         136
        .size:           4
        .value_kind:     by_value
    .group_segment_fixed_size: 512
    .kernarg_segment_align: 8
    .kernarg_segment_size: 140
    .language:       OpenCL C
    .language_version:
      - 2
      - 0
    .max_flat_workgroup_size: 1024
    .name:           _ZL32rocblas_gemvt_warp_reduce_kernelILb1ELi1024Ei19rocblas_complex_numIdEPKS1_S1_EviiT3_lPKT2_lT1_lS7_lS8_lS4_lPT4_lS8_li
    .private_segment_fixed_size: 0
    .sgpr_count:     46
    .sgpr_spill_count: 0
    .symbol:         _ZL32rocblas_gemvt_warp_reduce_kernelILb1ELi1024Ei19rocblas_complex_numIdEPKS1_S1_EviiT3_lPKT2_lT1_lS7_lS8_lS4_lPT4_lS8_li.kd
    .uniform_work_group_size: 1
    .uses_dynamic_stack: false
    .vgpr_count:     39
    .vgpr_spill_count: 0
    .wavefront_size: 32
    .workgroup_processor_mode: 1
  - .args:
      - .offset:         0
        .size:           4
        .value_kind:     by_value
      - .offset:         4
        .size:           4
        .value_kind:     by_value
      - .address_space:  global
        .offset:         8
        .size:           8
        .value_kind:     global_buffer
      - .offset:         16
        .size:           8
        .value_kind:     by_value
      - .address_space:  global
        .offset:         24
        .size:           8
        .value_kind:     global_buffer
      - .offset:         32
        .size:           8
        .value_kind:     by_value
      - .offset:         40
        .size:           8
        .value_kind:     by_value
      - .offset:         48
        .size:           8
        .value_kind:     by_value
      - .address_space:  global
        .offset:         56
        .size:           8
        .value_kind:     global_buffer
      - .offset:         64
        .size:           8
        .value_kind:     by_value
      - .offset:         72
        .size:           8
        .value_kind:     by_value
      - .offset:         80
        .size:           8
        .value_kind:     by_value
      - .address_space:  global
        .offset:         88
        .size:           8
        .value_kind:     global_buffer
      - .offset:         96
        .size:           8
        .value_kind:     by_value
      - .address_space:  global
        .offset:         104
        .size:           8
        .value_kind:     global_buffer
      - .offset:         112
        .size:           8
        .value_kind:     by_value
      - .offset:         120
        .size:           8
        .value_kind:     by_value
      - .offset:         128
        .size:           8
        .value_kind:     by_value
      - .offset:         136
        .size:           4
        .value_kind:     by_value
    .group_segment_fixed_size: 512
    .kernarg_segment_align: 8
    .kernarg_segment_size: 140
    .language:       OpenCL C
    .language_version:
      - 2
      - 0
    .max_flat_workgroup_size: 1024
    .name:           _ZL32rocblas_gemvt_warp_reduce_kernelILb1ELi1024El19rocblas_complex_numIdEPKS1_S1_EviiT3_lPKT2_lT1_lS7_lS8_lS4_lPT4_lS8_li
    .private_segment_fixed_size: 0
    .sgpr_count:     54
    .sgpr_spill_count: 0
    .symbol:         _ZL32rocblas_gemvt_warp_reduce_kernelILb1ELi1024El19rocblas_complex_numIdEPKS1_S1_EviiT3_lPKT2_lT1_lS7_lS8_lS4_lPT4_lS8_li.kd
    .uniform_work_group_size: 1
    .uses_dynamic_stack: false
    .vgpr_count:     40
    .vgpr_spill_count: 0
    .wavefront_size: 32
    .workgroup_processor_mode: 1
  - .args:
      - .offset:         0
        .size:           4
        .value_kind:     by_value
      - .offset:         4
        .size:           4
        .value_kind:     by_value
      - .offset:         8
        .size:           16
        .value_kind:     by_value
      - .offset:         24
        .size:           8
        .value_kind:     by_value
      - .address_space:  global
        .offset:         32
        .size:           8
        .value_kind:     global_buffer
      - .offset:         40
        .size:           8
        .value_kind:     by_value
      - .offset:         48
        .size:           4
        .value_kind:     by_value
      - .offset:         56
        .size:           8
        .value_kind:     by_value
      - .address_space:  global
        .offset:         64
        .size:           8
        .value_kind:     global_buffer
      - .offset:         72
        .size:           8
        .value_kind:     by_value
      - .offset:         80
        .size:           4
        .value_kind:     by_value
      - .offset:         88
        .size:           8
        .value_kind:     by_value
      - .offset:         96
        .size:           16
        .value_kind:     by_value
      - .offset:         112
        .size:           8
        .value_kind:     by_value
      - .address_space:  global
        .offset:         120
        .size:           8
        .value_kind:     global_buffer
      - .offset:         128
        .size:           8
        .value_kind:     by_value
      - .offset:         136
        .size:           4
        .value_kind:     by_value
      - .offset:         144
        .size:           8
        .value_kind:     by_value
      - .offset:         152
        .size:           4
        .value_kind:     by_value
    .group_segment_fixed_size: 512
    .kernarg_segment_align: 8
    .kernarg_segment_size: 156
    .language:       OpenCL C
    .language_version:
      - 2
      - 0
    .max_flat_workgroup_size: 1024
    .name:           _ZL32rocblas_gemvt_warp_reduce_kernelILb1ELi1024Ei19rocblas_complex_numIdES1_S1_EviiT3_lPKT2_lT1_lS5_lS6_lS2_lPT4_lS6_li
    .private_segment_fixed_size: 0
    .sgpr_count:     51
    .sgpr_spill_count: 0
    .symbol:         _ZL32rocblas_gemvt_warp_reduce_kernelILb1ELi1024Ei19rocblas_complex_numIdES1_S1_EviiT3_lPKT2_lT1_lS5_lS6_lS2_lPT4_lS6_li.kd
    .uniform_work_group_size: 1
    .uses_dynamic_stack: false
    .vgpr_count:     32
    .vgpr_spill_count: 0
    .wavefront_size: 32
    .workgroup_processor_mode: 1
  - .args:
      - .offset:         0
        .size:           4
        .value_kind:     by_value
      - .offset:         4
        .size:           4
        .value_kind:     by_value
      - .offset:         8
        .size:           16
        .value_kind:     by_value
      - .offset:         24
        .size:           8
        .value_kind:     by_value
      - .address_space:  global
        .offset:         32
        .size:           8
        .value_kind:     global_buffer
      - .offset:         40
        .size:           8
        .value_kind:     by_value
      - .offset:         48
        .size:           8
        .value_kind:     by_value
      - .offset:         56
        .size:           8
        .value_kind:     by_value
      - .address_space:  global
        .offset:         64
        .size:           8
        .value_kind:     global_buffer
      - .offset:         72
        .size:           8
        .value_kind:     by_value
      - .offset:         80
        .size:           8
        .value_kind:     by_value
      - .offset:         88
        .size:           8
        .value_kind:     by_value
      - .offset:         96
        .size:           16
        .value_kind:     by_value
      - .offset:         112
        .size:           8
        .value_kind:     by_value
      - .address_space:  global
        .offset:         120
        .size:           8
        .value_kind:     global_buffer
      - .offset:         128
        .size:           8
        .value_kind:     by_value
      - .offset:         136
        .size:           8
        .value_kind:     by_value
      - .offset:         144
        .size:           8
        .value_kind:     by_value
      - .offset:         152
        .size:           4
        .value_kind:     by_value
    .group_segment_fixed_size: 512
    .kernarg_segment_align: 8
    .kernarg_segment_size: 156
    .language:       OpenCL C
    .language_version:
      - 2
      - 0
    .max_flat_workgroup_size: 1024
    .name:           _ZL32rocblas_gemvt_warp_reduce_kernelILb1ELi1024El19rocblas_complex_numIdES1_S1_EviiT3_lPKT2_lT1_lS5_lS6_lS2_lPT4_lS6_li
    .private_segment_fixed_size: 0
    .sgpr_count:     52
    .sgpr_spill_count: 0
    .symbol:         _ZL32rocblas_gemvt_warp_reduce_kernelILb1ELi1024El19rocblas_complex_numIdES1_S1_EviiT3_lPKT2_lT1_lS5_lS6_lS2_lPT4_lS6_li.kd
    .uniform_work_group_size: 1
    .uses_dynamic_stack: false
    .vgpr_count:     33
    .vgpr_spill_count: 0
    .wavefront_size: 32
    .workgroup_processor_mode: 1
  - .args:
      - .offset:         0
        .size:           4
        .value_kind:     by_value
      - .offset:         4
        .size:           4
        .value_kind:     by_value
      - .address_space:  global
        .offset:         8
        .size:           8
        .value_kind:     global_buffer
      - .offset:         16
        .size:           8
        .value_kind:     by_value
      - .address_space:  global
        .offset:         24
        .size:           8
        .value_kind:     global_buffer
      - .offset:         32
        .size:           8
        .value_kind:     by_value
      - .offset:         40
        .size:           4
        .value_kind:     by_value
      - .offset:         48
        .size:           8
        .value_kind:     by_value
      - .address_space:  global
        .offset:         56
        .size:           8
        .value_kind:     global_buffer
      - .offset:         64
        .size:           8
        .value_kind:     by_value
      - .offset:         72
        .size:           4
        .value_kind:     by_value
      - .offset:         80
        .size:           8
        .value_kind:     by_value
      - .address_space:  global
        .offset:         88
        .size:           8
        .value_kind:     global_buffer
      - .offset:         96
        .size:           8
        .value_kind:     by_value
      - .address_space:  global
        .offset:         104
        .size:           8
        .value_kind:     global_buffer
      - .offset:         112
        .size:           8
        .value_kind:     by_value
      - .offset:         120
        .size:           4
        .value_kind:     by_value
      - .offset:         128
        .size:           8
        .value_kind:     by_value
      - .offset:         136
        .size:           4
        .value_kind:     by_value
    .group_segment_fixed_size: 0
    .kernarg_segment_align: 8
    .kernarg_segment_size: 140
    .language:       OpenCL C
    .language_version:
      - 2
      - 0
    .max_flat_workgroup_size: 768
    .name:           _ZL34rocblas_gemvn_sm_mn_batched_kernelILi32ELi24EPKfS1_KPfEviiT2_lPKT1_lilS7_lilS4_lPT3_lili
    .private_segment_fixed_size: 0
    .sgpr_count:     0
    .sgpr_spill_count: 0
    .symbol:         _ZL34rocblas_gemvn_sm_mn_batched_kernelILi32ELi24EPKfS1_KPfEviiT2_lPKT1_lilS7_lilS4_lPT3_lili.kd
    .uniform_work_group_size: 1
    .uses_dynamic_stack: false
    .vgpr_count:     0
    .vgpr_spill_count: 0
    .wavefront_size: 32
    .workgroup_processor_mode: 1
  - .args:
      - .offset:         0
        .size:           4
        .value_kind:     by_value
      - .offset:         4
        .size:           4
        .value_kind:     by_value
      - .offset:         8
        .size:           4
        .value_kind:     by_value
      - .offset:         16
        .size:           8
        .value_kind:     by_value
      - .address_space:  global
        .offset:         24
        .size:           8
        .value_kind:     global_buffer
      - .offset:         32
        .size:           8
        .value_kind:     by_value
      - .offset:         40
        .size:           4
        .value_kind:     by_value
      - .offset:         48
        .size:           8
        .value_kind:     by_value
      - .address_space:  global
        .offset:         56
        .size:           8
        .value_kind:     global_buffer
      - .offset:         64
        .size:           8
        .value_kind:     by_value
      - .offset:         72
        .size:           4
        .value_kind:     by_value
      - .offset:         80
        .size:           8
        .value_kind:     by_value
      - .offset:         88
        .size:           4
        .value_kind:     by_value
      - .offset:         96
        .size:           8
        .value_kind:     by_value
      - .address_space:  global
        .offset:         104
        .size:           8
        .value_kind:     global_buffer
      - .offset:         112
        .size:           8
        .value_kind:     by_value
      - .offset:         120
        .size:           4
        .value_kind:     by_value
      - .offset:         128
        .size:           8
        .value_kind:     by_value
      - .offset:         136
        .size:           4
        .value_kind:     by_value
    .group_segment_fixed_size: 0
    .kernarg_segment_align: 8
    .kernarg_segment_size: 140
    .language:       OpenCL C
    .language_version:
      - 2
      - 0
    .max_flat_workgroup_size: 768
    .name:           _ZL34rocblas_gemvn_sm_mn_batched_kernelILi32ELi24EPKffKPfEviiT2_lPKT1_lilS7_lilS4_lPT3_lili
    .private_segment_fixed_size: 0
    .sgpr_count:     0
    .sgpr_spill_count: 0
    .symbol:         _ZL34rocblas_gemvn_sm_mn_batched_kernelILi32ELi24EPKffKPfEviiT2_lPKT1_lilS7_lilS4_lPT3_lili.kd
    .uniform_work_group_size: 1
    .uses_dynamic_stack: false
    .vgpr_count:     0
    .vgpr_spill_count: 0
    .wavefront_size: 32
    .workgroup_processor_mode: 1
  - .args:
      - .offset:         0
        .size:           4
        .value_kind:     by_value
      - .offset:         4
        .size:           4
        .value_kind:     by_value
      - .address_space:  global
        .offset:         8
        .size:           8
        .value_kind:     global_buffer
      - .offset:         16
        .size:           8
        .value_kind:     by_value
      - .address_space:  global
        .offset:         24
        .size:           8
        .value_kind:     global_buffer
      - .offset:         32
        .size:           8
        .value_kind:     by_value
      - .offset:         40
        .size:           4
        .value_kind:     by_value
      - .offset:         48
        .size:           8
        .value_kind:     by_value
      - .address_space:  global
        .offset:         56
        .size:           8
        .value_kind:     global_buffer
      - .offset:         64
        .size:           8
        .value_kind:     by_value
      - .offset:         72
        .size:           4
        .value_kind:     by_value
      - .offset:         80
        .size:           8
        .value_kind:     by_value
      - .address_space:  global
        .offset:         88
        .size:           8
        .value_kind:     global_buffer
      - .offset:         96
        .size:           8
        .value_kind:     by_value
      - .address_space:  global
        .offset:         104
        .size:           8
        .value_kind:     global_buffer
      - .offset:         112
        .size:           8
        .value_kind:     by_value
      - .offset:         120
        .size:           4
        .value_kind:     by_value
      - .offset:         128
        .size:           8
        .value_kind:     by_value
      - .offset:         136
        .size:           4
        .value_kind:     by_value
      - .offset:         144
        .size:           4
        .value_kind:     hidden_block_count_x
      - .offset:         148
        .size:           4
        .value_kind:     hidden_block_count_y
      - .offset:         152
        .size:           4
        .value_kind:     hidden_block_count_z
      - .offset:         156
        .size:           2
        .value_kind:     hidden_group_size_x
      - .offset:         158
        .size:           2
        .value_kind:     hidden_group_size_y
      - .offset:         160
        .size:           2
        .value_kind:     hidden_group_size_z
      - .offset:         162
        .size:           2
        .value_kind:     hidden_remainder_x
      - .offset:         164
        .size:           2
        .value_kind:     hidden_remainder_y
      - .offset:         166
        .size:           2
        .value_kind:     hidden_remainder_z
      - .offset:         184
        .size:           8
        .value_kind:     hidden_global_offset_x
      - .offset:         192
        .size:           8
        .value_kind:     hidden_global_offset_y
      - .offset:         200
        .size:           8
        .value_kind:     hidden_global_offset_z
      - .offset:         208
        .size:           2
        .value_kind:     hidden_grid_dims
    .group_segment_fixed_size: 4096
    .kernarg_segment_align: 8
    .kernarg_segment_size: 400
    .language:       OpenCL C
    .language_version:
      - 2
      - 0
    .max_flat_workgroup_size: 256
    .name:           _ZL20rocblas_gemvn_kernelILi64ELi4EiPKfS1_KPfEviiT3_lPKT2_lT1_lS7_lS8_lS4_lPT4_lS8_li
    .private_segment_fixed_size: 0
    .sgpr_count:     51
    .sgpr_spill_count: 0
    .symbol:         _ZL20rocblas_gemvn_kernelILi64ELi4EiPKfS1_KPfEviiT3_lPKT2_lT1_lS7_lS8_lS4_lPT4_lS8_li.kd
    .uniform_work_group_size: 1
    .uses_dynamic_stack: false
    .vgpr_count:     59
    .vgpr_spill_count: 0
    .wavefront_size: 32
    .workgroup_processor_mode: 1
  - .args:
      - .offset:         0
        .size:           4
        .value_kind:     by_value
      - .offset:         4
        .size:           4
        .value_kind:     by_value
      - .address_space:  global
        .offset:         8
        .size:           8
        .value_kind:     global_buffer
      - .offset:         16
        .size:           8
        .value_kind:     by_value
      - .address_space:  global
        .offset:         24
        .size:           8
        .value_kind:     global_buffer
      - .offset:         32
        .size:           8
        .value_kind:     by_value
      - .offset:         40
        .size:           8
        .value_kind:     by_value
      - .offset:         48
        .size:           8
        .value_kind:     by_value
      - .address_space:  global
        .offset:         56
        .size:           8
        .value_kind:     global_buffer
      - .offset:         64
        .size:           8
        .value_kind:     by_value
      - .offset:         72
        .size:           8
        .value_kind:     by_value
      - .offset:         80
        .size:           8
        .value_kind:     by_value
      - .address_space:  global
        .offset:         88
        .size:           8
        .value_kind:     global_buffer
      - .offset:         96
        .size:           8
        .value_kind:     by_value
      - .address_space:  global
        .offset:         104
        .size:           8
        .value_kind:     global_buffer
      - .offset:         112
        .size:           8
        .value_kind:     by_value
      - .offset:         120
        .size:           8
        .value_kind:     by_value
      - .offset:         128
        .size:           8
        .value_kind:     by_value
      - .offset:         136
        .size:           4
        .value_kind:     by_value
      - .offset:         144
        .size:           4
        .value_kind:     hidden_block_count_x
      - .offset:         148
        .size:           4
        .value_kind:     hidden_block_count_y
      - .offset:         152
        .size:           4
        .value_kind:     hidden_block_count_z
      - .offset:         156
        .size:           2
        .value_kind:     hidden_group_size_x
      - .offset:         158
        .size:           2
        .value_kind:     hidden_group_size_y
      - .offset:         160
        .size:           2
        .value_kind:     hidden_group_size_z
      - .offset:         162
        .size:           2
        .value_kind:     hidden_remainder_x
      - .offset:         164
        .size:           2
        .value_kind:     hidden_remainder_y
      - .offset:         166
        .size:           2
        .value_kind:     hidden_remainder_z
      - .offset:         184
        .size:           8
        .value_kind:     hidden_global_offset_x
      - .offset:         192
        .size:           8
        .value_kind:     hidden_global_offset_y
      - .offset:         200
        .size:           8
        .value_kind:     hidden_global_offset_z
      - .offset:         208
        .size:           2
        .value_kind:     hidden_grid_dims
    .group_segment_fixed_size: 4096
    .kernarg_segment_align: 8
    .kernarg_segment_size: 400
    .language:       OpenCL C
    .language_version:
      - 2
      - 0
    .max_flat_workgroup_size: 256
    .name:           _ZL20rocblas_gemvn_kernelILi64ELi4ElPKfS1_KPfEviiT3_lPKT2_lT1_lS7_lS8_lS4_lPT4_lS8_li
    .private_segment_fixed_size: 0
    .sgpr_count:     53
    .sgpr_spill_count: 0
    .symbol:         _ZL20rocblas_gemvn_kernelILi64ELi4ElPKfS1_KPfEviiT3_lPKT2_lT1_lS7_lS8_lS4_lPT4_lS8_li.kd
    .uniform_work_group_size: 1
    .uses_dynamic_stack: false
    .vgpr_count:     74
    .vgpr_spill_count: 0
    .wavefront_size: 32
    .workgroup_processor_mode: 1
  - .args:
      - .offset:         0
        .size:           4
        .value_kind:     by_value
      - .offset:         4
        .size:           4
        .value_kind:     by_value
      - .offset:         8
        .size:           4
        .value_kind:     by_value
      - .offset:         16
        .size:           8
        .value_kind:     by_value
      - .address_space:  global
        .offset:         24
        .size:           8
        .value_kind:     global_buffer
      - .offset:         32
        .size:           8
        .value_kind:     by_value
      - .offset:         40
        .size:           4
        .value_kind:     by_value
      - .offset:         48
        .size:           8
        .value_kind:     by_value
      - .address_space:  global
        .offset:         56
        .size:           8
        .value_kind:     global_buffer
      - .offset:         64
        .size:           8
        .value_kind:     by_value
      - .offset:         72
        .size:           4
        .value_kind:     by_value
      - .offset:         80
        .size:           8
        .value_kind:     by_value
      - .offset:         88
        .size:           4
        .value_kind:     by_value
      - .offset:         96
        .size:           8
        .value_kind:     by_value
      - .address_space:  global
        .offset:         104
        .size:           8
        .value_kind:     global_buffer
      - .offset:         112
        .size:           8
        .value_kind:     by_value
      - .offset:         120
        .size:           4
        .value_kind:     by_value
      - .offset:         128
        .size:           8
        .value_kind:     by_value
      - .offset:         136
        .size:           4
        .value_kind:     by_value
      - .offset:         144
        .size:           4
        .value_kind:     hidden_block_count_x
      - .offset:         148
        .size:           4
        .value_kind:     hidden_block_count_y
      - .offset:         152
        .size:           4
        .value_kind:     hidden_block_count_z
      - .offset:         156
        .size:           2
        .value_kind:     hidden_group_size_x
      - .offset:         158
        .size:           2
        .value_kind:     hidden_group_size_y
      - .offset:         160
        .size:           2
        .value_kind:     hidden_group_size_z
      - .offset:         162
        .size:           2
        .value_kind:     hidden_remainder_x
      - .offset:         164
        .size:           2
        .value_kind:     hidden_remainder_y
      - .offset:         166
        .size:           2
        .value_kind:     hidden_remainder_z
      - .offset:         184
        .size:           8
        .value_kind:     hidden_global_offset_x
      - .offset:         192
        .size:           8
        .value_kind:     hidden_global_offset_y
      - .offset:         200
        .size:           8
        .value_kind:     hidden_global_offset_z
      - .offset:         208
        .size:           2
        .value_kind:     hidden_grid_dims
    .group_segment_fixed_size: 4096
    .kernarg_segment_align: 8
    .kernarg_segment_size: 400
    .language:       OpenCL C
    .language_version:
      - 2
      - 0
    .max_flat_workgroup_size: 256
    .name:           _ZL20rocblas_gemvn_kernelILi64ELi4EiPKffKPfEviiT3_lPKT2_lT1_lS7_lS8_lS4_lPT4_lS8_li
    .private_segment_fixed_size: 0
    .sgpr_count:     47
    .sgpr_spill_count: 0
    .symbol:         _ZL20rocblas_gemvn_kernelILi64ELi4EiPKffKPfEviiT3_lPKT2_lT1_lS7_lS8_lS4_lPT4_lS8_li.kd
    .uniform_work_group_size: 1
    .uses_dynamic_stack: false
    .vgpr_count:     59
    .vgpr_spill_count: 0
    .wavefront_size: 32
    .workgroup_processor_mode: 1
  - .args:
      - .offset:         0
        .size:           4
        .value_kind:     by_value
      - .offset:         4
        .size:           4
        .value_kind:     by_value
      - .offset:         8
        .size:           4
        .value_kind:     by_value
      - .offset:         16
        .size:           8
        .value_kind:     by_value
      - .address_space:  global
        .offset:         24
        .size:           8
        .value_kind:     global_buffer
      - .offset:         32
        .size:           8
        .value_kind:     by_value
      - .offset:         40
        .size:           8
        .value_kind:     by_value
      - .offset:         48
        .size:           8
        .value_kind:     by_value
      - .address_space:  global
        .offset:         56
        .size:           8
        .value_kind:     global_buffer
      - .offset:         64
        .size:           8
        .value_kind:     by_value
      - .offset:         72
        .size:           8
        .value_kind:     by_value
      - .offset:         80
        .size:           8
        .value_kind:     by_value
      - .offset:         88
        .size:           4
        .value_kind:     by_value
      - .offset:         96
        .size:           8
        .value_kind:     by_value
      - .address_space:  global
        .offset:         104
        .size:           8
        .value_kind:     global_buffer
      - .offset:         112
        .size:           8
        .value_kind:     by_value
      - .offset:         120
        .size:           8
        .value_kind:     by_value
      - .offset:         128
        .size:           8
        .value_kind:     by_value
      - .offset:         136
        .size:           4
        .value_kind:     by_value
      - .offset:         144
        .size:           4
        .value_kind:     hidden_block_count_x
      - .offset:         148
        .size:           4
        .value_kind:     hidden_block_count_y
      - .offset:         152
        .size:           4
        .value_kind:     hidden_block_count_z
      - .offset:         156
        .size:           2
        .value_kind:     hidden_group_size_x
      - .offset:         158
        .size:           2
        .value_kind:     hidden_group_size_y
      - .offset:         160
        .size:           2
        .value_kind:     hidden_group_size_z
      - .offset:         162
        .size:           2
        .value_kind:     hidden_remainder_x
      - .offset:         164
        .size:           2
        .value_kind:     hidden_remainder_y
      - .offset:         166
        .size:           2
        .value_kind:     hidden_remainder_z
      - .offset:         184
        .size:           8
        .value_kind:     hidden_global_offset_x
      - .offset:         192
        .size:           8
        .value_kind:     hidden_global_offset_y
      - .offset:         200
        .size:           8
        .value_kind:     hidden_global_offset_z
      - .offset:         208
        .size:           2
        .value_kind:     hidden_grid_dims
    .group_segment_fixed_size: 4096
    .kernarg_segment_align: 8
    .kernarg_segment_size: 400
    .language:       OpenCL C
    .language_version:
      - 2
      - 0
    .max_flat_workgroup_size: 256
    .name:           _ZL20rocblas_gemvn_kernelILi64ELi4ElPKffKPfEviiT3_lPKT2_lT1_lS7_lS8_lS4_lPT4_lS8_li
    .private_segment_fixed_size: 0
    .sgpr_count:     49
    .sgpr_spill_count: 0
    .symbol:         _ZL20rocblas_gemvn_kernelILi64ELi4ElPKffKPfEviiT3_lPKT2_lT1_lS7_lS8_lS4_lPT4_lS8_li.kd
    .uniform_work_group_size: 1
    .uses_dynamic_stack: false
    .vgpr_count:     74
    .vgpr_spill_count: 0
    .wavefront_size: 32
    .workgroup_processor_mode: 1
  - .args:
      - .offset:         0
        .size:           4
        .value_kind:     by_value
      - .address_space:  global
        .offset:         8
        .size:           8
        .value_kind:     global_buffer
      - .offset:         16
        .size:           8
        .value_kind:     by_value
      - .address_space:  global
        .offset:         24
        .size:           8
        .value_kind:     global_buffer
      - .offset:         32
        .size:           8
        .value_kind:     by_value
      - .offset:         40
        .size:           4
        .value_kind:     by_value
      - .offset:         48
        .size:           8
        .value_kind:     by_value
      - .offset:         56
        .size:           4
        .value_kind:     by_value
      - .offset:         64
        .size:           4
        .value_kind:     hidden_block_count_x
      - .offset:         68
        .size:           4
        .value_kind:     hidden_block_count_y
      - .offset:         72
        .size:           4
        .value_kind:     hidden_block_count_z
      - .offset:         76
        .size:           2
        .value_kind:     hidden_group_size_x
      - .offset:         78
        .size:           2
        .value_kind:     hidden_group_size_y
      - .offset:         80
        .size:           2
        .value_kind:     hidden_group_size_z
      - .offset:         82
        .size:           2
        .value_kind:     hidden_remainder_x
      - .offset:         84
        .size:           2
        .value_kind:     hidden_remainder_y
      - .offset:         86
        .size:           2
        .value_kind:     hidden_remainder_z
      - .offset:         104
        .size:           8
        .value_kind:     hidden_global_offset_x
      - .offset:         112
        .size:           8
        .value_kind:     hidden_global_offset_y
      - .offset:         120
        .size:           8
        .value_kind:     hidden_global_offset_z
      - .offset:         128
        .size:           2
        .value_kind:     hidden_grid_dims
    .group_segment_fixed_size: 0
    .kernarg_segment_align: 8
    .kernarg_segment_size: 320
    .language:       OpenCL C
    .language_version:
      - 2
      - 0
    .max_flat_workgroup_size: 256
    .name:           _ZL24rocblas_gemv_scal_kernelILi256EPKfPKPfEviT0_lT1_lili
    .private_segment_fixed_size: 0
    .sgpr_count:     24
    .sgpr_spill_count: 0
    .symbol:         _ZL24rocblas_gemv_scal_kernelILi256EPKfPKPfEviT0_lT1_lili.kd
    .uniform_work_group_size: 1
    .uses_dynamic_stack: false
    .vgpr_count:     8
    .vgpr_spill_count: 0
    .wavefront_size: 32
    .workgroup_processor_mode: 1
  - .args:
      - .offset:         0
        .size:           4
        .value_kind:     by_value
      - .offset:         4
        .size:           4
        .value_kind:     by_value
      - .offset:         8
        .size:           8
        .value_kind:     by_value
      - .address_space:  global
        .offset:         16
        .size:           8
        .value_kind:     global_buffer
      - .offset:         24
        .size:           8
        .value_kind:     by_value
      - .offset:         32
        .size:           4
        .value_kind:     by_value
      - .offset:         40
        .size:           8
        .value_kind:     by_value
      - .offset:         48
        .size:           4
        .value_kind:     by_value
      - .offset:         56
        .size:           4
        .value_kind:     hidden_block_count_x
      - .offset:         60
        .size:           4
        .value_kind:     hidden_block_count_y
      - .offset:         64
        .size:           4
        .value_kind:     hidden_block_count_z
      - .offset:         68
        .size:           2
        .value_kind:     hidden_group_size_x
      - .offset:         70
        .size:           2
        .value_kind:     hidden_group_size_y
      - .offset:         72
        .size:           2
        .value_kind:     hidden_group_size_z
      - .offset:         74
        .size:           2
        .value_kind:     hidden_remainder_x
      - .offset:         76
        .size:           2
        .value_kind:     hidden_remainder_y
      - .offset:         78
        .size:           2
        .value_kind:     hidden_remainder_z
      - .offset:         96
        .size:           8
        .value_kind:     hidden_global_offset_x
      - .offset:         104
        .size:           8
        .value_kind:     hidden_global_offset_y
      - .offset:         112
        .size:           8
        .value_kind:     hidden_global_offset_z
      - .offset:         120
        .size:           2
        .value_kind:     hidden_grid_dims
    .group_segment_fixed_size: 0
    .kernarg_segment_align: 8
    .kernarg_segment_size: 312
    .language:       OpenCL C
    .language_version:
      - 2
      - 0
    .max_flat_workgroup_size: 256
    .name:           _ZL24rocblas_gemv_scal_kernelILi256EfPKPfEviT0_lT1_lili
    .private_segment_fixed_size: 0
    .sgpr_count:     22
    .sgpr_spill_count: 0
    .symbol:         _ZL24rocblas_gemv_scal_kernelILi256EfPKPfEviT0_lT1_lili.kd
    .uniform_work_group_size: 1
    .uses_dynamic_stack: false
    .vgpr_count:     6
    .vgpr_spill_count: 0
    .wavefront_size: 32
    .workgroup_processor_mode: 1
  - .args:
      - .offset:         0
        .size:           4
        .value_kind:     by_value
      - .offset:         4
        .size:           4
        .value_kind:     by_value
      - .address_space:  global
        .offset:         8
        .size:           8
        .value_kind:     global_buffer
      - .offset:         16
        .size:           8
        .value_kind:     by_value
      - .address_space:  global
        .offset:         24
        .size:           8
        .value_kind:     global_buffer
      - .offset:         32
        .size:           8
        .value_kind:     by_value
      - .offset:         40
        .size:           4
        .value_kind:     by_value
      - .offset:         48
        .size:           8
        .value_kind:     by_value
      - .address_space:  global
        .offset:         56
        .size:           8
        .value_kind:     global_buffer
      - .offset:         64
        .size:           8
        .value_kind:     by_value
      - .offset:         72
        .size:           4
        .value_kind:     by_value
      - .offset:         80
        .size:           8
        .value_kind:     by_value
      - .address_space:  global
        .offset:         88
        .size:           8
        .value_kind:     global_buffer
      - .offset:         96
        .size:           8
        .value_kind:     by_value
      - .offset:         104
        .size:           4
        .value_kind:     by_value
      - .offset:         112
        .size:           8
        .value_kind:     by_value
      - .offset:         120
        .size:           4
        .value_kind:     by_value
      - .offset:         128
        .size:           4
        .value_kind:     hidden_block_count_x
      - .offset:         132
        .size:           4
        .value_kind:     hidden_block_count_y
      - .offset:         136
        .size:           4
        .value_kind:     hidden_block_count_z
      - .offset:         140
        .size:           2
        .value_kind:     hidden_group_size_x
      - .offset:         142
        .size:           2
        .value_kind:     hidden_group_size_y
      - .offset:         144
        .size:           2
        .value_kind:     hidden_group_size_z
      - .offset:         146
        .size:           2
        .value_kind:     hidden_remainder_x
      - .offset:         148
        .size:           2
        .value_kind:     hidden_remainder_y
      - .offset:         150
        .size:           2
        .value_kind:     hidden_remainder_z
      - .offset:         168
        .size:           8
        .value_kind:     hidden_global_offset_x
      - .offset:         176
        .size:           8
        .value_kind:     hidden_global_offset_y
      - .offset:         184
        .size:           8
        .value_kind:     hidden_global_offset_z
      - .offset:         192
        .size:           2
        .value_kind:     hidden_grid_dims
    .group_segment_fixed_size: 8192
    .kernarg_segment_align: 8
    .kernarg_segment_size: 384
    .language:       OpenCL C
    .language_version:
      - 2
      - 0
    .max_flat_workgroup_size: 1024
    .name:           _ZL36rocblas_gemvn_double_buffered_kernelILi128ELi8ELi8EPKfS1_KPfEviiT3_lPKT2_lilS7_lilPT4_lili
    .private_segment_fixed_size: 0
    .sgpr_count:     56
    .sgpr_spill_count: 0
    .symbol:         _ZL36rocblas_gemvn_double_buffered_kernelILi128ELi8ELi8EPKfS1_KPfEviiT3_lPKT2_lilS7_lilPT4_lili.kd
    .uniform_work_group_size: 1
    .uses_dynamic_stack: false
    .vgpr_count:     102
    .vgpr_spill_count: 0
    .wavefront_size: 32
    .workgroup_processor_mode: 1
  - .args:
      - .offset:         0
        .size:           4
        .value_kind:     by_value
      - .offset:         4
        .size:           4
        .value_kind:     by_value
      - .offset:         8
        .size:           4
        .value_kind:     by_value
      - .offset:         16
        .size:           8
        .value_kind:     by_value
      - .address_space:  global
        .offset:         24
        .size:           8
        .value_kind:     global_buffer
      - .offset:         32
        .size:           8
        .value_kind:     by_value
      - .offset:         40
        .size:           4
        .value_kind:     by_value
      - .offset:         48
        .size:           8
        .value_kind:     by_value
      - .address_space:  global
        .offset:         56
        .size:           8
        .value_kind:     global_buffer
      - .offset:         64
        .size:           8
        .value_kind:     by_value
      - .offset:         72
        .size:           4
        .value_kind:     by_value
      - .offset:         80
        .size:           8
        .value_kind:     by_value
      - .address_space:  global
        .offset:         88
        .size:           8
        .value_kind:     global_buffer
      - .offset:         96
        .size:           8
        .value_kind:     by_value
      - .offset:         104
        .size:           4
        .value_kind:     by_value
      - .offset:         112
        .size:           8
        .value_kind:     by_value
      - .offset:         120
        .size:           4
        .value_kind:     by_value
      - .offset:         128
        .size:           4
        .value_kind:     hidden_block_count_x
      - .offset:         132
        .size:           4
        .value_kind:     hidden_block_count_y
      - .offset:         136
        .size:           4
        .value_kind:     hidden_block_count_z
      - .offset:         140
        .size:           2
        .value_kind:     hidden_group_size_x
      - .offset:         142
        .size:           2
        .value_kind:     hidden_group_size_y
      - .offset:         144
        .size:           2
        .value_kind:     hidden_group_size_z
      - .offset:         146
        .size:           2
        .value_kind:     hidden_remainder_x
      - .offset:         148
        .size:           2
        .value_kind:     hidden_remainder_y
      - .offset:         150
        .size:           2
        .value_kind:     hidden_remainder_z
      - .offset:         168
        .size:           8
        .value_kind:     hidden_global_offset_x
      - .offset:         176
        .size:           8
        .value_kind:     hidden_global_offset_y
      - .offset:         184
        .size:           8
        .value_kind:     hidden_global_offset_z
      - .offset:         192
        .size:           2
        .value_kind:     hidden_grid_dims
    .group_segment_fixed_size: 8192
    .kernarg_segment_align: 8
    .kernarg_segment_size: 384
    .language:       OpenCL C
    .language_version:
      - 2
      - 0
    .max_flat_workgroup_size: 1024
    .name:           _ZL36rocblas_gemvn_double_buffered_kernelILi128ELi8ELi8EPKffKPfEviiT3_lPKT2_lilS7_lilPT4_lili
    .private_segment_fixed_size: 0
    .sgpr_count:     54
    .sgpr_spill_count: 0
    .symbol:         _ZL36rocblas_gemvn_double_buffered_kernelILi128ELi8ELi8EPKffKPfEviiT3_lPKT2_lilS7_lilPT4_lili.kd
    .uniform_work_group_size: 1
    .uses_dynamic_stack: false
    .vgpr_count:     101
    .vgpr_spill_count: 0
    .wavefront_size: 32
    .workgroup_processor_mode: 1
  - .args:
      - .offset:         0
        .size:           4
        .value_kind:     by_value
      - .offset:         4
        .size:           4
        .value_kind:     by_value
      - .address_space:  global
        .offset:         8
        .size:           8
        .value_kind:     global_buffer
      - .offset:         16
        .size:           8
        .value_kind:     by_value
      - .address_space:  global
        .offset:         24
        .size:           8
        .value_kind:     global_buffer
      - .offset:         32
        .size:           8
        .value_kind:     by_value
      - .offset:         40
        .size:           4
        .value_kind:     by_value
      - .offset:         48
        .size:           8
        .value_kind:     by_value
      - .address_space:  global
        .offset:         56
        .size:           8
        .value_kind:     global_buffer
      - .offset:         64
        .size:           8
        .value_kind:     by_value
      - .offset:         72
        .size:           4
        .value_kind:     by_value
      - .offset:         80
        .size:           8
        .value_kind:     by_value
      - .address_space:  global
        .offset:         88
        .size:           8
        .value_kind:     global_buffer
      - .offset:         96
        .size:           8
        .value_kind:     by_value
      - .address_space:  global
        .offset:         104
        .size:           8
        .value_kind:     global_buffer
      - .offset:         112
        .size:           8
        .value_kind:     by_value
      - .offset:         120
        .size:           4
        .value_kind:     by_value
      - .offset:         128
        .size:           8
        .value_kind:     by_value
      - .offset:         136
        .size:           4
        .value_kind:     by_value
      - .offset:         144
        .size:           4
        .value_kind:     hidden_block_count_x
      - .offset:         148
        .size:           4
        .value_kind:     hidden_block_count_y
      - .offset:         152
        .size:           4
        .value_kind:     hidden_block_count_z
      - .offset:         156
        .size:           2
        .value_kind:     hidden_group_size_x
      - .offset:         158
        .size:           2
        .value_kind:     hidden_group_size_y
      - .offset:         160
        .size:           2
        .value_kind:     hidden_group_size_z
      - .offset:         162
        .size:           2
        .value_kind:     hidden_remainder_x
      - .offset:         164
        .size:           2
        .value_kind:     hidden_remainder_y
      - .offset:         166
        .size:           2
        .value_kind:     hidden_remainder_z
      - .offset:         184
        .size:           8
        .value_kind:     hidden_global_offset_x
      - .offset:         192
        .size:           8
        .value_kind:     hidden_global_offset_y
      - .offset:         200
        .size:           8
        .value_kind:     hidden_global_offset_z
      - .offset:         208
        .size:           2
        .value_kind:     hidden_grid_dims
    .group_segment_fixed_size: 8192
    .kernarg_segment_align: 8
    .kernarg_segment_size: 400
    .language:       OpenCL C
    .language_version:
      - 2
      - 0
    .max_flat_workgroup_size: 512
    .name:           _ZL20rocblas_gemvn_kernelILi32ELi16EiPKfS1_KPfEviiT3_lPKT2_lT1_lS7_lS8_lS4_lPT4_lS8_li
    .private_segment_fixed_size: 0
    .sgpr_count:     51
    .sgpr_spill_count: 0
    .symbol:         _ZL20rocblas_gemvn_kernelILi32ELi16EiPKfS1_KPfEviiT3_lPKT2_lT1_lS7_lS8_lS4_lPT4_lS8_li.kd
    .uniform_work_group_size: 1
    .uses_dynamic_stack: false
    .vgpr_count:     61
    .vgpr_spill_count: 0
    .wavefront_size: 32
    .workgroup_processor_mode: 1
  - .args:
      - .offset:         0
        .size:           4
        .value_kind:     by_value
      - .offset:         4
        .size:           4
        .value_kind:     by_value
      - .address_space:  global
        .offset:         8
        .size:           8
        .value_kind:     global_buffer
      - .offset:         16
        .size:           8
        .value_kind:     by_value
      - .address_space:  global
        .offset:         24
        .size:           8
        .value_kind:     global_buffer
      - .offset:         32
        .size:           8
        .value_kind:     by_value
      - .offset:         40
        .size:           8
        .value_kind:     by_value
      - .offset:         48
        .size:           8
        .value_kind:     by_value
      - .address_space:  global
        .offset:         56
        .size:           8
        .value_kind:     global_buffer
      - .offset:         64
        .size:           8
        .value_kind:     by_value
      - .offset:         72
        .size:           8
        .value_kind:     by_value
      - .offset:         80
        .size:           8
        .value_kind:     by_value
      - .address_space:  global
        .offset:         88
        .size:           8
        .value_kind:     global_buffer
      - .offset:         96
        .size:           8
        .value_kind:     by_value
      - .address_space:  global
        .offset:         104
        .size:           8
        .value_kind:     global_buffer
      - .offset:         112
        .size:           8
        .value_kind:     by_value
      - .offset:         120
        .size:           8
        .value_kind:     by_value
      - .offset:         128
        .size:           8
        .value_kind:     by_value
      - .offset:         136
        .size:           4
        .value_kind:     by_value
      - .offset:         144
        .size:           4
        .value_kind:     hidden_block_count_x
      - .offset:         148
        .size:           4
        .value_kind:     hidden_block_count_y
      - .offset:         152
        .size:           4
        .value_kind:     hidden_block_count_z
      - .offset:         156
        .size:           2
        .value_kind:     hidden_group_size_x
      - .offset:         158
        .size:           2
        .value_kind:     hidden_group_size_y
      - .offset:         160
        .size:           2
        .value_kind:     hidden_group_size_z
      - .offset:         162
        .size:           2
        .value_kind:     hidden_remainder_x
      - .offset:         164
        .size:           2
        .value_kind:     hidden_remainder_y
      - .offset:         166
        .size:           2
        .value_kind:     hidden_remainder_z
      - .offset:         184
        .size:           8
        .value_kind:     hidden_global_offset_x
      - .offset:         192
        .size:           8
        .value_kind:     hidden_global_offset_y
      - .offset:         200
        .size:           8
        .value_kind:     hidden_global_offset_z
      - .offset:         208
        .size:           2
        .value_kind:     hidden_grid_dims
    .group_segment_fixed_size: 8192
    .kernarg_segment_align: 8
    .kernarg_segment_size: 400
    .language:       OpenCL C
    .language_version:
      - 2
      - 0
    .max_flat_workgroup_size: 512
    .name:           _ZL20rocblas_gemvn_kernelILi32ELi16ElPKfS1_KPfEviiT3_lPKT2_lT1_lS7_lS8_lS4_lPT4_lS8_li
    .private_segment_fixed_size: 0
    .sgpr_count:     53
    .sgpr_spill_count: 0
    .symbol:         _ZL20rocblas_gemvn_kernelILi32ELi16ElPKfS1_KPfEviiT3_lPKT2_lT1_lS7_lS8_lS4_lPT4_lS8_li.kd
    .uniform_work_group_size: 1
    .uses_dynamic_stack: false
    .vgpr_count:     74
    .vgpr_spill_count: 0
    .wavefront_size: 32
    .workgroup_processor_mode: 1
  - .args:
      - .offset:         0
        .size:           4
        .value_kind:     by_value
      - .offset:         4
        .size:           4
        .value_kind:     by_value
      - .offset:         8
        .size:           4
        .value_kind:     by_value
      - .offset:         16
        .size:           8
        .value_kind:     by_value
      - .address_space:  global
        .offset:         24
        .size:           8
        .value_kind:     global_buffer
      - .offset:         32
        .size:           8
        .value_kind:     by_value
      - .offset:         40
        .size:           4
        .value_kind:     by_value
      - .offset:         48
        .size:           8
        .value_kind:     by_value
      - .address_space:  global
        .offset:         56
        .size:           8
        .value_kind:     global_buffer
      - .offset:         64
        .size:           8
        .value_kind:     by_value
      - .offset:         72
        .size:           4
        .value_kind:     by_value
      - .offset:         80
        .size:           8
        .value_kind:     by_value
      - .offset:         88
        .size:           4
        .value_kind:     by_value
      - .offset:         96
        .size:           8
        .value_kind:     by_value
      - .address_space:  global
        .offset:         104
        .size:           8
        .value_kind:     global_buffer
      - .offset:         112
        .size:           8
        .value_kind:     by_value
      - .offset:         120
        .size:           4
        .value_kind:     by_value
      - .offset:         128
        .size:           8
        .value_kind:     by_value
      - .offset:         136
        .size:           4
        .value_kind:     by_value
      - .offset:         144
        .size:           4
        .value_kind:     hidden_block_count_x
      - .offset:         148
        .size:           4
        .value_kind:     hidden_block_count_y
      - .offset:         152
        .size:           4
        .value_kind:     hidden_block_count_z
      - .offset:         156
        .size:           2
        .value_kind:     hidden_group_size_x
      - .offset:         158
        .size:           2
        .value_kind:     hidden_group_size_y
      - .offset:         160
        .size:           2
        .value_kind:     hidden_group_size_z
      - .offset:         162
        .size:           2
        .value_kind:     hidden_remainder_x
      - .offset:         164
        .size:           2
        .value_kind:     hidden_remainder_y
      - .offset:         166
        .size:           2
        .value_kind:     hidden_remainder_z
      - .offset:         184
        .size:           8
        .value_kind:     hidden_global_offset_x
      - .offset:         192
        .size:           8
        .value_kind:     hidden_global_offset_y
      - .offset:         200
        .size:           8
        .value_kind:     hidden_global_offset_z
      - .offset:         208
        .size:           2
        .value_kind:     hidden_grid_dims
    .group_segment_fixed_size: 8192
    .kernarg_segment_align: 8
    .kernarg_segment_size: 400
    .language:       OpenCL C
    .language_version:
      - 2
      - 0
    .max_flat_workgroup_size: 512
    .name:           _ZL20rocblas_gemvn_kernelILi32ELi16EiPKffKPfEviiT3_lPKT2_lT1_lS7_lS8_lS4_lPT4_lS8_li
    .private_segment_fixed_size: 0
    .sgpr_count:     47
    .sgpr_spill_count: 0
    .symbol:         _ZL20rocblas_gemvn_kernelILi32ELi16EiPKffKPfEviiT3_lPKT2_lT1_lS7_lS8_lS4_lPT4_lS8_li.kd
    .uniform_work_group_size: 1
    .uses_dynamic_stack: false
    .vgpr_count:     61
    .vgpr_spill_count: 0
    .wavefront_size: 32
    .workgroup_processor_mode: 1
  - .args:
      - .offset:         0
        .size:           4
        .value_kind:     by_value
      - .offset:         4
        .size:           4
        .value_kind:     by_value
      - .offset:         8
        .size:           4
        .value_kind:     by_value
      - .offset:         16
        .size:           8
        .value_kind:     by_value
      - .address_space:  global
        .offset:         24
        .size:           8
        .value_kind:     global_buffer
      - .offset:         32
        .size:           8
        .value_kind:     by_value
      - .offset:         40
        .size:           8
        .value_kind:     by_value
      - .offset:         48
        .size:           8
        .value_kind:     by_value
      - .address_space:  global
        .offset:         56
        .size:           8
        .value_kind:     global_buffer
      - .offset:         64
        .size:           8
        .value_kind:     by_value
      - .offset:         72
        .size:           8
        .value_kind:     by_value
      - .offset:         80
        .size:           8
        .value_kind:     by_value
      - .offset:         88
        .size:           4
        .value_kind:     by_value
      - .offset:         96
        .size:           8
        .value_kind:     by_value
      - .address_space:  global
        .offset:         104
        .size:           8
        .value_kind:     global_buffer
      - .offset:         112
        .size:           8
        .value_kind:     by_value
      - .offset:         120
        .size:           8
        .value_kind:     by_value
      - .offset:         128
        .size:           8
        .value_kind:     by_value
      - .offset:         136
        .size:           4
        .value_kind:     by_value
      - .offset:         144
        .size:           4
        .value_kind:     hidden_block_count_x
      - .offset:         148
        .size:           4
        .value_kind:     hidden_block_count_y
      - .offset:         152
        .size:           4
        .value_kind:     hidden_block_count_z
      - .offset:         156
        .size:           2
        .value_kind:     hidden_group_size_x
      - .offset:         158
        .size:           2
        .value_kind:     hidden_group_size_y
      - .offset:         160
        .size:           2
        .value_kind:     hidden_group_size_z
      - .offset:         162
        .size:           2
        .value_kind:     hidden_remainder_x
      - .offset:         164
        .size:           2
        .value_kind:     hidden_remainder_y
      - .offset:         166
        .size:           2
        .value_kind:     hidden_remainder_z
      - .offset:         184
        .size:           8
        .value_kind:     hidden_global_offset_x
      - .offset:         192
        .size:           8
        .value_kind:     hidden_global_offset_y
      - .offset:         200
        .size:           8
        .value_kind:     hidden_global_offset_z
      - .offset:         208
        .size:           2
        .value_kind:     hidden_grid_dims
    .group_segment_fixed_size: 8192
    .kernarg_segment_align: 8
    .kernarg_segment_size: 400
    .language:       OpenCL C
    .language_version:
      - 2
      - 0
    .max_flat_workgroup_size: 512
    .name:           _ZL20rocblas_gemvn_kernelILi32ELi16ElPKffKPfEviiT3_lPKT2_lT1_lS7_lS8_lS4_lPT4_lS8_li
    .private_segment_fixed_size: 0
    .sgpr_count:     49
    .sgpr_spill_count: 0
    .symbol:         _ZL20rocblas_gemvn_kernelILi32ELi16ElPKffKPfEviiT3_lPKT2_lT1_lS7_lS8_lS4_lPT4_lS8_li.kd
    .uniform_work_group_size: 1
    .uses_dynamic_stack: false
    .vgpr_count:     74
    .vgpr_spill_count: 0
    .wavefront_size: 32
    .workgroup_processor_mode: 1
  - .args:
      - .offset:         0
        .size:           4
        .value_kind:     by_value
      - .offset:         4
        .size:           4
        .value_kind:     by_value
      - .address_space:  global
        .offset:         8
        .size:           8
        .value_kind:     global_buffer
      - .offset:         16
        .size:           8
        .value_kind:     by_value
      - .address_space:  global
        .offset:         24
        .size:           8
        .value_kind:     global_buffer
      - .offset:         32
        .size:           8
        .value_kind:     by_value
      - .offset:         40
        .size:           4
        .value_kind:     by_value
      - .offset:         48
        .size:           8
        .value_kind:     by_value
      - .address_space:  global
        .offset:         56
        .size:           8
        .value_kind:     global_buffer
      - .offset:         64
        .size:           8
        .value_kind:     by_value
      - .offset:         72
        .size:           4
        .value_kind:     by_value
      - .offset:         80
        .size:           8
        .value_kind:     by_value
      - .address_space:  global
        .offset:         88
        .size:           8
        .value_kind:     global_buffer
      - .offset:         96
        .size:           8
        .value_kind:     by_value
      - .address_space:  global
        .offset:         104
        .size:           8
        .value_kind:     global_buffer
      - .offset:         112
        .size:           8
        .value_kind:     by_value
      - .offset:         120
        .size:           4
        .value_kind:     by_value
      - .offset:         128
        .size:           8
        .value_kind:     by_value
      - .offset:         136
        .size:           4
        .value_kind:     by_value
      - .offset:         144
        .size:           4
        .value_kind:     hidden_block_count_x
      - .offset:         148
        .size:           4
        .value_kind:     hidden_block_count_y
      - .offset:         152
        .size:           4
        .value_kind:     hidden_block_count_z
      - .offset:         156
        .size:           2
        .value_kind:     hidden_group_size_x
      - .offset:         158
        .size:           2
        .value_kind:     hidden_group_size_y
      - .offset:         160
        .size:           2
        .value_kind:     hidden_group_size_z
      - .offset:         162
        .size:           2
        .value_kind:     hidden_remainder_x
      - .offset:         164
        .size:           2
        .value_kind:     hidden_remainder_y
      - .offset:         166
        .size:           2
        .value_kind:     hidden_remainder_z
      - .offset:         184
        .size:           8
        .value_kind:     hidden_global_offset_x
      - .offset:         192
        .size:           8
        .value_kind:     hidden_global_offset_y
      - .offset:         200
        .size:           8
        .value_kind:     hidden_global_offset_z
      - .offset:         208
        .size:           2
        .value_kind:     hidden_grid_dims
    .group_segment_fixed_size: 16384
    .kernarg_segment_align: 8
    .kernarg_segment_size: 400
    .language:       OpenCL C
    .language_version:
      - 2
      - 0
    .max_flat_workgroup_size: 1024
    .name:           _ZL20rocblas_gemvn_kernelILi64ELi16EiPKfS1_KPfEviiT3_lPKT2_lT1_lS7_lS8_lS4_lPT4_lS8_li
    .private_segment_fixed_size: 0
    .sgpr_count:     51
    .sgpr_spill_count: 0
    .symbol:         _ZL20rocblas_gemvn_kernelILi64ELi16EiPKfS1_KPfEviiT3_lPKT2_lT1_lS7_lS8_lS4_lPT4_lS8_li.kd
    .uniform_work_group_size: 1
    .uses_dynamic_stack: false
    .vgpr_count:     59
    .vgpr_spill_count: 0
    .wavefront_size: 32
    .workgroup_processor_mode: 1
  - .args:
      - .offset:         0
        .size:           4
        .value_kind:     by_value
      - .offset:         4
        .size:           4
        .value_kind:     by_value
      - .address_space:  global
        .offset:         8
        .size:           8
        .value_kind:     global_buffer
      - .offset:         16
        .size:           8
        .value_kind:     by_value
      - .address_space:  global
        .offset:         24
        .size:           8
        .value_kind:     global_buffer
      - .offset:         32
        .size:           8
        .value_kind:     by_value
      - .offset:         40
        .size:           8
        .value_kind:     by_value
      - .offset:         48
        .size:           8
        .value_kind:     by_value
      - .address_space:  global
        .offset:         56
        .size:           8
        .value_kind:     global_buffer
      - .offset:         64
        .size:           8
        .value_kind:     by_value
      - .offset:         72
        .size:           8
        .value_kind:     by_value
      - .offset:         80
        .size:           8
        .value_kind:     by_value
      - .address_space:  global
        .offset:         88
        .size:           8
        .value_kind:     global_buffer
      - .offset:         96
        .size:           8
        .value_kind:     by_value
      - .address_space:  global
        .offset:         104
        .size:           8
        .value_kind:     global_buffer
      - .offset:         112
        .size:           8
        .value_kind:     by_value
      - .offset:         120
        .size:           8
        .value_kind:     by_value
      - .offset:         128
        .size:           8
        .value_kind:     by_value
      - .offset:         136
        .size:           4
        .value_kind:     by_value
      - .offset:         144
        .size:           4
        .value_kind:     hidden_block_count_x
      - .offset:         148
        .size:           4
        .value_kind:     hidden_block_count_y
      - .offset:         152
        .size:           4
        .value_kind:     hidden_block_count_z
      - .offset:         156
        .size:           2
        .value_kind:     hidden_group_size_x
      - .offset:         158
        .size:           2
        .value_kind:     hidden_group_size_y
      - .offset:         160
        .size:           2
        .value_kind:     hidden_group_size_z
      - .offset:         162
        .size:           2
        .value_kind:     hidden_remainder_x
      - .offset:         164
        .size:           2
        .value_kind:     hidden_remainder_y
      - .offset:         166
        .size:           2
        .value_kind:     hidden_remainder_z
      - .offset:         184
        .size:           8
        .value_kind:     hidden_global_offset_x
      - .offset:         192
        .size:           8
        .value_kind:     hidden_global_offset_y
      - .offset:         200
        .size:           8
        .value_kind:     hidden_global_offset_z
      - .offset:         208
        .size:           2
        .value_kind:     hidden_grid_dims
    .group_segment_fixed_size: 16384
    .kernarg_segment_align: 8
    .kernarg_segment_size: 400
    .language:       OpenCL C
    .language_version:
      - 2
      - 0
    .max_flat_workgroup_size: 1024
    .name:           _ZL20rocblas_gemvn_kernelILi64ELi16ElPKfS1_KPfEviiT3_lPKT2_lT1_lS7_lS8_lS4_lPT4_lS8_li
    .private_segment_fixed_size: 0
    .sgpr_count:     53
    .sgpr_spill_count: 0
    .symbol:         _ZL20rocblas_gemvn_kernelILi64ELi16ElPKfS1_KPfEviiT3_lPKT2_lT1_lS7_lS8_lS4_lPT4_lS8_li.kd
    .uniform_work_group_size: 1
    .uses_dynamic_stack: false
    .vgpr_count:     74
    .vgpr_spill_count: 0
    .wavefront_size: 32
    .workgroup_processor_mode: 1
  - .args:
      - .offset:         0
        .size:           4
        .value_kind:     by_value
      - .offset:         4
        .size:           4
        .value_kind:     by_value
      - .offset:         8
        .size:           4
        .value_kind:     by_value
      - .offset:         16
        .size:           8
        .value_kind:     by_value
      - .address_space:  global
        .offset:         24
        .size:           8
        .value_kind:     global_buffer
      - .offset:         32
        .size:           8
        .value_kind:     by_value
      - .offset:         40
        .size:           4
        .value_kind:     by_value
      - .offset:         48
        .size:           8
        .value_kind:     by_value
      - .address_space:  global
        .offset:         56
        .size:           8
        .value_kind:     global_buffer
      - .offset:         64
        .size:           8
        .value_kind:     by_value
      - .offset:         72
        .size:           4
        .value_kind:     by_value
      - .offset:         80
        .size:           8
        .value_kind:     by_value
      - .offset:         88
        .size:           4
        .value_kind:     by_value
      - .offset:         96
        .size:           8
        .value_kind:     by_value
      - .address_space:  global
        .offset:         104
        .size:           8
        .value_kind:     global_buffer
      - .offset:         112
        .size:           8
        .value_kind:     by_value
      - .offset:         120
        .size:           4
        .value_kind:     by_value
      - .offset:         128
        .size:           8
        .value_kind:     by_value
      - .offset:         136
        .size:           4
        .value_kind:     by_value
      - .offset:         144
        .size:           4
        .value_kind:     hidden_block_count_x
      - .offset:         148
        .size:           4
        .value_kind:     hidden_block_count_y
      - .offset:         152
        .size:           4
        .value_kind:     hidden_block_count_z
      - .offset:         156
        .size:           2
        .value_kind:     hidden_group_size_x
      - .offset:         158
        .size:           2
        .value_kind:     hidden_group_size_y
      - .offset:         160
        .size:           2
        .value_kind:     hidden_group_size_z
      - .offset:         162
        .size:           2
        .value_kind:     hidden_remainder_x
      - .offset:         164
        .size:           2
        .value_kind:     hidden_remainder_y
      - .offset:         166
        .size:           2
        .value_kind:     hidden_remainder_z
      - .offset:         184
        .size:           8
        .value_kind:     hidden_global_offset_x
      - .offset:         192
        .size:           8
        .value_kind:     hidden_global_offset_y
      - .offset:         200
        .size:           8
        .value_kind:     hidden_global_offset_z
      - .offset:         208
        .size:           2
        .value_kind:     hidden_grid_dims
    .group_segment_fixed_size: 16384
    .kernarg_segment_align: 8
    .kernarg_segment_size: 400
    .language:       OpenCL C
    .language_version:
      - 2
      - 0
    .max_flat_workgroup_size: 1024
    .name:           _ZL20rocblas_gemvn_kernelILi64ELi16EiPKffKPfEviiT3_lPKT2_lT1_lS7_lS8_lS4_lPT4_lS8_li
    .private_segment_fixed_size: 0
    .sgpr_count:     47
    .sgpr_spill_count: 0
    .symbol:         _ZL20rocblas_gemvn_kernelILi64ELi16EiPKffKPfEviiT3_lPKT2_lT1_lS7_lS8_lS4_lPT4_lS8_li.kd
    .uniform_work_group_size: 1
    .uses_dynamic_stack: false
    .vgpr_count:     59
    .vgpr_spill_count: 0
    .wavefront_size: 32
    .workgroup_processor_mode: 1
  - .args:
      - .offset:         0
        .size:           4
        .value_kind:     by_value
      - .offset:         4
        .size:           4
        .value_kind:     by_value
      - .offset:         8
        .size:           4
        .value_kind:     by_value
      - .offset:         16
        .size:           8
        .value_kind:     by_value
      - .address_space:  global
        .offset:         24
        .size:           8
        .value_kind:     global_buffer
      - .offset:         32
        .size:           8
        .value_kind:     by_value
      - .offset:         40
        .size:           8
        .value_kind:     by_value
      - .offset:         48
        .size:           8
        .value_kind:     by_value
      - .address_space:  global
        .offset:         56
        .size:           8
        .value_kind:     global_buffer
      - .offset:         64
        .size:           8
        .value_kind:     by_value
      - .offset:         72
        .size:           8
        .value_kind:     by_value
      - .offset:         80
        .size:           8
        .value_kind:     by_value
      - .offset:         88
        .size:           4
        .value_kind:     by_value
      - .offset:         96
        .size:           8
        .value_kind:     by_value
      - .address_space:  global
        .offset:         104
        .size:           8
        .value_kind:     global_buffer
      - .offset:         112
        .size:           8
        .value_kind:     by_value
      - .offset:         120
        .size:           8
        .value_kind:     by_value
      - .offset:         128
        .size:           8
        .value_kind:     by_value
      - .offset:         136
        .size:           4
        .value_kind:     by_value
      - .offset:         144
        .size:           4
        .value_kind:     hidden_block_count_x
      - .offset:         148
        .size:           4
        .value_kind:     hidden_block_count_y
      - .offset:         152
        .size:           4
        .value_kind:     hidden_block_count_z
      - .offset:         156
        .size:           2
        .value_kind:     hidden_group_size_x
      - .offset:         158
        .size:           2
        .value_kind:     hidden_group_size_y
      - .offset:         160
        .size:           2
        .value_kind:     hidden_group_size_z
      - .offset:         162
        .size:           2
        .value_kind:     hidden_remainder_x
      - .offset:         164
        .size:           2
        .value_kind:     hidden_remainder_y
      - .offset:         166
        .size:           2
        .value_kind:     hidden_remainder_z
      - .offset:         184
        .size:           8
        .value_kind:     hidden_global_offset_x
      - .offset:         192
        .size:           8
        .value_kind:     hidden_global_offset_y
      - .offset:         200
        .size:           8
        .value_kind:     hidden_global_offset_z
      - .offset:         208
        .size:           2
        .value_kind:     hidden_grid_dims
    .group_segment_fixed_size: 16384
    .kernarg_segment_align: 8
    .kernarg_segment_size: 400
    .language:       OpenCL C
    .language_version:
      - 2
      - 0
    .max_flat_workgroup_size: 1024
    .name:           _ZL20rocblas_gemvn_kernelILi64ELi16ElPKffKPfEviiT3_lPKT2_lT1_lS7_lS8_lS4_lPT4_lS8_li
    .private_segment_fixed_size: 0
    .sgpr_count:     49
    .sgpr_spill_count: 0
    .symbol:         _ZL20rocblas_gemvn_kernelILi64ELi16ElPKffKPfEviiT3_lPKT2_lT1_lS7_lS8_lS4_lPT4_lS8_li.kd
    .uniform_work_group_size: 1
    .uses_dynamic_stack: false
    .vgpr_count:     74
    .vgpr_spill_count: 0
    .wavefront_size: 32
    .workgroup_processor_mode: 1
  - .args:
      - .offset:         0
        .size:           4
        .value_kind:     by_value
      - .offset:         4
        .size:           4
        .value_kind:     by_value
      - .address_space:  global
        .offset:         8
        .size:           8
        .value_kind:     global_buffer
      - .offset:         16
        .size:           8
        .value_kind:     by_value
      - .address_space:  global
        .offset:         24
        .size:           8
        .value_kind:     global_buffer
      - .offset:         32
        .size:           8
        .value_kind:     by_value
      - .offset:         40
        .size:           4
        .value_kind:     by_value
      - .offset:         48
        .size:           8
        .value_kind:     by_value
      - .address_space:  global
        .offset:         56
        .size:           8
        .value_kind:     global_buffer
      - .offset:         64
        .size:           8
        .value_kind:     by_value
      - .offset:         72
        .size:           4
        .value_kind:     by_value
      - .offset:         80
        .size:           8
        .value_kind:     by_value
      - .address_space:  global
        .offset:         88
        .size:           8
        .value_kind:     global_buffer
      - .offset:         96
        .size:           8
        .value_kind:     by_value
      - .address_space:  global
        .offset:         104
        .size:           8
        .value_kind:     global_buffer
      - .offset:         112
        .size:           8
        .value_kind:     by_value
      - .offset:         120
        .size:           4
        .value_kind:     by_value
      - .offset:         128
        .size:           8
        .value_kind:     by_value
    .group_segment_fixed_size: 256
    .kernarg_segment_align: 8
    .kernarg_segment_size: 136
    .language:       OpenCL C
    .language_version:
      - 2
      - 0
    .max_flat_workgroup_size: 256
    .name:           _ZL22rocblas_gemvtsm_kernelILb0ELi256EPKfS1_KPfEviiT2_lPKT1_lilS7_lilS4_lPT3_lil
    .private_segment_fixed_size: 0
    .sgpr_count:     24
    .sgpr_spill_count: 0
    .symbol:         _ZL22rocblas_gemvtsm_kernelILb0ELi256EPKfS1_KPfEviiT2_lPKT1_lilS7_lilS4_lPT3_lil.kd
    .uniform_work_group_size: 1
    .uses_dynamic_stack: false
    .vgpr_count:     26
    .vgpr_spill_count: 0
    .wavefront_size: 32
    .workgroup_processor_mode: 1
  - .args:
      - .offset:         0
        .size:           4
        .value_kind:     by_value
      - .offset:         4
        .size:           4
        .value_kind:     by_value
      - .offset:         8
        .size:           4
        .value_kind:     by_value
      - .offset:         16
        .size:           8
        .value_kind:     by_value
      - .address_space:  global
        .offset:         24
        .size:           8
        .value_kind:     global_buffer
      - .offset:         32
        .size:           8
        .value_kind:     by_value
      - .offset:         40
        .size:           4
        .value_kind:     by_value
      - .offset:         48
        .size:           8
        .value_kind:     by_value
      - .address_space:  global
        .offset:         56
        .size:           8
        .value_kind:     global_buffer
      - .offset:         64
        .size:           8
        .value_kind:     by_value
      - .offset:         72
        .size:           4
        .value_kind:     by_value
      - .offset:         80
        .size:           8
        .value_kind:     by_value
      - .offset:         88
        .size:           4
        .value_kind:     by_value
      - .offset:         96
        .size:           8
        .value_kind:     by_value
      - .address_space:  global
        .offset:         104
        .size:           8
        .value_kind:     global_buffer
      - .offset:         112
        .size:           8
        .value_kind:     by_value
      - .offset:         120
        .size:           4
        .value_kind:     by_value
      - .offset:         128
        .size:           8
        .value_kind:     by_value
    .group_segment_fixed_size: 256
    .kernarg_segment_align: 8
    .kernarg_segment_size: 136
    .language:       OpenCL C
    .language_version:
      - 2
      - 0
    .max_flat_workgroup_size: 256
    .name:           _ZL22rocblas_gemvtsm_kernelILb0ELi256EPKffKPfEviiT2_lPKT1_lilS7_lilS4_lPT3_lil
    .private_segment_fixed_size: 0
    .sgpr_count:     26
    .sgpr_spill_count: 0
    .symbol:         _ZL22rocblas_gemvtsm_kernelILb0ELi256EPKffKPfEviiT2_lPKT1_lilS7_lilS4_lPT3_lil.kd
    .uniform_work_group_size: 1
    .uses_dynamic_stack: false
    .vgpr_count:     26
    .vgpr_spill_count: 0
    .wavefront_size: 32
    .workgroup_processor_mode: 1
  - .args:
      - .offset:         0
        .size:           4
        .value_kind:     by_value
      - .offset:         4
        .size:           4
        .value_kind:     by_value
      - .address_space:  global
        .offset:         8
        .size:           8
        .value_kind:     global_buffer
      - .offset:         16
        .size:           8
        .value_kind:     by_value
      - .address_space:  global
        .offset:         24
        .size:           8
        .value_kind:     global_buffer
      - .offset:         32
        .size:           8
        .value_kind:     by_value
      - .offset:         40
        .size:           4
        .value_kind:     by_value
      - .offset:         48
        .size:           8
        .value_kind:     by_value
      - .address_space:  global
        .offset:         56
        .size:           8
        .value_kind:     global_buffer
      - .offset:         64
        .size:           8
        .value_kind:     by_value
      - .offset:         72
        .size:           4
        .value_kind:     by_value
      - .offset:         80
        .size:           8
        .value_kind:     by_value
      - .address_space:  global
        .offset:         88
        .size:           8
        .value_kind:     global_buffer
      - .offset:         96
        .size:           4
        .value_kind:     by_value
      - .offset:         104
        .size:           4
        .value_kind:     hidden_block_count_x
      - .offset:         108
        .size:           4
        .value_kind:     hidden_block_count_y
      - .offset:         112
        .size:           4
        .value_kind:     hidden_block_count_z
      - .offset:         116
        .size:           2
        .value_kind:     hidden_group_size_x
      - .offset:         118
        .size:           2
        .value_kind:     hidden_group_size_y
      - .offset:         120
        .size:           2
        .value_kind:     hidden_group_size_z
      - .offset:         122
        .size:           2
        .value_kind:     hidden_remainder_x
      - .offset:         124
        .size:           2
        .value_kind:     hidden_remainder_y
      - .offset:         126
        .size:           2
        .value_kind:     hidden_remainder_z
      - .offset:         144
        .size:           8
        .value_kind:     hidden_global_offset_x
      - .offset:         152
        .size:           8
        .value_kind:     hidden_global_offset_y
      - .offset:         160
        .size:           8
        .value_kind:     hidden_global_offset_z
      - .offset:         168
        .size:           2
        .value_kind:     hidden_grid_dims
    .group_segment_fixed_size: 128
    .kernarg_segment_align: 8
    .kernarg_segment_size: 360
    .language:       OpenCL C
    .language_version:
      - 2
      - 0
    .max_flat_workgroup_size: 256
    .name:           _ZL23rocblas_gemvt_sn_kernelILb0ELi256ELi4EiPKfS1_fEviiT4_lPKT3_lilS5_lilPT5_i
    .private_segment_fixed_size: 0
    .sgpr_count:     76
    .sgpr_spill_count: 0
    .symbol:         _ZL23rocblas_gemvt_sn_kernelILb0ELi256ELi4EiPKfS1_fEviiT4_lPKT3_lilS5_lilPT5_i.kd
    .uniform_work_group_size: 1
    .uses_dynamic_stack: false
    .vgpr_count:     58
    .vgpr_spill_count: 0
    .wavefront_size: 32
    .workgroup_processor_mode: 1
  - .args:
      - .offset:         0
        .size:           4
        .value_kind:     by_value
      - .offset:         4
        .size:           4
        .value_kind:     by_value
      - .address_space:  global
        .offset:         8
        .size:           8
        .value_kind:     global_buffer
      - .offset:         16
        .size:           8
        .value_kind:     by_value
      - .address_space:  global
        .offset:         24
        .size:           8
        .value_kind:     global_buffer
      - .offset:         32
        .size:           8
        .value_kind:     by_value
      - .offset:         40
        .size:           4
        .value_kind:     by_value
      - .offset:         48
        .size:           8
        .value_kind:     by_value
      - .address_space:  global
        .offset:         56
        .size:           8
        .value_kind:     global_buffer
      - .offset:         64
        .size:           8
        .value_kind:     by_value
      - .offset:         72
        .size:           4
        .value_kind:     by_value
      - .offset:         80
        .size:           8
        .value_kind:     by_value
      - .address_space:  global
        .offset:         88
        .size:           8
        .value_kind:     global_buffer
      - .offset:         96
        .size:           4
        .value_kind:     by_value
      - .offset:         104
        .size:           4
        .value_kind:     hidden_block_count_x
      - .offset:         108
        .size:           4
        .value_kind:     hidden_block_count_y
      - .offset:         112
        .size:           4
        .value_kind:     hidden_block_count_z
      - .offset:         116
        .size:           2
        .value_kind:     hidden_group_size_x
      - .offset:         118
        .size:           2
        .value_kind:     hidden_group_size_y
      - .offset:         120
        .size:           2
        .value_kind:     hidden_group_size_z
      - .offset:         122
        .size:           2
        .value_kind:     hidden_remainder_x
      - .offset:         124
        .size:           2
        .value_kind:     hidden_remainder_y
      - .offset:         126
        .size:           2
        .value_kind:     hidden_remainder_z
      - .offset:         144
        .size:           8
        .value_kind:     hidden_global_offset_x
      - .offset:         152
        .size:           8
        .value_kind:     hidden_global_offset_y
      - .offset:         160
        .size:           8
        .value_kind:     hidden_global_offset_z
      - .offset:         168
        .size:           2
        .value_kind:     hidden_grid_dims
    .group_segment_fixed_size: 128
    .kernarg_segment_align: 8
    .kernarg_segment_size: 360
    .language:       OpenCL C
    .language_version:
      - 2
      - 0
    .max_flat_workgroup_size: 256
    .name:           _ZL23rocblas_gemvt_sn_kernelILb0ELi256ELi4ElPKfS1_fEviiT4_lPKT3_lilS5_lilPT5_i
    .private_segment_fixed_size: 0
    .sgpr_count:     70
    .sgpr_spill_count: 0
    .symbol:         _ZL23rocblas_gemvt_sn_kernelILb0ELi256ELi4ElPKfS1_fEviiT4_lPKT3_lilS5_lilPT5_i.kd
    .uniform_work_group_size: 1
    .uses_dynamic_stack: false
    .vgpr_count:     59
    .vgpr_spill_count: 0
    .wavefront_size: 32
    .workgroup_processor_mode: 1
  - .args:
      - .offset:         0
        .size:           4
        .value_kind:     by_value
      - .offset:         4
        .size:           4
        .value_kind:     by_value
      - .offset:         8
        .size:           4
        .value_kind:     by_value
      - .offset:         16
        .size:           8
        .value_kind:     by_value
      - .address_space:  global
        .offset:         24
        .size:           8
        .value_kind:     global_buffer
      - .offset:         32
        .size:           8
        .value_kind:     by_value
      - .offset:         40
        .size:           4
        .value_kind:     by_value
      - .offset:         48
        .size:           8
        .value_kind:     by_value
      - .address_space:  global
        .offset:         56
        .size:           8
        .value_kind:     global_buffer
      - .offset:         64
        .size:           8
        .value_kind:     by_value
      - .offset:         72
        .size:           4
        .value_kind:     by_value
      - .offset:         80
        .size:           8
        .value_kind:     by_value
      - .address_space:  global
        .offset:         88
        .size:           8
        .value_kind:     global_buffer
      - .offset:         96
        .size:           4
        .value_kind:     by_value
      - .offset:         104
        .size:           4
        .value_kind:     hidden_block_count_x
      - .offset:         108
        .size:           4
        .value_kind:     hidden_block_count_y
      - .offset:         112
        .size:           4
        .value_kind:     hidden_block_count_z
      - .offset:         116
        .size:           2
        .value_kind:     hidden_group_size_x
      - .offset:         118
        .size:           2
        .value_kind:     hidden_group_size_y
      - .offset:         120
        .size:           2
        .value_kind:     hidden_group_size_z
      - .offset:         122
        .size:           2
        .value_kind:     hidden_remainder_x
      - .offset:         124
        .size:           2
        .value_kind:     hidden_remainder_y
      - .offset:         126
        .size:           2
        .value_kind:     hidden_remainder_z
      - .offset:         144
        .size:           8
        .value_kind:     hidden_global_offset_x
      - .offset:         152
        .size:           8
        .value_kind:     hidden_global_offset_y
      - .offset:         160
        .size:           8
        .value_kind:     hidden_global_offset_z
      - .offset:         168
        .size:           2
        .value_kind:     hidden_grid_dims
    .group_segment_fixed_size: 128
    .kernarg_segment_align: 8
    .kernarg_segment_size: 360
    .language:       OpenCL C
    .language_version:
      - 2
      - 0
    .max_flat_workgroup_size: 256
    .name:           _ZL23rocblas_gemvt_sn_kernelILb0ELi256ELi4EiPKfffEviiT4_lPKT3_lilS5_lilPT5_i
    .private_segment_fixed_size: 0
    .sgpr_count:     72
    .sgpr_spill_count: 0
    .symbol:         _ZL23rocblas_gemvt_sn_kernelILb0ELi256ELi4EiPKfffEviiT4_lPKT3_lilS5_lilPT5_i.kd
    .uniform_work_group_size: 1
    .uses_dynamic_stack: false
    .vgpr_count:     57
    .vgpr_spill_count: 0
    .wavefront_size: 32
    .workgroup_processor_mode: 1
  - .args:
      - .offset:         0
        .size:           4
        .value_kind:     by_value
      - .offset:         4
        .size:           4
        .value_kind:     by_value
      - .offset:         8
        .size:           4
        .value_kind:     by_value
      - .offset:         16
        .size:           8
        .value_kind:     by_value
      - .address_space:  global
        .offset:         24
        .size:           8
        .value_kind:     global_buffer
      - .offset:         32
        .size:           8
        .value_kind:     by_value
      - .offset:         40
        .size:           4
        .value_kind:     by_value
      - .offset:         48
        .size:           8
        .value_kind:     by_value
      - .address_space:  global
        .offset:         56
        .size:           8
        .value_kind:     global_buffer
      - .offset:         64
        .size:           8
        .value_kind:     by_value
      - .offset:         72
        .size:           4
        .value_kind:     by_value
      - .offset:         80
        .size:           8
        .value_kind:     by_value
      - .address_space:  global
        .offset:         88
        .size:           8
        .value_kind:     global_buffer
      - .offset:         96
        .size:           4
        .value_kind:     by_value
      - .offset:         104
        .size:           4
        .value_kind:     hidden_block_count_x
      - .offset:         108
        .size:           4
        .value_kind:     hidden_block_count_y
      - .offset:         112
        .size:           4
        .value_kind:     hidden_block_count_z
      - .offset:         116
        .size:           2
        .value_kind:     hidden_group_size_x
      - .offset:         118
        .size:           2
        .value_kind:     hidden_group_size_y
      - .offset:         120
        .size:           2
        .value_kind:     hidden_group_size_z
      - .offset:         122
        .size:           2
        .value_kind:     hidden_remainder_x
      - .offset:         124
        .size:           2
        .value_kind:     hidden_remainder_y
      - .offset:         126
        .size:           2
        .value_kind:     hidden_remainder_z
      - .offset:         144
        .size:           8
        .value_kind:     hidden_global_offset_x
      - .offset:         152
        .size:           8
        .value_kind:     hidden_global_offset_y
      - .offset:         160
        .size:           8
        .value_kind:     hidden_global_offset_z
      - .offset:         168
        .size:           2
        .value_kind:     hidden_grid_dims
    .group_segment_fixed_size: 128
    .kernarg_segment_align: 8
    .kernarg_segment_size: 360
    .language:       OpenCL C
    .language_version:
      - 2
      - 0
    .max_flat_workgroup_size: 256
    .name:           _ZL23rocblas_gemvt_sn_kernelILb0ELi256ELi4ElPKfffEviiT4_lPKT3_lilS5_lilPT5_i
    .private_segment_fixed_size: 0
    .sgpr_count:     64
    .sgpr_spill_count: 0
    .symbol:         _ZL23rocblas_gemvt_sn_kernelILb0ELi256ELi4ElPKfffEviiT4_lPKT3_lilS5_lilPT5_i.kd
    .uniform_work_group_size: 1
    .uses_dynamic_stack: false
    .vgpr_count:     58
    .vgpr_spill_count: 0
    .wavefront_size: 32
    .workgroup_processor_mode: 1
  - .args:
      - .offset:         0
        .size:           4
        .value_kind:     by_value
      - .offset:         4
        .size:           4
        .value_kind:     by_value
      - .address_space:  global
        .offset:         8
        .size:           8
        .value_kind:     global_buffer
      - .offset:         16
        .size:           8
        .value_kind:     by_value
      - .address_space:  global
        .offset:         24
        .size:           8
        .value_kind:     global_buffer
      - .offset:         32
        .size:           8
        .value_kind:     by_value
      - .offset:         40
        .size:           4
        .value_kind:     by_value
      - .offset:         48
        .size:           8
        .value_kind:     by_value
      - .address_space:  global
        .offset:         56
        .size:           8
        .value_kind:     global_buffer
      - .offset:         64
        .size:           8
        .value_kind:     by_value
      - .offset:         72
        .size:           4
        .value_kind:     by_value
      - .offset:         80
        .size:           8
        .value_kind:     by_value
      - .address_space:  global
        .offset:         88
        .size:           8
        .value_kind:     global_buffer
      - .offset:         96
        .size:           8
        .value_kind:     by_value
      - .offset:         104
        .size:           4
        .value_kind:     by_value
      - .offset:         112
        .size:           8
        .value_kind:     by_value
      - .offset:         120
        .size:           4
        .value_kind:     by_value
      - .offset:         128
        .size:           4
        .value_kind:     hidden_block_count_x
      - .offset:         132
        .size:           4
        .value_kind:     hidden_block_count_y
      - .offset:         136
        .size:           4
        .value_kind:     hidden_block_count_z
      - .offset:         140
        .size:           2
        .value_kind:     hidden_group_size_x
      - .offset:         142
        .size:           2
        .value_kind:     hidden_group_size_y
      - .offset:         144
        .size:           2
        .value_kind:     hidden_group_size_z
      - .offset:         146
        .size:           2
        .value_kind:     hidden_remainder_x
      - .offset:         148
        .size:           2
        .value_kind:     hidden_remainder_y
      - .offset:         150
        .size:           2
        .value_kind:     hidden_remainder_z
      - .offset:         168
        .size:           8
        .value_kind:     hidden_global_offset_x
      - .offset:         176
        .size:           8
        .value_kind:     hidden_global_offset_y
      - .offset:         184
        .size:           8
        .value_kind:     hidden_global_offset_z
      - .offset:         192
        .size:           2
        .value_kind:     hidden_grid_dims
    .group_segment_fixed_size: 32768
    .kernarg_segment_align: 8
    .kernarg_segment_size: 384
    .language:       OpenCL C
    .language_version:
      - 2
      - 0
    .max_flat_workgroup_size: 1024
    .name:           _ZL36rocblas_gemvt_double_buffered_kernelILb0ELi128ELi8ELi8EPKfS1_KPfEviiT4_lPKT3_lilS7_lilPT5_lili
    .private_segment_fixed_size: 0
    .sgpr_count:     46
    .sgpr_spill_count: 0
    .symbol:         _ZL36rocblas_gemvt_double_buffered_kernelILb0ELi128ELi8ELi8EPKfS1_KPfEviiT4_lPKT3_lilS7_lilPT5_lili.kd
    .uniform_work_group_size: 1
    .uses_dynamic_stack: false
    .vgpr_count:     160
    .vgpr_spill_count: 0
    .wavefront_size: 32
    .workgroup_processor_mode: 1
  - .args:
      - .offset:         0
        .size:           4
        .value_kind:     by_value
      - .offset:         4
        .size:           4
        .value_kind:     by_value
      - .offset:         8
        .size:           4
        .value_kind:     by_value
      - .offset:         16
        .size:           8
        .value_kind:     by_value
      - .address_space:  global
        .offset:         24
        .size:           8
        .value_kind:     global_buffer
      - .offset:         32
        .size:           8
        .value_kind:     by_value
      - .offset:         40
        .size:           4
        .value_kind:     by_value
      - .offset:         48
        .size:           8
        .value_kind:     by_value
      - .address_space:  global
        .offset:         56
        .size:           8
        .value_kind:     global_buffer
      - .offset:         64
        .size:           8
        .value_kind:     by_value
      - .offset:         72
        .size:           4
        .value_kind:     by_value
      - .offset:         80
        .size:           8
        .value_kind:     by_value
      - .address_space:  global
        .offset:         88
        .size:           8
        .value_kind:     global_buffer
      - .offset:         96
        .size:           8
        .value_kind:     by_value
      - .offset:         104
        .size:           4
        .value_kind:     by_value
      - .offset:         112
        .size:           8
        .value_kind:     by_value
      - .offset:         120
        .size:           4
        .value_kind:     by_value
      - .offset:         128
        .size:           4
        .value_kind:     hidden_block_count_x
      - .offset:         132
        .size:           4
        .value_kind:     hidden_block_count_y
      - .offset:         136
        .size:           4
        .value_kind:     hidden_block_count_z
      - .offset:         140
        .size:           2
        .value_kind:     hidden_group_size_x
      - .offset:         142
        .size:           2
        .value_kind:     hidden_group_size_y
      - .offset:         144
        .size:           2
        .value_kind:     hidden_group_size_z
      - .offset:         146
        .size:           2
        .value_kind:     hidden_remainder_x
      - .offset:         148
        .size:           2
        .value_kind:     hidden_remainder_y
      - .offset:         150
        .size:           2
        .value_kind:     hidden_remainder_z
      - .offset:         168
        .size:           8
        .value_kind:     hidden_global_offset_x
      - .offset:         176
        .size:           8
        .value_kind:     hidden_global_offset_y
      - .offset:         184
        .size:           8
        .value_kind:     hidden_global_offset_z
      - .offset:         192
        .size:           2
        .value_kind:     hidden_grid_dims
    .group_segment_fixed_size: 32768
    .kernarg_segment_align: 8
    .kernarg_segment_size: 384
    .language:       OpenCL C
    .language_version:
      - 2
      - 0
    .max_flat_workgroup_size: 1024
    .name:           _ZL36rocblas_gemvt_double_buffered_kernelILb0ELi128ELi8ELi8EPKffKPfEviiT4_lPKT3_lilS7_lilPT5_lili
    .private_segment_fixed_size: 0
    .sgpr_count:     46
    .sgpr_spill_count: 0
    .symbol:         _ZL36rocblas_gemvt_double_buffered_kernelILb0ELi128ELi8ELi8EPKffKPfEviiT4_lPKT3_lilS7_lilPT5_lili.kd
    .uniform_work_group_size: 1
    .uses_dynamic_stack: false
    .vgpr_count:     159
    .vgpr_spill_count: 0
    .wavefront_size: 32
    .workgroup_processor_mode: 1
  - .args:
      - .offset:         0
        .size:           4
        .value_kind:     by_value
      - .offset:         4
        .size:           4
        .value_kind:     by_value
      - .address_space:  global
        .offset:         8
        .size:           8
        .value_kind:     global_buffer
      - .offset:         16
        .size:           8
        .value_kind:     by_value
      - .address_space:  global
        .offset:         24
        .size:           8
        .value_kind:     global_buffer
      - .offset:         32
        .size:           8
        .value_kind:     by_value
      - .offset:         40
        .size:           4
        .value_kind:     by_value
      - .offset:         48
        .size:           8
        .value_kind:     by_value
      - .address_space:  global
        .offset:         56
        .size:           8
        .value_kind:     global_buffer
      - .offset:         64
        .size:           8
        .value_kind:     by_value
      - .offset:         72
        .size:           4
        .value_kind:     by_value
      - .offset:         80
        .size:           8
        .value_kind:     by_value
      - .address_space:  global
        .offset:         88
        .size:           8
        .value_kind:     global_buffer
      - .offset:         96
        .size:           8
        .value_kind:     by_value
      - .address_space:  global
        .offset:         104
        .size:           8
        .value_kind:     global_buffer
      - .offset:         112
        .size:           8
        .value_kind:     by_value
      - .offset:         120
        .size:           4
        .value_kind:     by_value
      - .offset:         128
        .size:           8
        .value_kind:     by_value
      - .offset:         136
        .size:           4
        .value_kind:     by_value
    .group_segment_fixed_size: 128
    .kernarg_segment_align: 8
    .kernarg_segment_size: 140
    .language:       OpenCL C
    .language_version:
      - 2
      - 0
    .max_flat_workgroup_size: 256
    .name:           _ZL32rocblas_gemvt_warp_reduce_kernelILb0ELi256EiPKfS1_KPfEviiT3_lPKT2_lT1_lS7_lS8_lS4_lPT4_lS8_li
    .private_segment_fixed_size: 0
    .sgpr_count:     46
    .sgpr_spill_count: 0
    .symbol:         _ZL32rocblas_gemvt_warp_reduce_kernelILb0ELi256EiPKfS1_KPfEviiT3_lPKT2_lT1_lS7_lS8_lS4_lPT4_lS8_li.kd
    .uniform_work_group_size: 1
    .uses_dynamic_stack: false
    .vgpr_count:     25
    .vgpr_spill_count: 0
    .wavefront_size: 32
    .workgroup_processor_mode: 1
  - .args:
      - .offset:         0
        .size:           4
        .value_kind:     by_value
      - .offset:         4
        .size:           4
        .value_kind:     by_value
      - .address_space:  global
        .offset:         8
        .size:           8
        .value_kind:     global_buffer
      - .offset:         16
        .size:           8
        .value_kind:     by_value
      - .address_space:  global
        .offset:         24
        .size:           8
        .value_kind:     global_buffer
      - .offset:         32
        .size:           8
        .value_kind:     by_value
      - .offset:         40
        .size:           8
        .value_kind:     by_value
      - .offset:         48
        .size:           8
        .value_kind:     by_value
      - .address_space:  global
        .offset:         56
        .size:           8
        .value_kind:     global_buffer
      - .offset:         64
        .size:           8
        .value_kind:     by_value
      - .offset:         72
        .size:           8
        .value_kind:     by_value
      - .offset:         80
        .size:           8
        .value_kind:     by_value
      - .address_space:  global
        .offset:         88
        .size:           8
        .value_kind:     global_buffer
      - .offset:         96
        .size:           8
        .value_kind:     by_value
      - .address_space:  global
        .offset:         104
        .size:           8
        .value_kind:     global_buffer
      - .offset:         112
        .size:           8
        .value_kind:     by_value
      - .offset:         120
        .size:           8
        .value_kind:     by_value
      - .offset:         128
        .size:           8
        .value_kind:     by_value
      - .offset:         136
        .size:           4
        .value_kind:     by_value
    .group_segment_fixed_size: 128
    .kernarg_segment_align: 8
    .kernarg_segment_size: 140
    .language:       OpenCL C
    .language_version:
      - 2
      - 0
    .max_flat_workgroup_size: 256
    .name:           _ZL32rocblas_gemvt_warp_reduce_kernelILb0ELi256ElPKfS1_KPfEviiT3_lPKT2_lT1_lS7_lS8_lS4_lPT4_lS8_li
    .private_segment_fixed_size: 0
    .sgpr_count:     46
    .sgpr_spill_count: 0
    .symbol:         _ZL32rocblas_gemvt_warp_reduce_kernelILb0ELi256ElPKfS1_KPfEviiT3_lPKT2_lT1_lS7_lS8_lS4_lPT4_lS8_li.kd
    .uniform_work_group_size: 1
    .uses_dynamic_stack: false
    .vgpr_count:     26
    .vgpr_spill_count: 0
    .wavefront_size: 32
    .workgroup_processor_mode: 1
  - .args:
      - .offset:         0
        .size:           4
        .value_kind:     by_value
      - .offset:         4
        .size:           4
        .value_kind:     by_value
      - .offset:         8
        .size:           4
        .value_kind:     by_value
      - .offset:         16
        .size:           8
        .value_kind:     by_value
      - .address_space:  global
        .offset:         24
        .size:           8
        .value_kind:     global_buffer
      - .offset:         32
        .size:           8
        .value_kind:     by_value
      - .offset:         40
        .size:           4
        .value_kind:     by_value
      - .offset:         48
        .size:           8
        .value_kind:     by_value
      - .address_space:  global
        .offset:         56
        .size:           8
        .value_kind:     global_buffer
      - .offset:         64
        .size:           8
        .value_kind:     by_value
      - .offset:         72
        .size:           4
        .value_kind:     by_value
      - .offset:         80
        .size:           8
        .value_kind:     by_value
      - .offset:         88
        .size:           4
        .value_kind:     by_value
      - .offset:         96
        .size:           8
        .value_kind:     by_value
      - .address_space:  global
        .offset:         104
        .size:           8
        .value_kind:     global_buffer
      - .offset:         112
        .size:           8
        .value_kind:     by_value
      - .offset:         120
        .size:           4
        .value_kind:     by_value
      - .offset:         128
        .size:           8
        .value_kind:     by_value
      - .offset:         136
        .size:           4
        .value_kind:     by_value
    .group_segment_fixed_size: 128
    .kernarg_segment_align: 8
    .kernarg_segment_size: 140
    .language:       OpenCL C
    .language_version:
      - 2
      - 0
    .max_flat_workgroup_size: 256
    .name:           _ZL32rocblas_gemvt_warp_reduce_kernelILb0ELi256EiPKffKPfEviiT3_lPKT2_lT1_lS7_lS8_lS4_lPT4_lS8_li
    .private_segment_fixed_size: 0
    .sgpr_count:     42
    .sgpr_spill_count: 0
    .symbol:         _ZL32rocblas_gemvt_warp_reduce_kernelILb0ELi256EiPKffKPfEviiT3_lPKT2_lT1_lS7_lS8_lS4_lPT4_lS8_li.kd
    .uniform_work_group_size: 1
    .uses_dynamic_stack: false
    .vgpr_count:     25
    .vgpr_spill_count: 0
    .wavefront_size: 32
    .workgroup_processor_mode: 1
  - .args:
      - .offset:         0
        .size:           4
        .value_kind:     by_value
      - .offset:         4
        .size:           4
        .value_kind:     by_value
      - .offset:         8
        .size:           4
        .value_kind:     by_value
      - .offset:         16
        .size:           8
        .value_kind:     by_value
      - .address_space:  global
        .offset:         24
        .size:           8
        .value_kind:     global_buffer
      - .offset:         32
        .size:           8
        .value_kind:     by_value
      - .offset:         40
        .size:           8
        .value_kind:     by_value
      - .offset:         48
        .size:           8
        .value_kind:     by_value
      - .address_space:  global
        .offset:         56
        .size:           8
        .value_kind:     global_buffer
      - .offset:         64
        .size:           8
        .value_kind:     by_value
      - .offset:         72
        .size:           8
        .value_kind:     by_value
      - .offset:         80
        .size:           8
        .value_kind:     by_value
      - .offset:         88
        .size:           4
        .value_kind:     by_value
      - .offset:         96
        .size:           8
        .value_kind:     by_value
      - .address_space:  global
        .offset:         104
        .size:           8
        .value_kind:     global_buffer
      - .offset:         112
        .size:           8
        .value_kind:     by_value
      - .offset:         120
        .size:           8
        .value_kind:     by_value
      - .offset:         128
        .size:           8
        .value_kind:     by_value
      - .offset:         136
        .size:           4
        .value_kind:     by_value
    .group_segment_fixed_size: 128
    .kernarg_segment_align: 8
    .kernarg_segment_size: 140
    .language:       OpenCL C
    .language_version:
      - 2
      - 0
    .max_flat_workgroup_size: 256
    .name:           _ZL32rocblas_gemvt_warp_reduce_kernelILb0ELi256ElPKffKPfEviiT3_lPKT2_lT1_lS7_lS8_lS4_lPT4_lS8_li
    .private_segment_fixed_size: 0
    .sgpr_count:     42
    .sgpr_spill_count: 0
    .symbol:         _ZL32rocblas_gemvt_warp_reduce_kernelILb0ELi256ElPKffKPfEviiT3_lPKT2_lT1_lS7_lS8_lS4_lPT4_lS8_li.kd
    .uniform_work_group_size: 1
    .uses_dynamic_stack: false
    .vgpr_count:     26
    .vgpr_spill_count: 0
    .wavefront_size: 32
    .workgroup_processor_mode: 1
  - .args:
      - .offset:         0
        .size:           4
        .value_kind:     by_value
      - .offset:         4
        .size:           4
        .value_kind:     by_value
      - .address_space:  global
        .offset:         8
        .size:           8
        .value_kind:     global_buffer
      - .offset:         16
        .size:           8
        .value_kind:     by_value
      - .address_space:  global
        .offset:         24
        .size:           8
        .value_kind:     global_buffer
      - .offset:         32
        .size:           8
        .value_kind:     by_value
      - .offset:         40
        .size:           4
        .value_kind:     by_value
      - .offset:         48
        .size:           8
        .value_kind:     by_value
      - .address_space:  global
        .offset:         56
        .size:           8
        .value_kind:     global_buffer
      - .offset:         64
        .size:           8
        .value_kind:     by_value
      - .offset:         72
        .size:           4
        .value_kind:     by_value
      - .offset:         80
        .size:           8
        .value_kind:     by_value
      - .address_space:  global
        .offset:         88
        .size:           8
        .value_kind:     global_buffer
      - .offset:         96
        .size:           8
        .value_kind:     by_value
      - .address_space:  global
        .offset:         104
        .size:           8
        .value_kind:     global_buffer
      - .offset:         112
        .size:           8
        .value_kind:     by_value
      - .offset:         120
        .size:           4
        .value_kind:     by_value
      - .offset:         128
        .size:           8
        .value_kind:     by_value
      - .offset:         136
        .size:           4
        .value_kind:     by_value
    .group_segment_fixed_size: 1024
    .kernarg_segment_align: 8
    .kernarg_segment_size: 140
    .language:       OpenCL C
    .language_version:
      - 2
      - 0
    .max_flat_workgroup_size: 256
    .name:           _ZL20rocblas_gemvt_kernelILb0ELi256EPKfS1_KPfEviiT2_lPKT1_lilS7_lilS4_lPT3_lili
    .private_segment_fixed_size: 0
    .sgpr_count:     52
    .sgpr_spill_count: 0
    .symbol:         _ZL20rocblas_gemvt_kernelILb0ELi256EPKfS1_KPfEviiT2_lPKT1_lilS7_lilS4_lPT3_lili.kd
    .uniform_work_group_size: 1
    .uses_dynamic_stack: false
    .vgpr_count:     21
    .vgpr_spill_count: 0
    .wavefront_size: 32
    .workgroup_processor_mode: 1
  - .args:
      - .offset:         0
        .size:           4
        .value_kind:     by_value
      - .offset:         4
        .size:           4
        .value_kind:     by_value
      - .offset:         8
        .size:           4
        .value_kind:     by_value
      - .offset:         16
        .size:           8
        .value_kind:     by_value
      - .address_space:  global
        .offset:         24
        .size:           8
        .value_kind:     global_buffer
      - .offset:         32
        .size:           8
        .value_kind:     by_value
      - .offset:         40
        .size:           4
        .value_kind:     by_value
      - .offset:         48
        .size:           8
        .value_kind:     by_value
      - .address_space:  global
        .offset:         56
        .size:           8
        .value_kind:     global_buffer
      - .offset:         64
        .size:           8
        .value_kind:     by_value
      - .offset:         72
        .size:           4
        .value_kind:     by_value
      - .offset:         80
        .size:           8
        .value_kind:     by_value
      - .offset:         88
        .size:           4
        .value_kind:     by_value
      - .offset:         96
        .size:           8
        .value_kind:     by_value
      - .address_space:  global
        .offset:         104
        .size:           8
        .value_kind:     global_buffer
      - .offset:         112
        .size:           8
        .value_kind:     by_value
      - .offset:         120
        .size:           4
        .value_kind:     by_value
      - .offset:         128
        .size:           8
        .value_kind:     by_value
      - .offset:         136
        .size:           4
        .value_kind:     by_value
    .group_segment_fixed_size: 1024
    .kernarg_segment_align: 8
    .kernarg_segment_size: 140
    .language:       OpenCL C
    .language_version:
      - 2
      - 0
    .max_flat_workgroup_size: 256
    .name:           _ZL20rocblas_gemvt_kernelILb0ELi256EPKffKPfEviiT2_lPKT1_lilS7_lilS4_lPT3_lili
    .private_segment_fixed_size: 0
    .sgpr_count:     46
    .sgpr_spill_count: 0
    .symbol:         _ZL20rocblas_gemvt_kernelILb0ELi256EPKffKPfEviiT2_lPKT1_lilS7_lilS4_lPT3_lili.kd
    .uniform_work_group_size: 1
    .uses_dynamic_stack: false
    .vgpr_count:     21
    .vgpr_spill_count: 0
    .wavefront_size: 32
    .workgroup_processor_mode: 1
  - .args:
      - .offset:         0
        .size:           4
        .value_kind:     by_value
      - .offset:         4
        .size:           4
        .value_kind:     by_value
      - .address_space:  global
        .offset:         8
        .size:           8
        .value_kind:     global_buffer
      - .offset:         16
        .size:           8
        .value_kind:     by_value
      - .address_space:  global
        .offset:         24
        .size:           8
        .value_kind:     global_buffer
      - .offset:         32
        .size:           8
        .value_kind:     by_value
      - .offset:         40
        .size:           4
        .value_kind:     by_value
      - .offset:         48
        .size:           8
        .value_kind:     by_value
      - .address_space:  global
        .offset:         56
        .size:           8
        .value_kind:     global_buffer
      - .offset:         64
        .size:           8
        .value_kind:     by_value
      - .offset:         72
        .size:           4
        .value_kind:     by_value
      - .offset:         80
        .size:           8
        .value_kind:     by_value
      - .address_space:  global
        .offset:         88
        .size:           8
        .value_kind:     global_buffer
      - .offset:         96
        .size:           8
        .value_kind:     by_value
      - .address_space:  global
        .offset:         104
        .size:           8
        .value_kind:     global_buffer
      - .offset:         112
        .size:           8
        .value_kind:     by_value
      - .offset:         120
        .size:           4
        .value_kind:     by_value
      - .offset:         128
        .size:           8
        .value_kind:     by_value
      - .offset:         136
        .size:           4
        .value_kind:     by_value
    .group_segment_fixed_size: 128
    .kernarg_segment_align: 8
    .kernarg_segment_size: 140
    .language:       OpenCL C
    .language_version:
      - 2
      - 0
    .max_flat_workgroup_size: 1024
    .name:           _ZL32rocblas_gemvt_warp_reduce_kernelILb0ELi1024EiPKfS1_KPfEviiT3_lPKT2_lT1_lS7_lS8_lS4_lPT4_lS8_li
    .private_segment_fixed_size: 0
    .sgpr_count:     46
    .sgpr_spill_count: 0
    .symbol:         _ZL32rocblas_gemvt_warp_reduce_kernelILb0ELi1024EiPKfS1_KPfEviiT3_lPKT2_lT1_lS7_lS8_lS4_lPT4_lS8_li.kd
    .uniform_work_group_size: 1
    .uses_dynamic_stack: false
    .vgpr_count:     25
    .vgpr_spill_count: 0
    .wavefront_size: 32
    .workgroup_processor_mode: 1
  - .args:
      - .offset:         0
        .size:           4
        .value_kind:     by_value
      - .offset:         4
        .size:           4
        .value_kind:     by_value
      - .address_space:  global
        .offset:         8
        .size:           8
        .value_kind:     global_buffer
      - .offset:         16
        .size:           8
        .value_kind:     by_value
      - .address_space:  global
        .offset:         24
        .size:           8
        .value_kind:     global_buffer
      - .offset:         32
        .size:           8
        .value_kind:     by_value
      - .offset:         40
        .size:           8
        .value_kind:     by_value
      - .offset:         48
        .size:           8
        .value_kind:     by_value
      - .address_space:  global
        .offset:         56
        .size:           8
        .value_kind:     global_buffer
      - .offset:         64
        .size:           8
        .value_kind:     by_value
      - .offset:         72
        .size:           8
        .value_kind:     by_value
      - .offset:         80
        .size:           8
        .value_kind:     by_value
      - .address_space:  global
        .offset:         88
        .size:           8
        .value_kind:     global_buffer
      - .offset:         96
        .size:           8
        .value_kind:     by_value
      - .address_space:  global
        .offset:         104
        .size:           8
        .value_kind:     global_buffer
      - .offset:         112
        .size:           8
        .value_kind:     by_value
      - .offset:         120
        .size:           8
        .value_kind:     by_value
      - .offset:         128
        .size:           8
        .value_kind:     by_value
      - .offset:         136
        .size:           4
        .value_kind:     by_value
    .group_segment_fixed_size: 128
    .kernarg_segment_align: 8
    .kernarg_segment_size: 140
    .language:       OpenCL C
    .language_version:
      - 2
      - 0
    .max_flat_workgroup_size: 1024
    .name:           _ZL32rocblas_gemvt_warp_reduce_kernelILb0ELi1024ElPKfS1_KPfEviiT3_lPKT2_lT1_lS7_lS8_lS4_lPT4_lS8_li
    .private_segment_fixed_size: 0
    .sgpr_count:     48
    .sgpr_spill_count: 0
    .symbol:         _ZL32rocblas_gemvt_warp_reduce_kernelILb0ELi1024ElPKfS1_KPfEviiT3_lPKT2_lT1_lS7_lS8_lS4_lPT4_lS8_li.kd
    .uniform_work_group_size: 1
    .uses_dynamic_stack: false
    .vgpr_count:     26
    .vgpr_spill_count: 0
    .wavefront_size: 32
    .workgroup_processor_mode: 1
  - .args:
      - .offset:         0
        .size:           4
        .value_kind:     by_value
      - .offset:         4
        .size:           4
        .value_kind:     by_value
      - .offset:         8
        .size:           4
        .value_kind:     by_value
      - .offset:         16
        .size:           8
        .value_kind:     by_value
      - .address_space:  global
        .offset:         24
        .size:           8
        .value_kind:     global_buffer
      - .offset:         32
        .size:           8
        .value_kind:     by_value
      - .offset:         40
        .size:           4
        .value_kind:     by_value
      - .offset:         48
        .size:           8
        .value_kind:     by_value
      - .address_space:  global
        .offset:         56
        .size:           8
        .value_kind:     global_buffer
      - .offset:         64
        .size:           8
        .value_kind:     by_value
      - .offset:         72
        .size:           4
        .value_kind:     by_value
      - .offset:         80
        .size:           8
        .value_kind:     by_value
      - .offset:         88
        .size:           4
        .value_kind:     by_value
      - .offset:         96
        .size:           8
        .value_kind:     by_value
      - .address_space:  global
        .offset:         104
        .size:           8
        .value_kind:     global_buffer
      - .offset:         112
        .size:           8
        .value_kind:     by_value
      - .offset:         120
        .size:           4
        .value_kind:     by_value
      - .offset:         128
        .size:           8
        .value_kind:     by_value
      - .offset:         136
        .size:           4
        .value_kind:     by_value
    .group_segment_fixed_size: 128
    .kernarg_segment_align: 8
    .kernarg_segment_size: 140
    .language:       OpenCL C
    .language_version:
      - 2
      - 0
    .max_flat_workgroup_size: 1024
    .name:           _ZL32rocblas_gemvt_warp_reduce_kernelILb0ELi1024EiPKffKPfEviiT3_lPKT2_lT1_lS7_lS8_lS4_lPT4_lS8_li
    .private_segment_fixed_size: 0
    .sgpr_count:     40
    .sgpr_spill_count: 0
    .symbol:         _ZL32rocblas_gemvt_warp_reduce_kernelILb0ELi1024EiPKffKPfEviiT3_lPKT2_lT1_lS7_lS8_lS4_lPT4_lS8_li.kd
    .uniform_work_group_size: 1
    .uses_dynamic_stack: false
    .vgpr_count:     25
    .vgpr_spill_count: 0
    .wavefront_size: 32
    .workgroup_processor_mode: 1
  - .args:
      - .offset:         0
        .size:           4
        .value_kind:     by_value
      - .offset:         4
        .size:           4
        .value_kind:     by_value
      - .offset:         8
        .size:           4
        .value_kind:     by_value
      - .offset:         16
        .size:           8
        .value_kind:     by_value
      - .address_space:  global
        .offset:         24
        .size:           8
        .value_kind:     global_buffer
      - .offset:         32
        .size:           8
        .value_kind:     by_value
      - .offset:         40
        .size:           8
        .value_kind:     by_value
      - .offset:         48
        .size:           8
        .value_kind:     by_value
      - .address_space:  global
        .offset:         56
        .size:           8
        .value_kind:     global_buffer
      - .offset:         64
        .size:           8
        .value_kind:     by_value
      - .offset:         72
        .size:           8
        .value_kind:     by_value
      - .offset:         80
        .size:           8
        .value_kind:     by_value
      - .offset:         88
        .size:           4
        .value_kind:     by_value
      - .offset:         96
        .size:           8
        .value_kind:     by_value
      - .address_space:  global
        .offset:         104
        .size:           8
        .value_kind:     global_buffer
      - .offset:         112
        .size:           8
        .value_kind:     by_value
      - .offset:         120
        .size:           8
        .value_kind:     by_value
      - .offset:         128
        .size:           8
        .value_kind:     by_value
      - .offset:         136
        .size:           4
        .value_kind:     by_value
    .group_segment_fixed_size: 128
    .kernarg_segment_align: 8
    .kernarg_segment_size: 140
    .language:       OpenCL C
    .language_version:
      - 2
      - 0
    .max_flat_workgroup_size: 1024
    .name:           _ZL32rocblas_gemvt_warp_reduce_kernelILb0ELi1024ElPKffKPfEviiT3_lPKT2_lT1_lS7_lS8_lS4_lPT4_lS8_li
    .private_segment_fixed_size: 0
    .sgpr_count:     42
    .sgpr_spill_count: 0
    .symbol:         _ZL32rocblas_gemvt_warp_reduce_kernelILb0ELi1024ElPKffKPfEviiT3_lPKT2_lT1_lS7_lS8_lS4_lPT4_lS8_li.kd
    .uniform_work_group_size: 1
    .uses_dynamic_stack: false
    .vgpr_count:     26
    .vgpr_spill_count: 0
    .wavefront_size: 32
    .workgroup_processor_mode: 1
  - .args:
      - .offset:         0
        .size:           4
        .value_kind:     by_value
      - .offset:         4
        .size:           4
        .value_kind:     by_value
      - .address_space:  global
        .offset:         8
        .size:           8
        .value_kind:     global_buffer
      - .offset:         16
        .size:           8
        .value_kind:     by_value
      - .address_space:  global
        .offset:         24
        .size:           8
        .value_kind:     global_buffer
      - .offset:         32
        .size:           8
        .value_kind:     by_value
      - .offset:         40
        .size:           4
        .value_kind:     by_value
      - .offset:         48
        .size:           8
        .value_kind:     by_value
      - .address_space:  global
        .offset:         56
        .size:           8
        .value_kind:     global_buffer
      - .offset:         64
        .size:           8
        .value_kind:     by_value
      - .offset:         72
        .size:           4
        .value_kind:     by_value
      - .offset:         80
        .size:           8
        .value_kind:     by_value
      - .address_space:  global
        .offset:         88
        .size:           8
        .value_kind:     global_buffer
      - .offset:         96
        .size:           8
        .value_kind:     by_value
      - .address_space:  global
        .offset:         104
        .size:           8
        .value_kind:     global_buffer
      - .offset:         112
        .size:           8
        .value_kind:     by_value
      - .offset:         120
        .size:           4
        .value_kind:     by_value
      - .offset:         128
        .size:           8
        .value_kind:     by_value
    .group_segment_fixed_size: 256
    .kernarg_segment_align: 8
    .kernarg_segment_size: 136
    .language:       OpenCL C
    .language_version:
      - 2
      - 0
    .max_flat_workgroup_size: 256
    .name:           _ZL22rocblas_gemvtsm_kernelILb1ELi256EPKfS1_KPfEviiT2_lPKT1_lilS7_lilS4_lPT3_lil
    .private_segment_fixed_size: 0
    .sgpr_count:     24
    .sgpr_spill_count: 0
    .symbol:         _ZL22rocblas_gemvtsm_kernelILb1ELi256EPKfS1_KPfEviiT2_lPKT1_lilS7_lilS4_lPT3_lil.kd
    .uniform_work_group_size: 1
    .uses_dynamic_stack: false
    .vgpr_count:     26
    .vgpr_spill_count: 0
    .wavefront_size: 32
    .workgroup_processor_mode: 1
  - .args:
      - .offset:         0
        .size:           4
        .value_kind:     by_value
      - .offset:         4
        .size:           4
        .value_kind:     by_value
      - .offset:         8
        .size:           4
        .value_kind:     by_value
      - .offset:         16
        .size:           8
        .value_kind:     by_value
      - .address_space:  global
        .offset:         24
        .size:           8
        .value_kind:     global_buffer
      - .offset:         32
        .size:           8
        .value_kind:     by_value
      - .offset:         40
        .size:           4
        .value_kind:     by_value
      - .offset:         48
        .size:           8
        .value_kind:     by_value
      - .address_space:  global
        .offset:         56
        .size:           8
        .value_kind:     global_buffer
      - .offset:         64
        .size:           8
        .value_kind:     by_value
      - .offset:         72
        .size:           4
        .value_kind:     by_value
      - .offset:         80
        .size:           8
        .value_kind:     by_value
      - .offset:         88
        .size:           4
        .value_kind:     by_value
      - .offset:         96
        .size:           8
        .value_kind:     by_value
      - .address_space:  global
        .offset:         104
        .size:           8
        .value_kind:     global_buffer
      - .offset:         112
        .size:           8
        .value_kind:     by_value
      - .offset:         120
        .size:           4
        .value_kind:     by_value
      - .offset:         128
        .size:           8
        .value_kind:     by_value
    .group_segment_fixed_size: 256
    .kernarg_segment_align: 8
    .kernarg_segment_size: 136
    .language:       OpenCL C
    .language_version:
      - 2
      - 0
    .max_flat_workgroup_size: 256
    .name:           _ZL22rocblas_gemvtsm_kernelILb1ELi256EPKffKPfEviiT2_lPKT1_lilS7_lilS4_lPT3_lil
    .private_segment_fixed_size: 0
    .sgpr_count:     26
    .sgpr_spill_count: 0
    .symbol:         _ZL22rocblas_gemvtsm_kernelILb1ELi256EPKffKPfEviiT2_lPKT1_lilS7_lilS4_lPT3_lil.kd
    .uniform_work_group_size: 1
    .uses_dynamic_stack: false
    .vgpr_count:     26
    .vgpr_spill_count: 0
    .wavefront_size: 32
    .workgroup_processor_mode: 1
  - .args:
      - .offset:         0
        .size:           4
        .value_kind:     by_value
      - .offset:         4
        .size:           4
        .value_kind:     by_value
      - .address_space:  global
        .offset:         8
        .size:           8
        .value_kind:     global_buffer
      - .offset:         16
        .size:           8
        .value_kind:     by_value
      - .address_space:  global
        .offset:         24
        .size:           8
        .value_kind:     global_buffer
      - .offset:         32
        .size:           8
        .value_kind:     by_value
      - .offset:         40
        .size:           4
        .value_kind:     by_value
      - .offset:         48
        .size:           8
        .value_kind:     by_value
      - .address_space:  global
        .offset:         56
        .size:           8
        .value_kind:     global_buffer
      - .offset:         64
        .size:           8
        .value_kind:     by_value
      - .offset:         72
        .size:           4
        .value_kind:     by_value
      - .offset:         80
        .size:           8
        .value_kind:     by_value
      - .address_space:  global
        .offset:         88
        .size:           8
        .value_kind:     global_buffer
      - .offset:         96
        .size:           4
        .value_kind:     by_value
      - .offset:         104
        .size:           4
        .value_kind:     hidden_block_count_x
      - .offset:         108
        .size:           4
        .value_kind:     hidden_block_count_y
      - .offset:         112
        .size:           4
        .value_kind:     hidden_block_count_z
      - .offset:         116
        .size:           2
        .value_kind:     hidden_group_size_x
      - .offset:         118
        .size:           2
        .value_kind:     hidden_group_size_y
      - .offset:         120
        .size:           2
        .value_kind:     hidden_group_size_z
      - .offset:         122
        .size:           2
        .value_kind:     hidden_remainder_x
      - .offset:         124
        .size:           2
        .value_kind:     hidden_remainder_y
      - .offset:         126
        .size:           2
        .value_kind:     hidden_remainder_z
      - .offset:         144
        .size:           8
        .value_kind:     hidden_global_offset_x
      - .offset:         152
        .size:           8
        .value_kind:     hidden_global_offset_y
      - .offset:         160
        .size:           8
        .value_kind:     hidden_global_offset_z
      - .offset:         168
        .size:           2
        .value_kind:     hidden_grid_dims
    .group_segment_fixed_size: 128
    .kernarg_segment_align: 8
    .kernarg_segment_size: 360
    .language:       OpenCL C
    .language_version:
      - 2
      - 0
    .max_flat_workgroup_size: 256
    .name:           _ZL23rocblas_gemvt_sn_kernelILb1ELi256ELi4EiPKfS1_fEviiT4_lPKT3_lilS5_lilPT5_i
    .private_segment_fixed_size: 0
    .sgpr_count:     76
    .sgpr_spill_count: 0
    .symbol:         _ZL23rocblas_gemvt_sn_kernelILb1ELi256ELi4EiPKfS1_fEviiT4_lPKT3_lilS5_lilPT5_i.kd
    .uniform_work_group_size: 1
    .uses_dynamic_stack: false
    .vgpr_count:     58
    .vgpr_spill_count: 0
    .wavefront_size: 32
    .workgroup_processor_mode: 1
  - .args:
      - .offset:         0
        .size:           4
        .value_kind:     by_value
      - .offset:         4
        .size:           4
        .value_kind:     by_value
      - .address_space:  global
        .offset:         8
        .size:           8
        .value_kind:     global_buffer
      - .offset:         16
        .size:           8
        .value_kind:     by_value
      - .address_space:  global
        .offset:         24
        .size:           8
        .value_kind:     global_buffer
      - .offset:         32
        .size:           8
        .value_kind:     by_value
      - .offset:         40
        .size:           4
        .value_kind:     by_value
      - .offset:         48
        .size:           8
        .value_kind:     by_value
      - .address_space:  global
        .offset:         56
        .size:           8
        .value_kind:     global_buffer
      - .offset:         64
        .size:           8
        .value_kind:     by_value
      - .offset:         72
        .size:           4
        .value_kind:     by_value
      - .offset:         80
        .size:           8
        .value_kind:     by_value
      - .address_space:  global
        .offset:         88
        .size:           8
        .value_kind:     global_buffer
      - .offset:         96
        .size:           4
        .value_kind:     by_value
      - .offset:         104
        .size:           4
        .value_kind:     hidden_block_count_x
      - .offset:         108
        .size:           4
        .value_kind:     hidden_block_count_y
      - .offset:         112
        .size:           4
        .value_kind:     hidden_block_count_z
      - .offset:         116
        .size:           2
        .value_kind:     hidden_group_size_x
      - .offset:         118
        .size:           2
        .value_kind:     hidden_group_size_y
      - .offset:         120
        .size:           2
        .value_kind:     hidden_group_size_z
      - .offset:         122
        .size:           2
        .value_kind:     hidden_remainder_x
      - .offset:         124
        .size:           2
        .value_kind:     hidden_remainder_y
      - .offset:         126
        .size:           2
        .value_kind:     hidden_remainder_z
      - .offset:         144
        .size:           8
        .value_kind:     hidden_global_offset_x
      - .offset:         152
        .size:           8
        .value_kind:     hidden_global_offset_y
      - .offset:         160
        .size:           8
        .value_kind:     hidden_global_offset_z
      - .offset:         168
        .size:           2
        .value_kind:     hidden_grid_dims
    .group_segment_fixed_size: 128
    .kernarg_segment_align: 8
    .kernarg_segment_size: 360
    .language:       OpenCL C
    .language_version:
      - 2
      - 0
    .max_flat_workgroup_size: 256
    .name:           _ZL23rocblas_gemvt_sn_kernelILb1ELi256ELi4ElPKfS1_fEviiT4_lPKT3_lilS5_lilPT5_i
    .private_segment_fixed_size: 0
    .sgpr_count:     70
    .sgpr_spill_count: 0
    .symbol:         _ZL23rocblas_gemvt_sn_kernelILb1ELi256ELi4ElPKfS1_fEviiT4_lPKT3_lilS5_lilPT5_i.kd
    .uniform_work_group_size: 1
    .uses_dynamic_stack: false
    .vgpr_count:     59
    .vgpr_spill_count: 0
    .wavefront_size: 32
    .workgroup_processor_mode: 1
  - .args:
      - .offset:         0
        .size:           4
        .value_kind:     by_value
      - .offset:         4
        .size:           4
        .value_kind:     by_value
      - .offset:         8
        .size:           4
        .value_kind:     by_value
      - .offset:         16
        .size:           8
        .value_kind:     by_value
      - .address_space:  global
        .offset:         24
        .size:           8
        .value_kind:     global_buffer
      - .offset:         32
        .size:           8
        .value_kind:     by_value
      - .offset:         40
        .size:           4
        .value_kind:     by_value
      - .offset:         48
        .size:           8
        .value_kind:     by_value
      - .address_space:  global
        .offset:         56
        .size:           8
        .value_kind:     global_buffer
      - .offset:         64
        .size:           8
        .value_kind:     by_value
      - .offset:         72
        .size:           4
        .value_kind:     by_value
      - .offset:         80
        .size:           8
        .value_kind:     by_value
      - .address_space:  global
        .offset:         88
        .size:           8
        .value_kind:     global_buffer
      - .offset:         96
        .size:           4
        .value_kind:     by_value
      - .offset:         104
        .size:           4
        .value_kind:     hidden_block_count_x
      - .offset:         108
        .size:           4
        .value_kind:     hidden_block_count_y
      - .offset:         112
        .size:           4
        .value_kind:     hidden_block_count_z
      - .offset:         116
        .size:           2
        .value_kind:     hidden_group_size_x
      - .offset:         118
        .size:           2
        .value_kind:     hidden_group_size_y
      - .offset:         120
        .size:           2
        .value_kind:     hidden_group_size_z
      - .offset:         122
        .size:           2
        .value_kind:     hidden_remainder_x
      - .offset:         124
        .size:           2
        .value_kind:     hidden_remainder_y
      - .offset:         126
        .size:           2
        .value_kind:     hidden_remainder_z
      - .offset:         144
        .size:           8
        .value_kind:     hidden_global_offset_x
      - .offset:         152
        .size:           8
        .value_kind:     hidden_global_offset_y
      - .offset:         160
        .size:           8
        .value_kind:     hidden_global_offset_z
      - .offset:         168
        .size:           2
        .value_kind:     hidden_grid_dims
    .group_segment_fixed_size: 128
    .kernarg_segment_align: 8
    .kernarg_segment_size: 360
    .language:       OpenCL C
    .language_version:
      - 2
      - 0
    .max_flat_workgroup_size: 256
    .name:           _ZL23rocblas_gemvt_sn_kernelILb1ELi256ELi4EiPKfffEviiT4_lPKT3_lilS5_lilPT5_i
    .private_segment_fixed_size: 0
    .sgpr_count:     72
    .sgpr_spill_count: 0
    .symbol:         _ZL23rocblas_gemvt_sn_kernelILb1ELi256ELi4EiPKfffEviiT4_lPKT3_lilS5_lilPT5_i.kd
    .uniform_work_group_size: 1
    .uses_dynamic_stack: false
    .vgpr_count:     57
    .vgpr_spill_count: 0
    .wavefront_size: 32
    .workgroup_processor_mode: 1
  - .args:
      - .offset:         0
        .size:           4
        .value_kind:     by_value
      - .offset:         4
        .size:           4
        .value_kind:     by_value
      - .offset:         8
        .size:           4
        .value_kind:     by_value
      - .offset:         16
        .size:           8
        .value_kind:     by_value
      - .address_space:  global
        .offset:         24
        .size:           8
        .value_kind:     global_buffer
      - .offset:         32
        .size:           8
        .value_kind:     by_value
      - .offset:         40
        .size:           4
        .value_kind:     by_value
      - .offset:         48
        .size:           8
        .value_kind:     by_value
      - .address_space:  global
        .offset:         56
        .size:           8
        .value_kind:     global_buffer
      - .offset:         64
        .size:           8
        .value_kind:     by_value
      - .offset:         72
        .size:           4
        .value_kind:     by_value
      - .offset:         80
        .size:           8
        .value_kind:     by_value
      - .address_space:  global
        .offset:         88
        .size:           8
        .value_kind:     global_buffer
      - .offset:         96
        .size:           4
        .value_kind:     by_value
      - .offset:         104
        .size:           4
        .value_kind:     hidden_block_count_x
      - .offset:         108
        .size:           4
        .value_kind:     hidden_block_count_y
      - .offset:         112
        .size:           4
        .value_kind:     hidden_block_count_z
      - .offset:         116
        .size:           2
        .value_kind:     hidden_group_size_x
      - .offset:         118
        .size:           2
        .value_kind:     hidden_group_size_y
      - .offset:         120
        .size:           2
        .value_kind:     hidden_group_size_z
      - .offset:         122
        .size:           2
        .value_kind:     hidden_remainder_x
      - .offset:         124
        .size:           2
        .value_kind:     hidden_remainder_y
      - .offset:         126
        .size:           2
        .value_kind:     hidden_remainder_z
      - .offset:         144
        .size:           8
        .value_kind:     hidden_global_offset_x
      - .offset:         152
        .size:           8
        .value_kind:     hidden_global_offset_y
      - .offset:         160
        .size:           8
        .value_kind:     hidden_global_offset_z
      - .offset:         168
        .size:           2
        .value_kind:     hidden_grid_dims
    .group_segment_fixed_size: 128
    .kernarg_segment_align: 8
    .kernarg_segment_size: 360
    .language:       OpenCL C
    .language_version:
      - 2
      - 0
    .max_flat_workgroup_size: 256
    .name:           _ZL23rocblas_gemvt_sn_kernelILb1ELi256ELi4ElPKfffEviiT4_lPKT3_lilS5_lilPT5_i
    .private_segment_fixed_size: 0
    .sgpr_count:     64
    .sgpr_spill_count: 0
    .symbol:         _ZL23rocblas_gemvt_sn_kernelILb1ELi256ELi4ElPKfffEviiT4_lPKT3_lilS5_lilPT5_i.kd
    .uniform_work_group_size: 1
    .uses_dynamic_stack: false
    .vgpr_count:     58
    .vgpr_spill_count: 0
    .wavefront_size: 32
    .workgroup_processor_mode: 1
  - .args:
      - .offset:         0
        .size:           4
        .value_kind:     by_value
      - .offset:         4
        .size:           4
        .value_kind:     by_value
      - .address_space:  global
        .offset:         8
        .size:           8
        .value_kind:     global_buffer
      - .offset:         16
        .size:           8
        .value_kind:     by_value
      - .address_space:  global
        .offset:         24
        .size:           8
        .value_kind:     global_buffer
      - .offset:         32
        .size:           8
        .value_kind:     by_value
      - .offset:         40
        .size:           4
        .value_kind:     by_value
      - .offset:         48
        .size:           8
        .value_kind:     by_value
      - .address_space:  global
        .offset:         56
        .size:           8
        .value_kind:     global_buffer
      - .offset:         64
        .size:           8
        .value_kind:     by_value
      - .offset:         72
        .size:           4
        .value_kind:     by_value
      - .offset:         80
        .size:           8
        .value_kind:     by_value
      - .address_space:  global
        .offset:         88
        .size:           8
        .value_kind:     global_buffer
      - .offset:         96
        .size:           8
        .value_kind:     by_value
      - .offset:         104
        .size:           4
        .value_kind:     by_value
      - .offset:         112
        .size:           8
        .value_kind:     by_value
      - .offset:         120
        .size:           4
        .value_kind:     by_value
      - .offset:         128
        .size:           4
        .value_kind:     hidden_block_count_x
      - .offset:         132
        .size:           4
        .value_kind:     hidden_block_count_y
      - .offset:         136
        .size:           4
        .value_kind:     hidden_block_count_z
      - .offset:         140
        .size:           2
        .value_kind:     hidden_group_size_x
      - .offset:         142
        .size:           2
        .value_kind:     hidden_group_size_y
      - .offset:         144
        .size:           2
        .value_kind:     hidden_group_size_z
      - .offset:         146
        .size:           2
        .value_kind:     hidden_remainder_x
      - .offset:         148
        .size:           2
        .value_kind:     hidden_remainder_y
      - .offset:         150
        .size:           2
        .value_kind:     hidden_remainder_z
      - .offset:         168
        .size:           8
        .value_kind:     hidden_global_offset_x
      - .offset:         176
        .size:           8
        .value_kind:     hidden_global_offset_y
      - .offset:         184
        .size:           8
        .value_kind:     hidden_global_offset_z
      - .offset:         192
        .size:           2
        .value_kind:     hidden_grid_dims
    .group_segment_fixed_size: 32768
    .kernarg_segment_align: 8
    .kernarg_segment_size: 384
    .language:       OpenCL C
    .language_version:
      - 2
      - 0
    .max_flat_workgroup_size: 1024
    .name:           _ZL36rocblas_gemvt_double_buffered_kernelILb1ELi128ELi8ELi8EPKfS1_KPfEviiT4_lPKT3_lilS7_lilPT5_lili
    .private_segment_fixed_size: 0
    .sgpr_count:     46
    .sgpr_spill_count: 0
    .symbol:         _ZL36rocblas_gemvt_double_buffered_kernelILb1ELi128ELi8ELi8EPKfS1_KPfEviiT4_lPKT3_lilS7_lilPT5_lili.kd
    .uniform_work_group_size: 1
    .uses_dynamic_stack: false
    .vgpr_count:     160
    .vgpr_spill_count: 0
    .wavefront_size: 32
    .workgroup_processor_mode: 1
  - .args:
      - .offset:         0
        .size:           4
        .value_kind:     by_value
      - .offset:         4
        .size:           4
        .value_kind:     by_value
      - .offset:         8
        .size:           4
        .value_kind:     by_value
      - .offset:         16
        .size:           8
        .value_kind:     by_value
      - .address_space:  global
        .offset:         24
        .size:           8
        .value_kind:     global_buffer
      - .offset:         32
        .size:           8
        .value_kind:     by_value
      - .offset:         40
        .size:           4
        .value_kind:     by_value
      - .offset:         48
        .size:           8
        .value_kind:     by_value
      - .address_space:  global
        .offset:         56
        .size:           8
        .value_kind:     global_buffer
      - .offset:         64
        .size:           8
        .value_kind:     by_value
      - .offset:         72
        .size:           4
        .value_kind:     by_value
      - .offset:         80
        .size:           8
        .value_kind:     by_value
      - .address_space:  global
        .offset:         88
        .size:           8
        .value_kind:     global_buffer
      - .offset:         96
        .size:           8
        .value_kind:     by_value
      - .offset:         104
        .size:           4
        .value_kind:     by_value
      - .offset:         112
        .size:           8
        .value_kind:     by_value
      - .offset:         120
        .size:           4
        .value_kind:     by_value
      - .offset:         128
        .size:           4
        .value_kind:     hidden_block_count_x
      - .offset:         132
        .size:           4
        .value_kind:     hidden_block_count_y
      - .offset:         136
        .size:           4
        .value_kind:     hidden_block_count_z
      - .offset:         140
        .size:           2
        .value_kind:     hidden_group_size_x
      - .offset:         142
        .size:           2
        .value_kind:     hidden_group_size_y
      - .offset:         144
        .size:           2
        .value_kind:     hidden_group_size_z
      - .offset:         146
        .size:           2
        .value_kind:     hidden_remainder_x
      - .offset:         148
        .size:           2
        .value_kind:     hidden_remainder_y
      - .offset:         150
        .size:           2
        .value_kind:     hidden_remainder_z
      - .offset:         168
        .size:           8
        .value_kind:     hidden_global_offset_x
      - .offset:         176
        .size:           8
        .value_kind:     hidden_global_offset_y
      - .offset:         184
        .size:           8
        .value_kind:     hidden_global_offset_z
      - .offset:         192
        .size:           2
        .value_kind:     hidden_grid_dims
    .group_segment_fixed_size: 32768
    .kernarg_segment_align: 8
    .kernarg_segment_size: 384
    .language:       OpenCL C
    .language_version:
      - 2
      - 0
    .max_flat_workgroup_size: 1024
    .name:           _ZL36rocblas_gemvt_double_buffered_kernelILb1ELi128ELi8ELi8EPKffKPfEviiT4_lPKT3_lilS7_lilPT5_lili
    .private_segment_fixed_size: 0
    .sgpr_count:     46
    .sgpr_spill_count: 0
    .symbol:         _ZL36rocblas_gemvt_double_buffered_kernelILb1ELi128ELi8ELi8EPKffKPfEviiT4_lPKT3_lilS7_lilPT5_lili.kd
    .uniform_work_group_size: 1
    .uses_dynamic_stack: false
    .vgpr_count:     159
    .vgpr_spill_count: 0
    .wavefront_size: 32
    .workgroup_processor_mode: 1
  - .args:
      - .offset:         0
        .size:           4
        .value_kind:     by_value
      - .offset:         4
        .size:           4
        .value_kind:     by_value
      - .address_space:  global
        .offset:         8
        .size:           8
        .value_kind:     global_buffer
      - .offset:         16
        .size:           8
        .value_kind:     by_value
      - .address_space:  global
        .offset:         24
        .size:           8
        .value_kind:     global_buffer
      - .offset:         32
        .size:           8
        .value_kind:     by_value
      - .offset:         40
        .size:           4
        .value_kind:     by_value
      - .offset:         48
        .size:           8
        .value_kind:     by_value
      - .address_space:  global
        .offset:         56
        .size:           8
        .value_kind:     global_buffer
      - .offset:         64
        .size:           8
        .value_kind:     by_value
      - .offset:         72
        .size:           4
        .value_kind:     by_value
      - .offset:         80
        .size:           8
        .value_kind:     by_value
      - .address_space:  global
        .offset:         88
        .size:           8
        .value_kind:     global_buffer
      - .offset:         96
        .size:           8
        .value_kind:     by_value
      - .address_space:  global
        .offset:         104
        .size:           8
        .value_kind:     global_buffer
      - .offset:         112
        .size:           8
        .value_kind:     by_value
      - .offset:         120
        .size:           4
        .value_kind:     by_value
      - .offset:         128
        .size:           8
        .value_kind:     by_value
      - .offset:         136
        .size:           4
        .value_kind:     by_value
    .group_segment_fixed_size: 1024
    .kernarg_segment_align: 8
    .kernarg_segment_size: 140
    .language:       OpenCL C
    .language_version:
      - 2
      - 0
    .max_flat_workgroup_size: 256
    .name:           _ZL20rocblas_gemvt_kernelILb1ELi256EPKfS1_KPfEviiT2_lPKT1_lilS7_lilS4_lPT3_lili
    .private_segment_fixed_size: 0
    .sgpr_count:     52
    .sgpr_spill_count: 0
    .symbol:         _ZL20rocblas_gemvt_kernelILb1ELi256EPKfS1_KPfEviiT2_lPKT1_lilS7_lilS4_lPT3_lili.kd
    .uniform_work_group_size: 1
    .uses_dynamic_stack: false
    .vgpr_count:     21
    .vgpr_spill_count: 0
    .wavefront_size: 32
    .workgroup_processor_mode: 1
  - .args:
      - .offset:         0
        .size:           4
        .value_kind:     by_value
      - .offset:         4
        .size:           4
        .value_kind:     by_value
      - .offset:         8
        .size:           4
        .value_kind:     by_value
      - .offset:         16
        .size:           8
        .value_kind:     by_value
      - .address_space:  global
        .offset:         24
        .size:           8
        .value_kind:     global_buffer
      - .offset:         32
        .size:           8
        .value_kind:     by_value
      - .offset:         40
        .size:           4
        .value_kind:     by_value
      - .offset:         48
        .size:           8
        .value_kind:     by_value
      - .address_space:  global
        .offset:         56
        .size:           8
        .value_kind:     global_buffer
      - .offset:         64
        .size:           8
        .value_kind:     by_value
      - .offset:         72
        .size:           4
        .value_kind:     by_value
      - .offset:         80
        .size:           8
        .value_kind:     by_value
      - .offset:         88
        .size:           4
        .value_kind:     by_value
      - .offset:         96
        .size:           8
        .value_kind:     by_value
      - .address_space:  global
        .offset:         104
        .size:           8
        .value_kind:     global_buffer
      - .offset:         112
        .size:           8
        .value_kind:     by_value
      - .offset:         120
        .size:           4
        .value_kind:     by_value
      - .offset:         128
        .size:           8
        .value_kind:     by_value
      - .offset:         136
        .size:           4
        .value_kind:     by_value
    .group_segment_fixed_size: 1024
    .kernarg_segment_align: 8
    .kernarg_segment_size: 140
    .language:       OpenCL C
    .language_version:
      - 2
      - 0
    .max_flat_workgroup_size: 256
    .name:           _ZL20rocblas_gemvt_kernelILb1ELi256EPKffKPfEviiT2_lPKT1_lilS7_lilS4_lPT3_lili
    .private_segment_fixed_size: 0
    .sgpr_count:     46
    .sgpr_spill_count: 0
    .symbol:         _ZL20rocblas_gemvt_kernelILb1ELi256EPKffKPfEviiT2_lPKT1_lilS7_lilS4_lPT3_lili.kd
    .uniform_work_group_size: 1
    .uses_dynamic_stack: false
    .vgpr_count:     21
    .vgpr_spill_count: 0
    .wavefront_size: 32
    .workgroup_processor_mode: 1
  - .args:
      - .offset:         0
        .size:           4
        .value_kind:     by_value
      - .offset:         4
        .size:           4
        .value_kind:     by_value
      - .address_space:  global
        .offset:         8
        .size:           8
        .value_kind:     global_buffer
      - .offset:         16
        .size:           8
        .value_kind:     by_value
      - .address_space:  global
        .offset:         24
        .size:           8
        .value_kind:     global_buffer
      - .offset:         32
        .size:           8
        .value_kind:     by_value
      - .offset:         40
        .size:           4
        .value_kind:     by_value
      - .offset:         48
        .size:           8
        .value_kind:     by_value
      - .address_space:  global
        .offset:         56
        .size:           8
        .value_kind:     global_buffer
      - .offset:         64
        .size:           8
        .value_kind:     by_value
      - .offset:         72
        .size:           4
        .value_kind:     by_value
      - .offset:         80
        .size:           8
        .value_kind:     by_value
      - .address_space:  global
        .offset:         88
        .size:           8
        .value_kind:     global_buffer
      - .offset:         96
        .size:           8
        .value_kind:     by_value
      - .address_space:  global
        .offset:         104
        .size:           8
        .value_kind:     global_buffer
      - .offset:         112
        .size:           8
        .value_kind:     by_value
      - .offset:         120
        .size:           4
        .value_kind:     by_value
      - .offset:         128
        .size:           8
        .value_kind:     by_value
      - .offset:         136
        .size:           4
        .value_kind:     by_value
    .group_segment_fixed_size: 128
    .kernarg_segment_align: 8
    .kernarg_segment_size: 140
    .language:       OpenCL C
    .language_version:
      - 2
      - 0
    .max_flat_workgroup_size: 1024
    .name:           _ZL32rocblas_gemvt_warp_reduce_kernelILb1ELi1024EiPKfS1_KPfEviiT3_lPKT2_lT1_lS7_lS8_lS4_lPT4_lS8_li
    .private_segment_fixed_size: 0
    .sgpr_count:     46
    .sgpr_spill_count: 0
    .symbol:         _ZL32rocblas_gemvt_warp_reduce_kernelILb1ELi1024EiPKfS1_KPfEviiT3_lPKT2_lT1_lS7_lS8_lS4_lPT4_lS8_li.kd
    .uniform_work_group_size: 1
    .uses_dynamic_stack: false
    .vgpr_count:     25
    .vgpr_spill_count: 0
    .wavefront_size: 32
    .workgroup_processor_mode: 1
  - .args:
      - .offset:         0
        .size:           4
        .value_kind:     by_value
      - .offset:         4
        .size:           4
        .value_kind:     by_value
      - .address_space:  global
        .offset:         8
        .size:           8
        .value_kind:     global_buffer
      - .offset:         16
        .size:           8
        .value_kind:     by_value
      - .address_space:  global
        .offset:         24
        .size:           8
        .value_kind:     global_buffer
      - .offset:         32
        .size:           8
        .value_kind:     by_value
      - .offset:         40
        .size:           8
        .value_kind:     by_value
      - .offset:         48
        .size:           8
        .value_kind:     by_value
      - .address_space:  global
        .offset:         56
        .size:           8
        .value_kind:     global_buffer
      - .offset:         64
        .size:           8
        .value_kind:     by_value
      - .offset:         72
        .size:           8
        .value_kind:     by_value
      - .offset:         80
        .size:           8
        .value_kind:     by_value
      - .address_space:  global
        .offset:         88
        .size:           8
        .value_kind:     global_buffer
      - .offset:         96
        .size:           8
        .value_kind:     by_value
      - .address_space:  global
        .offset:         104
        .size:           8
        .value_kind:     global_buffer
      - .offset:         112
        .size:           8
        .value_kind:     by_value
      - .offset:         120
        .size:           8
        .value_kind:     by_value
      - .offset:         128
        .size:           8
        .value_kind:     by_value
      - .offset:         136
        .size:           4
        .value_kind:     by_value
    .group_segment_fixed_size: 128
    .kernarg_segment_align: 8
    .kernarg_segment_size: 140
    .language:       OpenCL C
    .language_version:
      - 2
      - 0
    .max_flat_workgroup_size: 1024
    .name:           _ZL32rocblas_gemvt_warp_reduce_kernelILb1ELi1024ElPKfS1_KPfEviiT3_lPKT2_lT1_lS7_lS8_lS4_lPT4_lS8_li
    .private_segment_fixed_size: 0
    .sgpr_count:     48
    .sgpr_spill_count: 0
    .symbol:         _ZL32rocblas_gemvt_warp_reduce_kernelILb1ELi1024ElPKfS1_KPfEviiT3_lPKT2_lT1_lS7_lS8_lS4_lPT4_lS8_li.kd
    .uniform_work_group_size: 1
    .uses_dynamic_stack: false
    .vgpr_count:     26
    .vgpr_spill_count: 0
    .wavefront_size: 32
    .workgroup_processor_mode: 1
  - .args:
      - .offset:         0
        .size:           4
        .value_kind:     by_value
      - .offset:         4
        .size:           4
        .value_kind:     by_value
      - .offset:         8
        .size:           4
        .value_kind:     by_value
      - .offset:         16
        .size:           8
        .value_kind:     by_value
      - .address_space:  global
        .offset:         24
        .size:           8
        .value_kind:     global_buffer
      - .offset:         32
        .size:           8
        .value_kind:     by_value
      - .offset:         40
        .size:           4
        .value_kind:     by_value
      - .offset:         48
        .size:           8
        .value_kind:     by_value
      - .address_space:  global
        .offset:         56
        .size:           8
        .value_kind:     global_buffer
      - .offset:         64
        .size:           8
        .value_kind:     by_value
      - .offset:         72
        .size:           4
        .value_kind:     by_value
      - .offset:         80
        .size:           8
        .value_kind:     by_value
      - .offset:         88
        .size:           4
        .value_kind:     by_value
      - .offset:         96
        .size:           8
        .value_kind:     by_value
      - .address_space:  global
        .offset:         104
        .size:           8
        .value_kind:     global_buffer
      - .offset:         112
        .size:           8
        .value_kind:     by_value
      - .offset:         120
        .size:           4
        .value_kind:     by_value
      - .offset:         128
        .size:           8
        .value_kind:     by_value
      - .offset:         136
        .size:           4
        .value_kind:     by_value
    .group_segment_fixed_size: 128
    .kernarg_segment_align: 8
    .kernarg_segment_size: 140
    .language:       OpenCL C
    .language_version:
      - 2
      - 0
    .max_flat_workgroup_size: 1024
    .name:           _ZL32rocblas_gemvt_warp_reduce_kernelILb1ELi1024EiPKffKPfEviiT3_lPKT2_lT1_lS7_lS8_lS4_lPT4_lS8_li
    .private_segment_fixed_size: 0
    .sgpr_count:     40
    .sgpr_spill_count: 0
    .symbol:         _ZL32rocblas_gemvt_warp_reduce_kernelILb1ELi1024EiPKffKPfEviiT3_lPKT2_lT1_lS7_lS8_lS4_lPT4_lS8_li.kd
    .uniform_work_group_size: 1
    .uses_dynamic_stack: false
    .vgpr_count:     25
    .vgpr_spill_count: 0
    .wavefront_size: 32
    .workgroup_processor_mode: 1
  - .args:
      - .offset:         0
        .size:           4
        .value_kind:     by_value
      - .offset:         4
        .size:           4
        .value_kind:     by_value
      - .offset:         8
        .size:           4
        .value_kind:     by_value
      - .offset:         16
        .size:           8
        .value_kind:     by_value
      - .address_space:  global
        .offset:         24
        .size:           8
        .value_kind:     global_buffer
      - .offset:         32
        .size:           8
        .value_kind:     by_value
      - .offset:         40
        .size:           8
        .value_kind:     by_value
      - .offset:         48
        .size:           8
        .value_kind:     by_value
      - .address_space:  global
        .offset:         56
        .size:           8
        .value_kind:     global_buffer
      - .offset:         64
        .size:           8
        .value_kind:     by_value
      - .offset:         72
        .size:           8
        .value_kind:     by_value
      - .offset:         80
        .size:           8
        .value_kind:     by_value
      - .offset:         88
        .size:           4
        .value_kind:     by_value
      - .offset:         96
        .size:           8
        .value_kind:     by_value
      - .address_space:  global
        .offset:         104
        .size:           8
        .value_kind:     global_buffer
      - .offset:         112
        .size:           8
        .value_kind:     by_value
      - .offset:         120
        .size:           8
        .value_kind:     by_value
      - .offset:         128
        .size:           8
        .value_kind:     by_value
      - .offset:         136
        .size:           4
        .value_kind:     by_value
    .group_segment_fixed_size: 128
    .kernarg_segment_align: 8
    .kernarg_segment_size: 140
    .language:       OpenCL C
    .language_version:
      - 2
      - 0
    .max_flat_workgroup_size: 1024
    .name:           _ZL32rocblas_gemvt_warp_reduce_kernelILb1ELi1024ElPKffKPfEviiT3_lPKT2_lT1_lS7_lS8_lS4_lPT4_lS8_li
    .private_segment_fixed_size: 0
    .sgpr_count:     42
    .sgpr_spill_count: 0
    .symbol:         _ZL32rocblas_gemvt_warp_reduce_kernelILb1ELi1024ElPKffKPfEviiT3_lPKT2_lT1_lS7_lS8_lS4_lPT4_lS8_li.kd
    .uniform_work_group_size: 1
    .uses_dynamic_stack: false
    .vgpr_count:     26
    .vgpr_spill_count: 0
    .wavefront_size: 32
    .workgroup_processor_mode: 1
  - .args:
      - .offset:         0
        .size:           4
        .value_kind:     by_value
      - .offset:         4
        .size:           4
        .value_kind:     by_value
      - .address_space:  global
        .offset:         8
        .size:           8
        .value_kind:     global_buffer
      - .offset:         16
        .size:           8
        .value_kind:     by_value
      - .address_space:  global
        .offset:         24
        .size:           8
        .value_kind:     global_buffer
      - .offset:         32
        .size:           8
        .value_kind:     by_value
      - .offset:         40
        .size:           4
        .value_kind:     by_value
      - .offset:         48
        .size:           8
        .value_kind:     by_value
      - .address_space:  global
        .offset:         56
        .size:           8
        .value_kind:     global_buffer
      - .offset:         64
        .size:           8
        .value_kind:     by_value
      - .offset:         72
        .size:           4
        .value_kind:     by_value
      - .offset:         80
        .size:           8
        .value_kind:     by_value
      - .address_space:  global
        .offset:         88
        .size:           8
        .value_kind:     global_buffer
      - .offset:         96
        .size:           8
        .value_kind:     by_value
      - .address_space:  global
        .offset:         104
        .size:           8
        .value_kind:     global_buffer
      - .offset:         112
        .size:           8
        .value_kind:     by_value
      - .offset:         120
        .size:           4
        .value_kind:     by_value
      - .offset:         128
        .size:           8
        .value_kind:     by_value
      - .offset:         136
        .size:           4
        .value_kind:     by_value
    .group_segment_fixed_size: 0
    .kernarg_segment_align: 8
    .kernarg_segment_size: 140
    .language:       OpenCL C
    .language_version:
      - 2
      - 0
    .max_flat_workgroup_size: 768
    .name:           _ZL34rocblas_gemvn_sm_mn_batched_kernelILi32ELi24EPKdS1_KPdEviiT2_lPKT1_lilS7_lilS4_lPT3_lili
    .private_segment_fixed_size: 0
    .sgpr_count:     0
    .sgpr_spill_count: 0
    .symbol:         _ZL34rocblas_gemvn_sm_mn_batched_kernelILi32ELi24EPKdS1_KPdEviiT2_lPKT1_lilS7_lilS4_lPT3_lili.kd
    .uniform_work_group_size: 1
    .uses_dynamic_stack: false
    .vgpr_count:     0
    .vgpr_spill_count: 0
    .wavefront_size: 32
    .workgroup_processor_mode: 1
  - .args:
      - .offset:         0
        .size:           4
        .value_kind:     by_value
      - .offset:         4
        .size:           4
        .value_kind:     by_value
      - .offset:         8
        .size:           8
        .value_kind:     by_value
      - .offset:         16
        .size:           8
        .value_kind:     by_value
      - .address_space:  global
        .offset:         24
        .size:           8
        .value_kind:     global_buffer
      - .offset:         32
        .size:           8
        .value_kind:     by_value
      - .offset:         40
        .size:           4
        .value_kind:     by_value
      - .offset:         48
        .size:           8
        .value_kind:     by_value
      - .address_space:  global
        .offset:         56
        .size:           8
        .value_kind:     global_buffer
      - .offset:         64
        .size:           8
        .value_kind:     by_value
      - .offset:         72
        .size:           4
        .value_kind:     by_value
      - .offset:         80
        .size:           8
        .value_kind:     by_value
      - .offset:         88
        .size:           8
        .value_kind:     by_value
      - .offset:         96
        .size:           8
        .value_kind:     by_value
      - .address_space:  global
        .offset:         104
        .size:           8
        .value_kind:     global_buffer
      - .offset:         112
        .size:           8
        .value_kind:     by_value
      - .offset:         120
        .size:           4
        .value_kind:     by_value
      - .offset:         128
        .size:           8
        .value_kind:     by_value
      - .offset:         136
        .size:           4
        .value_kind:     by_value
    .group_segment_fixed_size: 0
    .kernarg_segment_align: 8
    .kernarg_segment_size: 140
    .language:       OpenCL C
    .language_version:
      - 2
      - 0
    .max_flat_workgroup_size: 768
    .name:           _ZL34rocblas_gemvn_sm_mn_batched_kernelILi32ELi24EPKddKPdEviiT2_lPKT1_lilS7_lilS4_lPT3_lili
    .private_segment_fixed_size: 0
    .sgpr_count:     0
    .sgpr_spill_count: 0
    .symbol:         _ZL34rocblas_gemvn_sm_mn_batched_kernelILi32ELi24EPKddKPdEviiT2_lPKT1_lilS7_lilS4_lPT3_lili.kd
    .uniform_work_group_size: 1
    .uses_dynamic_stack: false
    .vgpr_count:     0
    .vgpr_spill_count: 0
    .wavefront_size: 32
    .workgroup_processor_mode: 1
  - .args:
      - .offset:         0
        .size:           4
        .value_kind:     by_value
      - .offset:         4
        .size:           4
        .value_kind:     by_value
      - .address_space:  global
        .offset:         8
        .size:           8
        .value_kind:     global_buffer
      - .offset:         16
        .size:           8
        .value_kind:     by_value
      - .address_space:  global
        .offset:         24
        .size:           8
        .value_kind:     global_buffer
      - .offset:         32
        .size:           8
        .value_kind:     by_value
      - .offset:         40
        .size:           4
        .value_kind:     by_value
      - .offset:         48
        .size:           8
        .value_kind:     by_value
      - .address_space:  global
        .offset:         56
        .size:           8
        .value_kind:     global_buffer
      - .offset:         64
        .size:           8
        .value_kind:     by_value
      - .offset:         72
        .size:           4
        .value_kind:     by_value
      - .offset:         80
        .size:           8
        .value_kind:     by_value
      - .address_space:  global
        .offset:         88
        .size:           8
        .value_kind:     global_buffer
      - .offset:         96
        .size:           8
        .value_kind:     by_value
      - .address_space:  global
        .offset:         104
        .size:           8
        .value_kind:     global_buffer
      - .offset:         112
        .size:           8
        .value_kind:     by_value
      - .offset:         120
        .size:           4
        .value_kind:     by_value
      - .offset:         128
        .size:           8
        .value_kind:     by_value
      - .offset:         136
        .size:           4
        .value_kind:     by_value
      - .offset:         144
        .size:           4
        .value_kind:     hidden_block_count_x
      - .offset:         148
        .size:           4
        .value_kind:     hidden_block_count_y
      - .offset:         152
        .size:           4
        .value_kind:     hidden_block_count_z
      - .offset:         156
        .size:           2
        .value_kind:     hidden_group_size_x
      - .offset:         158
        .size:           2
        .value_kind:     hidden_group_size_y
      - .offset:         160
        .size:           2
        .value_kind:     hidden_group_size_z
      - .offset:         162
        .size:           2
        .value_kind:     hidden_remainder_x
      - .offset:         164
        .size:           2
        .value_kind:     hidden_remainder_y
      - .offset:         166
        .size:           2
        .value_kind:     hidden_remainder_z
      - .offset:         184
        .size:           8
        .value_kind:     hidden_global_offset_x
      - .offset:         192
        .size:           8
        .value_kind:     hidden_global_offset_y
      - .offset:         200
        .size:           8
        .value_kind:     hidden_global_offset_z
      - .offset:         208
        .size:           2
        .value_kind:     hidden_grid_dims
    .group_segment_fixed_size: 8192
    .kernarg_segment_align: 8
    .kernarg_segment_size: 400
    .language:       OpenCL C
    .language_version:
      - 2
      - 0
    .max_flat_workgroup_size: 256
    .name:           _ZL20rocblas_gemvn_kernelILi64ELi4EiPKdS1_KPdEviiT3_lPKT2_lT1_lS7_lS8_lS4_lPT4_lS8_li
    .private_segment_fixed_size: 0
    .sgpr_count:     50
    .sgpr_spill_count: 0
    .symbol:         _ZL20rocblas_gemvn_kernelILi64ELi4EiPKdS1_KPdEviiT3_lPKT2_lT1_lS7_lS8_lS4_lPT4_lS8_li.kd
    .uniform_work_group_size: 1
    .uses_dynamic_stack: false
    .vgpr_count:     82
    .vgpr_spill_count: 0
    .wavefront_size: 32
    .workgroup_processor_mode: 1
  - .args:
      - .offset:         0
        .size:           4
        .value_kind:     by_value
      - .offset:         4
        .size:           4
        .value_kind:     by_value
      - .address_space:  global
        .offset:         8
        .size:           8
        .value_kind:     global_buffer
      - .offset:         16
        .size:           8
        .value_kind:     by_value
      - .address_space:  global
        .offset:         24
        .size:           8
        .value_kind:     global_buffer
      - .offset:         32
        .size:           8
        .value_kind:     by_value
      - .offset:         40
        .size:           8
        .value_kind:     by_value
      - .offset:         48
        .size:           8
        .value_kind:     by_value
      - .address_space:  global
        .offset:         56
        .size:           8
        .value_kind:     global_buffer
      - .offset:         64
        .size:           8
        .value_kind:     by_value
      - .offset:         72
        .size:           8
        .value_kind:     by_value
      - .offset:         80
        .size:           8
        .value_kind:     by_value
      - .address_space:  global
        .offset:         88
        .size:           8
        .value_kind:     global_buffer
      - .offset:         96
        .size:           8
        .value_kind:     by_value
      - .address_space:  global
        .offset:         104
        .size:           8
        .value_kind:     global_buffer
      - .offset:         112
        .size:           8
        .value_kind:     by_value
      - .offset:         120
        .size:           8
        .value_kind:     by_value
      - .offset:         128
        .size:           8
        .value_kind:     by_value
      - .offset:         136
        .size:           4
        .value_kind:     by_value
      - .offset:         144
        .size:           4
        .value_kind:     hidden_block_count_x
      - .offset:         148
        .size:           4
        .value_kind:     hidden_block_count_y
      - .offset:         152
        .size:           4
        .value_kind:     hidden_block_count_z
      - .offset:         156
        .size:           2
        .value_kind:     hidden_group_size_x
      - .offset:         158
        .size:           2
        .value_kind:     hidden_group_size_y
      - .offset:         160
        .size:           2
        .value_kind:     hidden_group_size_z
      - .offset:         162
        .size:           2
        .value_kind:     hidden_remainder_x
      - .offset:         164
        .size:           2
        .value_kind:     hidden_remainder_y
      - .offset:         166
        .size:           2
        .value_kind:     hidden_remainder_z
      - .offset:         184
        .size:           8
        .value_kind:     hidden_global_offset_x
      - .offset:         192
        .size:           8
        .value_kind:     hidden_global_offset_y
      - .offset:         200
        .size:           8
        .value_kind:     hidden_global_offset_z
      - .offset:         208
        .size:           2
        .value_kind:     hidden_grid_dims
    .group_segment_fixed_size: 8192
    .kernarg_segment_align: 8
    .kernarg_segment_size: 400
    .language:       OpenCL C
    .language_version:
      - 2
      - 0
    .max_flat_workgroup_size: 256
    .name:           _ZL20rocblas_gemvn_kernelILi64ELi4ElPKdS1_KPdEviiT3_lPKT2_lT1_lS7_lS8_lS4_lPT4_lS8_li
    .private_segment_fixed_size: 0
    .sgpr_count:     52
    .sgpr_spill_count: 0
    .symbol:         _ZL20rocblas_gemvn_kernelILi64ELi4ElPKdS1_KPdEviiT3_lPKT2_lT1_lS7_lS8_lS4_lPT4_lS8_li.kd
    .uniform_work_group_size: 1
    .uses_dynamic_stack: false
    .vgpr_count:     97
    .vgpr_spill_count: 0
    .wavefront_size: 32
    .workgroup_processor_mode: 1
  - .args:
      - .offset:         0
        .size:           4
        .value_kind:     by_value
      - .offset:         4
        .size:           4
        .value_kind:     by_value
      - .offset:         8
        .size:           8
        .value_kind:     by_value
      - .offset:         16
        .size:           8
        .value_kind:     by_value
      - .address_space:  global
        .offset:         24
        .size:           8
        .value_kind:     global_buffer
      - .offset:         32
        .size:           8
        .value_kind:     by_value
      - .offset:         40
        .size:           4
        .value_kind:     by_value
      - .offset:         48
        .size:           8
        .value_kind:     by_value
      - .address_space:  global
        .offset:         56
        .size:           8
        .value_kind:     global_buffer
      - .offset:         64
        .size:           8
        .value_kind:     by_value
      - .offset:         72
        .size:           4
        .value_kind:     by_value
      - .offset:         80
        .size:           8
        .value_kind:     by_value
      - .offset:         88
        .size:           8
        .value_kind:     by_value
      - .offset:         96
        .size:           8
        .value_kind:     by_value
      - .address_space:  global
        .offset:         104
        .size:           8
        .value_kind:     global_buffer
      - .offset:         112
        .size:           8
        .value_kind:     by_value
      - .offset:         120
        .size:           4
        .value_kind:     by_value
      - .offset:         128
        .size:           8
        .value_kind:     by_value
      - .offset:         136
        .size:           4
        .value_kind:     by_value
      - .offset:         144
        .size:           4
        .value_kind:     hidden_block_count_x
      - .offset:         148
        .size:           4
        .value_kind:     hidden_block_count_y
      - .offset:         152
        .size:           4
        .value_kind:     hidden_block_count_z
      - .offset:         156
        .size:           2
        .value_kind:     hidden_group_size_x
      - .offset:         158
        .size:           2
        .value_kind:     hidden_group_size_y
      - .offset:         160
        .size:           2
        .value_kind:     hidden_group_size_z
      - .offset:         162
        .size:           2
        .value_kind:     hidden_remainder_x
      - .offset:         164
        .size:           2
        .value_kind:     hidden_remainder_y
      - .offset:         166
        .size:           2
        .value_kind:     hidden_remainder_z
      - .offset:         184
        .size:           8
        .value_kind:     hidden_global_offset_x
      - .offset:         192
        .size:           8
        .value_kind:     hidden_global_offset_y
      - .offset:         200
        .size:           8
        .value_kind:     hidden_global_offset_z
      - .offset:         208
        .size:           2
        .value_kind:     hidden_grid_dims
    .group_segment_fixed_size: 8192
    .kernarg_segment_align: 8
    .kernarg_segment_size: 400
    .language:       OpenCL C
    .language_version:
      - 2
      - 0
    .max_flat_workgroup_size: 256
    .name:           _ZL20rocblas_gemvn_kernelILi64ELi4EiPKddKPdEviiT3_lPKT2_lT1_lS7_lS8_lS4_lPT4_lS8_li
    .private_segment_fixed_size: 0
    .sgpr_count:     49
    .sgpr_spill_count: 0
    .symbol:         _ZL20rocblas_gemvn_kernelILi64ELi4EiPKddKPdEviiT3_lPKT2_lT1_lS7_lS8_lS4_lPT4_lS8_li.kd
    .uniform_work_group_size: 1
    .uses_dynamic_stack: false
    .vgpr_count:     79
    .vgpr_spill_count: 0
    .wavefront_size: 32
    .workgroup_processor_mode: 1
  - .args:
      - .offset:         0
        .size:           4
        .value_kind:     by_value
      - .offset:         4
        .size:           4
        .value_kind:     by_value
      - .offset:         8
        .size:           8
        .value_kind:     by_value
      - .offset:         16
        .size:           8
        .value_kind:     by_value
      - .address_space:  global
        .offset:         24
        .size:           8
        .value_kind:     global_buffer
      - .offset:         32
        .size:           8
        .value_kind:     by_value
      - .offset:         40
        .size:           8
        .value_kind:     by_value
      - .offset:         48
        .size:           8
        .value_kind:     by_value
      - .address_space:  global
        .offset:         56
        .size:           8
        .value_kind:     global_buffer
      - .offset:         64
        .size:           8
        .value_kind:     by_value
      - .offset:         72
        .size:           8
        .value_kind:     by_value
      - .offset:         80
        .size:           8
        .value_kind:     by_value
      - .offset:         88
        .size:           8
        .value_kind:     by_value
      - .offset:         96
        .size:           8
        .value_kind:     by_value
      - .address_space:  global
        .offset:         104
        .size:           8
        .value_kind:     global_buffer
      - .offset:         112
        .size:           8
        .value_kind:     by_value
      - .offset:         120
        .size:           8
        .value_kind:     by_value
      - .offset:         128
        .size:           8
        .value_kind:     by_value
      - .offset:         136
        .size:           4
        .value_kind:     by_value
      - .offset:         144
        .size:           4
        .value_kind:     hidden_block_count_x
      - .offset:         148
        .size:           4
        .value_kind:     hidden_block_count_y
      - .offset:         152
        .size:           4
        .value_kind:     hidden_block_count_z
      - .offset:         156
        .size:           2
        .value_kind:     hidden_group_size_x
      - .offset:         158
        .size:           2
        .value_kind:     hidden_group_size_y
      - .offset:         160
        .size:           2
        .value_kind:     hidden_group_size_z
      - .offset:         162
        .size:           2
        .value_kind:     hidden_remainder_x
      - .offset:         164
        .size:           2
        .value_kind:     hidden_remainder_y
      - .offset:         166
        .size:           2
        .value_kind:     hidden_remainder_z
      - .offset:         184
        .size:           8
        .value_kind:     hidden_global_offset_x
      - .offset:         192
        .size:           8
        .value_kind:     hidden_global_offset_y
      - .offset:         200
        .size:           8
        .value_kind:     hidden_global_offset_z
      - .offset:         208
        .size:           2
        .value_kind:     hidden_grid_dims
    .group_segment_fixed_size: 8192
    .kernarg_segment_align: 8
    .kernarg_segment_size: 400
    .language:       OpenCL C
    .language_version:
      - 2
      - 0
    .max_flat_workgroup_size: 256
    .name:           _ZL20rocblas_gemvn_kernelILi64ELi4ElPKddKPdEviiT3_lPKT2_lT1_lS7_lS8_lS4_lPT4_lS8_li
    .private_segment_fixed_size: 0
    .sgpr_count:     51
    .sgpr_spill_count: 0
    .symbol:         _ZL20rocblas_gemvn_kernelILi64ELi4ElPKddKPdEviiT3_lPKT2_lT1_lS7_lS8_lS4_lPT4_lS8_li.kd
    .uniform_work_group_size: 1
    .uses_dynamic_stack: false
    .vgpr_count:     94
    .vgpr_spill_count: 0
    .wavefront_size: 32
    .workgroup_processor_mode: 1
  - .args:
      - .offset:         0
        .size:           4
        .value_kind:     by_value
      - .address_space:  global
        .offset:         8
        .size:           8
        .value_kind:     global_buffer
      - .offset:         16
        .size:           8
        .value_kind:     by_value
      - .address_space:  global
        .offset:         24
        .size:           8
        .value_kind:     global_buffer
      - .offset:         32
        .size:           8
        .value_kind:     by_value
      - .offset:         40
        .size:           4
        .value_kind:     by_value
      - .offset:         48
        .size:           8
        .value_kind:     by_value
      - .offset:         56
        .size:           4
        .value_kind:     by_value
      - .offset:         64
        .size:           4
        .value_kind:     hidden_block_count_x
      - .offset:         68
        .size:           4
        .value_kind:     hidden_block_count_y
      - .offset:         72
        .size:           4
        .value_kind:     hidden_block_count_z
      - .offset:         76
        .size:           2
        .value_kind:     hidden_group_size_x
      - .offset:         78
        .size:           2
        .value_kind:     hidden_group_size_y
      - .offset:         80
        .size:           2
        .value_kind:     hidden_group_size_z
      - .offset:         82
        .size:           2
        .value_kind:     hidden_remainder_x
      - .offset:         84
        .size:           2
        .value_kind:     hidden_remainder_y
      - .offset:         86
        .size:           2
        .value_kind:     hidden_remainder_z
      - .offset:         104
        .size:           8
        .value_kind:     hidden_global_offset_x
      - .offset:         112
        .size:           8
        .value_kind:     hidden_global_offset_y
      - .offset:         120
        .size:           8
        .value_kind:     hidden_global_offset_z
      - .offset:         128
        .size:           2
        .value_kind:     hidden_grid_dims
    .group_segment_fixed_size: 0
    .kernarg_segment_align: 8
    .kernarg_segment_size: 320
    .language:       OpenCL C
    .language_version:
      - 2
      - 0
    .max_flat_workgroup_size: 256
    .name:           _ZL24rocblas_gemv_scal_kernelILi256EPKdPKPdEviT0_lT1_lili
    .private_segment_fixed_size: 0
    .sgpr_count:     24
    .sgpr_spill_count: 0
    .symbol:         _ZL24rocblas_gemv_scal_kernelILi256EPKdPKPdEviT0_lT1_lili.kd
    .uniform_work_group_size: 1
    .uses_dynamic_stack: false
    .vgpr_count:     9
    .vgpr_spill_count: 0
    .wavefront_size: 32
    .workgroup_processor_mode: 1
  - .args:
      - .offset:         0
        .size:           4
        .value_kind:     by_value
      - .offset:         8
        .size:           8
        .value_kind:     by_value
      - .offset:         16
        .size:           8
        .value_kind:     by_value
      - .address_space:  global
        .offset:         24
        .size:           8
        .value_kind:     global_buffer
      - .offset:         32
        .size:           8
        .value_kind:     by_value
      - .offset:         40
        .size:           4
        .value_kind:     by_value
      - .offset:         48
        .size:           8
        .value_kind:     by_value
      - .offset:         56
        .size:           4
        .value_kind:     by_value
      - .offset:         64
        .size:           4
        .value_kind:     hidden_block_count_x
      - .offset:         68
        .size:           4
        .value_kind:     hidden_block_count_y
      - .offset:         72
        .size:           4
        .value_kind:     hidden_block_count_z
      - .offset:         76
        .size:           2
        .value_kind:     hidden_group_size_x
      - .offset:         78
        .size:           2
        .value_kind:     hidden_group_size_y
      - .offset:         80
        .size:           2
        .value_kind:     hidden_group_size_z
      - .offset:         82
        .size:           2
        .value_kind:     hidden_remainder_x
      - .offset:         84
        .size:           2
        .value_kind:     hidden_remainder_y
      - .offset:         86
        .size:           2
        .value_kind:     hidden_remainder_z
      - .offset:         104
        .size:           8
        .value_kind:     hidden_global_offset_x
      - .offset:         112
        .size:           8
        .value_kind:     hidden_global_offset_y
      - .offset:         120
        .size:           8
        .value_kind:     hidden_global_offset_z
      - .offset:         128
        .size:           2
        .value_kind:     hidden_grid_dims
    .group_segment_fixed_size: 0
    .kernarg_segment_align: 8
    .kernarg_segment_size: 320
    .language:       OpenCL C
    .language_version:
      - 2
      - 0
    .max_flat_workgroup_size: 256
    .name:           _ZL24rocblas_gemv_scal_kernelILi256EdPKPdEviT0_lT1_lili
    .private_segment_fixed_size: 0
    .sgpr_count:     22
    .sgpr_spill_count: 0
    .symbol:         _ZL24rocblas_gemv_scal_kernelILi256EdPKPdEviT0_lT1_lili.kd
    .uniform_work_group_size: 1
    .uses_dynamic_stack: false
    .vgpr_count:     7
    .vgpr_spill_count: 0
    .wavefront_size: 32
    .workgroup_processor_mode: 1
  - .args:
      - .offset:         0
        .size:           4
        .value_kind:     by_value
      - .offset:         4
        .size:           4
        .value_kind:     by_value
      - .address_space:  global
        .offset:         8
        .size:           8
        .value_kind:     global_buffer
      - .offset:         16
        .size:           8
        .value_kind:     by_value
      - .address_space:  global
        .offset:         24
        .size:           8
        .value_kind:     global_buffer
      - .offset:         32
        .size:           8
        .value_kind:     by_value
      - .offset:         40
        .size:           4
        .value_kind:     by_value
      - .offset:         48
        .size:           8
        .value_kind:     by_value
      - .address_space:  global
        .offset:         56
        .size:           8
        .value_kind:     global_buffer
      - .offset:         64
        .size:           8
        .value_kind:     by_value
      - .offset:         72
        .size:           4
        .value_kind:     by_value
      - .offset:         80
        .size:           8
        .value_kind:     by_value
      - .address_space:  global
        .offset:         88
        .size:           8
        .value_kind:     global_buffer
      - .offset:         96
        .size:           8
        .value_kind:     by_value
      - .offset:         104
        .size:           4
        .value_kind:     by_value
      - .offset:         112
        .size:           8
        .value_kind:     by_value
      - .offset:         120
        .size:           4
        .value_kind:     by_value
      - .offset:         128
        .size:           4
        .value_kind:     hidden_block_count_x
      - .offset:         132
        .size:           4
        .value_kind:     hidden_block_count_y
      - .offset:         136
        .size:           4
        .value_kind:     hidden_block_count_z
      - .offset:         140
        .size:           2
        .value_kind:     hidden_group_size_x
      - .offset:         142
        .size:           2
        .value_kind:     hidden_group_size_y
      - .offset:         144
        .size:           2
        .value_kind:     hidden_group_size_z
      - .offset:         146
        .size:           2
        .value_kind:     hidden_remainder_x
      - .offset:         148
        .size:           2
        .value_kind:     hidden_remainder_y
      - .offset:         150
        .size:           2
        .value_kind:     hidden_remainder_z
      - .offset:         168
        .size:           8
        .value_kind:     hidden_global_offset_x
      - .offset:         176
        .size:           8
        .value_kind:     hidden_global_offset_y
      - .offset:         184
        .size:           8
        .value_kind:     hidden_global_offset_z
      - .offset:         192
        .size:           2
        .value_kind:     hidden_grid_dims
    .group_segment_fixed_size: 8192
    .kernarg_segment_align: 8
    .kernarg_segment_size: 384
    .language:       OpenCL C
    .language_version:
      - 2
      - 0
    .max_flat_workgroup_size: 512
    .name:           _ZL36rocblas_gemvn_double_buffered_kernelILi128ELi4ELi16EPKdS1_KPdEviiT3_lPKT2_lilS7_lilPT4_lili
    .private_segment_fixed_size: 0
    .sgpr_count:     56
    .sgpr_spill_count: 0
    .symbol:         _ZL36rocblas_gemvn_double_buffered_kernelILi128ELi4ELi16EPKdS1_KPdEviiT3_lPKT2_lilS7_lilPT4_lili.kd
    .uniform_work_group_size: 1
    .uses_dynamic_stack: false
    .vgpr_count:     219
    .vgpr_spill_count: 0
    .wavefront_size: 32
    .workgroup_processor_mode: 1
  - .args:
      - .offset:         0
        .size:           4
        .value_kind:     by_value
      - .offset:         4
        .size:           4
        .value_kind:     by_value
      - .offset:         8
        .size:           8
        .value_kind:     by_value
      - .offset:         16
        .size:           8
        .value_kind:     by_value
      - .address_space:  global
        .offset:         24
        .size:           8
        .value_kind:     global_buffer
      - .offset:         32
        .size:           8
        .value_kind:     by_value
      - .offset:         40
        .size:           4
        .value_kind:     by_value
      - .offset:         48
        .size:           8
        .value_kind:     by_value
      - .address_space:  global
        .offset:         56
        .size:           8
        .value_kind:     global_buffer
      - .offset:         64
        .size:           8
        .value_kind:     by_value
      - .offset:         72
        .size:           4
        .value_kind:     by_value
      - .offset:         80
        .size:           8
        .value_kind:     by_value
      - .address_space:  global
        .offset:         88
        .size:           8
        .value_kind:     global_buffer
      - .offset:         96
        .size:           8
        .value_kind:     by_value
      - .offset:         104
        .size:           4
        .value_kind:     by_value
      - .offset:         112
        .size:           8
        .value_kind:     by_value
      - .offset:         120
        .size:           4
        .value_kind:     by_value
      - .offset:         128
        .size:           4
        .value_kind:     hidden_block_count_x
      - .offset:         132
        .size:           4
        .value_kind:     hidden_block_count_y
      - .offset:         136
        .size:           4
        .value_kind:     hidden_block_count_z
      - .offset:         140
        .size:           2
        .value_kind:     hidden_group_size_x
      - .offset:         142
        .size:           2
        .value_kind:     hidden_group_size_y
      - .offset:         144
        .size:           2
        .value_kind:     hidden_group_size_z
      - .offset:         146
        .size:           2
        .value_kind:     hidden_remainder_x
      - .offset:         148
        .size:           2
        .value_kind:     hidden_remainder_y
      - .offset:         150
        .size:           2
        .value_kind:     hidden_remainder_z
      - .offset:         168
        .size:           8
        .value_kind:     hidden_global_offset_x
      - .offset:         176
        .size:           8
        .value_kind:     hidden_global_offset_y
      - .offset:         184
        .size:           8
        .value_kind:     hidden_global_offset_z
      - .offset:         192
        .size:           2
        .value_kind:     hidden_grid_dims
    .group_segment_fixed_size: 8192
    .kernarg_segment_align: 8
    .kernarg_segment_size: 384
    .language:       OpenCL C
    .language_version:
      - 2
      - 0
    .max_flat_workgroup_size: 512
    .name:           _ZL36rocblas_gemvn_double_buffered_kernelILi128ELi4ELi16EPKddKPdEviiT3_lPKT2_lilS7_lilPT4_lili
    .private_segment_fixed_size: 0
    .sgpr_count:     56
    .sgpr_spill_count: 0
    .symbol:         _ZL36rocblas_gemvn_double_buffered_kernelILi128ELi4ELi16EPKddKPdEviiT3_lPKT2_lilS7_lilPT4_lili.kd
    .uniform_work_group_size: 1
    .uses_dynamic_stack: false
    .vgpr_count:     217
    .vgpr_spill_count: 0
    .wavefront_size: 32
    .workgroup_processor_mode: 1
  - .args:
      - .offset:         0
        .size:           4
        .value_kind:     by_value
      - .offset:         4
        .size:           4
        .value_kind:     by_value
      - .address_space:  global
        .offset:         8
        .size:           8
        .value_kind:     global_buffer
      - .offset:         16
        .size:           8
        .value_kind:     by_value
      - .address_space:  global
        .offset:         24
        .size:           8
        .value_kind:     global_buffer
      - .offset:         32
        .size:           8
        .value_kind:     by_value
      - .offset:         40
        .size:           4
        .value_kind:     by_value
      - .offset:         48
        .size:           8
        .value_kind:     by_value
      - .address_space:  global
        .offset:         56
        .size:           8
        .value_kind:     global_buffer
      - .offset:         64
        .size:           8
        .value_kind:     by_value
      - .offset:         72
        .size:           4
        .value_kind:     by_value
      - .offset:         80
        .size:           8
        .value_kind:     by_value
      - .address_space:  global
        .offset:         88
        .size:           8
        .value_kind:     global_buffer
      - .offset:         96
        .size:           8
        .value_kind:     by_value
      - .address_space:  global
        .offset:         104
        .size:           8
        .value_kind:     global_buffer
      - .offset:         112
        .size:           8
        .value_kind:     by_value
      - .offset:         120
        .size:           4
        .value_kind:     by_value
      - .offset:         128
        .size:           8
        .value_kind:     by_value
      - .offset:         136
        .size:           4
        .value_kind:     by_value
      - .offset:         144
        .size:           4
        .value_kind:     hidden_block_count_x
      - .offset:         148
        .size:           4
        .value_kind:     hidden_block_count_y
      - .offset:         152
        .size:           4
        .value_kind:     hidden_block_count_z
      - .offset:         156
        .size:           2
        .value_kind:     hidden_group_size_x
      - .offset:         158
        .size:           2
        .value_kind:     hidden_group_size_y
      - .offset:         160
        .size:           2
        .value_kind:     hidden_group_size_z
      - .offset:         162
        .size:           2
        .value_kind:     hidden_remainder_x
      - .offset:         164
        .size:           2
        .value_kind:     hidden_remainder_y
      - .offset:         166
        .size:           2
        .value_kind:     hidden_remainder_z
      - .offset:         184
        .size:           8
        .value_kind:     hidden_global_offset_x
      - .offset:         192
        .size:           8
        .value_kind:     hidden_global_offset_y
      - .offset:         200
        .size:           8
        .value_kind:     hidden_global_offset_z
      - .offset:         208
        .size:           2
        .value_kind:     hidden_grid_dims
    .group_segment_fixed_size: 16384
    .kernarg_segment_align: 8
    .kernarg_segment_size: 400
    .language:       OpenCL C
    .language_version:
      - 2
      - 0
    .max_flat_workgroup_size: 512
    .name:           _ZL20rocblas_gemvn_kernelILi32ELi16EiPKdS1_KPdEviiT3_lPKT2_lT1_lS7_lS8_lS4_lPT4_lS8_li
    .private_segment_fixed_size: 0
    .sgpr_count:     50
    .sgpr_spill_count: 0
    .symbol:         _ZL20rocblas_gemvn_kernelILi32ELi16EiPKdS1_KPdEviiT3_lPKT2_lT1_lS7_lS8_lS4_lPT4_lS8_li.kd
    .uniform_work_group_size: 1
    .uses_dynamic_stack: false
    .vgpr_count:     82
    .vgpr_spill_count: 0
    .wavefront_size: 32
    .workgroup_processor_mode: 1
  - .args:
      - .offset:         0
        .size:           4
        .value_kind:     by_value
      - .offset:         4
        .size:           4
        .value_kind:     by_value
      - .address_space:  global
        .offset:         8
        .size:           8
        .value_kind:     global_buffer
      - .offset:         16
        .size:           8
        .value_kind:     by_value
      - .address_space:  global
        .offset:         24
        .size:           8
        .value_kind:     global_buffer
      - .offset:         32
        .size:           8
        .value_kind:     by_value
      - .offset:         40
        .size:           8
        .value_kind:     by_value
      - .offset:         48
        .size:           8
        .value_kind:     by_value
      - .address_space:  global
        .offset:         56
        .size:           8
        .value_kind:     global_buffer
      - .offset:         64
        .size:           8
        .value_kind:     by_value
      - .offset:         72
        .size:           8
        .value_kind:     by_value
      - .offset:         80
        .size:           8
        .value_kind:     by_value
      - .address_space:  global
        .offset:         88
        .size:           8
        .value_kind:     global_buffer
      - .offset:         96
        .size:           8
        .value_kind:     by_value
      - .address_space:  global
        .offset:         104
        .size:           8
        .value_kind:     global_buffer
      - .offset:         112
        .size:           8
        .value_kind:     by_value
      - .offset:         120
        .size:           8
        .value_kind:     by_value
      - .offset:         128
        .size:           8
        .value_kind:     by_value
      - .offset:         136
        .size:           4
        .value_kind:     by_value
      - .offset:         144
        .size:           4
        .value_kind:     hidden_block_count_x
      - .offset:         148
        .size:           4
        .value_kind:     hidden_block_count_y
      - .offset:         152
        .size:           4
        .value_kind:     hidden_block_count_z
      - .offset:         156
        .size:           2
        .value_kind:     hidden_group_size_x
      - .offset:         158
        .size:           2
        .value_kind:     hidden_group_size_y
      - .offset:         160
        .size:           2
        .value_kind:     hidden_group_size_z
      - .offset:         162
        .size:           2
        .value_kind:     hidden_remainder_x
      - .offset:         164
        .size:           2
        .value_kind:     hidden_remainder_y
      - .offset:         166
        .size:           2
        .value_kind:     hidden_remainder_z
      - .offset:         184
        .size:           8
        .value_kind:     hidden_global_offset_x
      - .offset:         192
        .size:           8
        .value_kind:     hidden_global_offset_y
      - .offset:         200
        .size:           8
        .value_kind:     hidden_global_offset_z
      - .offset:         208
        .size:           2
        .value_kind:     hidden_grid_dims
    .group_segment_fixed_size: 16384
    .kernarg_segment_align: 8
    .kernarg_segment_size: 400
    .language:       OpenCL C
    .language_version:
      - 2
      - 0
    .max_flat_workgroup_size: 512
    .name:           _ZL20rocblas_gemvn_kernelILi32ELi16ElPKdS1_KPdEviiT3_lPKT2_lT1_lS7_lS8_lS4_lPT4_lS8_li
    .private_segment_fixed_size: 0
    .sgpr_count:     52
    .sgpr_spill_count: 0
    .symbol:         _ZL20rocblas_gemvn_kernelILi32ELi16ElPKdS1_KPdEviiT3_lPKT2_lT1_lS7_lS8_lS4_lPT4_lS8_li.kd
    .uniform_work_group_size: 1
    .uses_dynamic_stack: false
    .vgpr_count:     97
    .vgpr_spill_count: 0
    .wavefront_size: 32
    .workgroup_processor_mode: 1
  - .args:
      - .offset:         0
        .size:           4
        .value_kind:     by_value
      - .offset:         4
        .size:           4
        .value_kind:     by_value
      - .offset:         8
        .size:           8
        .value_kind:     by_value
      - .offset:         16
        .size:           8
        .value_kind:     by_value
      - .address_space:  global
        .offset:         24
        .size:           8
        .value_kind:     global_buffer
      - .offset:         32
        .size:           8
        .value_kind:     by_value
      - .offset:         40
        .size:           4
        .value_kind:     by_value
      - .offset:         48
        .size:           8
        .value_kind:     by_value
      - .address_space:  global
        .offset:         56
        .size:           8
        .value_kind:     global_buffer
      - .offset:         64
        .size:           8
        .value_kind:     by_value
      - .offset:         72
        .size:           4
        .value_kind:     by_value
      - .offset:         80
        .size:           8
        .value_kind:     by_value
      - .offset:         88
        .size:           8
        .value_kind:     by_value
      - .offset:         96
        .size:           8
        .value_kind:     by_value
      - .address_space:  global
        .offset:         104
        .size:           8
        .value_kind:     global_buffer
      - .offset:         112
        .size:           8
        .value_kind:     by_value
      - .offset:         120
        .size:           4
        .value_kind:     by_value
      - .offset:         128
        .size:           8
        .value_kind:     by_value
      - .offset:         136
        .size:           4
        .value_kind:     by_value
      - .offset:         144
        .size:           4
        .value_kind:     hidden_block_count_x
      - .offset:         148
        .size:           4
        .value_kind:     hidden_block_count_y
      - .offset:         152
        .size:           4
        .value_kind:     hidden_block_count_z
      - .offset:         156
        .size:           2
        .value_kind:     hidden_group_size_x
      - .offset:         158
        .size:           2
        .value_kind:     hidden_group_size_y
      - .offset:         160
        .size:           2
        .value_kind:     hidden_group_size_z
      - .offset:         162
        .size:           2
        .value_kind:     hidden_remainder_x
      - .offset:         164
        .size:           2
        .value_kind:     hidden_remainder_y
      - .offset:         166
        .size:           2
        .value_kind:     hidden_remainder_z
      - .offset:         184
        .size:           8
        .value_kind:     hidden_global_offset_x
      - .offset:         192
        .size:           8
        .value_kind:     hidden_global_offset_y
      - .offset:         200
        .size:           8
        .value_kind:     hidden_global_offset_z
      - .offset:         208
        .size:           2
        .value_kind:     hidden_grid_dims
    .group_segment_fixed_size: 16384
    .kernarg_segment_align: 8
    .kernarg_segment_size: 400
    .language:       OpenCL C
    .language_version:
      - 2
      - 0
    .max_flat_workgroup_size: 512
    .name:           _ZL20rocblas_gemvn_kernelILi32ELi16EiPKddKPdEviiT3_lPKT2_lT1_lS7_lS8_lS4_lPT4_lS8_li
    .private_segment_fixed_size: 0
    .sgpr_count:     49
    .sgpr_spill_count: 0
    .symbol:         _ZL20rocblas_gemvn_kernelILi32ELi16EiPKddKPdEviiT3_lPKT2_lT1_lS7_lS8_lS4_lPT4_lS8_li.kd
    .uniform_work_group_size: 1
    .uses_dynamic_stack: false
    .vgpr_count:     79
    .vgpr_spill_count: 0
    .wavefront_size: 32
    .workgroup_processor_mode: 1
  - .args:
      - .offset:         0
        .size:           4
        .value_kind:     by_value
      - .offset:         4
        .size:           4
        .value_kind:     by_value
      - .offset:         8
        .size:           8
        .value_kind:     by_value
      - .offset:         16
        .size:           8
        .value_kind:     by_value
      - .address_space:  global
        .offset:         24
        .size:           8
        .value_kind:     global_buffer
      - .offset:         32
        .size:           8
        .value_kind:     by_value
      - .offset:         40
        .size:           8
        .value_kind:     by_value
      - .offset:         48
        .size:           8
        .value_kind:     by_value
      - .address_space:  global
        .offset:         56
        .size:           8
        .value_kind:     global_buffer
      - .offset:         64
        .size:           8
        .value_kind:     by_value
      - .offset:         72
        .size:           8
        .value_kind:     by_value
      - .offset:         80
        .size:           8
        .value_kind:     by_value
      - .offset:         88
        .size:           8
        .value_kind:     by_value
      - .offset:         96
        .size:           8
        .value_kind:     by_value
      - .address_space:  global
        .offset:         104
        .size:           8
        .value_kind:     global_buffer
      - .offset:         112
        .size:           8
        .value_kind:     by_value
      - .offset:         120
        .size:           8
        .value_kind:     by_value
      - .offset:         128
        .size:           8
        .value_kind:     by_value
      - .offset:         136
        .size:           4
        .value_kind:     by_value
      - .offset:         144
        .size:           4
        .value_kind:     hidden_block_count_x
      - .offset:         148
        .size:           4
        .value_kind:     hidden_block_count_y
      - .offset:         152
        .size:           4
        .value_kind:     hidden_block_count_z
      - .offset:         156
        .size:           2
        .value_kind:     hidden_group_size_x
      - .offset:         158
        .size:           2
        .value_kind:     hidden_group_size_y
      - .offset:         160
        .size:           2
        .value_kind:     hidden_group_size_z
      - .offset:         162
        .size:           2
        .value_kind:     hidden_remainder_x
      - .offset:         164
        .size:           2
        .value_kind:     hidden_remainder_y
      - .offset:         166
        .size:           2
        .value_kind:     hidden_remainder_z
      - .offset:         184
        .size:           8
        .value_kind:     hidden_global_offset_x
      - .offset:         192
        .size:           8
        .value_kind:     hidden_global_offset_y
      - .offset:         200
        .size:           8
        .value_kind:     hidden_global_offset_z
      - .offset:         208
        .size:           2
        .value_kind:     hidden_grid_dims
    .group_segment_fixed_size: 16384
    .kernarg_segment_align: 8
    .kernarg_segment_size: 400
    .language:       OpenCL C
    .language_version:
      - 2
      - 0
    .max_flat_workgroup_size: 512
    .name:           _ZL20rocblas_gemvn_kernelILi32ELi16ElPKddKPdEviiT3_lPKT2_lT1_lS7_lS8_lS4_lPT4_lS8_li
    .private_segment_fixed_size: 0
    .sgpr_count:     51
    .sgpr_spill_count: 0
    .symbol:         _ZL20rocblas_gemvn_kernelILi32ELi16ElPKddKPdEviiT3_lPKT2_lT1_lS7_lS8_lS4_lPT4_lS8_li.kd
    .uniform_work_group_size: 1
    .uses_dynamic_stack: false
    .vgpr_count:     94
    .vgpr_spill_count: 0
    .wavefront_size: 32
    .workgroup_processor_mode: 1
  - .args:
      - .offset:         0
        .size:           4
        .value_kind:     by_value
      - .offset:         4
        .size:           4
        .value_kind:     by_value
      - .address_space:  global
        .offset:         8
        .size:           8
        .value_kind:     global_buffer
      - .offset:         16
        .size:           8
        .value_kind:     by_value
      - .address_space:  global
        .offset:         24
        .size:           8
        .value_kind:     global_buffer
      - .offset:         32
        .size:           8
        .value_kind:     by_value
      - .offset:         40
        .size:           4
        .value_kind:     by_value
      - .offset:         48
        .size:           8
        .value_kind:     by_value
      - .address_space:  global
        .offset:         56
        .size:           8
        .value_kind:     global_buffer
      - .offset:         64
        .size:           8
        .value_kind:     by_value
      - .offset:         72
        .size:           4
        .value_kind:     by_value
      - .offset:         80
        .size:           8
        .value_kind:     by_value
      - .address_space:  global
        .offset:         88
        .size:           8
        .value_kind:     global_buffer
      - .offset:         96
        .size:           8
        .value_kind:     by_value
      - .address_space:  global
        .offset:         104
        .size:           8
        .value_kind:     global_buffer
      - .offset:         112
        .size:           8
        .value_kind:     by_value
      - .offset:         120
        .size:           4
        .value_kind:     by_value
      - .offset:         128
        .size:           8
        .value_kind:     by_value
      - .offset:         136
        .size:           4
        .value_kind:     by_value
      - .offset:         144
        .size:           4
        .value_kind:     hidden_block_count_x
      - .offset:         148
        .size:           4
        .value_kind:     hidden_block_count_y
      - .offset:         152
        .size:           4
        .value_kind:     hidden_block_count_z
      - .offset:         156
        .size:           2
        .value_kind:     hidden_group_size_x
      - .offset:         158
        .size:           2
        .value_kind:     hidden_group_size_y
      - .offset:         160
        .size:           2
        .value_kind:     hidden_group_size_z
      - .offset:         162
        .size:           2
        .value_kind:     hidden_remainder_x
      - .offset:         164
        .size:           2
        .value_kind:     hidden_remainder_y
      - .offset:         166
        .size:           2
        .value_kind:     hidden_remainder_z
      - .offset:         184
        .size:           8
        .value_kind:     hidden_global_offset_x
      - .offset:         192
        .size:           8
        .value_kind:     hidden_global_offset_y
      - .offset:         200
        .size:           8
        .value_kind:     hidden_global_offset_z
      - .offset:         208
        .size:           2
        .value_kind:     hidden_grid_dims
    .group_segment_fixed_size: 32768
    .kernarg_segment_align: 8
    .kernarg_segment_size: 400
    .language:       OpenCL C
    .language_version:
      - 2
      - 0
    .max_flat_workgroup_size: 1024
    .name:           _ZL20rocblas_gemvn_kernelILi64ELi16EiPKdS1_KPdEviiT3_lPKT2_lT1_lS7_lS8_lS4_lPT4_lS8_li
    .private_segment_fixed_size: 0
    .sgpr_count:     50
    .sgpr_spill_count: 0
    .symbol:         _ZL20rocblas_gemvn_kernelILi64ELi16EiPKdS1_KPdEviiT3_lPKT2_lT1_lS7_lS8_lS4_lPT4_lS8_li.kd
    .uniform_work_group_size: 1
    .uses_dynamic_stack: false
    .vgpr_count:     82
    .vgpr_spill_count: 0
    .wavefront_size: 32
    .workgroup_processor_mode: 1
  - .args:
      - .offset:         0
        .size:           4
        .value_kind:     by_value
      - .offset:         4
        .size:           4
        .value_kind:     by_value
      - .address_space:  global
        .offset:         8
        .size:           8
        .value_kind:     global_buffer
      - .offset:         16
        .size:           8
        .value_kind:     by_value
      - .address_space:  global
        .offset:         24
        .size:           8
        .value_kind:     global_buffer
      - .offset:         32
        .size:           8
        .value_kind:     by_value
      - .offset:         40
        .size:           8
        .value_kind:     by_value
      - .offset:         48
        .size:           8
        .value_kind:     by_value
      - .address_space:  global
        .offset:         56
        .size:           8
        .value_kind:     global_buffer
      - .offset:         64
        .size:           8
        .value_kind:     by_value
      - .offset:         72
        .size:           8
        .value_kind:     by_value
      - .offset:         80
        .size:           8
        .value_kind:     by_value
      - .address_space:  global
        .offset:         88
        .size:           8
        .value_kind:     global_buffer
      - .offset:         96
        .size:           8
        .value_kind:     by_value
      - .address_space:  global
        .offset:         104
        .size:           8
        .value_kind:     global_buffer
      - .offset:         112
        .size:           8
        .value_kind:     by_value
      - .offset:         120
        .size:           8
        .value_kind:     by_value
      - .offset:         128
        .size:           8
        .value_kind:     by_value
      - .offset:         136
        .size:           4
        .value_kind:     by_value
      - .offset:         144
        .size:           4
        .value_kind:     hidden_block_count_x
      - .offset:         148
        .size:           4
        .value_kind:     hidden_block_count_y
      - .offset:         152
        .size:           4
        .value_kind:     hidden_block_count_z
      - .offset:         156
        .size:           2
        .value_kind:     hidden_group_size_x
      - .offset:         158
        .size:           2
        .value_kind:     hidden_group_size_y
      - .offset:         160
        .size:           2
        .value_kind:     hidden_group_size_z
      - .offset:         162
        .size:           2
        .value_kind:     hidden_remainder_x
      - .offset:         164
        .size:           2
        .value_kind:     hidden_remainder_y
      - .offset:         166
        .size:           2
        .value_kind:     hidden_remainder_z
      - .offset:         184
        .size:           8
        .value_kind:     hidden_global_offset_x
      - .offset:         192
        .size:           8
        .value_kind:     hidden_global_offset_y
      - .offset:         200
        .size:           8
        .value_kind:     hidden_global_offset_z
      - .offset:         208
        .size:           2
        .value_kind:     hidden_grid_dims
    .group_segment_fixed_size: 32768
    .kernarg_segment_align: 8
    .kernarg_segment_size: 400
    .language:       OpenCL C
    .language_version:
      - 2
      - 0
    .max_flat_workgroup_size: 1024
    .name:           _ZL20rocblas_gemvn_kernelILi64ELi16ElPKdS1_KPdEviiT3_lPKT2_lT1_lS7_lS8_lS4_lPT4_lS8_li
    .private_segment_fixed_size: 0
    .sgpr_count:     52
    .sgpr_spill_count: 0
    .symbol:         _ZL20rocblas_gemvn_kernelILi64ELi16ElPKdS1_KPdEviiT3_lPKT2_lT1_lS7_lS8_lS4_lPT4_lS8_li.kd
    .uniform_work_group_size: 1
    .uses_dynamic_stack: false
    .vgpr_count:     97
    .vgpr_spill_count: 0
    .wavefront_size: 32
    .workgroup_processor_mode: 1
  - .args:
      - .offset:         0
        .size:           4
        .value_kind:     by_value
      - .offset:         4
        .size:           4
        .value_kind:     by_value
      - .offset:         8
        .size:           8
        .value_kind:     by_value
      - .offset:         16
        .size:           8
        .value_kind:     by_value
      - .address_space:  global
        .offset:         24
        .size:           8
        .value_kind:     global_buffer
      - .offset:         32
        .size:           8
        .value_kind:     by_value
      - .offset:         40
        .size:           4
        .value_kind:     by_value
      - .offset:         48
        .size:           8
        .value_kind:     by_value
      - .address_space:  global
        .offset:         56
        .size:           8
        .value_kind:     global_buffer
      - .offset:         64
        .size:           8
        .value_kind:     by_value
      - .offset:         72
        .size:           4
        .value_kind:     by_value
      - .offset:         80
        .size:           8
        .value_kind:     by_value
      - .offset:         88
        .size:           8
        .value_kind:     by_value
      - .offset:         96
        .size:           8
        .value_kind:     by_value
      - .address_space:  global
        .offset:         104
        .size:           8
        .value_kind:     global_buffer
      - .offset:         112
        .size:           8
        .value_kind:     by_value
      - .offset:         120
        .size:           4
        .value_kind:     by_value
      - .offset:         128
        .size:           8
        .value_kind:     by_value
      - .offset:         136
        .size:           4
        .value_kind:     by_value
      - .offset:         144
        .size:           4
        .value_kind:     hidden_block_count_x
      - .offset:         148
        .size:           4
        .value_kind:     hidden_block_count_y
      - .offset:         152
        .size:           4
        .value_kind:     hidden_block_count_z
      - .offset:         156
        .size:           2
        .value_kind:     hidden_group_size_x
      - .offset:         158
        .size:           2
        .value_kind:     hidden_group_size_y
      - .offset:         160
        .size:           2
        .value_kind:     hidden_group_size_z
      - .offset:         162
        .size:           2
        .value_kind:     hidden_remainder_x
      - .offset:         164
        .size:           2
        .value_kind:     hidden_remainder_y
      - .offset:         166
        .size:           2
        .value_kind:     hidden_remainder_z
      - .offset:         184
        .size:           8
        .value_kind:     hidden_global_offset_x
      - .offset:         192
        .size:           8
        .value_kind:     hidden_global_offset_y
      - .offset:         200
        .size:           8
        .value_kind:     hidden_global_offset_z
      - .offset:         208
        .size:           2
        .value_kind:     hidden_grid_dims
    .group_segment_fixed_size: 32768
    .kernarg_segment_align: 8
    .kernarg_segment_size: 400
    .language:       OpenCL C
    .language_version:
      - 2
      - 0
    .max_flat_workgroup_size: 1024
    .name:           _ZL20rocblas_gemvn_kernelILi64ELi16EiPKddKPdEviiT3_lPKT2_lT1_lS7_lS8_lS4_lPT4_lS8_li
    .private_segment_fixed_size: 0
    .sgpr_count:     49
    .sgpr_spill_count: 0
    .symbol:         _ZL20rocblas_gemvn_kernelILi64ELi16EiPKddKPdEviiT3_lPKT2_lT1_lS7_lS8_lS4_lPT4_lS8_li.kd
    .uniform_work_group_size: 1
    .uses_dynamic_stack: false
    .vgpr_count:     79
    .vgpr_spill_count: 0
    .wavefront_size: 32
    .workgroup_processor_mode: 1
  - .args:
      - .offset:         0
        .size:           4
        .value_kind:     by_value
      - .offset:         4
        .size:           4
        .value_kind:     by_value
      - .offset:         8
        .size:           8
        .value_kind:     by_value
      - .offset:         16
        .size:           8
        .value_kind:     by_value
      - .address_space:  global
        .offset:         24
        .size:           8
        .value_kind:     global_buffer
      - .offset:         32
        .size:           8
        .value_kind:     by_value
      - .offset:         40
        .size:           8
        .value_kind:     by_value
      - .offset:         48
        .size:           8
        .value_kind:     by_value
      - .address_space:  global
        .offset:         56
        .size:           8
        .value_kind:     global_buffer
      - .offset:         64
        .size:           8
        .value_kind:     by_value
      - .offset:         72
        .size:           8
        .value_kind:     by_value
      - .offset:         80
        .size:           8
        .value_kind:     by_value
      - .offset:         88
        .size:           8
        .value_kind:     by_value
      - .offset:         96
        .size:           8
        .value_kind:     by_value
      - .address_space:  global
        .offset:         104
        .size:           8
        .value_kind:     global_buffer
      - .offset:         112
        .size:           8
        .value_kind:     by_value
      - .offset:         120
        .size:           8
        .value_kind:     by_value
      - .offset:         128
        .size:           8
        .value_kind:     by_value
      - .offset:         136
        .size:           4
        .value_kind:     by_value
      - .offset:         144
        .size:           4
        .value_kind:     hidden_block_count_x
      - .offset:         148
        .size:           4
        .value_kind:     hidden_block_count_y
      - .offset:         152
        .size:           4
        .value_kind:     hidden_block_count_z
      - .offset:         156
        .size:           2
        .value_kind:     hidden_group_size_x
      - .offset:         158
        .size:           2
        .value_kind:     hidden_group_size_y
      - .offset:         160
        .size:           2
        .value_kind:     hidden_group_size_z
      - .offset:         162
        .size:           2
        .value_kind:     hidden_remainder_x
      - .offset:         164
        .size:           2
        .value_kind:     hidden_remainder_y
      - .offset:         166
        .size:           2
        .value_kind:     hidden_remainder_z
      - .offset:         184
        .size:           8
        .value_kind:     hidden_global_offset_x
      - .offset:         192
        .size:           8
        .value_kind:     hidden_global_offset_y
      - .offset:         200
        .size:           8
        .value_kind:     hidden_global_offset_z
      - .offset:         208
        .size:           2
        .value_kind:     hidden_grid_dims
    .group_segment_fixed_size: 32768
    .kernarg_segment_align: 8
    .kernarg_segment_size: 400
    .language:       OpenCL C
    .language_version:
      - 2
      - 0
    .max_flat_workgroup_size: 1024
    .name:           _ZL20rocblas_gemvn_kernelILi64ELi16ElPKddKPdEviiT3_lPKT2_lT1_lS7_lS8_lS4_lPT4_lS8_li
    .private_segment_fixed_size: 0
    .sgpr_count:     51
    .sgpr_spill_count: 0
    .symbol:         _ZL20rocblas_gemvn_kernelILi64ELi16ElPKddKPdEviiT3_lPKT2_lT1_lS7_lS8_lS4_lPT4_lS8_li.kd
    .uniform_work_group_size: 1
    .uses_dynamic_stack: false
    .vgpr_count:     94
    .vgpr_spill_count: 0
    .wavefront_size: 32
    .workgroup_processor_mode: 1
  - .args:
      - .offset:         0
        .size:           4
        .value_kind:     by_value
      - .offset:         4
        .size:           4
        .value_kind:     by_value
      - .address_space:  global
        .offset:         8
        .size:           8
        .value_kind:     global_buffer
      - .offset:         16
        .size:           8
        .value_kind:     by_value
      - .address_space:  global
        .offset:         24
        .size:           8
        .value_kind:     global_buffer
      - .offset:         32
        .size:           8
        .value_kind:     by_value
      - .offset:         40
        .size:           4
        .value_kind:     by_value
      - .offset:         48
        .size:           8
        .value_kind:     by_value
      - .address_space:  global
        .offset:         56
        .size:           8
        .value_kind:     global_buffer
      - .offset:         64
        .size:           8
        .value_kind:     by_value
      - .offset:         72
        .size:           4
        .value_kind:     by_value
      - .offset:         80
        .size:           8
        .value_kind:     by_value
      - .address_space:  global
        .offset:         88
        .size:           8
        .value_kind:     global_buffer
      - .offset:         96
        .size:           8
        .value_kind:     by_value
      - .address_space:  global
        .offset:         104
        .size:           8
        .value_kind:     global_buffer
      - .offset:         112
        .size:           8
        .value_kind:     by_value
      - .offset:         120
        .size:           4
        .value_kind:     by_value
      - .offset:         128
        .size:           8
        .value_kind:     by_value
    .group_segment_fixed_size: 512
    .kernarg_segment_align: 8
    .kernarg_segment_size: 136
    .language:       OpenCL C
    .language_version:
      - 2
      - 0
    .max_flat_workgroup_size: 256
    .name:           _ZL22rocblas_gemvtsm_kernelILb0ELi256EPKdS1_KPdEviiT2_lPKT1_lilS7_lilS4_lPT3_lil
    .private_segment_fixed_size: 0
    .sgpr_count:     24
    .sgpr_spill_count: 0
    .symbol:         _ZL22rocblas_gemvtsm_kernelILb0ELi256EPKdS1_KPdEviiT2_lPKT1_lilS7_lilS4_lPT3_lil.kd
    .uniform_work_group_size: 1
    .uses_dynamic_stack: false
    .vgpr_count:     36
    .vgpr_spill_count: 0
    .wavefront_size: 32
    .workgroup_processor_mode: 1
  - .args:
      - .offset:         0
        .size:           4
        .value_kind:     by_value
      - .offset:         4
        .size:           4
        .value_kind:     by_value
      - .offset:         8
        .size:           8
        .value_kind:     by_value
      - .offset:         16
        .size:           8
        .value_kind:     by_value
      - .address_space:  global
        .offset:         24
        .size:           8
        .value_kind:     global_buffer
      - .offset:         32
        .size:           8
        .value_kind:     by_value
      - .offset:         40
        .size:           4
        .value_kind:     by_value
      - .offset:         48
        .size:           8
        .value_kind:     by_value
      - .address_space:  global
        .offset:         56
        .size:           8
        .value_kind:     global_buffer
      - .offset:         64
        .size:           8
        .value_kind:     by_value
      - .offset:         72
        .size:           4
        .value_kind:     by_value
      - .offset:         80
        .size:           8
        .value_kind:     by_value
      - .offset:         88
        .size:           8
        .value_kind:     by_value
      - .offset:         96
        .size:           8
        .value_kind:     by_value
      - .address_space:  global
        .offset:         104
        .size:           8
        .value_kind:     global_buffer
      - .offset:         112
        .size:           8
        .value_kind:     by_value
      - .offset:         120
        .size:           4
        .value_kind:     by_value
      - .offset:         128
        .size:           8
        .value_kind:     by_value
    .group_segment_fixed_size: 512
    .kernarg_segment_align: 8
    .kernarg_segment_size: 136
    .language:       OpenCL C
    .language_version:
      - 2
      - 0
    .max_flat_workgroup_size: 256
    .name:           _ZL22rocblas_gemvtsm_kernelILb0ELi256EPKddKPdEviiT2_lPKT1_lilS7_lilS4_lPT3_lil
    .private_segment_fixed_size: 0
    .sgpr_count:     30
    .sgpr_spill_count: 0
    .symbol:         _ZL22rocblas_gemvtsm_kernelILb0ELi256EPKddKPdEviiT2_lPKT1_lilS7_lilS4_lPT3_lil.kd
    .uniform_work_group_size: 1
    .uses_dynamic_stack: false
    .vgpr_count:     36
    .vgpr_spill_count: 0
    .wavefront_size: 32
    .workgroup_processor_mode: 1
  - .args:
      - .offset:         0
        .size:           4
        .value_kind:     by_value
      - .offset:         4
        .size:           4
        .value_kind:     by_value
      - .address_space:  global
        .offset:         8
        .size:           8
        .value_kind:     global_buffer
      - .offset:         16
        .size:           8
        .value_kind:     by_value
      - .address_space:  global
        .offset:         24
        .size:           8
        .value_kind:     global_buffer
      - .offset:         32
        .size:           8
        .value_kind:     by_value
      - .offset:         40
        .size:           4
        .value_kind:     by_value
      - .offset:         48
        .size:           8
        .value_kind:     by_value
      - .address_space:  global
        .offset:         56
        .size:           8
        .value_kind:     global_buffer
      - .offset:         64
        .size:           8
        .value_kind:     by_value
      - .offset:         72
        .size:           4
        .value_kind:     by_value
      - .offset:         80
        .size:           8
        .value_kind:     by_value
      - .address_space:  global
        .offset:         88
        .size:           8
        .value_kind:     global_buffer
      - .offset:         96
        .size:           4
        .value_kind:     by_value
      - .offset:         104
        .size:           4
        .value_kind:     hidden_block_count_x
      - .offset:         108
        .size:           4
        .value_kind:     hidden_block_count_y
      - .offset:         112
        .size:           4
        .value_kind:     hidden_block_count_z
      - .offset:         116
        .size:           2
        .value_kind:     hidden_group_size_x
      - .offset:         118
        .size:           2
        .value_kind:     hidden_group_size_y
      - .offset:         120
        .size:           2
        .value_kind:     hidden_group_size_z
      - .offset:         122
        .size:           2
        .value_kind:     hidden_remainder_x
      - .offset:         124
        .size:           2
        .value_kind:     hidden_remainder_y
      - .offset:         126
        .size:           2
        .value_kind:     hidden_remainder_z
      - .offset:         144
        .size:           8
        .value_kind:     hidden_global_offset_x
      - .offset:         152
        .size:           8
        .value_kind:     hidden_global_offset_y
      - .offset:         160
        .size:           8
        .value_kind:     hidden_global_offset_z
      - .offset:         168
        .size:           2
        .value_kind:     hidden_grid_dims
    .group_segment_fixed_size: 256
    .kernarg_segment_align: 8
    .kernarg_segment_size: 360
    .language:       OpenCL C
    .language_version:
      - 2
      - 0
    .max_flat_workgroup_size: 256
    .name:           _ZL23rocblas_gemvt_sn_kernelILb0ELi256ELi4EiPKdS1_dEviiT4_lPKT3_lilS5_lilPT5_i
    .private_segment_fixed_size: 0
    .sgpr_count:     80
    .sgpr_spill_count: 0
    .symbol:         _ZL23rocblas_gemvt_sn_kernelILb0ELi256ELi4EiPKdS1_dEviiT4_lPKT3_lilS5_lilPT5_i.kd
    .uniform_work_group_size: 1
    .uses_dynamic_stack: false
    .vgpr_count:     77
    .vgpr_spill_count: 0
    .wavefront_size: 32
    .workgroup_processor_mode: 1
  - .args:
      - .offset:         0
        .size:           4
        .value_kind:     by_value
      - .offset:         4
        .size:           4
        .value_kind:     by_value
      - .address_space:  global
        .offset:         8
        .size:           8
        .value_kind:     global_buffer
      - .offset:         16
        .size:           8
        .value_kind:     by_value
      - .address_space:  global
        .offset:         24
        .size:           8
        .value_kind:     global_buffer
      - .offset:         32
        .size:           8
        .value_kind:     by_value
      - .offset:         40
        .size:           4
        .value_kind:     by_value
      - .offset:         48
        .size:           8
        .value_kind:     by_value
      - .address_space:  global
        .offset:         56
        .size:           8
        .value_kind:     global_buffer
      - .offset:         64
        .size:           8
        .value_kind:     by_value
      - .offset:         72
        .size:           4
        .value_kind:     by_value
      - .offset:         80
        .size:           8
        .value_kind:     by_value
      - .address_space:  global
        .offset:         88
        .size:           8
        .value_kind:     global_buffer
      - .offset:         96
        .size:           4
        .value_kind:     by_value
      - .offset:         104
        .size:           4
        .value_kind:     hidden_block_count_x
      - .offset:         108
        .size:           4
        .value_kind:     hidden_block_count_y
      - .offset:         112
        .size:           4
        .value_kind:     hidden_block_count_z
      - .offset:         116
        .size:           2
        .value_kind:     hidden_group_size_x
      - .offset:         118
        .size:           2
        .value_kind:     hidden_group_size_y
      - .offset:         120
        .size:           2
        .value_kind:     hidden_group_size_z
      - .offset:         122
        .size:           2
        .value_kind:     hidden_remainder_x
      - .offset:         124
        .size:           2
        .value_kind:     hidden_remainder_y
      - .offset:         126
        .size:           2
        .value_kind:     hidden_remainder_z
      - .offset:         144
        .size:           8
        .value_kind:     hidden_global_offset_x
      - .offset:         152
        .size:           8
        .value_kind:     hidden_global_offset_y
      - .offset:         160
        .size:           8
        .value_kind:     hidden_global_offset_z
      - .offset:         168
        .size:           2
        .value_kind:     hidden_grid_dims
    .group_segment_fixed_size: 256
    .kernarg_segment_align: 8
    .kernarg_segment_size: 360
    .language:       OpenCL C
    .language_version:
      - 2
      - 0
    .max_flat_workgroup_size: 256
    .name:           _ZL23rocblas_gemvt_sn_kernelILb0ELi256ELi4ElPKdS1_dEviiT4_lPKT3_lilS5_lilPT5_i
    .private_segment_fixed_size: 0
    .sgpr_count:     72
    .sgpr_spill_count: 0
    .symbol:         _ZL23rocblas_gemvt_sn_kernelILb0ELi256ELi4ElPKdS1_dEviiT4_lPKT3_lilS5_lilPT5_i.kd
    .uniform_work_group_size: 1
    .uses_dynamic_stack: false
    .vgpr_count:     78
    .vgpr_spill_count: 0
    .wavefront_size: 32
    .workgroup_processor_mode: 1
  - .args:
      - .offset:         0
        .size:           4
        .value_kind:     by_value
      - .address_space:  global
        .offset:         8
        .size:           8
        .value_kind:     global_buffer
      - .offset:         16
        .size:           8
        .value_kind:     by_value
      - .address_space:  global
        .offset:         24
        .size:           8
        .value_kind:     global_buffer
      - .offset:         32
        .size:           8
        .value_kind:     by_value
      - .offset:         40
        .size:           4
        .value_kind:     by_value
      - .offset:         48
        .size:           8
        .value_kind:     by_value
      - .actual_access:  read_only
        .address_space:  global
        .offset:         56
        .size:           8
        .value_kind:     global_buffer
      - .offset:         64
        .size:           4
        .value_kind:     by_value
      - .offset:         72
        .size:           4
        .value_kind:     hidden_block_count_x
      - .offset:         76
        .size:           4
        .value_kind:     hidden_block_count_y
      - .offset:         80
        .size:           4
        .value_kind:     hidden_block_count_z
      - .offset:         84
        .size:           2
        .value_kind:     hidden_group_size_x
      - .offset:         86
        .size:           2
        .value_kind:     hidden_group_size_y
      - .offset:         88
        .size:           2
        .value_kind:     hidden_group_size_z
      - .offset:         90
        .size:           2
        .value_kind:     hidden_remainder_x
      - .offset:         92
        .size:           2
        .value_kind:     hidden_remainder_y
      - .offset:         94
        .size:           2
        .value_kind:     hidden_remainder_z
      - .offset:         112
        .size:           8
        .value_kind:     hidden_global_offset_x
      - .offset:         120
        .size:           8
        .value_kind:     hidden_global_offset_y
      - .offset:         128
        .size:           8
        .value_kind:     hidden_global_offset_z
      - .offset:         136
        .size:           2
        .value_kind:     hidden_grid_dims
    .group_segment_fixed_size: 256
    .kernarg_segment_align: 8
    .kernarg_segment_size: 328
    .language:       OpenCL C
    .language_version:
      - 2
      - 0
    .max_flat_workgroup_size: 256
    .name:           _ZL23rocblas_gemvt_sn_reduceILi256ELi8EdPKdKPdEviT2_lPT3_lilPT1_i
    .private_segment_fixed_size: 0
    .sgpr_count:     40
    .sgpr_spill_count: 0
    .symbol:         _ZL23rocblas_gemvt_sn_reduceILi256ELi8EdPKdKPdEviT2_lPT3_lilPT1_i.kd
    .uniform_work_group_size: 1
    .uses_dynamic_stack: false
    .vgpr_count:     39
    .vgpr_spill_count: 0
    .wavefront_size: 32
    .workgroup_processor_mode: 1
  - .args:
      - .offset:         0
        .size:           4
        .value_kind:     by_value
      - .offset:         4
        .size:           4
        .value_kind:     by_value
      - .offset:         8
        .size:           8
        .value_kind:     by_value
      - .offset:         16
        .size:           8
        .value_kind:     by_value
      - .address_space:  global
        .offset:         24
        .size:           8
        .value_kind:     global_buffer
      - .offset:         32
        .size:           8
        .value_kind:     by_value
      - .offset:         40
        .size:           4
        .value_kind:     by_value
      - .offset:         48
        .size:           8
        .value_kind:     by_value
      - .address_space:  global
        .offset:         56
        .size:           8
        .value_kind:     global_buffer
      - .offset:         64
        .size:           8
        .value_kind:     by_value
      - .offset:         72
        .size:           4
        .value_kind:     by_value
      - .offset:         80
        .size:           8
        .value_kind:     by_value
      - .address_space:  global
        .offset:         88
        .size:           8
        .value_kind:     global_buffer
      - .offset:         96
        .size:           4
        .value_kind:     by_value
      - .offset:         104
        .size:           4
        .value_kind:     hidden_block_count_x
      - .offset:         108
        .size:           4
        .value_kind:     hidden_block_count_y
      - .offset:         112
        .size:           4
        .value_kind:     hidden_block_count_z
      - .offset:         116
        .size:           2
        .value_kind:     hidden_group_size_x
      - .offset:         118
        .size:           2
        .value_kind:     hidden_group_size_y
      - .offset:         120
        .size:           2
        .value_kind:     hidden_group_size_z
      - .offset:         122
        .size:           2
        .value_kind:     hidden_remainder_x
      - .offset:         124
        .size:           2
        .value_kind:     hidden_remainder_y
      - .offset:         126
        .size:           2
        .value_kind:     hidden_remainder_z
      - .offset:         144
        .size:           8
        .value_kind:     hidden_global_offset_x
      - .offset:         152
        .size:           8
        .value_kind:     hidden_global_offset_y
      - .offset:         160
        .size:           8
        .value_kind:     hidden_global_offset_z
      - .offset:         168
        .size:           2
        .value_kind:     hidden_grid_dims
    .group_segment_fixed_size: 256
    .kernarg_segment_align: 8
    .kernarg_segment_size: 360
    .language:       OpenCL C
    .language_version:
      - 2
      - 0
    .max_flat_workgroup_size: 256
    .name:           _ZL23rocblas_gemvt_sn_kernelILb0ELi256ELi4EiPKdddEviiT4_lPKT3_lilS5_lilPT5_i
    .private_segment_fixed_size: 0
    .sgpr_count:     76
    .sgpr_spill_count: 0
    .symbol:         _ZL23rocblas_gemvt_sn_kernelILb0ELi256ELi4EiPKdddEviiT4_lPKT3_lilS5_lilPT5_i.kd
    .uniform_work_group_size: 1
    .uses_dynamic_stack: false
    .vgpr_count:     75
    .vgpr_spill_count: 0
    .wavefront_size: 32
    .workgroup_processor_mode: 1
  - .args:
      - .offset:         0
        .size:           4
        .value_kind:     by_value
      - .offset:         4
        .size:           4
        .value_kind:     by_value
      - .offset:         8
        .size:           8
        .value_kind:     by_value
      - .offset:         16
        .size:           8
        .value_kind:     by_value
      - .address_space:  global
        .offset:         24
        .size:           8
        .value_kind:     global_buffer
      - .offset:         32
        .size:           8
        .value_kind:     by_value
      - .offset:         40
        .size:           4
        .value_kind:     by_value
      - .offset:         48
        .size:           8
        .value_kind:     by_value
      - .address_space:  global
        .offset:         56
        .size:           8
        .value_kind:     global_buffer
      - .offset:         64
        .size:           8
        .value_kind:     by_value
      - .offset:         72
        .size:           4
        .value_kind:     by_value
      - .offset:         80
        .size:           8
        .value_kind:     by_value
      - .address_space:  global
        .offset:         88
        .size:           8
        .value_kind:     global_buffer
      - .offset:         96
        .size:           4
        .value_kind:     by_value
      - .offset:         104
        .size:           4
        .value_kind:     hidden_block_count_x
      - .offset:         108
        .size:           4
        .value_kind:     hidden_block_count_y
      - .offset:         112
        .size:           4
        .value_kind:     hidden_block_count_z
      - .offset:         116
        .size:           2
        .value_kind:     hidden_group_size_x
      - .offset:         118
        .size:           2
        .value_kind:     hidden_group_size_y
      - .offset:         120
        .size:           2
        .value_kind:     hidden_group_size_z
      - .offset:         122
        .size:           2
        .value_kind:     hidden_remainder_x
      - .offset:         124
        .size:           2
        .value_kind:     hidden_remainder_y
      - .offset:         126
        .size:           2
        .value_kind:     hidden_remainder_z
      - .offset:         144
        .size:           8
        .value_kind:     hidden_global_offset_x
      - .offset:         152
        .size:           8
        .value_kind:     hidden_global_offset_y
      - .offset:         160
        .size:           8
        .value_kind:     hidden_global_offset_z
      - .offset:         168
        .size:           2
        .value_kind:     hidden_grid_dims
    .group_segment_fixed_size: 256
    .kernarg_segment_align: 8
    .kernarg_segment_size: 360
    .language:       OpenCL C
    .language_version:
      - 2
      - 0
    .max_flat_workgroup_size: 256
    .name:           _ZL23rocblas_gemvt_sn_kernelILb0ELi256ELi4ElPKdddEviiT4_lPKT3_lilS5_lilPT5_i
    .private_segment_fixed_size: 0
    .sgpr_count:     66
    .sgpr_spill_count: 0
    .symbol:         _ZL23rocblas_gemvt_sn_kernelILb0ELi256ELi4ElPKdddEviiT4_lPKT3_lilS5_lilPT5_i.kd
    .uniform_work_group_size: 1
    .uses_dynamic_stack: false
    .vgpr_count:     76
    .vgpr_spill_count: 0
    .wavefront_size: 32
    .workgroup_processor_mode: 1
  - .args:
      - .offset:         0
        .size:           4
        .value_kind:     by_value
      - .offset:         8
        .size:           8
        .value_kind:     by_value
      - .offset:         16
        .size:           8
        .value_kind:     by_value
      - .address_space:  global
        .offset:         24
        .size:           8
        .value_kind:     global_buffer
      - .offset:         32
        .size:           8
        .value_kind:     by_value
      - .offset:         40
        .size:           4
        .value_kind:     by_value
      - .offset:         48
        .size:           8
        .value_kind:     by_value
      - .actual_access:  read_only
        .address_space:  global
        .offset:         56
        .size:           8
        .value_kind:     global_buffer
      - .offset:         64
        .size:           4
        .value_kind:     by_value
      - .offset:         72
        .size:           4
        .value_kind:     hidden_block_count_x
      - .offset:         76
        .size:           4
        .value_kind:     hidden_block_count_y
      - .offset:         80
        .size:           4
        .value_kind:     hidden_block_count_z
      - .offset:         84
        .size:           2
        .value_kind:     hidden_group_size_x
      - .offset:         86
        .size:           2
        .value_kind:     hidden_group_size_y
      - .offset:         88
        .size:           2
        .value_kind:     hidden_group_size_z
      - .offset:         90
        .size:           2
        .value_kind:     hidden_remainder_x
      - .offset:         92
        .size:           2
        .value_kind:     hidden_remainder_y
      - .offset:         94
        .size:           2
        .value_kind:     hidden_remainder_z
      - .offset:         112
        .size:           8
        .value_kind:     hidden_global_offset_x
      - .offset:         120
        .size:           8
        .value_kind:     hidden_global_offset_y
      - .offset:         128
        .size:           8
        .value_kind:     hidden_global_offset_z
      - .offset:         136
        .size:           2
        .value_kind:     hidden_grid_dims
    .group_segment_fixed_size: 256
    .kernarg_segment_align: 8
    .kernarg_segment_size: 328
    .language:       OpenCL C
    .language_version:
      - 2
      - 0
    .max_flat_workgroup_size: 256
    .name:           _ZL23rocblas_gemvt_sn_reduceILi256ELi8EddKPdEviT2_lPT3_lilPT1_i
    .private_segment_fixed_size: 0
    .sgpr_count:     38
    .sgpr_spill_count: 0
    .symbol:         _ZL23rocblas_gemvt_sn_reduceILi256ELi8EddKPdEviT2_lPT3_lilPT1_i.kd
    .uniform_work_group_size: 1
    .uses_dynamic_stack: false
    .vgpr_count:     37
    .vgpr_spill_count: 0
    .wavefront_size: 32
    .workgroup_processor_mode: 1
  - .args:
      - .offset:         0
        .size:           4
        .value_kind:     by_value
      - .offset:         4
        .size:           4
        .value_kind:     by_value
      - .address_space:  global
        .offset:         8
        .size:           8
        .value_kind:     global_buffer
      - .offset:         16
        .size:           8
        .value_kind:     by_value
      - .address_space:  global
        .offset:         24
        .size:           8
        .value_kind:     global_buffer
      - .offset:         32
        .size:           8
        .value_kind:     by_value
      - .offset:         40
        .size:           4
        .value_kind:     by_value
      - .offset:         48
        .size:           8
        .value_kind:     by_value
      - .address_space:  global
        .offset:         56
        .size:           8
        .value_kind:     global_buffer
      - .offset:         64
        .size:           8
        .value_kind:     by_value
      - .offset:         72
        .size:           4
        .value_kind:     by_value
      - .offset:         80
        .size:           8
        .value_kind:     by_value
      - .address_space:  global
        .offset:         88
        .size:           8
        .value_kind:     global_buffer
      - .offset:         96
        .size:           8
        .value_kind:     by_value
      - .offset:         104
        .size:           4
        .value_kind:     by_value
      - .offset:         112
        .size:           8
        .value_kind:     by_value
      - .offset:         120
        .size:           4
        .value_kind:     by_value
      - .offset:         128
        .size:           4
        .value_kind:     hidden_block_count_x
      - .offset:         132
        .size:           4
        .value_kind:     hidden_block_count_y
      - .offset:         136
        .size:           4
        .value_kind:     hidden_block_count_z
      - .offset:         140
        .size:           2
        .value_kind:     hidden_group_size_x
      - .offset:         142
        .size:           2
        .value_kind:     hidden_group_size_y
      - .offset:         144
        .size:           2
        .value_kind:     hidden_group_size_z
      - .offset:         146
        .size:           2
        .value_kind:     hidden_remainder_x
      - .offset:         148
        .size:           2
        .value_kind:     hidden_remainder_y
      - .offset:         150
        .size:           2
        .value_kind:     hidden_remainder_z
      - .offset:         168
        .size:           8
        .value_kind:     hidden_global_offset_x
      - .offset:         176
        .size:           8
        .value_kind:     hidden_global_offset_y
      - .offset:         184
        .size:           8
        .value_kind:     hidden_global_offset_z
      - .offset:         192
        .size:           2
        .value_kind:     hidden_grid_dims
    .group_segment_fixed_size: 65536
    .kernarg_segment_align: 8
    .kernarg_segment_size: 384
    .language:       OpenCL C
    .language_version:
      - 2
      - 0
    .max_flat_workgroup_size: 512
    .name:           _ZL36rocblas_gemvt_double_buffered_kernelILb0ELi128ELi4ELi16EPKdS1_KPdEviiT4_lPKT3_lilS7_lilPT5_lili
    .private_segment_fixed_size: 100
    .sgpr_count:     50
    .sgpr_spill_count: 0
    .symbol:         _ZL36rocblas_gemvt_double_buffered_kernelILb0ELi128ELi4ELi16EPKdS1_KPdEviiT4_lPKT3_lilS7_lilPT5_lili.kd
    .uniform_work_group_size: 1
    .uses_dynamic_stack: false
    .vgpr_count:     256
    .vgpr_spill_count: 24
    .wavefront_size: 32
    .workgroup_processor_mode: 1
  - .args:
      - .offset:         0
        .size:           4
        .value_kind:     by_value
      - .offset:         4
        .size:           4
        .value_kind:     by_value
      - .offset:         8
        .size:           8
        .value_kind:     by_value
      - .offset:         16
        .size:           8
        .value_kind:     by_value
      - .address_space:  global
        .offset:         24
        .size:           8
        .value_kind:     global_buffer
      - .offset:         32
        .size:           8
        .value_kind:     by_value
      - .offset:         40
        .size:           4
        .value_kind:     by_value
      - .offset:         48
        .size:           8
        .value_kind:     by_value
      - .address_space:  global
        .offset:         56
        .size:           8
        .value_kind:     global_buffer
      - .offset:         64
        .size:           8
        .value_kind:     by_value
      - .offset:         72
        .size:           4
        .value_kind:     by_value
      - .offset:         80
        .size:           8
        .value_kind:     by_value
      - .address_space:  global
        .offset:         88
        .size:           8
        .value_kind:     global_buffer
      - .offset:         96
        .size:           8
        .value_kind:     by_value
      - .offset:         104
        .size:           4
        .value_kind:     by_value
      - .offset:         112
        .size:           8
        .value_kind:     by_value
      - .offset:         120
        .size:           4
        .value_kind:     by_value
      - .offset:         128
        .size:           4
        .value_kind:     hidden_block_count_x
      - .offset:         132
        .size:           4
        .value_kind:     hidden_block_count_y
      - .offset:         136
        .size:           4
        .value_kind:     hidden_block_count_z
      - .offset:         140
        .size:           2
        .value_kind:     hidden_group_size_x
      - .offset:         142
        .size:           2
        .value_kind:     hidden_group_size_y
      - .offset:         144
        .size:           2
        .value_kind:     hidden_group_size_z
      - .offset:         146
        .size:           2
        .value_kind:     hidden_remainder_x
      - .offset:         148
        .size:           2
        .value_kind:     hidden_remainder_y
      - .offset:         150
        .size:           2
        .value_kind:     hidden_remainder_z
      - .offset:         168
        .size:           8
        .value_kind:     hidden_global_offset_x
      - .offset:         176
        .size:           8
        .value_kind:     hidden_global_offset_y
      - .offset:         184
        .size:           8
        .value_kind:     hidden_global_offset_z
      - .offset:         192
        .size:           2
        .value_kind:     hidden_grid_dims
    .group_segment_fixed_size: 65536
    .kernarg_segment_align: 8
    .kernarg_segment_size: 384
    .language:       OpenCL C
    .language_version:
      - 2
      - 0
    .max_flat_workgroup_size: 512
    .name:           _ZL36rocblas_gemvt_double_buffered_kernelILb0ELi128ELi4ELi16EPKddKPdEviiT4_lPKT3_lilS7_lilPT5_lili
    .private_segment_fixed_size: 92
    .sgpr_count:     50
    .sgpr_spill_count: 0
    .symbol:         _ZL36rocblas_gemvt_double_buffered_kernelILb0ELi128ELi4ELi16EPKddKPdEviiT4_lPKT3_lilS7_lilPT5_lili.kd
    .uniform_work_group_size: 1
    .uses_dynamic_stack: false
    .vgpr_count:     256
    .vgpr_spill_count: 22
    .wavefront_size: 32
    .workgroup_processor_mode: 1
  - .args:
      - .offset:         0
        .size:           4
        .value_kind:     by_value
      - .offset:         4
        .size:           4
        .value_kind:     by_value
      - .address_space:  global
        .offset:         8
        .size:           8
        .value_kind:     global_buffer
      - .offset:         16
        .size:           8
        .value_kind:     by_value
      - .address_space:  global
        .offset:         24
        .size:           8
        .value_kind:     global_buffer
      - .offset:         32
        .size:           8
        .value_kind:     by_value
      - .offset:         40
        .size:           4
        .value_kind:     by_value
      - .offset:         48
        .size:           8
        .value_kind:     by_value
      - .address_space:  global
        .offset:         56
        .size:           8
        .value_kind:     global_buffer
      - .offset:         64
        .size:           8
        .value_kind:     by_value
      - .offset:         72
        .size:           4
        .value_kind:     by_value
      - .offset:         80
        .size:           8
        .value_kind:     by_value
      - .address_space:  global
        .offset:         88
        .size:           8
        .value_kind:     global_buffer
      - .offset:         96
        .size:           8
        .value_kind:     by_value
      - .address_space:  global
        .offset:         104
        .size:           8
        .value_kind:     global_buffer
      - .offset:         112
        .size:           8
        .value_kind:     by_value
      - .offset:         120
        .size:           4
        .value_kind:     by_value
      - .offset:         128
        .size:           8
        .value_kind:     by_value
      - .offset:         136
        .size:           4
        .value_kind:     by_value
    .group_segment_fixed_size: 256
    .kernarg_segment_align: 8
    .kernarg_segment_size: 140
    .language:       OpenCL C
    .language_version:
      - 2
      - 0
    .max_flat_workgroup_size: 256
    .name:           _ZL32rocblas_gemvt_warp_reduce_kernelILb0ELi256EiPKdS1_KPdEviiT3_lPKT2_lT1_lS7_lS8_lS4_lPT4_lS8_li
    .private_segment_fixed_size: 0
    .sgpr_count:     46
    .sgpr_spill_count: 0
    .symbol:         _ZL32rocblas_gemvt_warp_reduce_kernelILb0ELi256EiPKdS1_KPdEviiT3_lPKT2_lT1_lS7_lS8_lS4_lPT4_lS8_li.kd
    .uniform_work_group_size: 1
    .uses_dynamic_stack: false
    .vgpr_count:     31
    .vgpr_spill_count: 0
    .wavefront_size: 32
    .workgroup_processor_mode: 1
  - .args:
      - .offset:         0
        .size:           4
        .value_kind:     by_value
      - .offset:         4
        .size:           4
        .value_kind:     by_value
      - .address_space:  global
        .offset:         8
        .size:           8
        .value_kind:     global_buffer
      - .offset:         16
        .size:           8
        .value_kind:     by_value
      - .address_space:  global
        .offset:         24
        .size:           8
        .value_kind:     global_buffer
      - .offset:         32
        .size:           8
        .value_kind:     by_value
      - .offset:         40
        .size:           8
        .value_kind:     by_value
      - .offset:         48
        .size:           8
        .value_kind:     by_value
      - .address_space:  global
        .offset:         56
        .size:           8
        .value_kind:     global_buffer
      - .offset:         64
        .size:           8
        .value_kind:     by_value
      - .offset:         72
        .size:           8
        .value_kind:     by_value
      - .offset:         80
        .size:           8
        .value_kind:     by_value
      - .address_space:  global
        .offset:         88
        .size:           8
        .value_kind:     global_buffer
      - .offset:         96
        .size:           8
        .value_kind:     by_value
      - .address_space:  global
        .offset:         104
        .size:           8
        .value_kind:     global_buffer
      - .offset:         112
        .size:           8
        .value_kind:     by_value
      - .offset:         120
        .size:           8
        .value_kind:     by_value
      - .offset:         128
        .size:           8
        .value_kind:     by_value
      - .offset:         136
        .size:           4
        .value_kind:     by_value
    .group_segment_fixed_size: 256
    .kernarg_segment_align: 8
    .kernarg_segment_size: 140
    .language:       OpenCL C
    .language_version:
      - 2
      - 0
    .max_flat_workgroup_size: 256
    .name:           _ZL32rocblas_gemvt_warp_reduce_kernelILb0ELi256ElPKdS1_KPdEviiT3_lPKT2_lT1_lS7_lS8_lS4_lPT4_lS8_li
    .private_segment_fixed_size: 0
    .sgpr_count:     46
    .sgpr_spill_count: 0
    .symbol:         _ZL32rocblas_gemvt_warp_reduce_kernelILb0ELi256ElPKdS1_KPdEviiT3_lPKT2_lT1_lS7_lS8_lS4_lPT4_lS8_li.kd
    .uniform_work_group_size: 1
    .uses_dynamic_stack: false
    .vgpr_count:     32
    .vgpr_spill_count: 0
    .wavefront_size: 32
    .workgroup_processor_mode: 1
  - .args:
      - .offset:         0
        .size:           4
        .value_kind:     by_value
      - .offset:         4
        .size:           4
        .value_kind:     by_value
      - .offset:         8
        .size:           8
        .value_kind:     by_value
      - .offset:         16
        .size:           8
        .value_kind:     by_value
      - .address_space:  global
        .offset:         24
        .size:           8
        .value_kind:     global_buffer
      - .offset:         32
        .size:           8
        .value_kind:     by_value
      - .offset:         40
        .size:           4
        .value_kind:     by_value
      - .offset:         48
        .size:           8
        .value_kind:     by_value
      - .address_space:  global
        .offset:         56
        .size:           8
        .value_kind:     global_buffer
      - .offset:         64
        .size:           8
        .value_kind:     by_value
      - .offset:         72
        .size:           4
        .value_kind:     by_value
      - .offset:         80
        .size:           8
        .value_kind:     by_value
      - .offset:         88
        .size:           8
        .value_kind:     by_value
      - .offset:         96
        .size:           8
        .value_kind:     by_value
      - .address_space:  global
        .offset:         104
        .size:           8
        .value_kind:     global_buffer
      - .offset:         112
        .size:           8
        .value_kind:     by_value
      - .offset:         120
        .size:           4
        .value_kind:     by_value
      - .offset:         128
        .size:           8
        .value_kind:     by_value
      - .offset:         136
        .size:           4
        .value_kind:     by_value
    .group_segment_fixed_size: 256
    .kernarg_segment_align: 8
    .kernarg_segment_size: 140
    .language:       OpenCL C
    .language_version:
      - 2
      - 0
    .max_flat_workgroup_size: 256
    .name:           _ZL32rocblas_gemvt_warp_reduce_kernelILb0ELi256EiPKddKPdEviiT3_lPKT2_lT1_lS7_lS8_lS4_lPT4_lS8_li
    .private_segment_fixed_size: 0
    .sgpr_count:     44
    .sgpr_spill_count: 0
    .symbol:         _ZL32rocblas_gemvt_warp_reduce_kernelILb0ELi256EiPKddKPdEviiT3_lPKT2_lT1_lS7_lS8_lS4_lPT4_lS8_li.kd
    .uniform_work_group_size: 1
    .uses_dynamic_stack: false
    .vgpr_count:     28
    .vgpr_spill_count: 0
    .wavefront_size: 32
    .workgroup_processor_mode: 1
  - .args:
      - .offset:         0
        .size:           4
        .value_kind:     by_value
      - .offset:         4
        .size:           4
        .value_kind:     by_value
      - .offset:         8
        .size:           8
        .value_kind:     by_value
      - .offset:         16
        .size:           8
        .value_kind:     by_value
      - .address_space:  global
        .offset:         24
        .size:           8
        .value_kind:     global_buffer
      - .offset:         32
        .size:           8
        .value_kind:     by_value
      - .offset:         40
        .size:           8
        .value_kind:     by_value
      - .offset:         48
        .size:           8
        .value_kind:     by_value
      - .address_space:  global
        .offset:         56
        .size:           8
        .value_kind:     global_buffer
      - .offset:         64
        .size:           8
        .value_kind:     by_value
      - .offset:         72
        .size:           8
        .value_kind:     by_value
      - .offset:         80
        .size:           8
        .value_kind:     by_value
      - .offset:         88
        .size:           8
        .value_kind:     by_value
      - .offset:         96
        .size:           8
        .value_kind:     by_value
      - .address_space:  global
        .offset:         104
        .size:           8
        .value_kind:     global_buffer
      - .offset:         112
        .size:           8
        .value_kind:     by_value
      - .offset:         120
        .size:           8
        .value_kind:     by_value
      - .offset:         128
        .size:           8
        .value_kind:     by_value
      - .offset:         136
        .size:           4
        .value_kind:     by_value
    .group_segment_fixed_size: 256
    .kernarg_segment_align: 8
    .kernarg_segment_size: 140
    .language:       OpenCL C
    .language_version:
      - 2
      - 0
    .max_flat_workgroup_size: 256
    .name:           _ZL32rocblas_gemvt_warp_reduce_kernelILb0ELi256ElPKddKPdEviiT3_lPKT2_lT1_lS7_lS8_lS4_lPT4_lS8_li
    .private_segment_fixed_size: 0
    .sgpr_count:     44
    .sgpr_spill_count: 0
    .symbol:         _ZL32rocblas_gemvt_warp_reduce_kernelILb0ELi256ElPKddKPdEviiT3_lPKT2_lT1_lS7_lS8_lS4_lPT4_lS8_li.kd
    .uniform_work_group_size: 1
    .uses_dynamic_stack: false
    .vgpr_count:     29
    .vgpr_spill_count: 0
    .wavefront_size: 32
    .workgroup_processor_mode: 1
  - .args:
      - .offset:         0
        .size:           4
        .value_kind:     by_value
      - .offset:         4
        .size:           4
        .value_kind:     by_value
      - .address_space:  global
        .offset:         8
        .size:           8
        .value_kind:     global_buffer
      - .offset:         16
        .size:           8
        .value_kind:     by_value
      - .address_space:  global
        .offset:         24
        .size:           8
        .value_kind:     global_buffer
      - .offset:         32
        .size:           8
        .value_kind:     by_value
      - .offset:         40
        .size:           4
        .value_kind:     by_value
      - .offset:         48
        .size:           8
        .value_kind:     by_value
      - .address_space:  global
        .offset:         56
        .size:           8
        .value_kind:     global_buffer
      - .offset:         64
        .size:           8
        .value_kind:     by_value
      - .offset:         72
        .size:           4
        .value_kind:     by_value
      - .offset:         80
        .size:           8
        .value_kind:     by_value
      - .address_space:  global
        .offset:         88
        .size:           8
        .value_kind:     global_buffer
      - .offset:         96
        .size:           8
        .value_kind:     by_value
      - .address_space:  global
        .offset:         104
        .size:           8
        .value_kind:     global_buffer
      - .offset:         112
        .size:           8
        .value_kind:     by_value
      - .offset:         120
        .size:           4
        .value_kind:     by_value
      - .offset:         128
        .size:           8
        .value_kind:     by_value
      - .offset:         136
        .size:           4
        .value_kind:     by_value
    .group_segment_fixed_size: 2048
    .kernarg_segment_align: 8
    .kernarg_segment_size: 140
    .language:       OpenCL C
    .language_version:
      - 2
      - 0
    .max_flat_workgroup_size: 256
    .name:           _ZL20rocblas_gemvt_kernelILb0ELi256EPKdS1_KPdEviiT2_lPKT1_lilS7_lilS4_lPT3_lili
    .private_segment_fixed_size: 0
    .sgpr_count:     52
    .sgpr_spill_count: 0
    .symbol:         _ZL20rocblas_gemvt_kernelILb0ELi256EPKdS1_KPdEviiT2_lPKT1_lilS7_lilS4_lPT3_lili.kd
    .uniform_work_group_size: 1
    .uses_dynamic_stack: false
    .vgpr_count:     27
    .vgpr_spill_count: 0
    .wavefront_size: 32
    .workgroup_processor_mode: 1
  - .args:
      - .offset:         0
        .size:           4
        .value_kind:     by_value
      - .offset:         4
        .size:           4
        .value_kind:     by_value
      - .offset:         8
        .size:           8
        .value_kind:     by_value
      - .offset:         16
        .size:           8
        .value_kind:     by_value
      - .address_space:  global
        .offset:         24
        .size:           8
        .value_kind:     global_buffer
      - .offset:         32
        .size:           8
        .value_kind:     by_value
      - .offset:         40
        .size:           4
        .value_kind:     by_value
      - .offset:         48
        .size:           8
        .value_kind:     by_value
      - .address_space:  global
        .offset:         56
        .size:           8
        .value_kind:     global_buffer
      - .offset:         64
        .size:           8
        .value_kind:     by_value
      - .offset:         72
        .size:           4
        .value_kind:     by_value
      - .offset:         80
        .size:           8
        .value_kind:     by_value
      - .offset:         88
        .size:           8
        .value_kind:     by_value
      - .offset:         96
        .size:           8
        .value_kind:     by_value
      - .address_space:  global
        .offset:         104
        .size:           8
        .value_kind:     global_buffer
      - .offset:         112
        .size:           8
        .value_kind:     by_value
      - .offset:         120
        .size:           4
        .value_kind:     by_value
      - .offset:         128
        .size:           8
        .value_kind:     by_value
      - .offset:         136
        .size:           4
        .value_kind:     by_value
    .group_segment_fixed_size: 2048
    .kernarg_segment_align: 8
    .kernarg_segment_size: 140
    .language:       OpenCL C
    .language_version:
      - 2
      - 0
    .max_flat_workgroup_size: 256
    .name:           _ZL20rocblas_gemvt_kernelILb0ELi256EPKddKPdEviiT2_lPKT1_lilS7_lilS4_lPT3_lili
    .private_segment_fixed_size: 0
    .sgpr_count:     48
    .sgpr_spill_count: 0
    .symbol:         _ZL20rocblas_gemvt_kernelILb0ELi256EPKddKPdEviiT2_lPKT1_lilS7_lilS4_lPT3_lili.kd
    .uniform_work_group_size: 1
    .uses_dynamic_stack: false
    .vgpr_count:     24
    .vgpr_spill_count: 0
    .wavefront_size: 32
    .workgroup_processor_mode: 1
  - .args:
      - .offset:         0
        .size:           4
        .value_kind:     by_value
      - .offset:         4
        .size:           4
        .value_kind:     by_value
      - .address_space:  global
        .offset:         8
        .size:           8
        .value_kind:     global_buffer
      - .offset:         16
        .size:           8
        .value_kind:     by_value
      - .address_space:  global
        .offset:         24
        .size:           8
        .value_kind:     global_buffer
      - .offset:         32
        .size:           8
        .value_kind:     by_value
      - .offset:         40
        .size:           4
        .value_kind:     by_value
      - .offset:         48
        .size:           8
        .value_kind:     by_value
      - .address_space:  global
        .offset:         56
        .size:           8
        .value_kind:     global_buffer
      - .offset:         64
        .size:           8
        .value_kind:     by_value
      - .offset:         72
        .size:           4
        .value_kind:     by_value
      - .offset:         80
        .size:           8
        .value_kind:     by_value
      - .address_space:  global
        .offset:         88
        .size:           8
        .value_kind:     global_buffer
      - .offset:         96
        .size:           8
        .value_kind:     by_value
      - .address_space:  global
        .offset:         104
        .size:           8
        .value_kind:     global_buffer
      - .offset:         112
        .size:           8
        .value_kind:     by_value
      - .offset:         120
        .size:           4
        .value_kind:     by_value
      - .offset:         128
        .size:           8
        .value_kind:     by_value
      - .offset:         136
        .size:           4
        .value_kind:     by_value
    .group_segment_fixed_size: 256
    .kernarg_segment_align: 8
    .kernarg_segment_size: 140
    .language:       OpenCL C
    .language_version:
      - 2
      - 0
    .max_flat_workgroup_size: 1024
    .name:           _ZL32rocblas_gemvt_warp_reduce_kernelILb0ELi1024EiPKdS1_KPdEviiT3_lPKT2_lT1_lS7_lS8_lS4_lPT4_lS8_li
    .private_segment_fixed_size: 0
    .sgpr_count:     46
    .sgpr_spill_count: 0
    .symbol:         _ZL32rocblas_gemvt_warp_reduce_kernelILb0ELi1024EiPKdS1_KPdEviiT3_lPKT2_lT1_lS7_lS8_lS4_lPT4_lS8_li.kd
    .uniform_work_group_size: 1
    .uses_dynamic_stack: false
    .vgpr_count:     31
    .vgpr_spill_count: 0
    .wavefront_size: 32
    .workgroup_processor_mode: 1
  - .args:
      - .offset:         0
        .size:           4
        .value_kind:     by_value
      - .offset:         4
        .size:           4
        .value_kind:     by_value
      - .address_space:  global
        .offset:         8
        .size:           8
        .value_kind:     global_buffer
      - .offset:         16
        .size:           8
        .value_kind:     by_value
      - .address_space:  global
        .offset:         24
        .size:           8
        .value_kind:     global_buffer
      - .offset:         32
        .size:           8
        .value_kind:     by_value
      - .offset:         40
        .size:           8
        .value_kind:     by_value
      - .offset:         48
        .size:           8
        .value_kind:     by_value
      - .address_space:  global
        .offset:         56
        .size:           8
        .value_kind:     global_buffer
      - .offset:         64
        .size:           8
        .value_kind:     by_value
      - .offset:         72
        .size:           8
        .value_kind:     by_value
      - .offset:         80
        .size:           8
        .value_kind:     by_value
      - .address_space:  global
        .offset:         88
        .size:           8
        .value_kind:     global_buffer
      - .offset:         96
        .size:           8
        .value_kind:     by_value
      - .address_space:  global
        .offset:         104
        .size:           8
        .value_kind:     global_buffer
      - .offset:         112
        .size:           8
        .value_kind:     by_value
      - .offset:         120
        .size:           8
        .value_kind:     by_value
      - .offset:         128
        .size:           8
        .value_kind:     by_value
      - .offset:         136
        .size:           4
        .value_kind:     by_value
    .group_segment_fixed_size: 256
    .kernarg_segment_align: 8
    .kernarg_segment_size: 140
    .language:       OpenCL C
    .language_version:
      - 2
      - 0
    .max_flat_workgroup_size: 1024
    .name:           _ZL32rocblas_gemvt_warp_reduce_kernelILb0ELi1024ElPKdS1_KPdEviiT3_lPKT2_lT1_lS7_lS8_lS4_lPT4_lS8_li
    .private_segment_fixed_size: 0
    .sgpr_count:     48
    .sgpr_spill_count: 0
    .symbol:         _ZL32rocblas_gemvt_warp_reduce_kernelILb0ELi1024ElPKdS1_KPdEviiT3_lPKT2_lT1_lS7_lS8_lS4_lPT4_lS8_li.kd
    .uniform_work_group_size: 1
    .uses_dynamic_stack: false
    .vgpr_count:     32
    .vgpr_spill_count: 0
    .wavefront_size: 32
    .workgroup_processor_mode: 1
  - .args:
      - .offset:         0
        .size:           4
        .value_kind:     by_value
      - .offset:         4
        .size:           4
        .value_kind:     by_value
      - .offset:         8
        .size:           8
        .value_kind:     by_value
      - .offset:         16
        .size:           8
        .value_kind:     by_value
      - .address_space:  global
        .offset:         24
        .size:           8
        .value_kind:     global_buffer
      - .offset:         32
        .size:           8
        .value_kind:     by_value
      - .offset:         40
        .size:           4
        .value_kind:     by_value
      - .offset:         48
        .size:           8
        .value_kind:     by_value
      - .address_space:  global
        .offset:         56
        .size:           8
        .value_kind:     global_buffer
      - .offset:         64
        .size:           8
        .value_kind:     by_value
      - .offset:         72
        .size:           4
        .value_kind:     by_value
      - .offset:         80
        .size:           8
        .value_kind:     by_value
      - .offset:         88
        .size:           8
        .value_kind:     by_value
      - .offset:         96
        .size:           8
        .value_kind:     by_value
      - .address_space:  global
        .offset:         104
        .size:           8
        .value_kind:     global_buffer
      - .offset:         112
        .size:           8
        .value_kind:     by_value
      - .offset:         120
        .size:           4
        .value_kind:     by_value
      - .offset:         128
        .size:           8
        .value_kind:     by_value
      - .offset:         136
        .size:           4
        .value_kind:     by_value
    .group_segment_fixed_size: 256
    .kernarg_segment_align: 8
    .kernarg_segment_size: 140
    .language:       OpenCL C
    .language_version:
      - 2
      - 0
    .max_flat_workgroup_size: 1024
    .name:           _ZL32rocblas_gemvt_warp_reduce_kernelILb0ELi1024EiPKddKPdEviiT3_lPKT2_lT1_lS7_lS8_lS4_lPT4_lS8_li
    .private_segment_fixed_size: 0
    .sgpr_count:     42
    .sgpr_spill_count: 0
    .symbol:         _ZL32rocblas_gemvt_warp_reduce_kernelILb0ELi1024EiPKddKPdEviiT3_lPKT2_lT1_lS7_lS8_lS4_lPT4_lS8_li.kd
    .uniform_work_group_size: 1
    .uses_dynamic_stack: false
    .vgpr_count:     28
    .vgpr_spill_count: 0
    .wavefront_size: 32
    .workgroup_processor_mode: 1
  - .args:
      - .offset:         0
        .size:           4
        .value_kind:     by_value
      - .offset:         4
        .size:           4
        .value_kind:     by_value
      - .offset:         8
        .size:           8
        .value_kind:     by_value
      - .offset:         16
        .size:           8
        .value_kind:     by_value
      - .address_space:  global
        .offset:         24
        .size:           8
        .value_kind:     global_buffer
      - .offset:         32
        .size:           8
        .value_kind:     by_value
      - .offset:         40
        .size:           8
        .value_kind:     by_value
      - .offset:         48
        .size:           8
        .value_kind:     by_value
      - .address_space:  global
        .offset:         56
        .size:           8
        .value_kind:     global_buffer
      - .offset:         64
        .size:           8
        .value_kind:     by_value
      - .offset:         72
        .size:           8
        .value_kind:     by_value
      - .offset:         80
        .size:           8
        .value_kind:     by_value
      - .offset:         88
        .size:           8
        .value_kind:     by_value
      - .offset:         96
        .size:           8
        .value_kind:     by_value
      - .address_space:  global
        .offset:         104
        .size:           8
        .value_kind:     global_buffer
      - .offset:         112
        .size:           8
        .value_kind:     by_value
      - .offset:         120
        .size:           8
        .value_kind:     by_value
      - .offset:         128
        .size:           8
        .value_kind:     by_value
      - .offset:         136
        .size:           4
        .value_kind:     by_value
    .group_segment_fixed_size: 256
    .kernarg_segment_align: 8
    .kernarg_segment_size: 140
    .language:       OpenCL C
    .language_version:
      - 2
      - 0
    .max_flat_workgroup_size: 1024
    .name:           _ZL32rocblas_gemvt_warp_reduce_kernelILb0ELi1024ElPKddKPdEviiT3_lPKT2_lT1_lS7_lS8_lS4_lPT4_lS8_li
    .private_segment_fixed_size: 0
    .sgpr_count:     44
    .sgpr_spill_count: 0
    .symbol:         _ZL32rocblas_gemvt_warp_reduce_kernelILb0ELi1024ElPKddKPdEviiT3_lPKT2_lT1_lS7_lS8_lS4_lPT4_lS8_li.kd
    .uniform_work_group_size: 1
    .uses_dynamic_stack: false
    .vgpr_count:     29
    .vgpr_spill_count: 0
    .wavefront_size: 32
    .workgroup_processor_mode: 1
  - .args:
      - .offset:         0
        .size:           4
        .value_kind:     by_value
      - .offset:         4
        .size:           4
        .value_kind:     by_value
      - .address_space:  global
        .offset:         8
        .size:           8
        .value_kind:     global_buffer
      - .offset:         16
        .size:           8
        .value_kind:     by_value
      - .address_space:  global
        .offset:         24
        .size:           8
        .value_kind:     global_buffer
      - .offset:         32
        .size:           8
        .value_kind:     by_value
      - .offset:         40
        .size:           4
        .value_kind:     by_value
      - .offset:         48
        .size:           8
        .value_kind:     by_value
      - .address_space:  global
        .offset:         56
        .size:           8
        .value_kind:     global_buffer
      - .offset:         64
        .size:           8
        .value_kind:     by_value
      - .offset:         72
        .size:           4
        .value_kind:     by_value
      - .offset:         80
        .size:           8
        .value_kind:     by_value
      - .address_space:  global
        .offset:         88
        .size:           8
        .value_kind:     global_buffer
      - .offset:         96
        .size:           8
        .value_kind:     by_value
      - .address_space:  global
        .offset:         104
        .size:           8
        .value_kind:     global_buffer
      - .offset:         112
        .size:           8
        .value_kind:     by_value
      - .offset:         120
        .size:           4
        .value_kind:     by_value
      - .offset:         128
        .size:           8
        .value_kind:     by_value
    .group_segment_fixed_size: 512
    .kernarg_segment_align: 8
    .kernarg_segment_size: 136
    .language:       OpenCL C
    .language_version:
      - 2
      - 0
    .max_flat_workgroup_size: 256
    .name:           _ZL22rocblas_gemvtsm_kernelILb1ELi256EPKdS1_KPdEviiT2_lPKT1_lilS7_lilS4_lPT3_lil
    .private_segment_fixed_size: 0
    .sgpr_count:     24
    .sgpr_spill_count: 0
    .symbol:         _ZL22rocblas_gemvtsm_kernelILb1ELi256EPKdS1_KPdEviiT2_lPKT1_lilS7_lilS4_lPT3_lil.kd
    .uniform_work_group_size: 1
    .uses_dynamic_stack: false
    .vgpr_count:     36
    .vgpr_spill_count: 0
    .wavefront_size: 32
    .workgroup_processor_mode: 1
  - .args:
      - .offset:         0
        .size:           4
        .value_kind:     by_value
      - .offset:         4
        .size:           4
        .value_kind:     by_value
      - .offset:         8
        .size:           8
        .value_kind:     by_value
      - .offset:         16
        .size:           8
        .value_kind:     by_value
      - .address_space:  global
        .offset:         24
        .size:           8
        .value_kind:     global_buffer
      - .offset:         32
        .size:           8
        .value_kind:     by_value
      - .offset:         40
        .size:           4
        .value_kind:     by_value
      - .offset:         48
        .size:           8
        .value_kind:     by_value
      - .address_space:  global
        .offset:         56
        .size:           8
        .value_kind:     global_buffer
      - .offset:         64
        .size:           8
        .value_kind:     by_value
      - .offset:         72
        .size:           4
        .value_kind:     by_value
      - .offset:         80
        .size:           8
        .value_kind:     by_value
      - .offset:         88
        .size:           8
        .value_kind:     by_value
      - .offset:         96
        .size:           8
        .value_kind:     by_value
      - .address_space:  global
        .offset:         104
        .size:           8
        .value_kind:     global_buffer
      - .offset:         112
        .size:           8
        .value_kind:     by_value
      - .offset:         120
        .size:           4
        .value_kind:     by_value
      - .offset:         128
        .size:           8
        .value_kind:     by_value
    .group_segment_fixed_size: 512
    .kernarg_segment_align: 8
    .kernarg_segment_size: 136
    .language:       OpenCL C
    .language_version:
      - 2
      - 0
    .max_flat_workgroup_size: 256
    .name:           _ZL22rocblas_gemvtsm_kernelILb1ELi256EPKddKPdEviiT2_lPKT1_lilS7_lilS4_lPT3_lil
    .private_segment_fixed_size: 0
    .sgpr_count:     30
    .sgpr_spill_count: 0
    .symbol:         _ZL22rocblas_gemvtsm_kernelILb1ELi256EPKddKPdEviiT2_lPKT1_lilS7_lilS4_lPT3_lil.kd
    .uniform_work_group_size: 1
    .uses_dynamic_stack: false
    .vgpr_count:     36
    .vgpr_spill_count: 0
    .wavefront_size: 32
    .workgroup_processor_mode: 1
  - .args:
      - .offset:         0
        .size:           4
        .value_kind:     by_value
      - .offset:         4
        .size:           4
        .value_kind:     by_value
      - .address_space:  global
        .offset:         8
        .size:           8
        .value_kind:     global_buffer
      - .offset:         16
        .size:           8
        .value_kind:     by_value
      - .address_space:  global
        .offset:         24
        .size:           8
        .value_kind:     global_buffer
      - .offset:         32
        .size:           8
        .value_kind:     by_value
      - .offset:         40
        .size:           4
        .value_kind:     by_value
      - .offset:         48
        .size:           8
        .value_kind:     by_value
      - .address_space:  global
        .offset:         56
        .size:           8
        .value_kind:     global_buffer
      - .offset:         64
        .size:           8
        .value_kind:     by_value
      - .offset:         72
        .size:           4
        .value_kind:     by_value
      - .offset:         80
        .size:           8
        .value_kind:     by_value
      - .address_space:  global
        .offset:         88
        .size:           8
        .value_kind:     global_buffer
      - .offset:         96
        .size:           4
        .value_kind:     by_value
      - .offset:         104
        .size:           4
        .value_kind:     hidden_block_count_x
      - .offset:         108
        .size:           4
        .value_kind:     hidden_block_count_y
      - .offset:         112
        .size:           4
        .value_kind:     hidden_block_count_z
      - .offset:         116
        .size:           2
        .value_kind:     hidden_group_size_x
      - .offset:         118
        .size:           2
        .value_kind:     hidden_group_size_y
      - .offset:         120
        .size:           2
        .value_kind:     hidden_group_size_z
      - .offset:         122
        .size:           2
        .value_kind:     hidden_remainder_x
      - .offset:         124
        .size:           2
        .value_kind:     hidden_remainder_y
      - .offset:         126
        .size:           2
        .value_kind:     hidden_remainder_z
      - .offset:         144
        .size:           8
        .value_kind:     hidden_global_offset_x
      - .offset:         152
        .size:           8
        .value_kind:     hidden_global_offset_y
      - .offset:         160
        .size:           8
        .value_kind:     hidden_global_offset_z
      - .offset:         168
        .size:           2
        .value_kind:     hidden_grid_dims
    .group_segment_fixed_size: 256
    .kernarg_segment_align: 8
    .kernarg_segment_size: 360
    .language:       OpenCL C
    .language_version:
      - 2
      - 0
    .max_flat_workgroup_size: 256
    .name:           _ZL23rocblas_gemvt_sn_kernelILb1ELi256ELi4EiPKdS1_dEviiT4_lPKT3_lilS5_lilPT5_i
    .private_segment_fixed_size: 0
    .sgpr_count:     80
    .sgpr_spill_count: 0
    .symbol:         _ZL23rocblas_gemvt_sn_kernelILb1ELi256ELi4EiPKdS1_dEviiT4_lPKT3_lilS5_lilPT5_i.kd
    .uniform_work_group_size: 1
    .uses_dynamic_stack: false
    .vgpr_count:     77
    .vgpr_spill_count: 0
    .wavefront_size: 32
    .workgroup_processor_mode: 1
  - .args:
      - .offset:         0
        .size:           4
        .value_kind:     by_value
      - .offset:         4
        .size:           4
        .value_kind:     by_value
      - .address_space:  global
        .offset:         8
        .size:           8
        .value_kind:     global_buffer
      - .offset:         16
        .size:           8
        .value_kind:     by_value
      - .address_space:  global
        .offset:         24
        .size:           8
        .value_kind:     global_buffer
      - .offset:         32
        .size:           8
        .value_kind:     by_value
      - .offset:         40
        .size:           4
        .value_kind:     by_value
      - .offset:         48
        .size:           8
        .value_kind:     by_value
      - .address_space:  global
        .offset:         56
        .size:           8
        .value_kind:     global_buffer
      - .offset:         64
        .size:           8
        .value_kind:     by_value
      - .offset:         72
        .size:           4
        .value_kind:     by_value
      - .offset:         80
        .size:           8
        .value_kind:     by_value
      - .address_space:  global
        .offset:         88
        .size:           8
        .value_kind:     global_buffer
      - .offset:         96
        .size:           4
        .value_kind:     by_value
      - .offset:         104
        .size:           4
        .value_kind:     hidden_block_count_x
      - .offset:         108
        .size:           4
        .value_kind:     hidden_block_count_y
      - .offset:         112
        .size:           4
        .value_kind:     hidden_block_count_z
      - .offset:         116
        .size:           2
        .value_kind:     hidden_group_size_x
      - .offset:         118
        .size:           2
        .value_kind:     hidden_group_size_y
      - .offset:         120
        .size:           2
        .value_kind:     hidden_group_size_z
      - .offset:         122
        .size:           2
        .value_kind:     hidden_remainder_x
      - .offset:         124
        .size:           2
        .value_kind:     hidden_remainder_y
      - .offset:         126
        .size:           2
        .value_kind:     hidden_remainder_z
      - .offset:         144
        .size:           8
        .value_kind:     hidden_global_offset_x
      - .offset:         152
        .size:           8
        .value_kind:     hidden_global_offset_y
      - .offset:         160
        .size:           8
        .value_kind:     hidden_global_offset_z
      - .offset:         168
        .size:           2
        .value_kind:     hidden_grid_dims
    .group_segment_fixed_size: 256
    .kernarg_segment_align: 8
    .kernarg_segment_size: 360
    .language:       OpenCL C
    .language_version:
      - 2
      - 0
    .max_flat_workgroup_size: 256
    .name:           _ZL23rocblas_gemvt_sn_kernelILb1ELi256ELi4ElPKdS1_dEviiT4_lPKT3_lilS5_lilPT5_i
    .private_segment_fixed_size: 0
    .sgpr_count:     72
    .sgpr_spill_count: 0
    .symbol:         _ZL23rocblas_gemvt_sn_kernelILb1ELi256ELi4ElPKdS1_dEviiT4_lPKT3_lilS5_lilPT5_i.kd
    .uniform_work_group_size: 1
    .uses_dynamic_stack: false
    .vgpr_count:     78
    .vgpr_spill_count: 0
    .wavefront_size: 32
    .workgroup_processor_mode: 1
  - .args:
      - .offset:         0
        .size:           4
        .value_kind:     by_value
      - .offset:         4
        .size:           4
        .value_kind:     by_value
      - .offset:         8
        .size:           8
        .value_kind:     by_value
      - .offset:         16
        .size:           8
        .value_kind:     by_value
      - .address_space:  global
        .offset:         24
        .size:           8
        .value_kind:     global_buffer
      - .offset:         32
        .size:           8
        .value_kind:     by_value
      - .offset:         40
        .size:           4
        .value_kind:     by_value
      - .offset:         48
        .size:           8
        .value_kind:     by_value
      - .address_space:  global
        .offset:         56
        .size:           8
        .value_kind:     global_buffer
      - .offset:         64
        .size:           8
        .value_kind:     by_value
      - .offset:         72
        .size:           4
        .value_kind:     by_value
      - .offset:         80
        .size:           8
        .value_kind:     by_value
      - .address_space:  global
        .offset:         88
        .size:           8
        .value_kind:     global_buffer
      - .offset:         96
        .size:           4
        .value_kind:     by_value
      - .offset:         104
        .size:           4
        .value_kind:     hidden_block_count_x
      - .offset:         108
        .size:           4
        .value_kind:     hidden_block_count_y
      - .offset:         112
        .size:           4
        .value_kind:     hidden_block_count_z
      - .offset:         116
        .size:           2
        .value_kind:     hidden_group_size_x
      - .offset:         118
        .size:           2
        .value_kind:     hidden_group_size_y
      - .offset:         120
        .size:           2
        .value_kind:     hidden_group_size_z
      - .offset:         122
        .size:           2
        .value_kind:     hidden_remainder_x
      - .offset:         124
        .size:           2
        .value_kind:     hidden_remainder_y
      - .offset:         126
        .size:           2
        .value_kind:     hidden_remainder_z
      - .offset:         144
        .size:           8
        .value_kind:     hidden_global_offset_x
      - .offset:         152
        .size:           8
        .value_kind:     hidden_global_offset_y
      - .offset:         160
        .size:           8
        .value_kind:     hidden_global_offset_z
      - .offset:         168
        .size:           2
        .value_kind:     hidden_grid_dims
    .group_segment_fixed_size: 256
    .kernarg_segment_align: 8
    .kernarg_segment_size: 360
    .language:       OpenCL C
    .language_version:
      - 2
      - 0
    .max_flat_workgroup_size: 256
    .name:           _ZL23rocblas_gemvt_sn_kernelILb1ELi256ELi4EiPKdddEviiT4_lPKT3_lilS5_lilPT5_i
    .private_segment_fixed_size: 0
    .sgpr_count:     76
    .sgpr_spill_count: 0
    .symbol:         _ZL23rocblas_gemvt_sn_kernelILb1ELi256ELi4EiPKdddEviiT4_lPKT3_lilS5_lilPT5_i.kd
    .uniform_work_group_size: 1
    .uses_dynamic_stack: false
    .vgpr_count:     75
    .vgpr_spill_count: 0
    .wavefront_size: 32
    .workgroup_processor_mode: 1
  - .args:
      - .offset:         0
        .size:           4
        .value_kind:     by_value
      - .offset:         4
        .size:           4
        .value_kind:     by_value
      - .offset:         8
        .size:           8
        .value_kind:     by_value
      - .offset:         16
        .size:           8
        .value_kind:     by_value
      - .address_space:  global
        .offset:         24
        .size:           8
        .value_kind:     global_buffer
      - .offset:         32
        .size:           8
        .value_kind:     by_value
      - .offset:         40
        .size:           4
        .value_kind:     by_value
      - .offset:         48
        .size:           8
        .value_kind:     by_value
      - .address_space:  global
        .offset:         56
        .size:           8
        .value_kind:     global_buffer
      - .offset:         64
        .size:           8
        .value_kind:     by_value
      - .offset:         72
        .size:           4
        .value_kind:     by_value
      - .offset:         80
        .size:           8
        .value_kind:     by_value
      - .address_space:  global
        .offset:         88
        .size:           8
        .value_kind:     global_buffer
      - .offset:         96
        .size:           4
        .value_kind:     by_value
      - .offset:         104
        .size:           4
        .value_kind:     hidden_block_count_x
      - .offset:         108
        .size:           4
        .value_kind:     hidden_block_count_y
      - .offset:         112
        .size:           4
        .value_kind:     hidden_block_count_z
      - .offset:         116
        .size:           2
        .value_kind:     hidden_group_size_x
      - .offset:         118
        .size:           2
        .value_kind:     hidden_group_size_y
      - .offset:         120
        .size:           2
        .value_kind:     hidden_group_size_z
      - .offset:         122
        .size:           2
        .value_kind:     hidden_remainder_x
      - .offset:         124
        .size:           2
        .value_kind:     hidden_remainder_y
      - .offset:         126
        .size:           2
        .value_kind:     hidden_remainder_z
      - .offset:         144
        .size:           8
        .value_kind:     hidden_global_offset_x
      - .offset:         152
        .size:           8
        .value_kind:     hidden_global_offset_y
      - .offset:         160
        .size:           8
        .value_kind:     hidden_global_offset_z
      - .offset:         168
        .size:           2
        .value_kind:     hidden_grid_dims
    .group_segment_fixed_size: 256
    .kernarg_segment_align: 8
    .kernarg_segment_size: 360
    .language:       OpenCL C
    .language_version:
      - 2
      - 0
    .max_flat_workgroup_size: 256
    .name:           _ZL23rocblas_gemvt_sn_kernelILb1ELi256ELi4ElPKdddEviiT4_lPKT3_lilS5_lilPT5_i
    .private_segment_fixed_size: 0
    .sgpr_count:     66
    .sgpr_spill_count: 0
    .symbol:         _ZL23rocblas_gemvt_sn_kernelILb1ELi256ELi4ElPKdddEviiT4_lPKT3_lilS5_lilPT5_i.kd
    .uniform_work_group_size: 1
    .uses_dynamic_stack: false
    .vgpr_count:     76
    .vgpr_spill_count: 0
    .wavefront_size: 32
    .workgroup_processor_mode: 1
  - .args:
      - .offset:         0
        .size:           4
        .value_kind:     by_value
      - .offset:         4
        .size:           4
        .value_kind:     by_value
      - .address_space:  global
        .offset:         8
        .size:           8
        .value_kind:     global_buffer
      - .offset:         16
        .size:           8
        .value_kind:     by_value
      - .address_space:  global
        .offset:         24
        .size:           8
        .value_kind:     global_buffer
      - .offset:         32
        .size:           8
        .value_kind:     by_value
      - .offset:         40
        .size:           4
        .value_kind:     by_value
      - .offset:         48
        .size:           8
        .value_kind:     by_value
      - .address_space:  global
        .offset:         56
        .size:           8
        .value_kind:     global_buffer
      - .offset:         64
        .size:           8
        .value_kind:     by_value
      - .offset:         72
        .size:           4
        .value_kind:     by_value
      - .offset:         80
        .size:           8
        .value_kind:     by_value
      - .address_space:  global
        .offset:         88
        .size:           8
        .value_kind:     global_buffer
      - .offset:         96
        .size:           8
        .value_kind:     by_value
      - .offset:         104
        .size:           4
        .value_kind:     by_value
      - .offset:         112
        .size:           8
        .value_kind:     by_value
      - .offset:         120
        .size:           4
        .value_kind:     by_value
      - .offset:         128
        .size:           4
        .value_kind:     hidden_block_count_x
      - .offset:         132
        .size:           4
        .value_kind:     hidden_block_count_y
      - .offset:         136
        .size:           4
        .value_kind:     hidden_block_count_z
      - .offset:         140
        .size:           2
        .value_kind:     hidden_group_size_x
      - .offset:         142
        .size:           2
        .value_kind:     hidden_group_size_y
      - .offset:         144
        .size:           2
        .value_kind:     hidden_group_size_z
      - .offset:         146
        .size:           2
        .value_kind:     hidden_remainder_x
      - .offset:         148
        .size:           2
        .value_kind:     hidden_remainder_y
      - .offset:         150
        .size:           2
        .value_kind:     hidden_remainder_z
      - .offset:         168
        .size:           8
        .value_kind:     hidden_global_offset_x
      - .offset:         176
        .size:           8
        .value_kind:     hidden_global_offset_y
      - .offset:         184
        .size:           8
        .value_kind:     hidden_global_offset_z
      - .offset:         192
        .size:           2
        .value_kind:     hidden_grid_dims
    .group_segment_fixed_size: 65536
    .kernarg_segment_align: 8
    .kernarg_segment_size: 384
    .language:       OpenCL C
    .language_version:
      - 2
      - 0
    .max_flat_workgroup_size: 512
    .name:           _ZL36rocblas_gemvt_double_buffered_kernelILb1ELi128ELi4ELi16EPKdS1_KPdEviiT4_lPKT3_lilS7_lilPT5_lili
    .private_segment_fixed_size: 100
    .sgpr_count:     50
    .sgpr_spill_count: 0
    .symbol:         _ZL36rocblas_gemvt_double_buffered_kernelILb1ELi128ELi4ELi16EPKdS1_KPdEviiT4_lPKT3_lilS7_lilPT5_lili.kd
    .uniform_work_group_size: 1
    .uses_dynamic_stack: false
    .vgpr_count:     256
    .vgpr_spill_count: 24
    .wavefront_size: 32
    .workgroup_processor_mode: 1
  - .args:
      - .offset:         0
        .size:           4
        .value_kind:     by_value
      - .offset:         4
        .size:           4
        .value_kind:     by_value
      - .offset:         8
        .size:           8
        .value_kind:     by_value
      - .offset:         16
        .size:           8
        .value_kind:     by_value
      - .address_space:  global
        .offset:         24
        .size:           8
        .value_kind:     global_buffer
      - .offset:         32
        .size:           8
        .value_kind:     by_value
      - .offset:         40
        .size:           4
        .value_kind:     by_value
      - .offset:         48
        .size:           8
        .value_kind:     by_value
      - .address_space:  global
        .offset:         56
        .size:           8
        .value_kind:     global_buffer
      - .offset:         64
        .size:           8
        .value_kind:     by_value
      - .offset:         72
        .size:           4
        .value_kind:     by_value
      - .offset:         80
        .size:           8
        .value_kind:     by_value
      - .address_space:  global
        .offset:         88
        .size:           8
        .value_kind:     global_buffer
      - .offset:         96
        .size:           8
        .value_kind:     by_value
      - .offset:         104
        .size:           4
        .value_kind:     by_value
      - .offset:         112
        .size:           8
        .value_kind:     by_value
      - .offset:         120
        .size:           4
        .value_kind:     by_value
      - .offset:         128
        .size:           4
        .value_kind:     hidden_block_count_x
      - .offset:         132
        .size:           4
        .value_kind:     hidden_block_count_y
      - .offset:         136
        .size:           4
        .value_kind:     hidden_block_count_z
      - .offset:         140
        .size:           2
        .value_kind:     hidden_group_size_x
      - .offset:         142
        .size:           2
        .value_kind:     hidden_group_size_y
      - .offset:         144
        .size:           2
        .value_kind:     hidden_group_size_z
      - .offset:         146
        .size:           2
        .value_kind:     hidden_remainder_x
      - .offset:         148
        .size:           2
        .value_kind:     hidden_remainder_y
      - .offset:         150
        .size:           2
        .value_kind:     hidden_remainder_z
      - .offset:         168
        .size:           8
        .value_kind:     hidden_global_offset_x
      - .offset:         176
        .size:           8
        .value_kind:     hidden_global_offset_y
      - .offset:         184
        .size:           8
        .value_kind:     hidden_global_offset_z
      - .offset:         192
        .size:           2
        .value_kind:     hidden_grid_dims
    .group_segment_fixed_size: 65536
    .kernarg_segment_align: 8
    .kernarg_segment_size: 384
    .language:       OpenCL C
    .language_version:
      - 2
      - 0
    .max_flat_workgroup_size: 512
    .name:           _ZL36rocblas_gemvt_double_buffered_kernelILb1ELi128ELi4ELi16EPKddKPdEviiT4_lPKT3_lilS7_lilPT5_lili
    .private_segment_fixed_size: 92
    .sgpr_count:     50
    .sgpr_spill_count: 0
    .symbol:         _ZL36rocblas_gemvt_double_buffered_kernelILb1ELi128ELi4ELi16EPKddKPdEviiT4_lPKT3_lilS7_lilPT5_lili.kd
    .uniform_work_group_size: 1
    .uses_dynamic_stack: false
    .vgpr_count:     256
    .vgpr_spill_count: 22
    .wavefront_size: 32
    .workgroup_processor_mode: 1
  - .args:
      - .offset:         0
        .size:           4
        .value_kind:     by_value
      - .offset:         4
        .size:           4
        .value_kind:     by_value
      - .address_space:  global
        .offset:         8
        .size:           8
        .value_kind:     global_buffer
      - .offset:         16
        .size:           8
        .value_kind:     by_value
      - .address_space:  global
        .offset:         24
        .size:           8
        .value_kind:     global_buffer
      - .offset:         32
        .size:           8
        .value_kind:     by_value
      - .offset:         40
        .size:           4
        .value_kind:     by_value
      - .offset:         48
        .size:           8
        .value_kind:     by_value
      - .address_space:  global
        .offset:         56
        .size:           8
        .value_kind:     global_buffer
      - .offset:         64
        .size:           8
        .value_kind:     by_value
      - .offset:         72
        .size:           4
        .value_kind:     by_value
      - .offset:         80
        .size:           8
        .value_kind:     by_value
      - .address_space:  global
        .offset:         88
        .size:           8
        .value_kind:     global_buffer
      - .offset:         96
        .size:           8
        .value_kind:     by_value
      - .address_space:  global
        .offset:         104
        .size:           8
        .value_kind:     global_buffer
      - .offset:         112
        .size:           8
        .value_kind:     by_value
      - .offset:         120
        .size:           4
        .value_kind:     by_value
      - .offset:         128
        .size:           8
        .value_kind:     by_value
      - .offset:         136
        .size:           4
        .value_kind:     by_value
    .group_segment_fixed_size: 2048
    .kernarg_segment_align: 8
    .kernarg_segment_size: 140
    .language:       OpenCL C
    .language_version:
      - 2
      - 0
    .max_flat_workgroup_size: 256
    .name:           _ZL20rocblas_gemvt_kernelILb1ELi256EPKdS1_KPdEviiT2_lPKT1_lilS7_lilS4_lPT3_lili
    .private_segment_fixed_size: 0
    .sgpr_count:     52
    .sgpr_spill_count: 0
    .symbol:         _ZL20rocblas_gemvt_kernelILb1ELi256EPKdS1_KPdEviiT2_lPKT1_lilS7_lilS4_lPT3_lili.kd
    .uniform_work_group_size: 1
    .uses_dynamic_stack: false
    .vgpr_count:     27
    .vgpr_spill_count: 0
    .wavefront_size: 32
    .workgroup_processor_mode: 1
  - .args:
      - .offset:         0
        .size:           4
        .value_kind:     by_value
      - .offset:         4
        .size:           4
        .value_kind:     by_value
      - .offset:         8
        .size:           8
        .value_kind:     by_value
      - .offset:         16
        .size:           8
        .value_kind:     by_value
      - .address_space:  global
        .offset:         24
        .size:           8
        .value_kind:     global_buffer
      - .offset:         32
        .size:           8
        .value_kind:     by_value
      - .offset:         40
        .size:           4
        .value_kind:     by_value
      - .offset:         48
        .size:           8
        .value_kind:     by_value
      - .address_space:  global
        .offset:         56
        .size:           8
        .value_kind:     global_buffer
      - .offset:         64
        .size:           8
        .value_kind:     by_value
      - .offset:         72
        .size:           4
        .value_kind:     by_value
      - .offset:         80
        .size:           8
        .value_kind:     by_value
      - .offset:         88
        .size:           8
        .value_kind:     by_value
      - .offset:         96
        .size:           8
        .value_kind:     by_value
      - .address_space:  global
        .offset:         104
        .size:           8
        .value_kind:     global_buffer
      - .offset:         112
        .size:           8
        .value_kind:     by_value
      - .offset:         120
        .size:           4
        .value_kind:     by_value
      - .offset:         128
        .size:           8
        .value_kind:     by_value
      - .offset:         136
        .size:           4
        .value_kind:     by_value
    .group_segment_fixed_size: 2048
    .kernarg_segment_align: 8
    .kernarg_segment_size: 140
    .language:       OpenCL C
    .language_version:
      - 2
      - 0
    .max_flat_workgroup_size: 256
    .name:           _ZL20rocblas_gemvt_kernelILb1ELi256EPKddKPdEviiT2_lPKT1_lilS7_lilS4_lPT3_lili
    .private_segment_fixed_size: 0
    .sgpr_count:     48
    .sgpr_spill_count: 0
    .symbol:         _ZL20rocblas_gemvt_kernelILb1ELi256EPKddKPdEviiT2_lPKT1_lilS7_lilS4_lPT3_lili.kd
    .uniform_work_group_size: 1
    .uses_dynamic_stack: false
    .vgpr_count:     24
    .vgpr_spill_count: 0
    .wavefront_size: 32
    .workgroup_processor_mode: 1
  - .args:
      - .offset:         0
        .size:           4
        .value_kind:     by_value
      - .offset:         4
        .size:           4
        .value_kind:     by_value
      - .address_space:  global
        .offset:         8
        .size:           8
        .value_kind:     global_buffer
      - .offset:         16
        .size:           8
        .value_kind:     by_value
      - .address_space:  global
        .offset:         24
        .size:           8
        .value_kind:     global_buffer
      - .offset:         32
        .size:           8
        .value_kind:     by_value
      - .offset:         40
        .size:           4
        .value_kind:     by_value
      - .offset:         48
        .size:           8
        .value_kind:     by_value
      - .address_space:  global
        .offset:         56
        .size:           8
        .value_kind:     global_buffer
      - .offset:         64
        .size:           8
        .value_kind:     by_value
      - .offset:         72
        .size:           4
        .value_kind:     by_value
      - .offset:         80
        .size:           8
        .value_kind:     by_value
      - .address_space:  global
        .offset:         88
        .size:           8
        .value_kind:     global_buffer
      - .offset:         96
        .size:           8
        .value_kind:     by_value
      - .address_space:  global
        .offset:         104
        .size:           8
        .value_kind:     global_buffer
      - .offset:         112
        .size:           8
        .value_kind:     by_value
      - .offset:         120
        .size:           4
        .value_kind:     by_value
      - .offset:         128
        .size:           8
        .value_kind:     by_value
      - .offset:         136
        .size:           4
        .value_kind:     by_value
    .group_segment_fixed_size: 256
    .kernarg_segment_align: 8
    .kernarg_segment_size: 140
    .language:       OpenCL C
    .language_version:
      - 2
      - 0
    .max_flat_workgroup_size: 1024
    .name:           _ZL32rocblas_gemvt_warp_reduce_kernelILb1ELi1024EiPKdS1_KPdEviiT3_lPKT2_lT1_lS7_lS8_lS4_lPT4_lS8_li
    .private_segment_fixed_size: 0
    .sgpr_count:     46
    .sgpr_spill_count: 0
    .symbol:         _ZL32rocblas_gemvt_warp_reduce_kernelILb1ELi1024EiPKdS1_KPdEviiT3_lPKT2_lT1_lS7_lS8_lS4_lPT4_lS8_li.kd
    .uniform_work_group_size: 1
    .uses_dynamic_stack: false
    .vgpr_count:     31
    .vgpr_spill_count: 0
    .wavefront_size: 32
    .workgroup_processor_mode: 1
  - .args:
      - .offset:         0
        .size:           4
        .value_kind:     by_value
      - .offset:         4
        .size:           4
        .value_kind:     by_value
      - .address_space:  global
        .offset:         8
        .size:           8
        .value_kind:     global_buffer
      - .offset:         16
        .size:           8
        .value_kind:     by_value
      - .address_space:  global
        .offset:         24
        .size:           8
        .value_kind:     global_buffer
      - .offset:         32
        .size:           8
        .value_kind:     by_value
      - .offset:         40
        .size:           8
        .value_kind:     by_value
      - .offset:         48
        .size:           8
        .value_kind:     by_value
      - .address_space:  global
        .offset:         56
        .size:           8
        .value_kind:     global_buffer
      - .offset:         64
        .size:           8
        .value_kind:     by_value
      - .offset:         72
        .size:           8
        .value_kind:     by_value
      - .offset:         80
        .size:           8
        .value_kind:     by_value
      - .address_space:  global
        .offset:         88
        .size:           8
        .value_kind:     global_buffer
      - .offset:         96
        .size:           8
        .value_kind:     by_value
      - .address_space:  global
        .offset:         104
        .size:           8
        .value_kind:     global_buffer
      - .offset:         112
        .size:           8
        .value_kind:     by_value
      - .offset:         120
        .size:           8
        .value_kind:     by_value
      - .offset:         128
        .size:           8
        .value_kind:     by_value
      - .offset:         136
        .size:           4
        .value_kind:     by_value
    .group_segment_fixed_size: 256
    .kernarg_segment_align: 8
    .kernarg_segment_size: 140
    .language:       OpenCL C
    .language_version:
      - 2
      - 0
    .max_flat_workgroup_size: 1024
    .name:           _ZL32rocblas_gemvt_warp_reduce_kernelILb1ELi1024ElPKdS1_KPdEviiT3_lPKT2_lT1_lS7_lS8_lS4_lPT4_lS8_li
    .private_segment_fixed_size: 0
    .sgpr_count:     48
    .sgpr_spill_count: 0
    .symbol:         _ZL32rocblas_gemvt_warp_reduce_kernelILb1ELi1024ElPKdS1_KPdEviiT3_lPKT2_lT1_lS7_lS8_lS4_lPT4_lS8_li.kd
    .uniform_work_group_size: 1
    .uses_dynamic_stack: false
    .vgpr_count:     32
    .vgpr_spill_count: 0
    .wavefront_size: 32
    .workgroup_processor_mode: 1
  - .args:
      - .offset:         0
        .size:           4
        .value_kind:     by_value
      - .offset:         4
        .size:           4
        .value_kind:     by_value
      - .offset:         8
        .size:           8
        .value_kind:     by_value
      - .offset:         16
        .size:           8
        .value_kind:     by_value
      - .address_space:  global
        .offset:         24
        .size:           8
        .value_kind:     global_buffer
      - .offset:         32
        .size:           8
        .value_kind:     by_value
      - .offset:         40
        .size:           4
        .value_kind:     by_value
      - .offset:         48
        .size:           8
        .value_kind:     by_value
      - .address_space:  global
        .offset:         56
        .size:           8
        .value_kind:     global_buffer
      - .offset:         64
        .size:           8
        .value_kind:     by_value
      - .offset:         72
        .size:           4
        .value_kind:     by_value
      - .offset:         80
        .size:           8
        .value_kind:     by_value
      - .offset:         88
        .size:           8
        .value_kind:     by_value
      - .offset:         96
        .size:           8
        .value_kind:     by_value
      - .address_space:  global
        .offset:         104
        .size:           8
        .value_kind:     global_buffer
      - .offset:         112
        .size:           8
        .value_kind:     by_value
      - .offset:         120
        .size:           4
        .value_kind:     by_value
      - .offset:         128
        .size:           8
        .value_kind:     by_value
      - .offset:         136
        .size:           4
        .value_kind:     by_value
    .group_segment_fixed_size: 256
    .kernarg_segment_align: 8
    .kernarg_segment_size: 140
    .language:       OpenCL C
    .language_version:
      - 2
      - 0
    .max_flat_workgroup_size: 1024
    .name:           _ZL32rocblas_gemvt_warp_reduce_kernelILb1ELi1024EiPKddKPdEviiT3_lPKT2_lT1_lS7_lS8_lS4_lPT4_lS8_li
    .private_segment_fixed_size: 0
    .sgpr_count:     42
    .sgpr_spill_count: 0
    .symbol:         _ZL32rocblas_gemvt_warp_reduce_kernelILb1ELi1024EiPKddKPdEviiT3_lPKT2_lT1_lS7_lS8_lS4_lPT4_lS8_li.kd
    .uniform_work_group_size: 1
    .uses_dynamic_stack: false
    .vgpr_count:     28
    .vgpr_spill_count: 0
    .wavefront_size: 32
    .workgroup_processor_mode: 1
  - .args:
      - .offset:         0
        .size:           4
        .value_kind:     by_value
      - .offset:         4
        .size:           4
        .value_kind:     by_value
      - .offset:         8
        .size:           8
        .value_kind:     by_value
      - .offset:         16
        .size:           8
        .value_kind:     by_value
      - .address_space:  global
        .offset:         24
        .size:           8
        .value_kind:     global_buffer
      - .offset:         32
        .size:           8
        .value_kind:     by_value
      - .offset:         40
        .size:           8
        .value_kind:     by_value
      - .offset:         48
        .size:           8
        .value_kind:     by_value
      - .address_space:  global
        .offset:         56
        .size:           8
        .value_kind:     global_buffer
      - .offset:         64
        .size:           8
        .value_kind:     by_value
      - .offset:         72
        .size:           8
        .value_kind:     by_value
      - .offset:         80
        .size:           8
        .value_kind:     by_value
      - .offset:         88
        .size:           8
        .value_kind:     by_value
      - .offset:         96
        .size:           8
        .value_kind:     by_value
      - .address_space:  global
        .offset:         104
        .size:           8
        .value_kind:     global_buffer
      - .offset:         112
        .size:           8
        .value_kind:     by_value
      - .offset:         120
        .size:           8
        .value_kind:     by_value
      - .offset:         128
        .size:           8
        .value_kind:     by_value
      - .offset:         136
        .size:           4
        .value_kind:     by_value
    .group_segment_fixed_size: 256
    .kernarg_segment_align: 8
    .kernarg_segment_size: 140
    .language:       OpenCL C
    .language_version:
      - 2
      - 0
    .max_flat_workgroup_size: 1024
    .name:           _ZL32rocblas_gemvt_warp_reduce_kernelILb1ELi1024ElPKddKPdEviiT3_lPKT2_lT1_lS7_lS8_lS4_lPT4_lS8_li
    .private_segment_fixed_size: 0
    .sgpr_count:     44
    .sgpr_spill_count: 0
    .symbol:         _ZL32rocblas_gemvt_warp_reduce_kernelILb1ELi1024ElPKddKPdEviiT3_lPKT2_lT1_lS7_lS8_lS4_lPT4_lS8_li.kd
    .uniform_work_group_size: 1
    .uses_dynamic_stack: false
    .vgpr_count:     29
    .vgpr_spill_count: 0
    .wavefront_size: 32
    .workgroup_processor_mode: 1
  - .args:
      - .offset:         0
        .size:           4
        .value_kind:     by_value
      - .offset:         4
        .size:           4
        .value_kind:     by_value
      - .address_space:  global
        .offset:         8
        .size:           8
        .value_kind:     global_buffer
      - .offset:         16
        .size:           8
        .value_kind:     by_value
      - .address_space:  global
        .offset:         24
        .size:           8
        .value_kind:     global_buffer
      - .offset:         32
        .size:           8
        .value_kind:     by_value
      - .offset:         40
        .size:           4
        .value_kind:     by_value
      - .offset:         48
        .size:           8
        .value_kind:     by_value
      - .address_space:  global
        .offset:         56
        .size:           8
        .value_kind:     global_buffer
      - .offset:         64
        .size:           8
        .value_kind:     by_value
      - .offset:         72
        .size:           4
        .value_kind:     by_value
      - .offset:         80
        .size:           8
        .value_kind:     by_value
      - .address_space:  global
        .offset:         88
        .size:           8
        .value_kind:     global_buffer
      - .offset:         96
        .size:           8
        .value_kind:     by_value
      - .address_space:  global
        .offset:         104
        .size:           8
        .value_kind:     global_buffer
      - .offset:         112
        .size:           8
        .value_kind:     by_value
      - .offset:         120
        .size:           4
        .value_kind:     by_value
      - .offset:         128
        .size:           8
        .value_kind:     by_value
      - .offset:         136
        .size:           4
        .value_kind:     by_value
    .group_segment_fixed_size: 0
    .kernarg_segment_align: 8
    .kernarg_segment_size: 140
    .language:       OpenCL C
    .language_version:
      - 2
      - 0
    .max_flat_workgroup_size: 768
    .name:           _ZL34rocblas_gemvn_sm_mn_batched_kernelILi32ELi24EPK19rocblas_complex_numIfES3_KPS1_EviiT2_lPKT1_lilS9_lilS6_lPT3_lili
    .private_segment_fixed_size: 0
    .sgpr_count:     0
    .sgpr_spill_count: 0
    .symbol:         _ZL34rocblas_gemvn_sm_mn_batched_kernelILi32ELi24EPK19rocblas_complex_numIfES3_KPS1_EviiT2_lPKT1_lilS9_lilS6_lPT3_lili.kd
    .uniform_work_group_size: 1
    .uses_dynamic_stack: false
    .vgpr_count:     0
    .vgpr_spill_count: 0
    .wavefront_size: 32
    .workgroup_processor_mode: 1
  - .args:
      - .offset:         0
        .size:           4
        .value_kind:     by_value
      - .offset:         4
        .size:           4
        .value_kind:     by_value
      - .offset:         8
        .size:           8
        .value_kind:     by_value
      - .offset:         16
        .size:           8
        .value_kind:     by_value
      - .address_space:  global
        .offset:         24
        .size:           8
        .value_kind:     global_buffer
      - .offset:         32
        .size:           8
        .value_kind:     by_value
      - .offset:         40
        .size:           4
        .value_kind:     by_value
      - .offset:         48
        .size:           8
        .value_kind:     by_value
      - .address_space:  global
        .offset:         56
        .size:           8
        .value_kind:     global_buffer
      - .offset:         64
        .size:           8
        .value_kind:     by_value
      - .offset:         72
        .size:           4
        .value_kind:     by_value
      - .offset:         80
        .size:           8
        .value_kind:     by_value
      - .offset:         88
        .size:           8
        .value_kind:     by_value
      - .offset:         96
        .size:           8
        .value_kind:     by_value
      - .address_space:  global
        .offset:         104
        .size:           8
        .value_kind:     global_buffer
      - .offset:         112
        .size:           8
        .value_kind:     by_value
      - .offset:         120
        .size:           4
        .value_kind:     by_value
      - .offset:         128
        .size:           8
        .value_kind:     by_value
      - .offset:         136
        .size:           4
        .value_kind:     by_value
    .group_segment_fixed_size: 0
    .kernarg_segment_align: 8
    .kernarg_segment_size: 140
    .language:       OpenCL C
    .language_version:
      - 2
      - 0
    .max_flat_workgroup_size: 768
    .name:           _ZL34rocblas_gemvn_sm_mn_batched_kernelILi32ELi24EPK19rocblas_complex_numIfES1_KPS1_EviiT2_lPKT1_lilS9_lilS6_lPT3_lili
    .private_segment_fixed_size: 0
    .sgpr_count:     0
    .sgpr_spill_count: 0
    .symbol:         _ZL34rocblas_gemvn_sm_mn_batched_kernelILi32ELi24EPK19rocblas_complex_numIfES1_KPS1_EviiT2_lPKT1_lilS9_lilS6_lPT3_lili.kd
    .uniform_work_group_size: 1
    .uses_dynamic_stack: false
    .vgpr_count:     0
    .vgpr_spill_count: 0
    .wavefront_size: 32
    .workgroup_processor_mode: 1
  - .args:
      - .offset:         0
        .size:           4
        .value_kind:     by_value
      - .offset:         4
        .size:           4
        .value_kind:     by_value
      - .address_space:  global
        .offset:         8
        .size:           8
        .value_kind:     global_buffer
      - .offset:         16
        .size:           8
        .value_kind:     by_value
      - .address_space:  global
        .offset:         24
        .size:           8
        .value_kind:     global_buffer
      - .offset:         32
        .size:           8
        .value_kind:     by_value
      - .offset:         40
        .size:           4
        .value_kind:     by_value
      - .offset:         48
        .size:           8
        .value_kind:     by_value
      - .address_space:  global
        .offset:         56
        .size:           8
        .value_kind:     global_buffer
      - .offset:         64
        .size:           8
        .value_kind:     by_value
      - .offset:         72
        .size:           4
        .value_kind:     by_value
      - .offset:         80
        .size:           8
        .value_kind:     by_value
      - .address_space:  global
        .offset:         88
        .size:           8
        .value_kind:     global_buffer
      - .offset:         96
        .size:           8
        .value_kind:     by_value
      - .address_space:  global
        .offset:         104
        .size:           8
        .value_kind:     global_buffer
      - .offset:         112
        .size:           8
        .value_kind:     by_value
      - .offset:         120
        .size:           4
        .value_kind:     by_value
      - .offset:         128
        .size:           8
        .value_kind:     by_value
      - .offset:         136
        .size:           4
        .value_kind:     by_value
      - .offset:         144
        .size:           4
        .value_kind:     hidden_block_count_x
      - .offset:         148
        .size:           4
        .value_kind:     hidden_block_count_y
      - .offset:         152
        .size:           4
        .value_kind:     hidden_block_count_z
      - .offset:         156
        .size:           2
        .value_kind:     hidden_group_size_x
      - .offset:         158
        .size:           2
        .value_kind:     hidden_group_size_y
      - .offset:         160
        .size:           2
        .value_kind:     hidden_group_size_z
      - .offset:         162
        .size:           2
        .value_kind:     hidden_remainder_x
      - .offset:         164
        .size:           2
        .value_kind:     hidden_remainder_y
      - .offset:         166
        .size:           2
        .value_kind:     hidden_remainder_z
      - .offset:         184
        .size:           8
        .value_kind:     hidden_global_offset_x
      - .offset:         192
        .size:           8
        .value_kind:     hidden_global_offset_y
      - .offset:         200
        .size:           8
        .value_kind:     hidden_global_offset_z
      - .offset:         208
        .size:           2
        .value_kind:     hidden_grid_dims
    .group_segment_fixed_size: 8192
    .kernarg_segment_align: 8
    .kernarg_segment_size: 400
    .language:       OpenCL C
    .language_version:
      - 2
      - 0
    .max_flat_workgroup_size: 256
    .name:           _ZL20rocblas_gemvn_kernelILi64ELi4EiPK19rocblas_complex_numIfES3_KPS1_EviiT3_lPKT2_lT1_lS9_lSA_lS6_lPT4_lSA_li
    .private_segment_fixed_size: 0
    .sgpr_count:     53
    .sgpr_spill_count: 0
    .symbol:         _ZL20rocblas_gemvn_kernelILi64ELi4EiPK19rocblas_complex_numIfES3_KPS1_EviiT3_lPKT2_lT1_lS9_lSA_lS6_lPT4_lSA_li.kd
    .uniform_work_group_size: 1
    .uses_dynamic_stack: false
    .vgpr_count:     79
    .vgpr_spill_count: 0
    .wavefront_size: 32
    .workgroup_processor_mode: 1
  - .args:
      - .offset:         0
        .size:           4
        .value_kind:     by_value
      - .offset:         4
        .size:           4
        .value_kind:     by_value
      - .address_space:  global
        .offset:         8
        .size:           8
        .value_kind:     global_buffer
      - .offset:         16
        .size:           8
        .value_kind:     by_value
      - .address_space:  global
        .offset:         24
        .size:           8
        .value_kind:     global_buffer
      - .offset:         32
        .size:           8
        .value_kind:     by_value
      - .offset:         40
        .size:           8
        .value_kind:     by_value
      - .offset:         48
        .size:           8
        .value_kind:     by_value
      - .address_space:  global
        .offset:         56
        .size:           8
        .value_kind:     global_buffer
      - .offset:         64
        .size:           8
        .value_kind:     by_value
      - .offset:         72
        .size:           8
        .value_kind:     by_value
      - .offset:         80
        .size:           8
        .value_kind:     by_value
      - .address_space:  global
        .offset:         88
        .size:           8
        .value_kind:     global_buffer
      - .offset:         96
        .size:           8
        .value_kind:     by_value
      - .address_space:  global
        .offset:         104
        .size:           8
        .value_kind:     global_buffer
      - .offset:         112
        .size:           8
        .value_kind:     by_value
      - .offset:         120
        .size:           8
        .value_kind:     by_value
      - .offset:         128
        .size:           8
        .value_kind:     by_value
      - .offset:         136
        .size:           4
        .value_kind:     by_value
      - .offset:         144
        .size:           4
        .value_kind:     hidden_block_count_x
      - .offset:         148
        .size:           4
        .value_kind:     hidden_block_count_y
      - .offset:         152
        .size:           4
        .value_kind:     hidden_block_count_z
      - .offset:         156
        .size:           2
        .value_kind:     hidden_group_size_x
      - .offset:         158
        .size:           2
        .value_kind:     hidden_group_size_y
      - .offset:         160
        .size:           2
        .value_kind:     hidden_group_size_z
      - .offset:         162
        .size:           2
        .value_kind:     hidden_remainder_x
      - .offset:         164
        .size:           2
        .value_kind:     hidden_remainder_y
      - .offset:         166
        .size:           2
        .value_kind:     hidden_remainder_z
      - .offset:         184
        .size:           8
        .value_kind:     hidden_global_offset_x
      - .offset:         192
        .size:           8
        .value_kind:     hidden_global_offset_y
      - .offset:         200
        .size:           8
        .value_kind:     hidden_global_offset_z
      - .offset:         208
        .size:           2
        .value_kind:     hidden_grid_dims
    .group_segment_fixed_size: 8192
    .kernarg_segment_align: 8
    .kernarg_segment_size: 400
    .language:       OpenCL C
    .language_version:
      - 2
      - 0
    .max_flat_workgroup_size: 256
    .name:           _ZL20rocblas_gemvn_kernelILi64ELi4ElPK19rocblas_complex_numIfES3_KPS1_EviiT3_lPKT2_lT1_lS9_lSA_lS6_lPT4_lSA_li
    .private_segment_fixed_size: 0
    .sgpr_count:     57
    .sgpr_spill_count: 0
    .symbol:         _ZL20rocblas_gemvn_kernelILi64ELi4ElPK19rocblas_complex_numIfES3_KPS1_EviiT3_lPKT2_lT1_lS9_lSA_lS6_lPT4_lSA_li.kd
    .uniform_work_group_size: 1
    .uses_dynamic_stack: false
    .vgpr_count:     88
    .vgpr_spill_count: 0
    .wavefront_size: 32
    .workgroup_processor_mode: 1
  - .args:
      - .offset:         0
        .size:           4
        .value_kind:     by_value
      - .offset:         4
        .size:           4
        .value_kind:     by_value
      - .offset:         8
        .size:           8
        .value_kind:     by_value
      - .offset:         16
        .size:           8
        .value_kind:     by_value
      - .address_space:  global
        .offset:         24
        .size:           8
        .value_kind:     global_buffer
      - .offset:         32
        .size:           8
        .value_kind:     by_value
      - .offset:         40
        .size:           4
        .value_kind:     by_value
      - .offset:         48
        .size:           8
        .value_kind:     by_value
      - .address_space:  global
        .offset:         56
        .size:           8
        .value_kind:     global_buffer
      - .offset:         64
        .size:           8
        .value_kind:     by_value
      - .offset:         72
        .size:           4
        .value_kind:     by_value
      - .offset:         80
        .size:           8
        .value_kind:     by_value
      - .offset:         88
        .size:           8
        .value_kind:     by_value
      - .offset:         96
        .size:           8
        .value_kind:     by_value
      - .address_space:  global
        .offset:         104
        .size:           8
        .value_kind:     global_buffer
      - .offset:         112
        .size:           8
        .value_kind:     by_value
      - .offset:         120
        .size:           4
        .value_kind:     by_value
      - .offset:         128
        .size:           8
        .value_kind:     by_value
      - .offset:         136
        .size:           4
        .value_kind:     by_value
      - .offset:         144
        .size:           4
        .value_kind:     hidden_block_count_x
      - .offset:         148
        .size:           4
        .value_kind:     hidden_block_count_y
      - .offset:         152
        .size:           4
        .value_kind:     hidden_block_count_z
      - .offset:         156
        .size:           2
        .value_kind:     hidden_group_size_x
      - .offset:         158
        .size:           2
        .value_kind:     hidden_group_size_y
      - .offset:         160
        .size:           2
        .value_kind:     hidden_group_size_z
      - .offset:         162
        .size:           2
        .value_kind:     hidden_remainder_x
      - .offset:         164
        .size:           2
        .value_kind:     hidden_remainder_y
      - .offset:         166
        .size:           2
        .value_kind:     hidden_remainder_z
      - .offset:         184
        .size:           8
        .value_kind:     hidden_global_offset_x
      - .offset:         192
        .size:           8
        .value_kind:     hidden_global_offset_y
      - .offset:         200
        .size:           8
        .value_kind:     hidden_global_offset_z
      - .offset:         208
        .size:           2
        .value_kind:     hidden_grid_dims
    .group_segment_fixed_size: 8192
    .kernarg_segment_align: 8
    .kernarg_segment_size: 400
    .language:       OpenCL C
    .language_version:
      - 2
      - 0
    .max_flat_workgroup_size: 256
    .name:           _ZL20rocblas_gemvn_kernelILi64ELi4EiPK19rocblas_complex_numIfES1_KPS1_EviiT3_lPKT2_lT1_lS9_lSA_lS6_lPT4_lSA_li
    .private_segment_fixed_size: 0
    .sgpr_count:     49
    .sgpr_spill_count: 0
    .symbol:         _ZL20rocblas_gemvn_kernelILi64ELi4EiPK19rocblas_complex_numIfES1_KPS1_EviiT3_lPKT2_lT1_lS9_lSA_lS6_lPT4_lSA_li.kd
    .uniform_work_group_size: 1
    .uses_dynamic_stack: false
    .vgpr_count:     79
    .vgpr_spill_count: 0
    .wavefront_size: 32
    .workgroup_processor_mode: 1
  - .args:
      - .offset:         0
        .size:           4
        .value_kind:     by_value
      - .offset:         4
        .size:           4
        .value_kind:     by_value
      - .offset:         8
        .size:           8
        .value_kind:     by_value
      - .offset:         16
        .size:           8
        .value_kind:     by_value
      - .address_space:  global
        .offset:         24
        .size:           8
        .value_kind:     global_buffer
      - .offset:         32
        .size:           8
        .value_kind:     by_value
      - .offset:         40
        .size:           8
        .value_kind:     by_value
      - .offset:         48
        .size:           8
        .value_kind:     by_value
      - .address_space:  global
        .offset:         56
        .size:           8
        .value_kind:     global_buffer
      - .offset:         64
        .size:           8
        .value_kind:     by_value
      - .offset:         72
        .size:           8
        .value_kind:     by_value
      - .offset:         80
        .size:           8
        .value_kind:     by_value
      - .offset:         88
        .size:           8
        .value_kind:     by_value
      - .offset:         96
        .size:           8
        .value_kind:     by_value
      - .address_space:  global
        .offset:         104
        .size:           8
        .value_kind:     global_buffer
      - .offset:         112
        .size:           8
        .value_kind:     by_value
      - .offset:         120
        .size:           8
        .value_kind:     by_value
      - .offset:         128
        .size:           8
        .value_kind:     by_value
      - .offset:         136
        .size:           4
        .value_kind:     by_value
      - .offset:         144
        .size:           4
        .value_kind:     hidden_block_count_x
      - .offset:         148
        .size:           4
        .value_kind:     hidden_block_count_y
      - .offset:         152
        .size:           4
        .value_kind:     hidden_block_count_z
      - .offset:         156
        .size:           2
        .value_kind:     hidden_group_size_x
      - .offset:         158
        .size:           2
        .value_kind:     hidden_group_size_y
      - .offset:         160
        .size:           2
        .value_kind:     hidden_group_size_z
      - .offset:         162
        .size:           2
        .value_kind:     hidden_remainder_x
      - .offset:         164
        .size:           2
        .value_kind:     hidden_remainder_y
      - .offset:         166
        .size:           2
        .value_kind:     hidden_remainder_z
      - .offset:         184
        .size:           8
        .value_kind:     hidden_global_offset_x
      - .offset:         192
        .size:           8
        .value_kind:     hidden_global_offset_y
      - .offset:         200
        .size:           8
        .value_kind:     hidden_global_offset_z
      - .offset:         208
        .size:           2
        .value_kind:     hidden_grid_dims
    .group_segment_fixed_size: 8192
    .kernarg_segment_align: 8
    .kernarg_segment_size: 400
    .language:       OpenCL C
    .language_version:
      - 2
      - 0
    .max_flat_workgroup_size: 256
    .name:           _ZL20rocblas_gemvn_kernelILi64ELi4ElPK19rocblas_complex_numIfES1_KPS1_EviiT3_lPKT2_lT1_lS9_lSA_lS6_lPT4_lSA_li
    .private_segment_fixed_size: 0
    .sgpr_count:     53
    .sgpr_spill_count: 0
    .symbol:         _ZL20rocblas_gemvn_kernelILi64ELi4ElPK19rocblas_complex_numIfES1_KPS1_EviiT3_lPKT2_lT1_lS9_lSA_lS6_lPT4_lSA_li.kd
    .uniform_work_group_size: 1
    .uses_dynamic_stack: false
    .vgpr_count:     88
    .vgpr_spill_count: 0
    .wavefront_size: 32
    .workgroup_processor_mode: 1
  - .args:
      - .offset:         0
        .size:           4
        .value_kind:     by_value
      - .offset:         4
        .size:           4
        .value_kind:     by_value
      - .address_space:  global
        .offset:         8
        .size:           8
        .value_kind:     global_buffer
      - .offset:         16
        .size:           8
        .value_kind:     by_value
      - .address_space:  global
        .offset:         24
        .size:           8
        .value_kind:     global_buffer
      - .offset:         32
        .size:           8
        .value_kind:     by_value
      - .offset:         40
        .size:           4
        .value_kind:     by_value
      - .offset:         48
        .size:           8
        .value_kind:     by_value
      - .address_space:  global
        .offset:         56
        .size:           8
        .value_kind:     global_buffer
      - .offset:         64
        .size:           8
        .value_kind:     by_value
      - .offset:         72
        .size:           4
        .value_kind:     by_value
      - .offset:         80
        .size:           8
        .value_kind:     by_value
      - .address_space:  global
        .offset:         88
        .size:           8
        .value_kind:     global_buffer
      - .offset:         96
        .size:           8
        .value_kind:     by_value
      - .address_space:  global
        .offset:         104
        .size:           8
        .value_kind:     global_buffer
      - .offset:         112
        .size:           8
        .value_kind:     by_value
      - .offset:         120
        .size:           4
        .value_kind:     by_value
      - .offset:         128
        .size:           8
        .value_kind:     by_value
      - .offset:         136
        .size:           4
        .value_kind:     by_value
      - .offset:         144
        .size:           4
        .value_kind:     hidden_block_count_x
      - .offset:         148
        .size:           4
        .value_kind:     hidden_block_count_y
      - .offset:         152
        .size:           4
        .value_kind:     hidden_block_count_z
      - .offset:         156
        .size:           2
        .value_kind:     hidden_group_size_x
      - .offset:         158
        .size:           2
        .value_kind:     hidden_group_size_y
      - .offset:         160
        .size:           2
        .value_kind:     hidden_group_size_z
      - .offset:         162
        .size:           2
        .value_kind:     hidden_remainder_x
      - .offset:         164
        .size:           2
        .value_kind:     hidden_remainder_y
      - .offset:         166
        .size:           2
        .value_kind:     hidden_remainder_z
      - .offset:         184
        .size:           8
        .value_kind:     hidden_global_offset_x
      - .offset:         192
        .size:           8
        .value_kind:     hidden_global_offset_y
      - .offset:         200
        .size:           8
        .value_kind:     hidden_global_offset_z
      - .offset:         208
        .size:           2
        .value_kind:     hidden_grid_dims
    .group_segment_fixed_size: 16384
    .kernarg_segment_align: 8
    .kernarg_segment_size: 400
    .language:       OpenCL C
    .language_version:
      - 2
      - 0
    .max_flat_workgroup_size: 512
    .name:           _ZL20rocblas_gemvn_kernelILi32ELi16EiPK19rocblas_complex_numIfES3_KPS1_EviiT3_lPKT2_lT1_lS9_lSA_lS6_lPT4_lSA_li
    .private_segment_fixed_size: 0
    .sgpr_count:     53
    .sgpr_spill_count: 0
    .symbol:         _ZL20rocblas_gemvn_kernelILi32ELi16EiPK19rocblas_complex_numIfES3_KPS1_EviiT3_lPKT2_lT1_lS9_lSA_lS6_lPT4_lSA_li.kd
    .uniform_work_group_size: 1
    .uses_dynamic_stack: false
    .vgpr_count:     79
    .vgpr_spill_count: 0
    .wavefront_size: 32
    .workgroup_processor_mode: 1
  - .args:
      - .offset:         0
        .size:           4
        .value_kind:     by_value
      - .offset:         4
        .size:           4
        .value_kind:     by_value
      - .address_space:  global
        .offset:         8
        .size:           8
        .value_kind:     global_buffer
      - .offset:         16
        .size:           8
        .value_kind:     by_value
      - .address_space:  global
        .offset:         24
        .size:           8
        .value_kind:     global_buffer
      - .offset:         32
        .size:           8
        .value_kind:     by_value
      - .offset:         40
        .size:           8
        .value_kind:     by_value
      - .offset:         48
        .size:           8
        .value_kind:     by_value
      - .address_space:  global
        .offset:         56
        .size:           8
        .value_kind:     global_buffer
      - .offset:         64
        .size:           8
        .value_kind:     by_value
      - .offset:         72
        .size:           8
        .value_kind:     by_value
      - .offset:         80
        .size:           8
        .value_kind:     by_value
      - .address_space:  global
        .offset:         88
        .size:           8
        .value_kind:     global_buffer
      - .offset:         96
        .size:           8
        .value_kind:     by_value
      - .address_space:  global
        .offset:         104
        .size:           8
        .value_kind:     global_buffer
      - .offset:         112
        .size:           8
        .value_kind:     by_value
      - .offset:         120
        .size:           8
        .value_kind:     by_value
      - .offset:         128
        .size:           8
        .value_kind:     by_value
      - .offset:         136
        .size:           4
        .value_kind:     by_value
      - .offset:         144
        .size:           4
        .value_kind:     hidden_block_count_x
      - .offset:         148
        .size:           4
        .value_kind:     hidden_block_count_y
      - .offset:         152
        .size:           4
        .value_kind:     hidden_block_count_z
      - .offset:         156
        .size:           2
        .value_kind:     hidden_group_size_x
      - .offset:         158
        .size:           2
        .value_kind:     hidden_group_size_y
      - .offset:         160
        .size:           2
        .value_kind:     hidden_group_size_z
      - .offset:         162
        .size:           2
        .value_kind:     hidden_remainder_x
      - .offset:         164
        .size:           2
        .value_kind:     hidden_remainder_y
      - .offset:         166
        .size:           2
        .value_kind:     hidden_remainder_z
      - .offset:         184
        .size:           8
        .value_kind:     hidden_global_offset_x
      - .offset:         192
        .size:           8
        .value_kind:     hidden_global_offset_y
      - .offset:         200
        .size:           8
        .value_kind:     hidden_global_offset_z
      - .offset:         208
        .size:           2
        .value_kind:     hidden_grid_dims
    .group_segment_fixed_size: 16384
    .kernarg_segment_align: 8
    .kernarg_segment_size: 400
    .language:       OpenCL C
    .language_version:
      - 2
      - 0
    .max_flat_workgroup_size: 512
    .name:           _ZL20rocblas_gemvn_kernelILi32ELi16ElPK19rocblas_complex_numIfES3_KPS1_EviiT3_lPKT2_lT1_lS9_lSA_lS6_lPT4_lSA_li
    .private_segment_fixed_size: 0
    .sgpr_count:     57
    .sgpr_spill_count: 0
    .symbol:         _ZL20rocblas_gemvn_kernelILi32ELi16ElPK19rocblas_complex_numIfES3_KPS1_EviiT3_lPKT2_lT1_lS9_lSA_lS6_lPT4_lSA_li.kd
    .uniform_work_group_size: 1
    .uses_dynamic_stack: false
    .vgpr_count:     88
    .vgpr_spill_count: 0
    .wavefront_size: 32
    .workgroup_processor_mode: 1
  - .args:
      - .offset:         0
        .size:           4
        .value_kind:     by_value
      - .offset:         4
        .size:           4
        .value_kind:     by_value
      - .offset:         8
        .size:           8
        .value_kind:     by_value
      - .offset:         16
        .size:           8
        .value_kind:     by_value
      - .address_space:  global
        .offset:         24
        .size:           8
        .value_kind:     global_buffer
      - .offset:         32
        .size:           8
        .value_kind:     by_value
      - .offset:         40
        .size:           4
        .value_kind:     by_value
      - .offset:         48
        .size:           8
        .value_kind:     by_value
      - .address_space:  global
        .offset:         56
        .size:           8
        .value_kind:     global_buffer
      - .offset:         64
        .size:           8
        .value_kind:     by_value
      - .offset:         72
        .size:           4
        .value_kind:     by_value
      - .offset:         80
        .size:           8
        .value_kind:     by_value
      - .offset:         88
        .size:           8
        .value_kind:     by_value
      - .offset:         96
        .size:           8
        .value_kind:     by_value
      - .address_space:  global
        .offset:         104
        .size:           8
        .value_kind:     global_buffer
      - .offset:         112
        .size:           8
        .value_kind:     by_value
      - .offset:         120
        .size:           4
        .value_kind:     by_value
      - .offset:         128
        .size:           8
        .value_kind:     by_value
      - .offset:         136
        .size:           4
        .value_kind:     by_value
      - .offset:         144
        .size:           4
        .value_kind:     hidden_block_count_x
      - .offset:         148
        .size:           4
        .value_kind:     hidden_block_count_y
      - .offset:         152
        .size:           4
        .value_kind:     hidden_block_count_z
      - .offset:         156
        .size:           2
        .value_kind:     hidden_group_size_x
      - .offset:         158
        .size:           2
        .value_kind:     hidden_group_size_y
      - .offset:         160
        .size:           2
        .value_kind:     hidden_group_size_z
      - .offset:         162
        .size:           2
        .value_kind:     hidden_remainder_x
      - .offset:         164
        .size:           2
        .value_kind:     hidden_remainder_y
      - .offset:         166
        .size:           2
        .value_kind:     hidden_remainder_z
      - .offset:         184
        .size:           8
        .value_kind:     hidden_global_offset_x
      - .offset:         192
        .size:           8
        .value_kind:     hidden_global_offset_y
      - .offset:         200
        .size:           8
        .value_kind:     hidden_global_offset_z
      - .offset:         208
        .size:           2
        .value_kind:     hidden_grid_dims
    .group_segment_fixed_size: 16384
    .kernarg_segment_align: 8
    .kernarg_segment_size: 400
    .language:       OpenCL C
    .language_version:
      - 2
      - 0
    .max_flat_workgroup_size: 512
    .name:           _ZL20rocblas_gemvn_kernelILi32ELi16EiPK19rocblas_complex_numIfES1_KPS1_EviiT3_lPKT2_lT1_lS9_lSA_lS6_lPT4_lSA_li
    .private_segment_fixed_size: 0
    .sgpr_count:     49
    .sgpr_spill_count: 0
    .symbol:         _ZL20rocblas_gemvn_kernelILi32ELi16EiPK19rocblas_complex_numIfES1_KPS1_EviiT3_lPKT2_lT1_lS9_lSA_lS6_lPT4_lSA_li.kd
    .uniform_work_group_size: 1
    .uses_dynamic_stack: false
    .vgpr_count:     79
    .vgpr_spill_count: 0
    .wavefront_size: 32
    .workgroup_processor_mode: 1
  - .args:
      - .offset:         0
        .size:           4
        .value_kind:     by_value
      - .offset:         4
        .size:           4
        .value_kind:     by_value
      - .offset:         8
        .size:           8
        .value_kind:     by_value
      - .offset:         16
        .size:           8
        .value_kind:     by_value
      - .address_space:  global
        .offset:         24
        .size:           8
        .value_kind:     global_buffer
      - .offset:         32
        .size:           8
        .value_kind:     by_value
      - .offset:         40
        .size:           8
        .value_kind:     by_value
      - .offset:         48
        .size:           8
        .value_kind:     by_value
      - .address_space:  global
        .offset:         56
        .size:           8
        .value_kind:     global_buffer
      - .offset:         64
        .size:           8
        .value_kind:     by_value
      - .offset:         72
        .size:           8
        .value_kind:     by_value
      - .offset:         80
        .size:           8
        .value_kind:     by_value
      - .offset:         88
        .size:           8
        .value_kind:     by_value
      - .offset:         96
        .size:           8
        .value_kind:     by_value
      - .address_space:  global
        .offset:         104
        .size:           8
        .value_kind:     global_buffer
      - .offset:         112
        .size:           8
        .value_kind:     by_value
      - .offset:         120
        .size:           8
        .value_kind:     by_value
      - .offset:         128
        .size:           8
        .value_kind:     by_value
      - .offset:         136
        .size:           4
        .value_kind:     by_value
      - .offset:         144
        .size:           4
        .value_kind:     hidden_block_count_x
      - .offset:         148
        .size:           4
        .value_kind:     hidden_block_count_y
      - .offset:         152
        .size:           4
        .value_kind:     hidden_block_count_z
      - .offset:         156
        .size:           2
        .value_kind:     hidden_group_size_x
      - .offset:         158
        .size:           2
        .value_kind:     hidden_group_size_y
      - .offset:         160
        .size:           2
        .value_kind:     hidden_group_size_z
      - .offset:         162
        .size:           2
        .value_kind:     hidden_remainder_x
      - .offset:         164
        .size:           2
        .value_kind:     hidden_remainder_y
      - .offset:         166
        .size:           2
        .value_kind:     hidden_remainder_z
      - .offset:         184
        .size:           8
        .value_kind:     hidden_global_offset_x
      - .offset:         192
        .size:           8
        .value_kind:     hidden_global_offset_y
      - .offset:         200
        .size:           8
        .value_kind:     hidden_global_offset_z
      - .offset:         208
        .size:           2
        .value_kind:     hidden_grid_dims
    .group_segment_fixed_size: 16384
    .kernarg_segment_align: 8
    .kernarg_segment_size: 400
    .language:       OpenCL C
    .language_version:
      - 2
      - 0
    .max_flat_workgroup_size: 512
    .name:           _ZL20rocblas_gemvn_kernelILi32ELi16ElPK19rocblas_complex_numIfES1_KPS1_EviiT3_lPKT2_lT1_lS9_lSA_lS6_lPT4_lSA_li
    .private_segment_fixed_size: 0
    .sgpr_count:     53
    .sgpr_spill_count: 0
    .symbol:         _ZL20rocblas_gemvn_kernelILi32ELi16ElPK19rocblas_complex_numIfES1_KPS1_EviiT3_lPKT2_lT1_lS9_lSA_lS6_lPT4_lSA_li.kd
    .uniform_work_group_size: 1
    .uses_dynamic_stack: false
    .vgpr_count:     88
    .vgpr_spill_count: 0
    .wavefront_size: 32
    .workgroup_processor_mode: 1
  - .args:
      - .offset:         0
        .size:           4
        .value_kind:     by_value
      - .offset:         4
        .size:           4
        .value_kind:     by_value
      - .address_space:  global
        .offset:         8
        .size:           8
        .value_kind:     global_buffer
      - .offset:         16
        .size:           8
        .value_kind:     by_value
      - .address_space:  global
        .offset:         24
        .size:           8
        .value_kind:     global_buffer
      - .offset:         32
        .size:           8
        .value_kind:     by_value
      - .offset:         40
        .size:           4
        .value_kind:     by_value
      - .offset:         48
        .size:           8
        .value_kind:     by_value
      - .address_space:  global
        .offset:         56
        .size:           8
        .value_kind:     global_buffer
      - .offset:         64
        .size:           8
        .value_kind:     by_value
      - .offset:         72
        .size:           4
        .value_kind:     by_value
      - .offset:         80
        .size:           8
        .value_kind:     by_value
      - .address_space:  global
        .offset:         88
        .size:           8
        .value_kind:     global_buffer
      - .offset:         96
        .size:           8
        .value_kind:     by_value
      - .address_space:  global
        .offset:         104
        .size:           8
        .value_kind:     global_buffer
      - .offset:         112
        .size:           8
        .value_kind:     by_value
      - .offset:         120
        .size:           4
        .value_kind:     by_value
      - .offset:         128
        .size:           8
        .value_kind:     by_value
      - .offset:         136
        .size:           4
        .value_kind:     by_value
      - .offset:         144
        .size:           4
        .value_kind:     hidden_block_count_x
      - .offset:         148
        .size:           4
        .value_kind:     hidden_block_count_y
      - .offset:         152
        .size:           4
        .value_kind:     hidden_block_count_z
      - .offset:         156
        .size:           2
        .value_kind:     hidden_group_size_x
      - .offset:         158
        .size:           2
        .value_kind:     hidden_group_size_y
      - .offset:         160
        .size:           2
        .value_kind:     hidden_group_size_z
      - .offset:         162
        .size:           2
        .value_kind:     hidden_remainder_x
      - .offset:         164
        .size:           2
        .value_kind:     hidden_remainder_y
      - .offset:         166
        .size:           2
        .value_kind:     hidden_remainder_z
      - .offset:         184
        .size:           8
        .value_kind:     hidden_global_offset_x
      - .offset:         192
        .size:           8
        .value_kind:     hidden_global_offset_y
      - .offset:         200
        .size:           8
        .value_kind:     hidden_global_offset_z
      - .offset:         208
        .size:           2
        .value_kind:     hidden_grid_dims
    .group_segment_fixed_size: 32768
    .kernarg_segment_align: 8
    .kernarg_segment_size: 400
    .language:       OpenCL C
    .language_version:
      - 2
      - 0
    .max_flat_workgroup_size: 1024
    .name:           _ZL20rocblas_gemvn_kernelILi64ELi16EiPK19rocblas_complex_numIfES3_KPS1_EviiT3_lPKT2_lT1_lS9_lSA_lS6_lPT4_lSA_li
    .private_segment_fixed_size: 0
    .sgpr_count:     53
    .sgpr_spill_count: 0
    .symbol:         _ZL20rocblas_gemvn_kernelILi64ELi16EiPK19rocblas_complex_numIfES3_KPS1_EviiT3_lPKT2_lT1_lS9_lSA_lS6_lPT4_lSA_li.kd
    .uniform_work_group_size: 1
    .uses_dynamic_stack: false
    .vgpr_count:     79
    .vgpr_spill_count: 0
    .wavefront_size: 32
    .workgroup_processor_mode: 1
  - .args:
      - .offset:         0
        .size:           4
        .value_kind:     by_value
      - .offset:         4
        .size:           4
        .value_kind:     by_value
      - .address_space:  global
        .offset:         8
        .size:           8
        .value_kind:     global_buffer
      - .offset:         16
        .size:           8
        .value_kind:     by_value
      - .address_space:  global
        .offset:         24
        .size:           8
        .value_kind:     global_buffer
      - .offset:         32
        .size:           8
        .value_kind:     by_value
      - .offset:         40
        .size:           8
        .value_kind:     by_value
      - .offset:         48
        .size:           8
        .value_kind:     by_value
      - .address_space:  global
        .offset:         56
        .size:           8
        .value_kind:     global_buffer
      - .offset:         64
        .size:           8
        .value_kind:     by_value
      - .offset:         72
        .size:           8
        .value_kind:     by_value
      - .offset:         80
        .size:           8
        .value_kind:     by_value
      - .address_space:  global
        .offset:         88
        .size:           8
        .value_kind:     global_buffer
      - .offset:         96
        .size:           8
        .value_kind:     by_value
      - .address_space:  global
        .offset:         104
        .size:           8
        .value_kind:     global_buffer
      - .offset:         112
        .size:           8
        .value_kind:     by_value
      - .offset:         120
        .size:           8
        .value_kind:     by_value
      - .offset:         128
        .size:           8
        .value_kind:     by_value
      - .offset:         136
        .size:           4
        .value_kind:     by_value
      - .offset:         144
        .size:           4
        .value_kind:     hidden_block_count_x
      - .offset:         148
        .size:           4
        .value_kind:     hidden_block_count_y
      - .offset:         152
        .size:           4
        .value_kind:     hidden_block_count_z
      - .offset:         156
        .size:           2
        .value_kind:     hidden_group_size_x
      - .offset:         158
        .size:           2
        .value_kind:     hidden_group_size_y
      - .offset:         160
        .size:           2
        .value_kind:     hidden_group_size_z
      - .offset:         162
        .size:           2
        .value_kind:     hidden_remainder_x
      - .offset:         164
        .size:           2
        .value_kind:     hidden_remainder_y
      - .offset:         166
        .size:           2
        .value_kind:     hidden_remainder_z
      - .offset:         184
        .size:           8
        .value_kind:     hidden_global_offset_x
      - .offset:         192
        .size:           8
        .value_kind:     hidden_global_offset_y
      - .offset:         200
        .size:           8
        .value_kind:     hidden_global_offset_z
      - .offset:         208
        .size:           2
        .value_kind:     hidden_grid_dims
    .group_segment_fixed_size: 32768
    .kernarg_segment_align: 8
    .kernarg_segment_size: 400
    .language:       OpenCL C
    .language_version:
      - 2
      - 0
    .max_flat_workgroup_size: 1024
    .name:           _ZL20rocblas_gemvn_kernelILi64ELi16ElPK19rocblas_complex_numIfES3_KPS1_EviiT3_lPKT2_lT1_lS9_lSA_lS6_lPT4_lSA_li
    .private_segment_fixed_size: 0
    .sgpr_count:     57
    .sgpr_spill_count: 0
    .symbol:         _ZL20rocblas_gemvn_kernelILi64ELi16ElPK19rocblas_complex_numIfES3_KPS1_EviiT3_lPKT2_lT1_lS9_lSA_lS6_lPT4_lSA_li.kd
    .uniform_work_group_size: 1
    .uses_dynamic_stack: false
    .vgpr_count:     88
    .vgpr_spill_count: 0
    .wavefront_size: 32
    .workgroup_processor_mode: 1
  - .args:
      - .offset:         0
        .size:           4
        .value_kind:     by_value
      - .offset:         4
        .size:           4
        .value_kind:     by_value
      - .offset:         8
        .size:           8
        .value_kind:     by_value
      - .offset:         16
        .size:           8
        .value_kind:     by_value
      - .address_space:  global
        .offset:         24
        .size:           8
        .value_kind:     global_buffer
      - .offset:         32
        .size:           8
        .value_kind:     by_value
      - .offset:         40
        .size:           4
        .value_kind:     by_value
      - .offset:         48
        .size:           8
        .value_kind:     by_value
      - .address_space:  global
        .offset:         56
        .size:           8
        .value_kind:     global_buffer
      - .offset:         64
        .size:           8
        .value_kind:     by_value
      - .offset:         72
        .size:           4
        .value_kind:     by_value
      - .offset:         80
        .size:           8
        .value_kind:     by_value
      - .offset:         88
        .size:           8
        .value_kind:     by_value
      - .offset:         96
        .size:           8
        .value_kind:     by_value
      - .address_space:  global
        .offset:         104
        .size:           8
        .value_kind:     global_buffer
      - .offset:         112
        .size:           8
        .value_kind:     by_value
      - .offset:         120
        .size:           4
        .value_kind:     by_value
      - .offset:         128
        .size:           8
        .value_kind:     by_value
      - .offset:         136
        .size:           4
        .value_kind:     by_value
      - .offset:         144
        .size:           4
        .value_kind:     hidden_block_count_x
      - .offset:         148
        .size:           4
        .value_kind:     hidden_block_count_y
      - .offset:         152
        .size:           4
        .value_kind:     hidden_block_count_z
      - .offset:         156
        .size:           2
        .value_kind:     hidden_group_size_x
      - .offset:         158
        .size:           2
        .value_kind:     hidden_group_size_y
      - .offset:         160
        .size:           2
        .value_kind:     hidden_group_size_z
      - .offset:         162
        .size:           2
        .value_kind:     hidden_remainder_x
      - .offset:         164
        .size:           2
        .value_kind:     hidden_remainder_y
      - .offset:         166
        .size:           2
        .value_kind:     hidden_remainder_z
      - .offset:         184
        .size:           8
        .value_kind:     hidden_global_offset_x
      - .offset:         192
        .size:           8
        .value_kind:     hidden_global_offset_y
      - .offset:         200
        .size:           8
        .value_kind:     hidden_global_offset_z
      - .offset:         208
        .size:           2
        .value_kind:     hidden_grid_dims
    .group_segment_fixed_size: 32768
    .kernarg_segment_align: 8
    .kernarg_segment_size: 400
    .language:       OpenCL C
    .language_version:
      - 2
      - 0
    .max_flat_workgroup_size: 1024
    .name:           _ZL20rocblas_gemvn_kernelILi64ELi16EiPK19rocblas_complex_numIfES1_KPS1_EviiT3_lPKT2_lT1_lS9_lSA_lS6_lPT4_lSA_li
    .private_segment_fixed_size: 0
    .sgpr_count:     49
    .sgpr_spill_count: 0
    .symbol:         _ZL20rocblas_gemvn_kernelILi64ELi16EiPK19rocblas_complex_numIfES1_KPS1_EviiT3_lPKT2_lT1_lS9_lSA_lS6_lPT4_lSA_li.kd
    .uniform_work_group_size: 1
    .uses_dynamic_stack: false
    .vgpr_count:     79
    .vgpr_spill_count: 0
    .wavefront_size: 32
    .workgroup_processor_mode: 1
  - .args:
      - .offset:         0
        .size:           4
        .value_kind:     by_value
      - .offset:         4
        .size:           4
        .value_kind:     by_value
      - .offset:         8
        .size:           8
        .value_kind:     by_value
      - .offset:         16
        .size:           8
        .value_kind:     by_value
      - .address_space:  global
        .offset:         24
        .size:           8
        .value_kind:     global_buffer
      - .offset:         32
        .size:           8
        .value_kind:     by_value
      - .offset:         40
        .size:           8
        .value_kind:     by_value
      - .offset:         48
        .size:           8
        .value_kind:     by_value
      - .address_space:  global
        .offset:         56
        .size:           8
        .value_kind:     global_buffer
      - .offset:         64
        .size:           8
        .value_kind:     by_value
      - .offset:         72
        .size:           8
        .value_kind:     by_value
      - .offset:         80
        .size:           8
        .value_kind:     by_value
      - .offset:         88
        .size:           8
        .value_kind:     by_value
      - .offset:         96
        .size:           8
        .value_kind:     by_value
      - .address_space:  global
        .offset:         104
        .size:           8
        .value_kind:     global_buffer
      - .offset:         112
        .size:           8
        .value_kind:     by_value
      - .offset:         120
        .size:           8
        .value_kind:     by_value
      - .offset:         128
        .size:           8
        .value_kind:     by_value
      - .offset:         136
        .size:           4
        .value_kind:     by_value
      - .offset:         144
        .size:           4
        .value_kind:     hidden_block_count_x
      - .offset:         148
        .size:           4
        .value_kind:     hidden_block_count_y
      - .offset:         152
        .size:           4
        .value_kind:     hidden_block_count_z
      - .offset:         156
        .size:           2
        .value_kind:     hidden_group_size_x
      - .offset:         158
        .size:           2
        .value_kind:     hidden_group_size_y
      - .offset:         160
        .size:           2
        .value_kind:     hidden_group_size_z
      - .offset:         162
        .size:           2
        .value_kind:     hidden_remainder_x
      - .offset:         164
        .size:           2
        .value_kind:     hidden_remainder_y
      - .offset:         166
        .size:           2
        .value_kind:     hidden_remainder_z
      - .offset:         184
        .size:           8
        .value_kind:     hidden_global_offset_x
      - .offset:         192
        .size:           8
        .value_kind:     hidden_global_offset_y
      - .offset:         200
        .size:           8
        .value_kind:     hidden_global_offset_z
      - .offset:         208
        .size:           2
        .value_kind:     hidden_grid_dims
    .group_segment_fixed_size: 32768
    .kernarg_segment_align: 8
    .kernarg_segment_size: 400
    .language:       OpenCL C
    .language_version:
      - 2
      - 0
    .max_flat_workgroup_size: 1024
    .name:           _ZL20rocblas_gemvn_kernelILi64ELi16ElPK19rocblas_complex_numIfES1_KPS1_EviiT3_lPKT2_lT1_lS9_lSA_lS6_lPT4_lSA_li
    .private_segment_fixed_size: 0
    .sgpr_count:     53
    .sgpr_spill_count: 0
    .symbol:         _ZL20rocblas_gemvn_kernelILi64ELi16ElPK19rocblas_complex_numIfES1_KPS1_EviiT3_lPKT2_lT1_lS9_lSA_lS6_lPT4_lSA_li.kd
    .uniform_work_group_size: 1
    .uses_dynamic_stack: false
    .vgpr_count:     88
    .vgpr_spill_count: 0
    .wavefront_size: 32
    .workgroup_processor_mode: 1
  - .args:
      - .offset:         0
        .size:           4
        .value_kind:     by_value
      - .offset:         4
        .size:           4
        .value_kind:     by_value
      - .address_space:  global
        .offset:         8
        .size:           8
        .value_kind:     global_buffer
      - .offset:         16
        .size:           8
        .value_kind:     by_value
      - .address_space:  global
        .offset:         24
        .size:           8
        .value_kind:     global_buffer
      - .offset:         32
        .size:           8
        .value_kind:     by_value
      - .offset:         40
        .size:           4
        .value_kind:     by_value
      - .offset:         48
        .size:           8
        .value_kind:     by_value
      - .address_space:  global
        .offset:         56
        .size:           8
        .value_kind:     global_buffer
      - .offset:         64
        .size:           8
        .value_kind:     by_value
      - .offset:         72
        .size:           4
        .value_kind:     by_value
      - .offset:         80
        .size:           8
        .value_kind:     by_value
      - .address_space:  global
        .offset:         88
        .size:           8
        .value_kind:     global_buffer
      - .offset:         96
        .size:           8
        .value_kind:     by_value
      - .address_space:  global
        .offset:         104
        .size:           8
        .value_kind:     global_buffer
      - .offset:         112
        .size:           8
        .value_kind:     by_value
      - .offset:         120
        .size:           4
        .value_kind:     by_value
      - .offset:         128
        .size:           8
        .value_kind:     by_value
    .group_segment_fixed_size: 512
    .kernarg_segment_align: 8
    .kernarg_segment_size: 136
    .language:       OpenCL C
    .language_version:
      - 2
      - 0
    .max_flat_workgroup_size: 256
    .name:           _ZL22rocblas_gemvtsm_kernelILb0ELi256EPK19rocblas_complex_numIfES3_KPS1_EviiT2_lPKT1_lilS9_lilS6_lPT3_lil
    .private_segment_fixed_size: 0
    .sgpr_count:     26
    .sgpr_spill_count: 0
    .symbol:         _ZL22rocblas_gemvtsm_kernelILb0ELi256EPK19rocblas_complex_numIfES3_KPS1_EviiT2_lPKT1_lilS9_lilS6_lPT3_lil.kd
    .uniform_work_group_size: 1
    .uses_dynamic_stack: false
    .vgpr_count:     51
    .vgpr_spill_count: 0
    .wavefront_size: 32
    .workgroup_processor_mode: 1
  - .args:
      - .offset:         0
        .size:           4
        .value_kind:     by_value
      - .offset:         4
        .size:           4
        .value_kind:     by_value
      - .offset:         8
        .size:           8
        .value_kind:     by_value
      - .offset:         16
        .size:           8
        .value_kind:     by_value
      - .address_space:  global
        .offset:         24
        .size:           8
        .value_kind:     global_buffer
      - .offset:         32
        .size:           8
        .value_kind:     by_value
      - .offset:         40
        .size:           4
        .value_kind:     by_value
      - .offset:         48
        .size:           8
        .value_kind:     by_value
      - .address_space:  global
        .offset:         56
        .size:           8
        .value_kind:     global_buffer
      - .offset:         64
        .size:           8
        .value_kind:     by_value
      - .offset:         72
        .size:           4
        .value_kind:     by_value
      - .offset:         80
        .size:           8
        .value_kind:     by_value
      - .offset:         88
        .size:           8
        .value_kind:     by_value
      - .offset:         96
        .size:           8
        .value_kind:     by_value
      - .address_space:  global
        .offset:         104
        .size:           8
        .value_kind:     global_buffer
      - .offset:         112
        .size:           8
        .value_kind:     by_value
      - .offset:         120
        .size:           4
        .value_kind:     by_value
      - .offset:         128
        .size:           8
        .value_kind:     by_value
    .group_segment_fixed_size: 512
    .kernarg_segment_align: 8
    .kernarg_segment_size: 136
    .language:       OpenCL C
    .language_version:
      - 2
      - 0
    .max_flat_workgroup_size: 256
    .name:           _ZL22rocblas_gemvtsm_kernelILb0ELi256EPK19rocblas_complex_numIfES1_KPS1_EviiT2_lPKT1_lilS9_lilS6_lPT3_lil
    .private_segment_fixed_size: 0
    .sgpr_count:     26
    .sgpr_spill_count: 0
    .symbol:         _ZL22rocblas_gemvtsm_kernelILb0ELi256EPK19rocblas_complex_numIfES1_KPS1_EviiT2_lPKT1_lilS9_lilS6_lPT3_lil.kd
    .uniform_work_group_size: 1
    .uses_dynamic_stack: false
    .vgpr_count:     51
    .vgpr_spill_count: 0
    .wavefront_size: 32
    .workgroup_processor_mode: 1
  - .args:
      - .offset:         0
        .size:           4
        .value_kind:     by_value
      - .offset:         4
        .size:           4
        .value_kind:     by_value
      - .address_space:  global
        .offset:         8
        .size:           8
        .value_kind:     global_buffer
      - .offset:         16
        .size:           8
        .value_kind:     by_value
      - .address_space:  global
        .offset:         24
        .size:           8
        .value_kind:     global_buffer
      - .offset:         32
        .size:           8
        .value_kind:     by_value
      - .offset:         40
        .size:           4
        .value_kind:     by_value
      - .offset:         48
        .size:           8
        .value_kind:     by_value
      - .address_space:  global
        .offset:         56
        .size:           8
        .value_kind:     global_buffer
      - .offset:         64
        .size:           8
        .value_kind:     by_value
      - .offset:         72
        .size:           4
        .value_kind:     by_value
      - .offset:         80
        .size:           8
        .value_kind:     by_value
      - .address_space:  global
        .offset:         88
        .size:           8
        .value_kind:     global_buffer
      - .offset:         96
        .size:           4
        .value_kind:     by_value
      - .offset:         104
        .size:           4
        .value_kind:     hidden_block_count_x
      - .offset:         108
        .size:           4
        .value_kind:     hidden_block_count_y
      - .offset:         112
        .size:           4
        .value_kind:     hidden_block_count_z
      - .offset:         116
        .size:           2
        .value_kind:     hidden_group_size_x
      - .offset:         118
        .size:           2
        .value_kind:     hidden_group_size_y
      - .offset:         120
        .size:           2
        .value_kind:     hidden_group_size_z
      - .offset:         122
        .size:           2
        .value_kind:     hidden_remainder_x
      - .offset:         124
        .size:           2
        .value_kind:     hidden_remainder_y
      - .offset:         126
        .size:           2
        .value_kind:     hidden_remainder_z
      - .offset:         144
        .size:           8
        .value_kind:     hidden_global_offset_x
      - .offset:         152
        .size:           8
        .value_kind:     hidden_global_offset_y
      - .offset:         160
        .size:           8
        .value_kind:     hidden_global_offset_z
      - .offset:         168
        .size:           2
        .value_kind:     hidden_grid_dims
    .group_segment_fixed_size: 256
    .kernarg_segment_align: 8
    .kernarg_segment_size: 360
    .language:       OpenCL C
    .language_version:
      - 2
      - 0
    .max_flat_workgroup_size: 256
    .name:           _ZL23rocblas_gemvt_sn_kernelILb0ELi256ELi4EiPK19rocblas_complex_numIfES3_S1_EviiT4_lPKT3_lilS7_lilPT5_i
    .private_segment_fixed_size: 48
    .sgpr_count:     78
    .sgpr_spill_count: 0
    .symbol:         _ZL23rocblas_gemvt_sn_kernelILb0ELi256ELi4EiPK19rocblas_complex_numIfES3_S1_EviiT4_lPKT3_lilS7_lilPT5_i.kd
    .uniform_work_group_size: 1
    .uses_dynamic_stack: false
    .vgpr_count:     84
    .vgpr_spill_count: 0
    .wavefront_size: 32
    .workgroup_processor_mode: 1
  - .args:
      - .offset:         0
        .size:           4
        .value_kind:     by_value
      - .offset:         4
        .size:           4
        .value_kind:     by_value
      - .address_space:  global
        .offset:         8
        .size:           8
        .value_kind:     global_buffer
      - .offset:         16
        .size:           8
        .value_kind:     by_value
      - .address_space:  global
        .offset:         24
        .size:           8
        .value_kind:     global_buffer
      - .offset:         32
        .size:           8
        .value_kind:     by_value
      - .offset:         40
        .size:           4
        .value_kind:     by_value
      - .offset:         48
        .size:           8
        .value_kind:     by_value
      - .address_space:  global
        .offset:         56
        .size:           8
        .value_kind:     global_buffer
      - .offset:         64
        .size:           8
        .value_kind:     by_value
      - .offset:         72
        .size:           4
        .value_kind:     by_value
      - .offset:         80
        .size:           8
        .value_kind:     by_value
      - .address_space:  global
        .offset:         88
        .size:           8
        .value_kind:     global_buffer
      - .offset:         96
        .size:           4
        .value_kind:     by_value
      - .offset:         104
        .size:           4
        .value_kind:     hidden_block_count_x
      - .offset:         108
        .size:           4
        .value_kind:     hidden_block_count_y
      - .offset:         112
        .size:           4
        .value_kind:     hidden_block_count_z
      - .offset:         116
        .size:           2
        .value_kind:     hidden_group_size_x
      - .offset:         118
        .size:           2
        .value_kind:     hidden_group_size_y
      - .offset:         120
        .size:           2
        .value_kind:     hidden_group_size_z
      - .offset:         122
        .size:           2
        .value_kind:     hidden_remainder_x
      - .offset:         124
        .size:           2
        .value_kind:     hidden_remainder_y
      - .offset:         126
        .size:           2
        .value_kind:     hidden_remainder_z
      - .offset:         144
        .size:           8
        .value_kind:     hidden_global_offset_x
      - .offset:         152
        .size:           8
        .value_kind:     hidden_global_offset_y
      - .offset:         160
        .size:           8
        .value_kind:     hidden_global_offset_z
      - .offset:         168
        .size:           2
        .value_kind:     hidden_grid_dims
    .group_segment_fixed_size: 256
    .kernarg_segment_align: 8
    .kernarg_segment_size: 360
    .language:       OpenCL C
    .language_version:
      - 2
      - 0
    .max_flat_workgroup_size: 256
    .name:           _ZL23rocblas_gemvt_sn_kernelILb0ELi256ELi4ElPK19rocblas_complex_numIfES3_S1_EviiT4_lPKT3_lilS7_lilPT5_i
    .private_segment_fixed_size: 48
    .sgpr_count:     70
    .sgpr_spill_count: 0
    .symbol:         _ZL23rocblas_gemvt_sn_kernelILb0ELi256ELi4ElPK19rocblas_complex_numIfES3_S1_EviiT4_lPKT3_lilS7_lilPT5_i.kd
    .uniform_work_group_size: 1
    .uses_dynamic_stack: false
    .vgpr_count:     89
    .vgpr_spill_count: 0
    .wavefront_size: 32
    .workgroup_processor_mode: 1
  - .args:
      - .offset:         0
        .size:           4
        .value_kind:     by_value
      - .address_space:  global
        .offset:         8
        .size:           8
        .value_kind:     global_buffer
      - .offset:         16
        .size:           8
        .value_kind:     by_value
      - .address_space:  global
        .offset:         24
        .size:           8
        .value_kind:     global_buffer
      - .offset:         32
        .size:           8
        .value_kind:     by_value
      - .offset:         40
        .size:           4
        .value_kind:     by_value
      - .offset:         48
        .size:           8
        .value_kind:     by_value
      - .actual_access:  read_only
        .address_space:  global
        .offset:         56
        .size:           8
        .value_kind:     global_buffer
      - .offset:         64
        .size:           4
        .value_kind:     by_value
      - .offset:         72
        .size:           4
        .value_kind:     hidden_block_count_x
      - .offset:         76
        .size:           4
        .value_kind:     hidden_block_count_y
      - .offset:         80
        .size:           4
        .value_kind:     hidden_block_count_z
      - .offset:         84
        .size:           2
        .value_kind:     hidden_group_size_x
      - .offset:         86
        .size:           2
        .value_kind:     hidden_group_size_y
      - .offset:         88
        .size:           2
        .value_kind:     hidden_group_size_z
      - .offset:         90
        .size:           2
        .value_kind:     hidden_remainder_x
      - .offset:         92
        .size:           2
        .value_kind:     hidden_remainder_y
      - .offset:         94
        .size:           2
        .value_kind:     hidden_remainder_z
      - .offset:         112
        .size:           8
        .value_kind:     hidden_global_offset_x
      - .offset:         120
        .size:           8
        .value_kind:     hidden_global_offset_y
      - .offset:         128
        .size:           8
        .value_kind:     hidden_global_offset_z
      - .offset:         136
        .size:           2
        .value_kind:     hidden_grid_dims
    .group_segment_fixed_size: 256
    .kernarg_segment_align: 8
    .kernarg_segment_size: 328
    .language:       OpenCL C
    .language_version:
      - 2
      - 0
    .max_flat_workgroup_size: 256
    .name:           _ZL23rocblas_gemvt_sn_reduceILi256ELi8E19rocblas_complex_numIfEPKS1_KPS1_EviT2_lPT3_lilPT1_i
    .private_segment_fixed_size: 0
    .sgpr_count:     40
    .sgpr_spill_count: 0
    .symbol:         _ZL23rocblas_gemvt_sn_reduceILi256ELi8E19rocblas_complex_numIfEPKS1_KPS1_EviT2_lPT3_lilPT1_i.kd
    .uniform_work_group_size: 1
    .uses_dynamic_stack: false
    .vgpr_count:     38
    .vgpr_spill_count: 0
    .wavefront_size: 32
    .workgroup_processor_mode: 1
  - .args:
      - .offset:         0
        .size:           4
        .value_kind:     by_value
      - .offset:         4
        .size:           4
        .value_kind:     by_value
      - .offset:         8
        .size:           8
        .value_kind:     by_value
      - .offset:         16
        .size:           8
        .value_kind:     by_value
      - .address_space:  global
        .offset:         24
        .size:           8
        .value_kind:     global_buffer
      - .offset:         32
        .size:           8
        .value_kind:     by_value
      - .offset:         40
        .size:           4
        .value_kind:     by_value
      - .offset:         48
        .size:           8
        .value_kind:     by_value
      - .address_space:  global
        .offset:         56
        .size:           8
        .value_kind:     global_buffer
      - .offset:         64
        .size:           8
        .value_kind:     by_value
      - .offset:         72
        .size:           4
        .value_kind:     by_value
      - .offset:         80
        .size:           8
        .value_kind:     by_value
      - .address_space:  global
        .offset:         88
        .size:           8
        .value_kind:     global_buffer
      - .offset:         96
        .size:           4
        .value_kind:     by_value
      - .offset:         104
        .size:           4
        .value_kind:     hidden_block_count_x
      - .offset:         108
        .size:           4
        .value_kind:     hidden_block_count_y
      - .offset:         112
        .size:           4
        .value_kind:     hidden_block_count_z
      - .offset:         116
        .size:           2
        .value_kind:     hidden_group_size_x
      - .offset:         118
        .size:           2
        .value_kind:     hidden_group_size_y
      - .offset:         120
        .size:           2
        .value_kind:     hidden_group_size_z
      - .offset:         122
        .size:           2
        .value_kind:     hidden_remainder_x
      - .offset:         124
        .size:           2
        .value_kind:     hidden_remainder_y
      - .offset:         126
        .size:           2
        .value_kind:     hidden_remainder_z
      - .offset:         144
        .size:           8
        .value_kind:     hidden_global_offset_x
      - .offset:         152
        .size:           8
        .value_kind:     hidden_global_offset_y
      - .offset:         160
        .size:           8
        .value_kind:     hidden_global_offset_z
      - .offset:         168
        .size:           2
        .value_kind:     hidden_grid_dims
    .group_segment_fixed_size: 256
    .kernarg_segment_align: 8
    .kernarg_segment_size: 360
    .language:       OpenCL C
    .language_version:
      - 2
      - 0
    .max_flat_workgroup_size: 256
    .name:           _ZL23rocblas_gemvt_sn_kernelILb0ELi256ELi4EiPK19rocblas_complex_numIfES1_S1_EviiT4_lPKT3_lilS7_lilPT5_i
    .private_segment_fixed_size: 48
    .sgpr_count:     76
    .sgpr_spill_count: 0
    .symbol:         _ZL23rocblas_gemvt_sn_kernelILb0ELi256ELi4EiPK19rocblas_complex_numIfES1_S1_EviiT4_lPKT3_lilS7_lilPT5_i.kd
    .uniform_work_group_size: 1
    .uses_dynamic_stack: false
    .vgpr_count:     84
    .vgpr_spill_count: 0
    .wavefront_size: 32
    .workgroup_processor_mode: 1
  - .args:
      - .offset:         0
        .size:           4
        .value_kind:     by_value
      - .offset:         4
        .size:           4
        .value_kind:     by_value
      - .offset:         8
        .size:           8
        .value_kind:     by_value
      - .offset:         16
        .size:           8
        .value_kind:     by_value
      - .address_space:  global
        .offset:         24
        .size:           8
        .value_kind:     global_buffer
      - .offset:         32
        .size:           8
        .value_kind:     by_value
      - .offset:         40
        .size:           4
        .value_kind:     by_value
      - .offset:         48
        .size:           8
        .value_kind:     by_value
      - .address_space:  global
        .offset:         56
        .size:           8
        .value_kind:     global_buffer
      - .offset:         64
        .size:           8
        .value_kind:     by_value
      - .offset:         72
        .size:           4
        .value_kind:     by_value
      - .offset:         80
        .size:           8
        .value_kind:     by_value
      - .address_space:  global
        .offset:         88
        .size:           8
        .value_kind:     global_buffer
      - .offset:         96
        .size:           4
        .value_kind:     by_value
      - .offset:         104
        .size:           4
        .value_kind:     hidden_block_count_x
      - .offset:         108
        .size:           4
        .value_kind:     hidden_block_count_y
      - .offset:         112
        .size:           4
        .value_kind:     hidden_block_count_z
      - .offset:         116
        .size:           2
        .value_kind:     hidden_group_size_x
      - .offset:         118
        .size:           2
        .value_kind:     hidden_group_size_y
      - .offset:         120
        .size:           2
        .value_kind:     hidden_group_size_z
      - .offset:         122
        .size:           2
        .value_kind:     hidden_remainder_x
      - .offset:         124
        .size:           2
        .value_kind:     hidden_remainder_y
      - .offset:         126
        .size:           2
        .value_kind:     hidden_remainder_z
      - .offset:         144
        .size:           8
        .value_kind:     hidden_global_offset_x
      - .offset:         152
        .size:           8
        .value_kind:     hidden_global_offset_y
      - .offset:         160
        .size:           8
        .value_kind:     hidden_global_offset_z
      - .offset:         168
        .size:           2
        .value_kind:     hidden_grid_dims
    .group_segment_fixed_size: 256
    .kernarg_segment_align: 8
    .kernarg_segment_size: 360
    .language:       OpenCL C
    .language_version:
      - 2
      - 0
    .max_flat_workgroup_size: 256
    .name:           _ZL23rocblas_gemvt_sn_kernelILb0ELi256ELi4ElPK19rocblas_complex_numIfES1_S1_EviiT4_lPKT3_lilS7_lilPT5_i
    .private_segment_fixed_size: 48
    .sgpr_count:     68
    .sgpr_spill_count: 0
    .symbol:         _ZL23rocblas_gemvt_sn_kernelILb0ELi256ELi4ElPK19rocblas_complex_numIfES1_S1_EviiT4_lPKT3_lilS7_lilPT5_i.kd
    .uniform_work_group_size: 1
    .uses_dynamic_stack: false
    .vgpr_count:     89
    .vgpr_spill_count: 0
    .wavefront_size: 32
    .workgroup_processor_mode: 1
  - .args:
      - .offset:         0
        .size:           4
        .value_kind:     by_value
      - .offset:         4
        .size:           8
        .value_kind:     by_value
      - .offset:         16
        .size:           8
        .value_kind:     by_value
      - .address_space:  global
        .offset:         24
        .size:           8
        .value_kind:     global_buffer
      - .offset:         32
        .size:           8
        .value_kind:     by_value
      - .offset:         40
        .size:           4
        .value_kind:     by_value
      - .offset:         48
        .size:           8
        .value_kind:     by_value
      - .actual_access:  read_only
        .address_space:  global
        .offset:         56
        .size:           8
        .value_kind:     global_buffer
      - .offset:         64
        .size:           4
        .value_kind:     by_value
      - .offset:         72
        .size:           4
        .value_kind:     hidden_block_count_x
      - .offset:         76
        .size:           4
        .value_kind:     hidden_block_count_y
      - .offset:         80
        .size:           4
        .value_kind:     hidden_block_count_z
      - .offset:         84
        .size:           2
        .value_kind:     hidden_group_size_x
      - .offset:         86
        .size:           2
        .value_kind:     hidden_group_size_y
      - .offset:         88
        .size:           2
        .value_kind:     hidden_group_size_z
      - .offset:         90
        .size:           2
        .value_kind:     hidden_remainder_x
      - .offset:         92
        .size:           2
        .value_kind:     hidden_remainder_y
      - .offset:         94
        .size:           2
        .value_kind:     hidden_remainder_z
      - .offset:         112
        .size:           8
        .value_kind:     hidden_global_offset_x
      - .offset:         120
        .size:           8
        .value_kind:     hidden_global_offset_y
      - .offset:         128
        .size:           8
        .value_kind:     hidden_global_offset_z
      - .offset:         136
        .size:           2
        .value_kind:     hidden_grid_dims
    .group_segment_fixed_size: 256
    .kernarg_segment_align: 8
    .kernarg_segment_size: 328
    .language:       OpenCL C
    .language_version:
      - 2
      - 0
    .max_flat_workgroup_size: 256
    .name:           _ZL23rocblas_gemvt_sn_reduceILi256ELi8E19rocblas_complex_numIfES1_KPS1_EviT2_lPT3_lilPT1_i
    .private_segment_fixed_size: 0
    .sgpr_count:     38
    .sgpr_spill_count: 0
    .symbol:         _ZL23rocblas_gemvt_sn_reduceILi256ELi8E19rocblas_complex_numIfES1_KPS1_EviT2_lPT3_lilPT1_i.kd
    .uniform_work_group_size: 1
    .uses_dynamic_stack: false
    .vgpr_count:     36
    .vgpr_spill_count: 0
    .wavefront_size: 32
    .workgroup_processor_mode: 1
  - .args:
      - .offset:         0
        .size:           4
        .value_kind:     by_value
      - .offset:         4
        .size:           4
        .value_kind:     by_value
      - .address_space:  global
        .offset:         8
        .size:           8
        .value_kind:     global_buffer
      - .offset:         16
        .size:           8
        .value_kind:     by_value
      - .address_space:  global
        .offset:         24
        .size:           8
        .value_kind:     global_buffer
      - .offset:         32
        .size:           8
        .value_kind:     by_value
      - .offset:         40
        .size:           4
        .value_kind:     by_value
      - .offset:         48
        .size:           8
        .value_kind:     by_value
      - .address_space:  global
        .offset:         56
        .size:           8
        .value_kind:     global_buffer
      - .offset:         64
        .size:           8
        .value_kind:     by_value
      - .offset:         72
        .size:           4
        .value_kind:     by_value
      - .offset:         80
        .size:           8
        .value_kind:     by_value
      - .address_space:  global
        .offset:         88
        .size:           8
        .value_kind:     global_buffer
      - .offset:         96
        .size:           8
        .value_kind:     by_value
      - .address_space:  global
        .offset:         104
        .size:           8
        .value_kind:     global_buffer
      - .offset:         112
        .size:           8
        .value_kind:     by_value
      - .offset:         120
        .size:           4
        .value_kind:     by_value
      - .offset:         128
        .size:           8
        .value_kind:     by_value
      - .offset:         136
        .size:           4
        .value_kind:     by_value
    .group_segment_fixed_size: 256
    .kernarg_segment_align: 8
    .kernarg_segment_size: 140
    .language:       OpenCL C
    .language_version:
      - 2
      - 0
    .max_flat_workgroup_size: 256
    .name:           _ZL32rocblas_gemvt_warp_reduce_kernelILb0ELi256EiPK19rocblas_complex_numIfES3_KPS1_EviiT3_lPKT2_lT1_lS9_lSA_lS6_lPT4_lSA_li
    .private_segment_fixed_size: 0
    .sgpr_count:     48
    .sgpr_spill_count: 0
    .symbol:         _ZL32rocblas_gemvt_warp_reduce_kernelILb0ELi256EiPK19rocblas_complex_numIfES3_KPS1_EviiT3_lPKT2_lT1_lS9_lSA_lS6_lPT4_lSA_li.kd
    .uniform_work_group_size: 1
    .uses_dynamic_stack: false
    .vgpr_count:     27
    .vgpr_spill_count: 0
    .wavefront_size: 32
    .workgroup_processor_mode: 1
  - .args:
      - .offset:         0
        .size:           4
        .value_kind:     by_value
      - .offset:         4
        .size:           4
        .value_kind:     by_value
      - .address_space:  global
        .offset:         8
        .size:           8
        .value_kind:     global_buffer
      - .offset:         16
        .size:           8
        .value_kind:     by_value
      - .address_space:  global
        .offset:         24
        .size:           8
        .value_kind:     global_buffer
      - .offset:         32
        .size:           8
        .value_kind:     by_value
      - .offset:         40
        .size:           8
        .value_kind:     by_value
      - .offset:         48
        .size:           8
        .value_kind:     by_value
      - .address_space:  global
        .offset:         56
        .size:           8
        .value_kind:     global_buffer
      - .offset:         64
        .size:           8
        .value_kind:     by_value
      - .offset:         72
        .size:           8
        .value_kind:     by_value
      - .offset:         80
        .size:           8
        .value_kind:     by_value
      - .address_space:  global
        .offset:         88
        .size:           8
        .value_kind:     global_buffer
      - .offset:         96
        .size:           8
        .value_kind:     by_value
      - .address_space:  global
        .offset:         104
        .size:           8
        .value_kind:     global_buffer
      - .offset:         112
        .size:           8
        .value_kind:     by_value
      - .offset:         120
        .size:           8
        .value_kind:     by_value
      - .offset:         128
        .size:           8
        .value_kind:     by_value
      - .offset:         136
        .size:           4
        .value_kind:     by_value
    .group_segment_fixed_size: 256
    .kernarg_segment_align: 8
    .kernarg_segment_size: 140
    .language:       OpenCL C
    .language_version:
      - 2
      - 0
    .max_flat_workgroup_size: 256
    .name:           _ZL32rocblas_gemvt_warp_reduce_kernelILb0ELi256ElPK19rocblas_complex_numIfES3_KPS1_EviiT3_lPKT2_lT1_lS9_lSA_lS6_lPT4_lSA_li
    .private_segment_fixed_size: 0
    .sgpr_count:     50
    .sgpr_spill_count: 0
    .symbol:         _ZL32rocblas_gemvt_warp_reduce_kernelILb0ELi256ElPK19rocblas_complex_numIfES3_KPS1_EviiT3_lPKT2_lT1_lS9_lSA_lS6_lPT4_lSA_li.kd
    .uniform_work_group_size: 1
    .uses_dynamic_stack: false
    .vgpr_count:     29
    .vgpr_spill_count: 0
    .wavefront_size: 32
    .workgroup_processor_mode: 1
  - .args:
      - .offset:         0
        .size:           4
        .value_kind:     by_value
      - .offset:         4
        .size:           4
        .value_kind:     by_value
      - .offset:         8
        .size:           8
        .value_kind:     by_value
      - .offset:         16
        .size:           8
        .value_kind:     by_value
      - .address_space:  global
        .offset:         24
        .size:           8
        .value_kind:     global_buffer
      - .offset:         32
        .size:           8
        .value_kind:     by_value
      - .offset:         40
        .size:           4
        .value_kind:     by_value
      - .offset:         48
        .size:           8
        .value_kind:     by_value
      - .address_space:  global
        .offset:         56
        .size:           8
        .value_kind:     global_buffer
      - .offset:         64
        .size:           8
        .value_kind:     by_value
      - .offset:         72
        .size:           4
        .value_kind:     by_value
      - .offset:         80
        .size:           8
        .value_kind:     by_value
      - .offset:         88
        .size:           8
        .value_kind:     by_value
      - .offset:         96
        .size:           8
        .value_kind:     by_value
      - .address_space:  global
        .offset:         104
        .size:           8
        .value_kind:     global_buffer
      - .offset:         112
        .size:           8
        .value_kind:     by_value
      - .offset:         120
        .size:           4
        .value_kind:     by_value
      - .offset:         128
        .size:           8
        .value_kind:     by_value
      - .offset:         136
        .size:           4
        .value_kind:     by_value
    .group_segment_fixed_size: 256
    .kernarg_segment_align: 8
    .kernarg_segment_size: 140
    .language:       OpenCL C
    .language_version:
      - 2
      - 0
    .max_flat_workgroup_size: 256
    .name:           _ZL32rocblas_gemvt_warp_reduce_kernelILb0ELi256EiPK19rocblas_complex_numIfES1_KPS1_EviiT3_lPKT2_lT1_lS9_lSA_lS6_lPT4_lSA_li
    .private_segment_fixed_size: 0
    .sgpr_count:     44
    .sgpr_spill_count: 0
    .symbol:         _ZL32rocblas_gemvt_warp_reduce_kernelILb0ELi256EiPK19rocblas_complex_numIfES1_KPS1_EviiT3_lPKT2_lT1_lS9_lSA_lS6_lPT4_lSA_li.kd
    .uniform_work_group_size: 1
    .uses_dynamic_stack: false
    .vgpr_count:     27
    .vgpr_spill_count: 0
    .wavefront_size: 32
    .workgroup_processor_mode: 1
  - .args:
      - .offset:         0
        .size:           4
        .value_kind:     by_value
      - .offset:         4
        .size:           4
        .value_kind:     by_value
      - .offset:         8
        .size:           8
        .value_kind:     by_value
      - .offset:         16
        .size:           8
        .value_kind:     by_value
      - .address_space:  global
        .offset:         24
        .size:           8
        .value_kind:     global_buffer
      - .offset:         32
        .size:           8
        .value_kind:     by_value
      - .offset:         40
        .size:           8
        .value_kind:     by_value
      - .offset:         48
        .size:           8
        .value_kind:     by_value
      - .address_space:  global
        .offset:         56
        .size:           8
        .value_kind:     global_buffer
      - .offset:         64
        .size:           8
        .value_kind:     by_value
      - .offset:         72
        .size:           8
        .value_kind:     by_value
      - .offset:         80
        .size:           8
        .value_kind:     by_value
      - .offset:         88
        .size:           8
        .value_kind:     by_value
      - .offset:         96
        .size:           8
        .value_kind:     by_value
      - .address_space:  global
        .offset:         104
        .size:           8
        .value_kind:     global_buffer
      - .offset:         112
        .size:           8
        .value_kind:     by_value
      - .offset:         120
        .size:           8
        .value_kind:     by_value
      - .offset:         128
        .size:           8
        .value_kind:     by_value
      - .offset:         136
        .size:           4
        .value_kind:     by_value
    .group_segment_fixed_size: 256
    .kernarg_segment_align: 8
    .kernarg_segment_size: 140
    .language:       OpenCL C
    .language_version:
      - 2
      - 0
    .max_flat_workgroup_size: 256
    .name:           _ZL32rocblas_gemvt_warp_reduce_kernelILb0ELi256ElPK19rocblas_complex_numIfES1_KPS1_EviiT3_lPKT2_lT1_lS9_lSA_lS6_lPT4_lSA_li
    .private_segment_fixed_size: 0
    .sgpr_count:     46
    .sgpr_spill_count: 0
    .symbol:         _ZL32rocblas_gemvt_warp_reduce_kernelILb0ELi256ElPK19rocblas_complex_numIfES1_KPS1_EviiT3_lPKT2_lT1_lS9_lSA_lS6_lPT4_lSA_li.kd
    .uniform_work_group_size: 1
    .uses_dynamic_stack: false
    .vgpr_count:     29
    .vgpr_spill_count: 0
    .wavefront_size: 32
    .workgroup_processor_mode: 1
  - .args:
      - .offset:         0
        .size:           4
        .value_kind:     by_value
      - .offset:         4
        .size:           4
        .value_kind:     by_value
      - .address_space:  global
        .offset:         8
        .size:           8
        .value_kind:     global_buffer
      - .offset:         16
        .size:           8
        .value_kind:     by_value
      - .address_space:  global
        .offset:         24
        .size:           8
        .value_kind:     global_buffer
      - .offset:         32
        .size:           8
        .value_kind:     by_value
      - .offset:         40
        .size:           4
        .value_kind:     by_value
      - .offset:         48
        .size:           8
        .value_kind:     by_value
      - .address_space:  global
        .offset:         56
        .size:           8
        .value_kind:     global_buffer
      - .offset:         64
        .size:           8
        .value_kind:     by_value
      - .offset:         72
        .size:           4
        .value_kind:     by_value
      - .offset:         80
        .size:           8
        .value_kind:     by_value
      - .address_space:  global
        .offset:         88
        .size:           8
        .value_kind:     global_buffer
      - .offset:         96
        .size:           8
        .value_kind:     by_value
      - .address_space:  global
        .offset:         104
        .size:           8
        .value_kind:     global_buffer
      - .offset:         112
        .size:           8
        .value_kind:     by_value
      - .offset:         120
        .size:           4
        .value_kind:     by_value
      - .offset:         128
        .size:           8
        .value_kind:     by_value
      - .offset:         136
        .size:           4
        .value_kind:     by_value
    .group_segment_fixed_size: 2048
    .kernarg_segment_align: 8
    .kernarg_segment_size: 140
    .language:       OpenCL C
    .language_version:
      - 2
      - 0
    .max_flat_workgroup_size: 256
    .name:           _ZL20rocblas_gemvt_kernelILb0ELi256EPK19rocblas_complex_numIfES3_KPS1_EviiT2_lPKT1_lilS9_lilS6_lPT3_lili
    .private_segment_fixed_size: 0
    .sgpr_count:     54
    .sgpr_spill_count: 0
    .symbol:         _ZL20rocblas_gemvt_kernelILb0ELi256EPK19rocblas_complex_numIfES3_KPS1_EviiT2_lPKT1_lilS9_lilS6_lPT3_lili.kd
    .uniform_work_group_size: 1
    .uses_dynamic_stack: false
    .vgpr_count:     24
    .vgpr_spill_count: 0
    .wavefront_size: 32
    .workgroup_processor_mode: 1
  - .args:
      - .offset:         0
        .size:           4
        .value_kind:     by_value
      - .offset:         4
        .size:           4
        .value_kind:     by_value
      - .offset:         8
        .size:           8
        .value_kind:     by_value
      - .offset:         16
        .size:           8
        .value_kind:     by_value
      - .address_space:  global
        .offset:         24
        .size:           8
        .value_kind:     global_buffer
      - .offset:         32
        .size:           8
        .value_kind:     by_value
      - .offset:         40
        .size:           4
        .value_kind:     by_value
      - .offset:         48
        .size:           8
        .value_kind:     by_value
      - .address_space:  global
        .offset:         56
        .size:           8
        .value_kind:     global_buffer
      - .offset:         64
        .size:           8
        .value_kind:     by_value
      - .offset:         72
        .size:           4
        .value_kind:     by_value
      - .offset:         80
        .size:           8
        .value_kind:     by_value
      - .offset:         88
        .size:           8
        .value_kind:     by_value
      - .offset:         96
        .size:           8
        .value_kind:     by_value
      - .address_space:  global
        .offset:         104
        .size:           8
        .value_kind:     global_buffer
      - .offset:         112
        .size:           8
        .value_kind:     by_value
      - .offset:         120
        .size:           4
        .value_kind:     by_value
      - .offset:         128
        .size:           8
        .value_kind:     by_value
      - .offset:         136
        .size:           4
        .value_kind:     by_value
    .group_segment_fixed_size: 2048
    .kernarg_segment_align: 8
    .kernarg_segment_size: 140
    .language:       OpenCL C
    .language_version:
      - 2
      - 0
    .max_flat_workgroup_size: 256
    .name:           _ZL20rocblas_gemvt_kernelILb0ELi256EPK19rocblas_complex_numIfES1_KPS1_EviiT2_lPKT1_lilS9_lilS6_lPT3_lili
    .private_segment_fixed_size: 0
    .sgpr_count:     49
    .sgpr_spill_count: 0
    .symbol:         _ZL20rocblas_gemvt_kernelILb0ELi256EPK19rocblas_complex_numIfES1_KPS1_EviiT2_lPKT1_lilS9_lilS6_lPT3_lili.kd
    .uniform_work_group_size: 1
    .uses_dynamic_stack: false
    .vgpr_count:     24
    .vgpr_spill_count: 0
    .wavefront_size: 32
    .workgroup_processor_mode: 1
  - .args:
      - .offset:         0
        .size:           4
        .value_kind:     by_value
      - .offset:         4
        .size:           4
        .value_kind:     by_value
      - .address_space:  global
        .offset:         8
        .size:           8
        .value_kind:     global_buffer
      - .offset:         16
        .size:           8
        .value_kind:     by_value
      - .address_space:  global
        .offset:         24
        .size:           8
        .value_kind:     global_buffer
      - .offset:         32
        .size:           8
        .value_kind:     by_value
      - .offset:         40
        .size:           4
        .value_kind:     by_value
      - .offset:         48
        .size:           8
        .value_kind:     by_value
      - .address_space:  global
        .offset:         56
        .size:           8
        .value_kind:     global_buffer
      - .offset:         64
        .size:           8
        .value_kind:     by_value
      - .offset:         72
        .size:           4
        .value_kind:     by_value
      - .offset:         80
        .size:           8
        .value_kind:     by_value
      - .address_space:  global
        .offset:         88
        .size:           8
        .value_kind:     global_buffer
      - .offset:         96
        .size:           8
        .value_kind:     by_value
      - .address_space:  global
        .offset:         104
        .size:           8
        .value_kind:     global_buffer
      - .offset:         112
        .size:           8
        .value_kind:     by_value
      - .offset:         120
        .size:           4
        .value_kind:     by_value
      - .offset:         128
        .size:           8
        .value_kind:     by_value
      - .offset:         136
        .size:           4
        .value_kind:     by_value
    .group_segment_fixed_size: 256
    .kernarg_segment_align: 8
    .kernarg_segment_size: 140
    .language:       OpenCL C
    .language_version:
      - 2
      - 0
    .max_flat_workgroup_size: 1024
    .name:           _ZL32rocblas_gemvt_warp_reduce_kernelILb0ELi1024EiPK19rocblas_complex_numIfES3_KPS1_EviiT3_lPKT2_lT1_lS9_lSA_lS6_lPT4_lSA_li
    .private_segment_fixed_size: 0
    .sgpr_count:     48
    .sgpr_spill_count: 0
    .symbol:         _ZL32rocblas_gemvt_warp_reduce_kernelILb0ELi1024EiPK19rocblas_complex_numIfES3_KPS1_EviiT3_lPKT2_lT1_lS9_lSA_lS6_lPT4_lSA_li.kd
    .uniform_work_group_size: 1
    .uses_dynamic_stack: false
    .vgpr_count:     27
    .vgpr_spill_count: 0
    .wavefront_size: 32
    .workgroup_processor_mode: 1
  - .args:
      - .offset:         0
        .size:           4
        .value_kind:     by_value
      - .offset:         4
        .size:           4
        .value_kind:     by_value
      - .address_space:  global
        .offset:         8
        .size:           8
        .value_kind:     global_buffer
      - .offset:         16
        .size:           8
        .value_kind:     by_value
      - .address_space:  global
        .offset:         24
        .size:           8
        .value_kind:     global_buffer
      - .offset:         32
        .size:           8
        .value_kind:     by_value
      - .offset:         40
        .size:           8
        .value_kind:     by_value
      - .offset:         48
        .size:           8
        .value_kind:     by_value
      - .address_space:  global
        .offset:         56
        .size:           8
        .value_kind:     global_buffer
      - .offset:         64
        .size:           8
        .value_kind:     by_value
      - .offset:         72
        .size:           8
        .value_kind:     by_value
      - .offset:         80
        .size:           8
        .value_kind:     by_value
      - .address_space:  global
        .offset:         88
        .size:           8
        .value_kind:     global_buffer
      - .offset:         96
        .size:           8
        .value_kind:     by_value
      - .address_space:  global
        .offset:         104
        .size:           8
        .value_kind:     global_buffer
      - .offset:         112
        .size:           8
        .value_kind:     by_value
      - .offset:         120
        .size:           8
        .value_kind:     by_value
      - .offset:         128
        .size:           8
        .value_kind:     by_value
      - .offset:         136
        .size:           4
        .value_kind:     by_value
    .group_segment_fixed_size: 256
    .kernarg_segment_align: 8
    .kernarg_segment_size: 140
    .language:       OpenCL C
    .language_version:
      - 2
      - 0
    .max_flat_workgroup_size: 1024
    .name:           _ZL32rocblas_gemvt_warp_reduce_kernelILb0ELi1024ElPK19rocblas_complex_numIfES3_KPS1_EviiT3_lPKT2_lT1_lS9_lSA_lS6_lPT4_lSA_li
    .private_segment_fixed_size: 0
    .sgpr_count:     48
    .sgpr_spill_count: 0
    .symbol:         _ZL32rocblas_gemvt_warp_reduce_kernelILb0ELi1024ElPK19rocblas_complex_numIfES3_KPS1_EviiT3_lPKT2_lT1_lS9_lSA_lS6_lPT4_lSA_li.kd
    .uniform_work_group_size: 1
    .uses_dynamic_stack: false
    .vgpr_count:     29
    .vgpr_spill_count: 0
    .wavefront_size: 32
    .workgroup_processor_mode: 1
  - .args:
      - .offset:         0
        .size:           4
        .value_kind:     by_value
      - .offset:         4
        .size:           4
        .value_kind:     by_value
      - .offset:         8
        .size:           8
        .value_kind:     by_value
      - .offset:         16
        .size:           8
        .value_kind:     by_value
      - .address_space:  global
        .offset:         24
        .size:           8
        .value_kind:     global_buffer
      - .offset:         32
        .size:           8
        .value_kind:     by_value
      - .offset:         40
        .size:           4
        .value_kind:     by_value
      - .offset:         48
        .size:           8
        .value_kind:     by_value
      - .address_space:  global
        .offset:         56
        .size:           8
        .value_kind:     global_buffer
      - .offset:         64
        .size:           8
        .value_kind:     by_value
      - .offset:         72
        .size:           4
        .value_kind:     by_value
      - .offset:         80
        .size:           8
        .value_kind:     by_value
      - .offset:         88
        .size:           8
        .value_kind:     by_value
      - .offset:         96
        .size:           8
        .value_kind:     by_value
      - .address_space:  global
        .offset:         104
        .size:           8
        .value_kind:     global_buffer
      - .offset:         112
        .size:           8
        .value_kind:     by_value
      - .offset:         120
        .size:           4
        .value_kind:     by_value
      - .offset:         128
        .size:           8
        .value_kind:     by_value
      - .offset:         136
        .size:           4
        .value_kind:     by_value
    .group_segment_fixed_size: 256
    .kernarg_segment_align: 8
    .kernarg_segment_size: 140
    .language:       OpenCL C
    .language_version:
      - 2
      - 0
    .max_flat_workgroup_size: 1024
    .name:           _ZL32rocblas_gemvt_warp_reduce_kernelILb0ELi1024EiPK19rocblas_complex_numIfES1_KPS1_EviiT3_lPKT2_lT1_lS9_lSA_lS6_lPT4_lSA_li
    .private_segment_fixed_size: 0
    .sgpr_count:     42
    .sgpr_spill_count: 0
    .symbol:         _ZL32rocblas_gemvt_warp_reduce_kernelILb0ELi1024EiPK19rocblas_complex_numIfES1_KPS1_EviiT3_lPKT2_lT1_lS9_lSA_lS6_lPT4_lSA_li.kd
    .uniform_work_group_size: 1
    .uses_dynamic_stack: false
    .vgpr_count:     27
    .vgpr_spill_count: 0
    .wavefront_size: 32
    .workgroup_processor_mode: 1
  - .args:
      - .offset:         0
        .size:           4
        .value_kind:     by_value
      - .offset:         4
        .size:           4
        .value_kind:     by_value
      - .offset:         8
        .size:           8
        .value_kind:     by_value
      - .offset:         16
        .size:           8
        .value_kind:     by_value
      - .address_space:  global
        .offset:         24
        .size:           8
        .value_kind:     global_buffer
      - .offset:         32
        .size:           8
        .value_kind:     by_value
      - .offset:         40
        .size:           8
        .value_kind:     by_value
      - .offset:         48
        .size:           8
        .value_kind:     by_value
      - .address_space:  global
        .offset:         56
        .size:           8
        .value_kind:     global_buffer
      - .offset:         64
        .size:           8
        .value_kind:     by_value
      - .offset:         72
        .size:           8
        .value_kind:     by_value
      - .offset:         80
        .size:           8
        .value_kind:     by_value
      - .offset:         88
        .size:           8
        .value_kind:     by_value
      - .offset:         96
        .size:           8
        .value_kind:     by_value
      - .address_space:  global
        .offset:         104
        .size:           8
        .value_kind:     global_buffer
      - .offset:         112
        .size:           8
        .value_kind:     by_value
      - .offset:         120
        .size:           8
        .value_kind:     by_value
      - .offset:         128
        .size:           8
        .value_kind:     by_value
      - .offset:         136
        .size:           4
        .value_kind:     by_value
    .group_segment_fixed_size: 256
    .kernarg_segment_align: 8
    .kernarg_segment_size: 140
    .language:       OpenCL C
    .language_version:
      - 2
      - 0
    .max_flat_workgroup_size: 1024
    .name:           _ZL32rocblas_gemvt_warp_reduce_kernelILb0ELi1024ElPK19rocblas_complex_numIfES1_KPS1_EviiT3_lPKT2_lT1_lS9_lSA_lS6_lPT4_lSA_li
    .private_segment_fixed_size: 0
    .sgpr_count:     44
    .sgpr_spill_count: 0
    .symbol:         _ZL32rocblas_gemvt_warp_reduce_kernelILb0ELi1024ElPK19rocblas_complex_numIfES1_KPS1_EviiT3_lPKT2_lT1_lS9_lSA_lS6_lPT4_lSA_li.kd
    .uniform_work_group_size: 1
    .uses_dynamic_stack: false
    .vgpr_count:     29
    .vgpr_spill_count: 0
    .wavefront_size: 32
    .workgroup_processor_mode: 1
  - .args:
      - .offset:         0
        .size:           4
        .value_kind:     by_value
      - .offset:         4
        .size:           4
        .value_kind:     by_value
      - .address_space:  global
        .offset:         8
        .size:           8
        .value_kind:     global_buffer
      - .offset:         16
        .size:           8
        .value_kind:     by_value
      - .address_space:  global
        .offset:         24
        .size:           8
        .value_kind:     global_buffer
      - .offset:         32
        .size:           8
        .value_kind:     by_value
      - .offset:         40
        .size:           4
        .value_kind:     by_value
      - .offset:         48
        .size:           8
        .value_kind:     by_value
      - .address_space:  global
        .offset:         56
        .size:           8
        .value_kind:     global_buffer
      - .offset:         64
        .size:           8
        .value_kind:     by_value
      - .offset:         72
        .size:           4
        .value_kind:     by_value
      - .offset:         80
        .size:           8
        .value_kind:     by_value
      - .address_space:  global
        .offset:         88
        .size:           8
        .value_kind:     global_buffer
      - .offset:         96
        .size:           8
        .value_kind:     by_value
      - .address_space:  global
        .offset:         104
        .size:           8
        .value_kind:     global_buffer
      - .offset:         112
        .size:           8
        .value_kind:     by_value
      - .offset:         120
        .size:           4
        .value_kind:     by_value
      - .offset:         128
        .size:           8
        .value_kind:     by_value
    .group_segment_fixed_size: 512
    .kernarg_segment_align: 8
    .kernarg_segment_size: 136
    .language:       OpenCL C
    .language_version:
      - 2
      - 0
    .max_flat_workgroup_size: 256
    .name:           _ZL22rocblas_gemvtsm_kernelILb1ELi256EPK19rocblas_complex_numIfES3_KPS1_EviiT2_lPKT1_lilS9_lilS6_lPT3_lil
    .private_segment_fixed_size: 0
    .sgpr_count:     26
    .sgpr_spill_count: 0
    .symbol:         _ZL22rocblas_gemvtsm_kernelILb1ELi256EPK19rocblas_complex_numIfES3_KPS1_EviiT2_lPKT1_lilS9_lilS6_lPT3_lil.kd
    .uniform_work_group_size: 1
    .uses_dynamic_stack: false
    .vgpr_count:     51
    .vgpr_spill_count: 0
    .wavefront_size: 32
    .workgroup_processor_mode: 1
  - .args:
      - .offset:         0
        .size:           4
        .value_kind:     by_value
      - .offset:         4
        .size:           4
        .value_kind:     by_value
      - .offset:         8
        .size:           8
        .value_kind:     by_value
      - .offset:         16
        .size:           8
        .value_kind:     by_value
      - .address_space:  global
        .offset:         24
        .size:           8
        .value_kind:     global_buffer
      - .offset:         32
        .size:           8
        .value_kind:     by_value
      - .offset:         40
        .size:           4
        .value_kind:     by_value
      - .offset:         48
        .size:           8
        .value_kind:     by_value
      - .address_space:  global
        .offset:         56
        .size:           8
        .value_kind:     global_buffer
      - .offset:         64
        .size:           8
        .value_kind:     by_value
      - .offset:         72
        .size:           4
        .value_kind:     by_value
      - .offset:         80
        .size:           8
        .value_kind:     by_value
      - .offset:         88
        .size:           8
        .value_kind:     by_value
      - .offset:         96
        .size:           8
        .value_kind:     by_value
      - .address_space:  global
        .offset:         104
        .size:           8
        .value_kind:     global_buffer
      - .offset:         112
        .size:           8
        .value_kind:     by_value
      - .offset:         120
        .size:           4
        .value_kind:     by_value
      - .offset:         128
        .size:           8
        .value_kind:     by_value
    .group_segment_fixed_size: 512
    .kernarg_segment_align: 8
    .kernarg_segment_size: 136
    .language:       OpenCL C
    .language_version:
      - 2
      - 0
    .max_flat_workgroup_size: 256
    .name:           _ZL22rocblas_gemvtsm_kernelILb1ELi256EPK19rocblas_complex_numIfES1_KPS1_EviiT2_lPKT1_lilS9_lilS6_lPT3_lil
    .private_segment_fixed_size: 0
    .sgpr_count:     26
    .sgpr_spill_count: 0
    .symbol:         _ZL22rocblas_gemvtsm_kernelILb1ELi256EPK19rocblas_complex_numIfES1_KPS1_EviiT2_lPKT1_lilS9_lilS6_lPT3_lil.kd
    .uniform_work_group_size: 1
    .uses_dynamic_stack: false
    .vgpr_count:     51
    .vgpr_spill_count: 0
    .wavefront_size: 32
    .workgroup_processor_mode: 1
  - .args:
      - .offset:         0
        .size:           4
        .value_kind:     by_value
      - .offset:         4
        .size:           4
        .value_kind:     by_value
      - .address_space:  global
        .offset:         8
        .size:           8
        .value_kind:     global_buffer
      - .offset:         16
        .size:           8
        .value_kind:     by_value
      - .address_space:  global
        .offset:         24
        .size:           8
        .value_kind:     global_buffer
      - .offset:         32
        .size:           8
        .value_kind:     by_value
      - .offset:         40
        .size:           4
        .value_kind:     by_value
      - .offset:         48
        .size:           8
        .value_kind:     by_value
      - .address_space:  global
        .offset:         56
        .size:           8
        .value_kind:     global_buffer
      - .offset:         64
        .size:           8
        .value_kind:     by_value
      - .offset:         72
        .size:           4
        .value_kind:     by_value
      - .offset:         80
        .size:           8
        .value_kind:     by_value
      - .address_space:  global
        .offset:         88
        .size:           8
        .value_kind:     global_buffer
      - .offset:         96
        .size:           4
        .value_kind:     by_value
      - .offset:         104
        .size:           4
        .value_kind:     hidden_block_count_x
      - .offset:         108
        .size:           4
        .value_kind:     hidden_block_count_y
      - .offset:         112
        .size:           4
        .value_kind:     hidden_block_count_z
      - .offset:         116
        .size:           2
        .value_kind:     hidden_group_size_x
      - .offset:         118
        .size:           2
        .value_kind:     hidden_group_size_y
      - .offset:         120
        .size:           2
        .value_kind:     hidden_group_size_z
      - .offset:         122
        .size:           2
        .value_kind:     hidden_remainder_x
      - .offset:         124
        .size:           2
        .value_kind:     hidden_remainder_y
      - .offset:         126
        .size:           2
        .value_kind:     hidden_remainder_z
      - .offset:         144
        .size:           8
        .value_kind:     hidden_global_offset_x
      - .offset:         152
        .size:           8
        .value_kind:     hidden_global_offset_y
      - .offset:         160
        .size:           8
        .value_kind:     hidden_global_offset_z
      - .offset:         168
        .size:           2
        .value_kind:     hidden_grid_dims
    .group_segment_fixed_size: 256
    .kernarg_segment_align: 8
    .kernarg_segment_size: 360
    .language:       OpenCL C
    .language_version:
      - 2
      - 0
    .max_flat_workgroup_size: 256
    .name:           _ZL23rocblas_gemvt_sn_kernelILb1ELi256ELi4EiPK19rocblas_complex_numIfES3_S1_EviiT4_lPKT3_lilS7_lilPT5_i
    .private_segment_fixed_size: 48
    .sgpr_count:     78
    .sgpr_spill_count: 0
    .symbol:         _ZL23rocblas_gemvt_sn_kernelILb1ELi256ELi4EiPK19rocblas_complex_numIfES3_S1_EviiT4_lPKT3_lilS7_lilPT5_i.kd
    .uniform_work_group_size: 1
    .uses_dynamic_stack: false
    .vgpr_count:     90
    .vgpr_spill_count: 0
    .wavefront_size: 32
    .workgroup_processor_mode: 1
  - .args:
      - .offset:         0
        .size:           4
        .value_kind:     by_value
      - .offset:         4
        .size:           4
        .value_kind:     by_value
      - .address_space:  global
        .offset:         8
        .size:           8
        .value_kind:     global_buffer
      - .offset:         16
        .size:           8
        .value_kind:     by_value
      - .address_space:  global
        .offset:         24
        .size:           8
        .value_kind:     global_buffer
      - .offset:         32
        .size:           8
        .value_kind:     by_value
      - .offset:         40
        .size:           4
        .value_kind:     by_value
      - .offset:         48
        .size:           8
        .value_kind:     by_value
      - .address_space:  global
        .offset:         56
        .size:           8
        .value_kind:     global_buffer
      - .offset:         64
        .size:           8
        .value_kind:     by_value
      - .offset:         72
        .size:           4
        .value_kind:     by_value
      - .offset:         80
        .size:           8
        .value_kind:     by_value
      - .address_space:  global
        .offset:         88
        .size:           8
        .value_kind:     global_buffer
      - .offset:         96
        .size:           4
        .value_kind:     by_value
      - .offset:         104
        .size:           4
        .value_kind:     hidden_block_count_x
      - .offset:         108
        .size:           4
        .value_kind:     hidden_block_count_y
      - .offset:         112
        .size:           4
        .value_kind:     hidden_block_count_z
      - .offset:         116
        .size:           2
        .value_kind:     hidden_group_size_x
      - .offset:         118
        .size:           2
        .value_kind:     hidden_group_size_y
      - .offset:         120
        .size:           2
        .value_kind:     hidden_group_size_z
      - .offset:         122
        .size:           2
        .value_kind:     hidden_remainder_x
      - .offset:         124
        .size:           2
        .value_kind:     hidden_remainder_y
      - .offset:         126
        .size:           2
        .value_kind:     hidden_remainder_z
      - .offset:         144
        .size:           8
        .value_kind:     hidden_global_offset_x
      - .offset:         152
        .size:           8
        .value_kind:     hidden_global_offset_y
      - .offset:         160
        .size:           8
        .value_kind:     hidden_global_offset_z
      - .offset:         168
        .size:           2
        .value_kind:     hidden_grid_dims
    .group_segment_fixed_size: 256
    .kernarg_segment_align: 8
    .kernarg_segment_size: 360
    .language:       OpenCL C
    .language_version:
      - 2
      - 0
    .max_flat_workgroup_size: 256
    .name:           _ZL23rocblas_gemvt_sn_kernelILb1ELi256ELi4ElPK19rocblas_complex_numIfES3_S1_EviiT4_lPKT3_lilS7_lilPT5_i
    .private_segment_fixed_size: 48
    .sgpr_count:     66
    .sgpr_spill_count: 0
    .symbol:         _ZL23rocblas_gemvt_sn_kernelILb1ELi256ELi4ElPK19rocblas_complex_numIfES3_S1_EviiT4_lPKT3_lilS7_lilPT5_i.kd
    .uniform_work_group_size: 1
    .uses_dynamic_stack: false
    .vgpr_count:     93
    .vgpr_spill_count: 0
    .wavefront_size: 32
    .workgroup_processor_mode: 1
  - .args:
      - .offset:         0
        .size:           4
        .value_kind:     by_value
      - .offset:         4
        .size:           4
        .value_kind:     by_value
      - .offset:         8
        .size:           8
        .value_kind:     by_value
      - .offset:         16
        .size:           8
        .value_kind:     by_value
      - .address_space:  global
        .offset:         24
        .size:           8
        .value_kind:     global_buffer
      - .offset:         32
        .size:           8
        .value_kind:     by_value
      - .offset:         40
        .size:           4
        .value_kind:     by_value
      - .offset:         48
        .size:           8
        .value_kind:     by_value
      - .address_space:  global
        .offset:         56
        .size:           8
        .value_kind:     global_buffer
      - .offset:         64
        .size:           8
        .value_kind:     by_value
      - .offset:         72
        .size:           4
        .value_kind:     by_value
      - .offset:         80
        .size:           8
        .value_kind:     by_value
      - .address_space:  global
        .offset:         88
        .size:           8
        .value_kind:     global_buffer
      - .offset:         96
        .size:           4
        .value_kind:     by_value
      - .offset:         104
        .size:           4
        .value_kind:     hidden_block_count_x
      - .offset:         108
        .size:           4
        .value_kind:     hidden_block_count_y
      - .offset:         112
        .size:           4
        .value_kind:     hidden_block_count_z
      - .offset:         116
        .size:           2
        .value_kind:     hidden_group_size_x
      - .offset:         118
        .size:           2
        .value_kind:     hidden_group_size_y
      - .offset:         120
        .size:           2
        .value_kind:     hidden_group_size_z
      - .offset:         122
        .size:           2
        .value_kind:     hidden_remainder_x
      - .offset:         124
        .size:           2
        .value_kind:     hidden_remainder_y
      - .offset:         126
        .size:           2
        .value_kind:     hidden_remainder_z
      - .offset:         144
        .size:           8
        .value_kind:     hidden_global_offset_x
      - .offset:         152
        .size:           8
        .value_kind:     hidden_global_offset_y
      - .offset:         160
        .size:           8
        .value_kind:     hidden_global_offset_z
      - .offset:         168
        .size:           2
        .value_kind:     hidden_grid_dims
    .group_segment_fixed_size: 256
    .kernarg_segment_align: 8
    .kernarg_segment_size: 360
    .language:       OpenCL C
    .language_version:
      - 2
      - 0
    .max_flat_workgroup_size: 256
    .name:           _ZL23rocblas_gemvt_sn_kernelILb1ELi256ELi4EiPK19rocblas_complex_numIfES1_S1_EviiT4_lPKT3_lilS7_lilPT5_i
    .private_segment_fixed_size: 48
    .sgpr_count:     76
    .sgpr_spill_count: 0
    .symbol:         _ZL23rocblas_gemvt_sn_kernelILb1ELi256ELi4EiPK19rocblas_complex_numIfES1_S1_EviiT4_lPKT3_lilS7_lilPT5_i.kd
    .uniform_work_group_size: 1
    .uses_dynamic_stack: false
    .vgpr_count:     90
    .vgpr_spill_count: 0
    .wavefront_size: 32
    .workgroup_processor_mode: 1
  - .args:
      - .offset:         0
        .size:           4
        .value_kind:     by_value
      - .offset:         4
        .size:           4
        .value_kind:     by_value
      - .offset:         8
        .size:           8
        .value_kind:     by_value
      - .offset:         16
        .size:           8
        .value_kind:     by_value
      - .address_space:  global
        .offset:         24
        .size:           8
        .value_kind:     global_buffer
      - .offset:         32
        .size:           8
        .value_kind:     by_value
      - .offset:         40
        .size:           4
        .value_kind:     by_value
      - .offset:         48
        .size:           8
        .value_kind:     by_value
      - .address_space:  global
        .offset:         56
        .size:           8
        .value_kind:     global_buffer
      - .offset:         64
        .size:           8
        .value_kind:     by_value
      - .offset:         72
        .size:           4
        .value_kind:     by_value
      - .offset:         80
        .size:           8
        .value_kind:     by_value
      - .address_space:  global
        .offset:         88
        .size:           8
        .value_kind:     global_buffer
      - .offset:         96
        .size:           4
        .value_kind:     by_value
      - .offset:         104
        .size:           4
        .value_kind:     hidden_block_count_x
      - .offset:         108
        .size:           4
        .value_kind:     hidden_block_count_y
      - .offset:         112
        .size:           4
        .value_kind:     hidden_block_count_z
      - .offset:         116
        .size:           2
        .value_kind:     hidden_group_size_x
      - .offset:         118
        .size:           2
        .value_kind:     hidden_group_size_y
      - .offset:         120
        .size:           2
        .value_kind:     hidden_group_size_z
      - .offset:         122
        .size:           2
        .value_kind:     hidden_remainder_x
      - .offset:         124
        .size:           2
        .value_kind:     hidden_remainder_y
      - .offset:         126
        .size:           2
        .value_kind:     hidden_remainder_z
      - .offset:         144
        .size:           8
        .value_kind:     hidden_global_offset_x
      - .offset:         152
        .size:           8
        .value_kind:     hidden_global_offset_y
      - .offset:         160
        .size:           8
        .value_kind:     hidden_global_offset_z
      - .offset:         168
        .size:           2
        .value_kind:     hidden_grid_dims
    .group_segment_fixed_size: 256
    .kernarg_segment_align: 8
    .kernarg_segment_size: 360
    .language:       OpenCL C
    .language_version:
      - 2
      - 0
    .max_flat_workgroup_size: 256
    .name:           _ZL23rocblas_gemvt_sn_kernelILb1ELi256ELi4ElPK19rocblas_complex_numIfES1_S1_EviiT4_lPKT3_lilS7_lilPT5_i
    .private_segment_fixed_size: 48
    .sgpr_count:     64
    .sgpr_spill_count: 0
    .symbol:         _ZL23rocblas_gemvt_sn_kernelILb1ELi256ELi4ElPK19rocblas_complex_numIfES1_S1_EviiT4_lPKT3_lilS7_lilPT5_i.kd
    .uniform_work_group_size: 1
    .uses_dynamic_stack: false
    .vgpr_count:     92
    .vgpr_spill_count: 0
    .wavefront_size: 32
    .workgroup_processor_mode: 1
  - .args:
      - .offset:         0
        .size:           4
        .value_kind:     by_value
      - .offset:         4
        .size:           4
        .value_kind:     by_value
      - .address_space:  global
        .offset:         8
        .size:           8
        .value_kind:     global_buffer
      - .offset:         16
        .size:           8
        .value_kind:     by_value
      - .address_space:  global
        .offset:         24
        .size:           8
        .value_kind:     global_buffer
      - .offset:         32
        .size:           8
        .value_kind:     by_value
      - .offset:         40
        .size:           4
        .value_kind:     by_value
      - .offset:         48
        .size:           8
        .value_kind:     by_value
      - .address_space:  global
        .offset:         56
        .size:           8
        .value_kind:     global_buffer
      - .offset:         64
        .size:           8
        .value_kind:     by_value
      - .offset:         72
        .size:           4
        .value_kind:     by_value
      - .offset:         80
        .size:           8
        .value_kind:     by_value
      - .address_space:  global
        .offset:         88
        .size:           8
        .value_kind:     global_buffer
      - .offset:         96
        .size:           8
        .value_kind:     by_value
      - .address_space:  global
        .offset:         104
        .size:           8
        .value_kind:     global_buffer
      - .offset:         112
        .size:           8
        .value_kind:     by_value
      - .offset:         120
        .size:           4
        .value_kind:     by_value
      - .offset:         128
        .size:           8
        .value_kind:     by_value
      - .offset:         136
        .size:           4
        .value_kind:     by_value
    .group_segment_fixed_size: 2048
    .kernarg_segment_align: 8
    .kernarg_segment_size: 140
    .language:       OpenCL C
    .language_version:
      - 2
      - 0
    .max_flat_workgroup_size: 256
    .name:           _ZL20rocblas_gemvt_kernelILb1ELi256EPK19rocblas_complex_numIfES3_KPS1_EviiT2_lPKT1_lilS9_lilS6_lPT3_lili
    .private_segment_fixed_size: 0
    .sgpr_count:     54
    .sgpr_spill_count: 0
    .symbol:         _ZL20rocblas_gemvt_kernelILb1ELi256EPK19rocblas_complex_numIfES3_KPS1_EviiT2_lPKT1_lilS9_lilS6_lPT3_lili.kd
    .uniform_work_group_size: 1
    .uses_dynamic_stack: false
    .vgpr_count:     26
    .vgpr_spill_count: 0
    .wavefront_size: 32
    .workgroup_processor_mode: 1
  - .args:
      - .offset:         0
        .size:           4
        .value_kind:     by_value
      - .offset:         4
        .size:           4
        .value_kind:     by_value
      - .offset:         8
        .size:           8
        .value_kind:     by_value
      - .offset:         16
        .size:           8
        .value_kind:     by_value
      - .address_space:  global
        .offset:         24
        .size:           8
        .value_kind:     global_buffer
      - .offset:         32
        .size:           8
        .value_kind:     by_value
      - .offset:         40
        .size:           4
        .value_kind:     by_value
      - .offset:         48
        .size:           8
        .value_kind:     by_value
      - .address_space:  global
        .offset:         56
        .size:           8
        .value_kind:     global_buffer
      - .offset:         64
        .size:           8
        .value_kind:     by_value
      - .offset:         72
        .size:           4
        .value_kind:     by_value
      - .offset:         80
        .size:           8
        .value_kind:     by_value
      - .offset:         88
        .size:           8
        .value_kind:     by_value
      - .offset:         96
        .size:           8
        .value_kind:     by_value
      - .address_space:  global
        .offset:         104
        .size:           8
        .value_kind:     global_buffer
      - .offset:         112
        .size:           8
        .value_kind:     by_value
      - .offset:         120
        .size:           4
        .value_kind:     by_value
      - .offset:         128
        .size:           8
        .value_kind:     by_value
      - .offset:         136
        .size:           4
        .value_kind:     by_value
    .group_segment_fixed_size: 2048
    .kernarg_segment_align: 8
    .kernarg_segment_size: 140
    .language:       OpenCL C
    .language_version:
      - 2
      - 0
    .max_flat_workgroup_size: 256
    .name:           _ZL20rocblas_gemvt_kernelILb1ELi256EPK19rocblas_complex_numIfES1_KPS1_EviiT2_lPKT1_lilS9_lilS6_lPT3_lili
    .private_segment_fixed_size: 0
    .sgpr_count:     48
    .sgpr_spill_count: 0
    .symbol:         _ZL20rocblas_gemvt_kernelILb1ELi256EPK19rocblas_complex_numIfES1_KPS1_EviiT2_lPKT1_lilS9_lilS6_lPT3_lili.kd
    .uniform_work_group_size: 1
    .uses_dynamic_stack: false
    .vgpr_count:     26
    .vgpr_spill_count: 0
    .wavefront_size: 32
    .workgroup_processor_mode: 1
  - .args:
      - .offset:         0
        .size:           4
        .value_kind:     by_value
      - .offset:         4
        .size:           4
        .value_kind:     by_value
      - .address_space:  global
        .offset:         8
        .size:           8
        .value_kind:     global_buffer
      - .offset:         16
        .size:           8
        .value_kind:     by_value
      - .address_space:  global
        .offset:         24
        .size:           8
        .value_kind:     global_buffer
      - .offset:         32
        .size:           8
        .value_kind:     by_value
      - .offset:         40
        .size:           4
        .value_kind:     by_value
      - .offset:         48
        .size:           8
        .value_kind:     by_value
      - .address_space:  global
        .offset:         56
        .size:           8
        .value_kind:     global_buffer
      - .offset:         64
        .size:           8
        .value_kind:     by_value
      - .offset:         72
        .size:           4
        .value_kind:     by_value
      - .offset:         80
        .size:           8
        .value_kind:     by_value
      - .address_space:  global
        .offset:         88
        .size:           8
        .value_kind:     global_buffer
      - .offset:         96
        .size:           8
        .value_kind:     by_value
      - .address_space:  global
        .offset:         104
        .size:           8
        .value_kind:     global_buffer
      - .offset:         112
        .size:           8
        .value_kind:     by_value
      - .offset:         120
        .size:           4
        .value_kind:     by_value
      - .offset:         128
        .size:           8
        .value_kind:     by_value
      - .offset:         136
        .size:           4
        .value_kind:     by_value
    .group_segment_fixed_size: 256
    .kernarg_segment_align: 8
    .kernarg_segment_size: 140
    .language:       OpenCL C
    .language_version:
      - 2
      - 0
    .max_flat_workgroup_size: 1024
    .name:           _ZL32rocblas_gemvt_warp_reduce_kernelILb1ELi1024EiPK19rocblas_complex_numIfES3_KPS1_EviiT3_lPKT2_lT1_lS9_lSA_lS6_lPT4_lSA_li
    .private_segment_fixed_size: 0
    .sgpr_count:     48
    .sgpr_spill_count: 0
    .symbol:         _ZL32rocblas_gemvt_warp_reduce_kernelILb1ELi1024EiPK19rocblas_complex_numIfES3_KPS1_EviiT3_lPKT2_lT1_lS9_lSA_lS6_lPT4_lSA_li.kd
    .uniform_work_group_size: 1
    .uses_dynamic_stack: false
    .vgpr_count:     29
    .vgpr_spill_count: 0
    .wavefront_size: 32
    .workgroup_processor_mode: 1
  - .args:
      - .offset:         0
        .size:           4
        .value_kind:     by_value
      - .offset:         4
        .size:           4
        .value_kind:     by_value
      - .address_space:  global
        .offset:         8
        .size:           8
        .value_kind:     global_buffer
      - .offset:         16
        .size:           8
        .value_kind:     by_value
      - .address_space:  global
        .offset:         24
        .size:           8
        .value_kind:     global_buffer
      - .offset:         32
        .size:           8
        .value_kind:     by_value
      - .offset:         40
        .size:           8
        .value_kind:     by_value
      - .offset:         48
        .size:           8
        .value_kind:     by_value
      - .address_space:  global
        .offset:         56
        .size:           8
        .value_kind:     global_buffer
      - .offset:         64
        .size:           8
        .value_kind:     by_value
      - .offset:         72
        .size:           8
        .value_kind:     by_value
      - .offset:         80
        .size:           8
        .value_kind:     by_value
      - .address_space:  global
        .offset:         88
        .size:           8
        .value_kind:     global_buffer
      - .offset:         96
        .size:           8
        .value_kind:     by_value
      - .address_space:  global
        .offset:         104
        .size:           8
        .value_kind:     global_buffer
      - .offset:         112
        .size:           8
        .value_kind:     by_value
      - .offset:         120
        .size:           8
        .value_kind:     by_value
      - .offset:         128
        .size:           8
        .value_kind:     by_value
      - .offset:         136
        .size:           4
        .value_kind:     by_value
    .group_segment_fixed_size: 256
    .kernarg_segment_align: 8
    .kernarg_segment_size: 140
    .language:       OpenCL C
    .language_version:
      - 2
      - 0
    .max_flat_workgroup_size: 1024
    .name:           _ZL32rocblas_gemvt_warp_reduce_kernelILb1ELi1024ElPK19rocblas_complex_numIfES3_KPS1_EviiT3_lPKT2_lT1_lS9_lSA_lS6_lPT4_lSA_li
    .private_segment_fixed_size: 0
    .sgpr_count:     48
    .sgpr_spill_count: 0
    .symbol:         _ZL32rocblas_gemvt_warp_reduce_kernelILb1ELi1024ElPK19rocblas_complex_numIfES3_KPS1_EviiT3_lPKT2_lT1_lS9_lSA_lS6_lPT4_lSA_li.kd
    .uniform_work_group_size: 1
    .uses_dynamic_stack: false
    .vgpr_count:     30
    .vgpr_spill_count: 0
    .wavefront_size: 32
    .workgroup_processor_mode: 1
  - .args:
      - .offset:         0
        .size:           4
        .value_kind:     by_value
      - .offset:         4
        .size:           4
        .value_kind:     by_value
      - .offset:         8
        .size:           8
        .value_kind:     by_value
      - .offset:         16
        .size:           8
        .value_kind:     by_value
      - .address_space:  global
        .offset:         24
        .size:           8
        .value_kind:     global_buffer
      - .offset:         32
        .size:           8
        .value_kind:     by_value
      - .offset:         40
        .size:           4
        .value_kind:     by_value
      - .offset:         48
        .size:           8
        .value_kind:     by_value
      - .address_space:  global
        .offset:         56
        .size:           8
        .value_kind:     global_buffer
      - .offset:         64
        .size:           8
        .value_kind:     by_value
      - .offset:         72
        .size:           4
        .value_kind:     by_value
      - .offset:         80
        .size:           8
        .value_kind:     by_value
      - .offset:         88
        .size:           8
        .value_kind:     by_value
      - .offset:         96
        .size:           8
        .value_kind:     by_value
      - .address_space:  global
        .offset:         104
        .size:           8
        .value_kind:     global_buffer
      - .offset:         112
        .size:           8
        .value_kind:     by_value
      - .offset:         120
        .size:           4
        .value_kind:     by_value
      - .offset:         128
        .size:           8
        .value_kind:     by_value
      - .offset:         136
        .size:           4
        .value_kind:     by_value
    .group_segment_fixed_size: 256
    .kernarg_segment_align: 8
    .kernarg_segment_size: 140
    .language:       OpenCL C
    .language_version:
      - 2
      - 0
    .max_flat_workgroup_size: 1024
    .name:           _ZL32rocblas_gemvt_warp_reduce_kernelILb1ELi1024EiPK19rocblas_complex_numIfES1_KPS1_EviiT3_lPKT2_lT1_lS9_lSA_lS6_lPT4_lSA_li
    .private_segment_fixed_size: 0
    .sgpr_count:     42
    .sgpr_spill_count: 0
    .symbol:         _ZL32rocblas_gemvt_warp_reduce_kernelILb1ELi1024EiPK19rocblas_complex_numIfES1_KPS1_EviiT3_lPKT2_lT1_lS9_lSA_lS6_lPT4_lSA_li.kd
    .uniform_work_group_size: 1
    .uses_dynamic_stack: false
    .vgpr_count:     29
    .vgpr_spill_count: 0
    .wavefront_size: 32
    .workgroup_processor_mode: 1
  - .args:
      - .offset:         0
        .size:           4
        .value_kind:     by_value
      - .offset:         4
        .size:           4
        .value_kind:     by_value
      - .offset:         8
        .size:           8
        .value_kind:     by_value
      - .offset:         16
        .size:           8
        .value_kind:     by_value
      - .address_space:  global
        .offset:         24
        .size:           8
        .value_kind:     global_buffer
      - .offset:         32
        .size:           8
        .value_kind:     by_value
      - .offset:         40
        .size:           8
        .value_kind:     by_value
      - .offset:         48
        .size:           8
        .value_kind:     by_value
      - .address_space:  global
        .offset:         56
        .size:           8
        .value_kind:     global_buffer
      - .offset:         64
        .size:           8
        .value_kind:     by_value
      - .offset:         72
        .size:           8
        .value_kind:     by_value
      - .offset:         80
        .size:           8
        .value_kind:     by_value
      - .offset:         88
        .size:           8
        .value_kind:     by_value
      - .offset:         96
        .size:           8
        .value_kind:     by_value
      - .address_space:  global
        .offset:         104
        .size:           8
        .value_kind:     global_buffer
      - .offset:         112
        .size:           8
        .value_kind:     by_value
      - .offset:         120
        .size:           8
        .value_kind:     by_value
      - .offset:         128
        .size:           8
        .value_kind:     by_value
      - .offset:         136
        .size:           4
        .value_kind:     by_value
    .group_segment_fixed_size: 256
    .kernarg_segment_align: 8
    .kernarg_segment_size: 140
    .language:       OpenCL C
    .language_version:
      - 2
      - 0
    .max_flat_workgroup_size: 1024
    .name:           _ZL32rocblas_gemvt_warp_reduce_kernelILb1ELi1024ElPK19rocblas_complex_numIfES1_KPS1_EviiT3_lPKT2_lT1_lS9_lSA_lS6_lPT4_lSA_li
    .private_segment_fixed_size: 0
    .sgpr_count:     44
    .sgpr_spill_count: 0
    .symbol:         _ZL32rocblas_gemvt_warp_reduce_kernelILb1ELi1024ElPK19rocblas_complex_numIfES1_KPS1_EviiT3_lPKT2_lT1_lS9_lSA_lS6_lPT4_lSA_li.kd
    .uniform_work_group_size: 1
    .uses_dynamic_stack: false
    .vgpr_count:     31
    .vgpr_spill_count: 0
    .wavefront_size: 32
    .workgroup_processor_mode: 1
  - .args:
      - .offset:         0
        .size:           4
        .value_kind:     by_value
      - .offset:         4
        .size:           4
        .value_kind:     by_value
      - .address_space:  global
        .offset:         8
        .size:           8
        .value_kind:     global_buffer
      - .offset:         16
        .size:           8
        .value_kind:     by_value
      - .address_space:  global
        .offset:         24
        .size:           8
        .value_kind:     global_buffer
      - .offset:         32
        .size:           8
        .value_kind:     by_value
      - .offset:         40
        .size:           4
        .value_kind:     by_value
      - .offset:         48
        .size:           8
        .value_kind:     by_value
      - .address_space:  global
        .offset:         56
        .size:           8
        .value_kind:     global_buffer
      - .offset:         64
        .size:           8
        .value_kind:     by_value
      - .offset:         72
        .size:           4
        .value_kind:     by_value
      - .offset:         80
        .size:           8
        .value_kind:     by_value
      - .address_space:  global
        .offset:         88
        .size:           8
        .value_kind:     global_buffer
      - .offset:         96
        .size:           8
        .value_kind:     by_value
      - .address_space:  global
        .offset:         104
        .size:           8
        .value_kind:     global_buffer
      - .offset:         112
        .size:           8
        .value_kind:     by_value
      - .offset:         120
        .size:           4
        .value_kind:     by_value
      - .offset:         128
        .size:           8
        .value_kind:     by_value
      - .offset:         136
        .size:           4
        .value_kind:     by_value
    .group_segment_fixed_size: 0
    .kernarg_segment_align: 8
    .kernarg_segment_size: 140
    .language:       OpenCL C
    .language_version:
      - 2
      - 0
    .max_flat_workgroup_size: 768
    .name:           _ZL34rocblas_gemvn_sm_mn_batched_kernelILi32ELi24EPK19rocblas_complex_numIdES3_KPS1_EviiT2_lPKT1_lilS9_lilS6_lPT3_lili
    .private_segment_fixed_size: 0
    .sgpr_count:     0
    .sgpr_spill_count: 0
    .symbol:         _ZL34rocblas_gemvn_sm_mn_batched_kernelILi32ELi24EPK19rocblas_complex_numIdES3_KPS1_EviiT2_lPKT1_lilS9_lilS6_lPT3_lili.kd
    .uniform_work_group_size: 1
    .uses_dynamic_stack: false
    .vgpr_count:     0
    .vgpr_spill_count: 0
    .wavefront_size: 32
    .workgroup_processor_mode: 1
  - .args:
      - .offset:         0
        .size:           4
        .value_kind:     by_value
      - .offset:         4
        .size:           4
        .value_kind:     by_value
      - .offset:         8
        .size:           16
        .value_kind:     by_value
      - .offset:         24
        .size:           8
        .value_kind:     by_value
      - .address_space:  global
        .offset:         32
        .size:           8
        .value_kind:     global_buffer
      - .offset:         40
        .size:           8
        .value_kind:     by_value
      - .offset:         48
        .size:           4
        .value_kind:     by_value
      - .offset:         56
        .size:           8
        .value_kind:     by_value
      - .address_space:  global
        .offset:         64
        .size:           8
        .value_kind:     global_buffer
      - .offset:         72
        .size:           8
        .value_kind:     by_value
      - .offset:         80
        .size:           4
        .value_kind:     by_value
      - .offset:         88
        .size:           8
        .value_kind:     by_value
      - .offset:         96
        .size:           16
        .value_kind:     by_value
      - .offset:         112
        .size:           8
        .value_kind:     by_value
      - .address_space:  global
        .offset:         120
        .size:           8
        .value_kind:     global_buffer
      - .offset:         128
        .size:           8
        .value_kind:     by_value
      - .offset:         136
        .size:           4
        .value_kind:     by_value
      - .offset:         144
        .size:           8
        .value_kind:     by_value
      - .offset:         152
        .size:           4
        .value_kind:     by_value
    .group_segment_fixed_size: 0
    .kernarg_segment_align: 8
    .kernarg_segment_size: 156
    .language:       OpenCL C
    .language_version:
      - 2
      - 0
    .max_flat_workgroup_size: 768
    .name:           _ZL34rocblas_gemvn_sm_mn_batched_kernelILi32ELi24EPK19rocblas_complex_numIdES1_KPS1_EviiT2_lPKT1_lilS9_lilS6_lPT3_lili
    .private_segment_fixed_size: 0
    .sgpr_count:     0
    .sgpr_spill_count: 0
    .symbol:         _ZL34rocblas_gemvn_sm_mn_batched_kernelILi32ELi24EPK19rocblas_complex_numIdES1_KPS1_EviiT2_lPKT1_lilS9_lilS6_lPT3_lili.kd
    .uniform_work_group_size: 1
    .uses_dynamic_stack: false
    .vgpr_count:     0
    .vgpr_spill_count: 0
    .wavefront_size: 32
    .workgroup_processor_mode: 1
  - .args:
      - .offset:         0
        .size:           4
        .value_kind:     by_value
      - .offset:         4
        .size:           4
        .value_kind:     by_value
      - .address_space:  global
        .offset:         8
        .size:           8
        .value_kind:     global_buffer
      - .offset:         16
        .size:           8
        .value_kind:     by_value
      - .address_space:  global
        .offset:         24
        .size:           8
        .value_kind:     global_buffer
      - .offset:         32
        .size:           8
        .value_kind:     by_value
      - .offset:         40
        .size:           4
        .value_kind:     by_value
      - .offset:         48
        .size:           8
        .value_kind:     by_value
      - .address_space:  global
        .offset:         56
        .size:           8
        .value_kind:     global_buffer
      - .offset:         64
        .size:           8
        .value_kind:     by_value
      - .offset:         72
        .size:           4
        .value_kind:     by_value
      - .offset:         80
        .size:           8
        .value_kind:     by_value
      - .address_space:  global
        .offset:         88
        .size:           8
        .value_kind:     global_buffer
      - .offset:         96
        .size:           8
        .value_kind:     by_value
      - .address_space:  global
        .offset:         104
        .size:           8
        .value_kind:     global_buffer
      - .offset:         112
        .size:           8
        .value_kind:     by_value
      - .offset:         120
        .size:           4
        .value_kind:     by_value
      - .offset:         128
        .size:           8
        .value_kind:     by_value
      - .offset:         136
        .size:           4
        .value_kind:     by_value
      - .offset:         144
        .size:           4
        .value_kind:     hidden_block_count_x
      - .offset:         148
        .size:           4
        .value_kind:     hidden_block_count_y
      - .offset:         152
        .size:           4
        .value_kind:     hidden_block_count_z
      - .offset:         156
        .size:           2
        .value_kind:     hidden_group_size_x
      - .offset:         158
        .size:           2
        .value_kind:     hidden_group_size_y
      - .offset:         160
        .size:           2
        .value_kind:     hidden_group_size_z
      - .offset:         162
        .size:           2
        .value_kind:     hidden_remainder_x
      - .offset:         164
        .size:           2
        .value_kind:     hidden_remainder_y
      - .offset:         166
        .size:           2
        .value_kind:     hidden_remainder_z
      - .offset:         184
        .size:           8
        .value_kind:     hidden_global_offset_x
      - .offset:         192
        .size:           8
        .value_kind:     hidden_global_offset_y
      - .offset:         200
        .size:           8
        .value_kind:     hidden_global_offset_z
      - .offset:         208
        .size:           2
        .value_kind:     hidden_grid_dims
    .group_segment_fixed_size: 4096
    .kernarg_segment_align: 8
    .kernarg_segment_size: 400
    .language:       OpenCL C
    .language_version:
      - 2
      - 0
    .max_flat_workgroup_size: 256
    .name:           _ZL20rocblas_gemvn_kernelILi64ELi4EiPK19rocblas_complex_numIdES3_KPS1_EviiT3_lPKT2_lT1_lS9_lSA_lS6_lPT4_lSA_li
    .private_segment_fixed_size: 0
    .sgpr_count:     42
    .sgpr_spill_count: 0
    .symbol:         _ZL20rocblas_gemvn_kernelILi64ELi4EiPK19rocblas_complex_numIdES3_KPS1_EviiT3_lPKT2_lT1_lS9_lSA_lS6_lPT4_lSA_li.kd
    .uniform_work_group_size: 1
    .uses_dynamic_stack: false
    .vgpr_count:     45
    .vgpr_spill_count: 0
    .wavefront_size: 32
    .workgroup_processor_mode: 1
  - .args:
      - .offset:         0
        .size:           4
        .value_kind:     by_value
      - .offset:         4
        .size:           4
        .value_kind:     by_value
      - .address_space:  global
        .offset:         8
        .size:           8
        .value_kind:     global_buffer
      - .offset:         16
        .size:           8
        .value_kind:     by_value
      - .address_space:  global
        .offset:         24
        .size:           8
        .value_kind:     global_buffer
      - .offset:         32
        .size:           8
        .value_kind:     by_value
      - .offset:         40
        .size:           8
        .value_kind:     by_value
      - .offset:         48
        .size:           8
        .value_kind:     by_value
      - .address_space:  global
        .offset:         56
        .size:           8
        .value_kind:     global_buffer
      - .offset:         64
        .size:           8
        .value_kind:     by_value
      - .offset:         72
        .size:           8
        .value_kind:     by_value
      - .offset:         80
        .size:           8
        .value_kind:     by_value
      - .address_space:  global
        .offset:         88
        .size:           8
        .value_kind:     global_buffer
      - .offset:         96
        .size:           8
        .value_kind:     by_value
      - .address_space:  global
        .offset:         104
        .size:           8
        .value_kind:     global_buffer
      - .offset:         112
        .size:           8
        .value_kind:     by_value
      - .offset:         120
        .size:           8
        .value_kind:     by_value
      - .offset:         128
        .size:           8
        .value_kind:     by_value
      - .offset:         136
        .size:           4
        .value_kind:     by_value
      - .offset:         144
        .size:           4
        .value_kind:     hidden_block_count_x
      - .offset:         148
        .size:           4
        .value_kind:     hidden_block_count_y
      - .offset:         152
        .size:           4
        .value_kind:     hidden_block_count_z
      - .offset:         156
        .size:           2
        .value_kind:     hidden_group_size_x
      - .offset:         158
        .size:           2
        .value_kind:     hidden_group_size_y
      - .offset:         160
        .size:           2
        .value_kind:     hidden_group_size_z
      - .offset:         162
        .size:           2
        .value_kind:     hidden_remainder_x
      - .offset:         164
        .size:           2
        .value_kind:     hidden_remainder_y
      - .offset:         166
        .size:           2
        .value_kind:     hidden_remainder_z
      - .offset:         184
        .size:           8
        .value_kind:     hidden_global_offset_x
      - .offset:         192
        .size:           8
        .value_kind:     hidden_global_offset_y
      - .offset:         200
        .size:           8
        .value_kind:     hidden_global_offset_z
      - .offset:         208
        .size:           2
        .value_kind:     hidden_grid_dims
    .group_segment_fixed_size: 4096
    .kernarg_segment_align: 8
    .kernarg_segment_size: 400
    .language:       OpenCL C
    .language_version:
      - 2
      - 0
    .max_flat_workgroup_size: 256
    .name:           _ZL20rocblas_gemvn_kernelILi64ELi4ElPK19rocblas_complex_numIdES3_KPS1_EviiT3_lPKT2_lT1_lS9_lSA_lS6_lPT4_lSA_li
    .private_segment_fixed_size: 0
    .sgpr_count:     46
    .sgpr_spill_count: 0
    .symbol:         _ZL20rocblas_gemvn_kernelILi64ELi4ElPK19rocblas_complex_numIdES3_KPS1_EviiT3_lPKT2_lT1_lS9_lSA_lS6_lPT4_lSA_li.kd
    .uniform_work_group_size: 1
    .uses_dynamic_stack: false
    .vgpr_count:     48
    .vgpr_spill_count: 0
    .wavefront_size: 32
    .workgroup_processor_mode: 1
  - .args:
      - .offset:         0
        .size:           4
        .value_kind:     by_value
      - .offset:         4
        .size:           4
        .value_kind:     by_value
      - .offset:         8
        .size:           16
        .value_kind:     by_value
      - .offset:         24
        .size:           8
        .value_kind:     by_value
      - .address_space:  global
        .offset:         32
        .size:           8
        .value_kind:     global_buffer
      - .offset:         40
        .size:           8
        .value_kind:     by_value
      - .offset:         48
        .size:           4
        .value_kind:     by_value
      - .offset:         56
        .size:           8
        .value_kind:     by_value
      - .address_space:  global
        .offset:         64
        .size:           8
        .value_kind:     global_buffer
      - .offset:         72
        .size:           8
        .value_kind:     by_value
      - .offset:         80
        .size:           4
        .value_kind:     by_value
      - .offset:         88
        .size:           8
        .value_kind:     by_value
      - .offset:         96
        .size:           16
        .value_kind:     by_value
      - .offset:         112
        .size:           8
        .value_kind:     by_value
      - .address_space:  global
        .offset:         120
        .size:           8
        .value_kind:     global_buffer
      - .offset:         128
        .size:           8
        .value_kind:     by_value
      - .offset:         136
        .size:           4
        .value_kind:     by_value
      - .offset:         144
        .size:           8
        .value_kind:     by_value
      - .offset:         152
        .size:           4
        .value_kind:     by_value
      - .offset:         160
        .size:           4
        .value_kind:     hidden_block_count_x
      - .offset:         164
        .size:           4
        .value_kind:     hidden_block_count_y
      - .offset:         168
        .size:           4
        .value_kind:     hidden_block_count_z
      - .offset:         172
        .size:           2
        .value_kind:     hidden_group_size_x
      - .offset:         174
        .size:           2
        .value_kind:     hidden_group_size_y
      - .offset:         176
        .size:           2
        .value_kind:     hidden_group_size_z
      - .offset:         178
        .size:           2
        .value_kind:     hidden_remainder_x
      - .offset:         180
        .size:           2
        .value_kind:     hidden_remainder_y
      - .offset:         182
        .size:           2
        .value_kind:     hidden_remainder_z
      - .offset:         200
        .size:           8
        .value_kind:     hidden_global_offset_x
      - .offset:         208
        .size:           8
        .value_kind:     hidden_global_offset_y
      - .offset:         216
        .size:           8
        .value_kind:     hidden_global_offset_z
      - .offset:         224
        .size:           2
        .value_kind:     hidden_grid_dims
    .group_segment_fixed_size: 4096
    .kernarg_segment_align: 8
    .kernarg_segment_size: 416
    .language:       OpenCL C
    .language_version:
      - 2
      - 0
    .max_flat_workgroup_size: 256
    .name:           _ZL20rocblas_gemvn_kernelILi64ELi4EiPK19rocblas_complex_numIdES1_KPS1_EviiT3_lPKT2_lT1_lS9_lSA_lS6_lPT4_lSA_li
    .private_segment_fixed_size: 0
    .sgpr_count:     45
    .sgpr_spill_count: 0
    .symbol:         _ZL20rocblas_gemvn_kernelILi64ELi4EiPK19rocblas_complex_numIdES1_KPS1_EviiT3_lPKT2_lT1_lS9_lSA_lS6_lPT4_lSA_li.kd
    .uniform_work_group_size: 1
    .uses_dynamic_stack: false
    .vgpr_count:     38
    .vgpr_spill_count: 0
    .wavefront_size: 32
    .workgroup_processor_mode: 1
  - .args:
      - .offset:         0
        .size:           4
        .value_kind:     by_value
      - .offset:         4
        .size:           4
        .value_kind:     by_value
      - .offset:         8
        .size:           16
        .value_kind:     by_value
      - .offset:         24
        .size:           8
        .value_kind:     by_value
      - .address_space:  global
        .offset:         32
        .size:           8
        .value_kind:     global_buffer
      - .offset:         40
        .size:           8
        .value_kind:     by_value
      - .offset:         48
        .size:           8
        .value_kind:     by_value
      - .offset:         56
        .size:           8
        .value_kind:     by_value
      - .address_space:  global
        .offset:         64
        .size:           8
        .value_kind:     global_buffer
      - .offset:         72
        .size:           8
        .value_kind:     by_value
      - .offset:         80
        .size:           8
        .value_kind:     by_value
      - .offset:         88
        .size:           8
        .value_kind:     by_value
      - .offset:         96
        .size:           16
        .value_kind:     by_value
      - .offset:         112
        .size:           8
        .value_kind:     by_value
      - .address_space:  global
        .offset:         120
        .size:           8
        .value_kind:     global_buffer
      - .offset:         128
        .size:           8
        .value_kind:     by_value
      - .offset:         136
        .size:           8
        .value_kind:     by_value
      - .offset:         144
        .size:           8
        .value_kind:     by_value
      - .offset:         152
        .size:           4
        .value_kind:     by_value
      - .offset:         160
        .size:           4
        .value_kind:     hidden_block_count_x
      - .offset:         164
        .size:           4
        .value_kind:     hidden_block_count_y
      - .offset:         168
        .size:           4
        .value_kind:     hidden_block_count_z
      - .offset:         172
        .size:           2
        .value_kind:     hidden_group_size_x
      - .offset:         174
        .size:           2
        .value_kind:     hidden_group_size_y
      - .offset:         176
        .size:           2
        .value_kind:     hidden_group_size_z
      - .offset:         178
        .size:           2
        .value_kind:     hidden_remainder_x
      - .offset:         180
        .size:           2
        .value_kind:     hidden_remainder_y
      - .offset:         182
        .size:           2
        .value_kind:     hidden_remainder_z
      - .offset:         200
        .size:           8
        .value_kind:     hidden_global_offset_x
      - .offset:         208
        .size:           8
        .value_kind:     hidden_global_offset_y
      - .offset:         216
        .size:           8
        .value_kind:     hidden_global_offset_z
      - .offset:         224
        .size:           2
        .value_kind:     hidden_grid_dims
    .group_segment_fixed_size: 4096
    .kernarg_segment_align: 8
    .kernarg_segment_size: 416
    .language:       OpenCL C
    .language_version:
      - 2
      - 0
    .max_flat_workgroup_size: 256
    .name:           _ZL20rocblas_gemvn_kernelILi64ELi4ElPK19rocblas_complex_numIdES1_KPS1_EviiT3_lPKT2_lT1_lS9_lSA_lS6_lPT4_lSA_li
    .private_segment_fixed_size: 0
    .sgpr_count:     49
    .sgpr_spill_count: 0
    .symbol:         _ZL20rocblas_gemvn_kernelILi64ELi4ElPK19rocblas_complex_numIdES1_KPS1_EviiT3_lPKT2_lT1_lS9_lSA_lS6_lPT4_lSA_li.kd
    .uniform_work_group_size: 1
    .uses_dynamic_stack: false
    .vgpr_count:     41
    .vgpr_spill_count: 0
    .wavefront_size: 32
    .workgroup_processor_mode: 1
  - .args:
      - .offset:         0
        .size:           4
        .value_kind:     by_value
      - .offset:         4
        .size:           4
        .value_kind:     by_value
      - .address_space:  global
        .offset:         8
        .size:           8
        .value_kind:     global_buffer
      - .offset:         16
        .size:           8
        .value_kind:     by_value
      - .address_space:  global
        .offset:         24
        .size:           8
        .value_kind:     global_buffer
      - .offset:         32
        .size:           8
        .value_kind:     by_value
      - .offset:         40
        .size:           4
        .value_kind:     by_value
      - .offset:         48
        .size:           8
        .value_kind:     by_value
      - .address_space:  global
        .offset:         56
        .size:           8
        .value_kind:     global_buffer
      - .offset:         64
        .size:           8
        .value_kind:     by_value
      - .offset:         72
        .size:           4
        .value_kind:     by_value
      - .offset:         80
        .size:           8
        .value_kind:     by_value
      - .address_space:  global
        .offset:         88
        .size:           8
        .value_kind:     global_buffer
      - .offset:         96
        .size:           8
        .value_kind:     by_value
      - .address_space:  global
        .offset:         104
        .size:           8
        .value_kind:     global_buffer
      - .offset:         112
        .size:           8
        .value_kind:     by_value
      - .offset:         120
        .size:           4
        .value_kind:     by_value
      - .offset:         128
        .size:           8
        .value_kind:     by_value
      - .offset:         136
        .size:           4
        .value_kind:     by_value
      - .offset:         144
        .size:           4
        .value_kind:     hidden_block_count_x
      - .offset:         148
        .size:           4
        .value_kind:     hidden_block_count_y
      - .offset:         152
        .size:           4
        .value_kind:     hidden_block_count_z
      - .offset:         156
        .size:           2
        .value_kind:     hidden_group_size_x
      - .offset:         158
        .size:           2
        .value_kind:     hidden_group_size_y
      - .offset:         160
        .size:           2
        .value_kind:     hidden_group_size_z
      - .offset:         162
        .size:           2
        .value_kind:     hidden_remainder_x
      - .offset:         164
        .size:           2
        .value_kind:     hidden_remainder_y
      - .offset:         166
        .size:           2
        .value_kind:     hidden_remainder_z
      - .offset:         184
        .size:           8
        .value_kind:     hidden_global_offset_x
      - .offset:         192
        .size:           8
        .value_kind:     hidden_global_offset_y
      - .offset:         200
        .size:           8
        .value_kind:     hidden_global_offset_z
      - .offset:         208
        .size:           2
        .value_kind:     hidden_grid_dims
    .group_segment_fixed_size: 8192
    .kernarg_segment_align: 8
    .kernarg_segment_size: 400
    .language:       OpenCL C
    .language_version:
      - 2
      - 0
    .max_flat_workgroup_size: 512
    .name:           _ZL20rocblas_gemvn_kernelILi32ELi16EiPK19rocblas_complex_numIdES3_KPS1_EviiT3_lPKT2_lT1_lS9_lSA_lS6_lPT4_lSA_li
    .private_segment_fixed_size: 0
    .sgpr_count:     42
    .sgpr_spill_count: 0
    .symbol:         _ZL20rocblas_gemvn_kernelILi32ELi16EiPK19rocblas_complex_numIdES3_KPS1_EviiT3_lPKT2_lT1_lS9_lSA_lS6_lPT4_lSA_li.kd
    .uniform_work_group_size: 1
    .uses_dynamic_stack: false
    .vgpr_count:     45
    .vgpr_spill_count: 0
    .wavefront_size: 32
    .workgroup_processor_mode: 1
  - .args:
      - .offset:         0
        .size:           4
        .value_kind:     by_value
      - .offset:         4
        .size:           4
        .value_kind:     by_value
      - .address_space:  global
        .offset:         8
        .size:           8
        .value_kind:     global_buffer
      - .offset:         16
        .size:           8
        .value_kind:     by_value
      - .address_space:  global
        .offset:         24
        .size:           8
        .value_kind:     global_buffer
      - .offset:         32
        .size:           8
        .value_kind:     by_value
      - .offset:         40
        .size:           8
        .value_kind:     by_value
      - .offset:         48
        .size:           8
        .value_kind:     by_value
      - .address_space:  global
        .offset:         56
        .size:           8
        .value_kind:     global_buffer
      - .offset:         64
        .size:           8
        .value_kind:     by_value
      - .offset:         72
        .size:           8
        .value_kind:     by_value
      - .offset:         80
        .size:           8
        .value_kind:     by_value
      - .address_space:  global
        .offset:         88
        .size:           8
        .value_kind:     global_buffer
      - .offset:         96
        .size:           8
        .value_kind:     by_value
      - .address_space:  global
        .offset:         104
        .size:           8
        .value_kind:     global_buffer
      - .offset:         112
        .size:           8
        .value_kind:     by_value
      - .offset:         120
        .size:           8
        .value_kind:     by_value
      - .offset:         128
        .size:           8
        .value_kind:     by_value
      - .offset:         136
        .size:           4
        .value_kind:     by_value
      - .offset:         144
        .size:           4
        .value_kind:     hidden_block_count_x
      - .offset:         148
        .size:           4
        .value_kind:     hidden_block_count_y
      - .offset:         152
        .size:           4
        .value_kind:     hidden_block_count_z
      - .offset:         156
        .size:           2
        .value_kind:     hidden_group_size_x
      - .offset:         158
        .size:           2
        .value_kind:     hidden_group_size_y
      - .offset:         160
        .size:           2
        .value_kind:     hidden_group_size_z
      - .offset:         162
        .size:           2
        .value_kind:     hidden_remainder_x
      - .offset:         164
        .size:           2
        .value_kind:     hidden_remainder_y
      - .offset:         166
        .size:           2
        .value_kind:     hidden_remainder_z
      - .offset:         184
        .size:           8
        .value_kind:     hidden_global_offset_x
      - .offset:         192
        .size:           8
        .value_kind:     hidden_global_offset_y
      - .offset:         200
        .size:           8
        .value_kind:     hidden_global_offset_z
      - .offset:         208
        .size:           2
        .value_kind:     hidden_grid_dims
    .group_segment_fixed_size: 8192
    .kernarg_segment_align: 8
    .kernarg_segment_size: 400
    .language:       OpenCL C
    .language_version:
      - 2
      - 0
    .max_flat_workgroup_size: 512
    .name:           _ZL20rocblas_gemvn_kernelILi32ELi16ElPK19rocblas_complex_numIdES3_KPS1_EviiT3_lPKT2_lT1_lS9_lSA_lS6_lPT4_lSA_li
    .private_segment_fixed_size: 0
    .sgpr_count:     46
    .sgpr_spill_count: 0
    .symbol:         _ZL20rocblas_gemvn_kernelILi32ELi16ElPK19rocblas_complex_numIdES3_KPS1_EviiT3_lPKT2_lT1_lS9_lSA_lS6_lPT4_lSA_li.kd
    .uniform_work_group_size: 1
    .uses_dynamic_stack: false
    .vgpr_count:     48
    .vgpr_spill_count: 0
    .wavefront_size: 32
    .workgroup_processor_mode: 1
  - .args:
      - .offset:         0
        .size:           4
        .value_kind:     by_value
      - .offset:         4
        .size:           4
        .value_kind:     by_value
      - .offset:         8
        .size:           16
        .value_kind:     by_value
      - .offset:         24
        .size:           8
        .value_kind:     by_value
      - .address_space:  global
        .offset:         32
        .size:           8
        .value_kind:     global_buffer
      - .offset:         40
        .size:           8
        .value_kind:     by_value
      - .offset:         48
        .size:           4
        .value_kind:     by_value
      - .offset:         56
        .size:           8
        .value_kind:     by_value
      - .address_space:  global
        .offset:         64
        .size:           8
        .value_kind:     global_buffer
      - .offset:         72
        .size:           8
        .value_kind:     by_value
      - .offset:         80
        .size:           4
        .value_kind:     by_value
      - .offset:         88
        .size:           8
        .value_kind:     by_value
      - .offset:         96
        .size:           16
        .value_kind:     by_value
      - .offset:         112
        .size:           8
        .value_kind:     by_value
      - .address_space:  global
        .offset:         120
        .size:           8
        .value_kind:     global_buffer
      - .offset:         128
        .size:           8
        .value_kind:     by_value
      - .offset:         136
        .size:           4
        .value_kind:     by_value
      - .offset:         144
        .size:           8
        .value_kind:     by_value
      - .offset:         152
        .size:           4
        .value_kind:     by_value
      - .offset:         160
        .size:           4
        .value_kind:     hidden_block_count_x
      - .offset:         164
        .size:           4
        .value_kind:     hidden_block_count_y
      - .offset:         168
        .size:           4
        .value_kind:     hidden_block_count_z
      - .offset:         172
        .size:           2
        .value_kind:     hidden_group_size_x
      - .offset:         174
        .size:           2
        .value_kind:     hidden_group_size_y
      - .offset:         176
        .size:           2
        .value_kind:     hidden_group_size_z
      - .offset:         178
        .size:           2
        .value_kind:     hidden_remainder_x
      - .offset:         180
        .size:           2
        .value_kind:     hidden_remainder_y
      - .offset:         182
        .size:           2
        .value_kind:     hidden_remainder_z
      - .offset:         200
        .size:           8
        .value_kind:     hidden_global_offset_x
      - .offset:         208
        .size:           8
        .value_kind:     hidden_global_offset_y
      - .offset:         216
        .size:           8
        .value_kind:     hidden_global_offset_z
      - .offset:         224
        .size:           2
        .value_kind:     hidden_grid_dims
    .group_segment_fixed_size: 8192
    .kernarg_segment_align: 8
    .kernarg_segment_size: 416
    .language:       OpenCL C
    .language_version:
      - 2
      - 0
    .max_flat_workgroup_size: 512
    .name:           _ZL20rocblas_gemvn_kernelILi32ELi16EiPK19rocblas_complex_numIdES1_KPS1_EviiT3_lPKT2_lT1_lS9_lSA_lS6_lPT4_lSA_li
    .private_segment_fixed_size: 0
    .sgpr_count:     45
    .sgpr_spill_count: 0
    .symbol:         _ZL20rocblas_gemvn_kernelILi32ELi16EiPK19rocblas_complex_numIdES1_KPS1_EviiT3_lPKT2_lT1_lS9_lSA_lS6_lPT4_lSA_li.kd
    .uniform_work_group_size: 1
    .uses_dynamic_stack: false
    .vgpr_count:     40
    .vgpr_spill_count: 0
    .wavefront_size: 32
    .workgroup_processor_mode: 1
  - .args:
      - .offset:         0
        .size:           4
        .value_kind:     by_value
      - .offset:         4
        .size:           4
        .value_kind:     by_value
      - .offset:         8
        .size:           16
        .value_kind:     by_value
      - .offset:         24
        .size:           8
        .value_kind:     by_value
      - .address_space:  global
        .offset:         32
        .size:           8
        .value_kind:     global_buffer
      - .offset:         40
        .size:           8
        .value_kind:     by_value
      - .offset:         48
        .size:           8
        .value_kind:     by_value
      - .offset:         56
        .size:           8
        .value_kind:     by_value
      - .address_space:  global
        .offset:         64
        .size:           8
        .value_kind:     global_buffer
      - .offset:         72
        .size:           8
        .value_kind:     by_value
      - .offset:         80
        .size:           8
        .value_kind:     by_value
      - .offset:         88
        .size:           8
        .value_kind:     by_value
      - .offset:         96
        .size:           16
        .value_kind:     by_value
      - .offset:         112
        .size:           8
        .value_kind:     by_value
      - .address_space:  global
        .offset:         120
        .size:           8
        .value_kind:     global_buffer
      - .offset:         128
        .size:           8
        .value_kind:     by_value
      - .offset:         136
        .size:           8
        .value_kind:     by_value
      - .offset:         144
        .size:           8
        .value_kind:     by_value
      - .offset:         152
        .size:           4
        .value_kind:     by_value
      - .offset:         160
        .size:           4
        .value_kind:     hidden_block_count_x
      - .offset:         164
        .size:           4
        .value_kind:     hidden_block_count_y
      - .offset:         168
        .size:           4
        .value_kind:     hidden_block_count_z
      - .offset:         172
        .size:           2
        .value_kind:     hidden_group_size_x
      - .offset:         174
        .size:           2
        .value_kind:     hidden_group_size_y
      - .offset:         176
        .size:           2
        .value_kind:     hidden_group_size_z
      - .offset:         178
        .size:           2
        .value_kind:     hidden_remainder_x
      - .offset:         180
        .size:           2
        .value_kind:     hidden_remainder_y
      - .offset:         182
        .size:           2
        .value_kind:     hidden_remainder_z
      - .offset:         200
        .size:           8
        .value_kind:     hidden_global_offset_x
      - .offset:         208
        .size:           8
        .value_kind:     hidden_global_offset_y
      - .offset:         216
        .size:           8
        .value_kind:     hidden_global_offset_z
      - .offset:         224
        .size:           2
        .value_kind:     hidden_grid_dims
    .group_segment_fixed_size: 8192
    .kernarg_segment_align: 8
    .kernarg_segment_size: 416
    .language:       OpenCL C
    .language_version:
      - 2
      - 0
    .max_flat_workgroup_size: 512
    .name:           _ZL20rocblas_gemvn_kernelILi32ELi16ElPK19rocblas_complex_numIdES1_KPS1_EviiT3_lPKT2_lT1_lS9_lSA_lS6_lPT4_lSA_li
    .private_segment_fixed_size: 0
    .sgpr_count:     49
    .sgpr_spill_count: 0
    .symbol:         _ZL20rocblas_gemvn_kernelILi32ELi16ElPK19rocblas_complex_numIdES1_KPS1_EviiT3_lPKT2_lT1_lS9_lSA_lS6_lPT4_lSA_li.kd
    .uniform_work_group_size: 1
    .uses_dynamic_stack: false
    .vgpr_count:     41
    .vgpr_spill_count: 0
    .wavefront_size: 32
    .workgroup_processor_mode: 1
  - .args:
      - .offset:         0
        .size:           4
        .value_kind:     by_value
      - .offset:         4
        .size:           4
        .value_kind:     by_value
      - .address_space:  global
        .offset:         8
        .size:           8
        .value_kind:     global_buffer
      - .offset:         16
        .size:           8
        .value_kind:     by_value
      - .address_space:  global
        .offset:         24
        .size:           8
        .value_kind:     global_buffer
      - .offset:         32
        .size:           8
        .value_kind:     by_value
      - .offset:         40
        .size:           4
        .value_kind:     by_value
      - .offset:         48
        .size:           8
        .value_kind:     by_value
      - .address_space:  global
        .offset:         56
        .size:           8
        .value_kind:     global_buffer
      - .offset:         64
        .size:           8
        .value_kind:     by_value
      - .offset:         72
        .size:           4
        .value_kind:     by_value
      - .offset:         80
        .size:           8
        .value_kind:     by_value
      - .address_space:  global
        .offset:         88
        .size:           8
        .value_kind:     global_buffer
      - .offset:         96
        .size:           8
        .value_kind:     by_value
      - .address_space:  global
        .offset:         104
        .size:           8
        .value_kind:     global_buffer
      - .offset:         112
        .size:           8
        .value_kind:     by_value
      - .offset:         120
        .size:           4
        .value_kind:     by_value
      - .offset:         128
        .size:           8
        .value_kind:     by_value
      - .offset:         136
        .size:           4
        .value_kind:     by_value
      - .offset:         144
        .size:           4
        .value_kind:     hidden_block_count_x
      - .offset:         148
        .size:           4
        .value_kind:     hidden_block_count_y
      - .offset:         152
        .size:           4
        .value_kind:     hidden_block_count_z
      - .offset:         156
        .size:           2
        .value_kind:     hidden_group_size_x
      - .offset:         158
        .size:           2
        .value_kind:     hidden_group_size_y
      - .offset:         160
        .size:           2
        .value_kind:     hidden_group_size_z
      - .offset:         162
        .size:           2
        .value_kind:     hidden_remainder_x
      - .offset:         164
        .size:           2
        .value_kind:     hidden_remainder_y
      - .offset:         166
        .size:           2
        .value_kind:     hidden_remainder_z
      - .offset:         184
        .size:           8
        .value_kind:     hidden_global_offset_x
      - .offset:         192
        .size:           8
        .value_kind:     hidden_global_offset_y
      - .offset:         200
        .size:           8
        .value_kind:     hidden_global_offset_z
      - .offset:         208
        .size:           2
        .value_kind:     hidden_grid_dims
    .group_segment_fixed_size: 16384
    .kernarg_segment_align: 8
    .kernarg_segment_size: 400
    .language:       OpenCL C
    .language_version:
      - 2
      - 0
    .max_flat_workgroup_size: 1024
    .name:           _ZL20rocblas_gemvn_kernelILi64ELi16EiPK19rocblas_complex_numIdES3_KPS1_EviiT3_lPKT2_lT1_lS9_lSA_lS6_lPT4_lSA_li
    .private_segment_fixed_size: 0
    .sgpr_count:     42
    .sgpr_spill_count: 0
    .symbol:         _ZL20rocblas_gemvn_kernelILi64ELi16EiPK19rocblas_complex_numIdES3_KPS1_EviiT3_lPKT2_lT1_lS9_lSA_lS6_lPT4_lSA_li.kd
    .uniform_work_group_size: 1
    .uses_dynamic_stack: false
    .vgpr_count:     45
    .vgpr_spill_count: 0
    .wavefront_size: 32
    .workgroup_processor_mode: 1
  - .args:
      - .offset:         0
        .size:           4
        .value_kind:     by_value
      - .offset:         4
        .size:           4
        .value_kind:     by_value
      - .address_space:  global
        .offset:         8
        .size:           8
        .value_kind:     global_buffer
      - .offset:         16
        .size:           8
        .value_kind:     by_value
      - .address_space:  global
        .offset:         24
        .size:           8
        .value_kind:     global_buffer
      - .offset:         32
        .size:           8
        .value_kind:     by_value
      - .offset:         40
        .size:           8
        .value_kind:     by_value
      - .offset:         48
        .size:           8
        .value_kind:     by_value
      - .address_space:  global
        .offset:         56
        .size:           8
        .value_kind:     global_buffer
      - .offset:         64
        .size:           8
        .value_kind:     by_value
      - .offset:         72
        .size:           8
        .value_kind:     by_value
      - .offset:         80
        .size:           8
        .value_kind:     by_value
      - .address_space:  global
        .offset:         88
        .size:           8
        .value_kind:     global_buffer
      - .offset:         96
        .size:           8
        .value_kind:     by_value
      - .address_space:  global
        .offset:         104
        .size:           8
        .value_kind:     global_buffer
      - .offset:         112
        .size:           8
        .value_kind:     by_value
      - .offset:         120
        .size:           8
        .value_kind:     by_value
      - .offset:         128
        .size:           8
        .value_kind:     by_value
      - .offset:         136
        .size:           4
        .value_kind:     by_value
      - .offset:         144
        .size:           4
        .value_kind:     hidden_block_count_x
      - .offset:         148
        .size:           4
        .value_kind:     hidden_block_count_y
      - .offset:         152
        .size:           4
        .value_kind:     hidden_block_count_z
      - .offset:         156
        .size:           2
        .value_kind:     hidden_group_size_x
      - .offset:         158
        .size:           2
        .value_kind:     hidden_group_size_y
      - .offset:         160
        .size:           2
        .value_kind:     hidden_group_size_z
      - .offset:         162
        .size:           2
        .value_kind:     hidden_remainder_x
      - .offset:         164
        .size:           2
        .value_kind:     hidden_remainder_y
      - .offset:         166
        .size:           2
        .value_kind:     hidden_remainder_z
      - .offset:         184
        .size:           8
        .value_kind:     hidden_global_offset_x
      - .offset:         192
        .size:           8
        .value_kind:     hidden_global_offset_y
      - .offset:         200
        .size:           8
        .value_kind:     hidden_global_offset_z
      - .offset:         208
        .size:           2
        .value_kind:     hidden_grid_dims
    .group_segment_fixed_size: 16384
    .kernarg_segment_align: 8
    .kernarg_segment_size: 400
    .language:       OpenCL C
    .language_version:
      - 2
      - 0
    .max_flat_workgroup_size: 1024
    .name:           _ZL20rocblas_gemvn_kernelILi64ELi16ElPK19rocblas_complex_numIdES3_KPS1_EviiT3_lPKT2_lT1_lS9_lSA_lS6_lPT4_lSA_li
    .private_segment_fixed_size: 0
    .sgpr_count:     46
    .sgpr_spill_count: 0
    .symbol:         _ZL20rocblas_gemvn_kernelILi64ELi16ElPK19rocblas_complex_numIdES3_KPS1_EviiT3_lPKT2_lT1_lS9_lSA_lS6_lPT4_lSA_li.kd
    .uniform_work_group_size: 1
    .uses_dynamic_stack: false
    .vgpr_count:     48
    .vgpr_spill_count: 0
    .wavefront_size: 32
    .workgroup_processor_mode: 1
  - .args:
      - .offset:         0
        .size:           4
        .value_kind:     by_value
      - .offset:         4
        .size:           4
        .value_kind:     by_value
      - .offset:         8
        .size:           16
        .value_kind:     by_value
      - .offset:         24
        .size:           8
        .value_kind:     by_value
      - .address_space:  global
        .offset:         32
        .size:           8
        .value_kind:     global_buffer
      - .offset:         40
        .size:           8
        .value_kind:     by_value
      - .offset:         48
        .size:           4
        .value_kind:     by_value
      - .offset:         56
        .size:           8
        .value_kind:     by_value
      - .address_space:  global
        .offset:         64
        .size:           8
        .value_kind:     global_buffer
      - .offset:         72
        .size:           8
        .value_kind:     by_value
      - .offset:         80
        .size:           4
        .value_kind:     by_value
      - .offset:         88
        .size:           8
        .value_kind:     by_value
      - .offset:         96
        .size:           16
        .value_kind:     by_value
      - .offset:         112
        .size:           8
        .value_kind:     by_value
      - .address_space:  global
        .offset:         120
        .size:           8
        .value_kind:     global_buffer
      - .offset:         128
        .size:           8
        .value_kind:     by_value
      - .offset:         136
        .size:           4
        .value_kind:     by_value
      - .offset:         144
        .size:           8
        .value_kind:     by_value
      - .offset:         152
        .size:           4
        .value_kind:     by_value
      - .offset:         160
        .size:           4
        .value_kind:     hidden_block_count_x
      - .offset:         164
        .size:           4
        .value_kind:     hidden_block_count_y
      - .offset:         168
        .size:           4
        .value_kind:     hidden_block_count_z
      - .offset:         172
        .size:           2
        .value_kind:     hidden_group_size_x
      - .offset:         174
        .size:           2
        .value_kind:     hidden_group_size_y
      - .offset:         176
        .size:           2
        .value_kind:     hidden_group_size_z
      - .offset:         178
        .size:           2
        .value_kind:     hidden_remainder_x
      - .offset:         180
        .size:           2
        .value_kind:     hidden_remainder_y
      - .offset:         182
        .size:           2
        .value_kind:     hidden_remainder_z
      - .offset:         200
        .size:           8
        .value_kind:     hidden_global_offset_x
      - .offset:         208
        .size:           8
        .value_kind:     hidden_global_offset_y
      - .offset:         216
        .size:           8
        .value_kind:     hidden_global_offset_z
      - .offset:         224
        .size:           2
        .value_kind:     hidden_grid_dims
    .group_segment_fixed_size: 16384
    .kernarg_segment_align: 8
    .kernarg_segment_size: 416
    .language:       OpenCL C
    .language_version:
      - 2
      - 0
    .max_flat_workgroup_size: 1024
    .name:           _ZL20rocblas_gemvn_kernelILi64ELi16EiPK19rocblas_complex_numIdES1_KPS1_EviiT3_lPKT2_lT1_lS9_lSA_lS6_lPT4_lSA_li
    .private_segment_fixed_size: 0
    .sgpr_count:     45
    .sgpr_spill_count: 0
    .symbol:         _ZL20rocblas_gemvn_kernelILi64ELi16EiPK19rocblas_complex_numIdES1_KPS1_EviiT3_lPKT2_lT1_lS9_lSA_lS6_lPT4_lSA_li.kd
    .uniform_work_group_size: 1
    .uses_dynamic_stack: false
    .vgpr_count:     38
    .vgpr_spill_count: 0
    .wavefront_size: 32
    .workgroup_processor_mode: 1
  - .args:
      - .offset:         0
        .size:           4
        .value_kind:     by_value
      - .offset:         4
        .size:           4
        .value_kind:     by_value
      - .offset:         8
        .size:           16
        .value_kind:     by_value
      - .offset:         24
        .size:           8
        .value_kind:     by_value
      - .address_space:  global
        .offset:         32
        .size:           8
        .value_kind:     global_buffer
      - .offset:         40
        .size:           8
        .value_kind:     by_value
      - .offset:         48
        .size:           8
        .value_kind:     by_value
      - .offset:         56
        .size:           8
        .value_kind:     by_value
      - .address_space:  global
        .offset:         64
        .size:           8
        .value_kind:     global_buffer
      - .offset:         72
        .size:           8
        .value_kind:     by_value
      - .offset:         80
        .size:           8
        .value_kind:     by_value
      - .offset:         88
        .size:           8
        .value_kind:     by_value
      - .offset:         96
        .size:           16
        .value_kind:     by_value
      - .offset:         112
        .size:           8
        .value_kind:     by_value
      - .address_space:  global
        .offset:         120
        .size:           8
        .value_kind:     global_buffer
      - .offset:         128
        .size:           8
        .value_kind:     by_value
      - .offset:         136
        .size:           8
        .value_kind:     by_value
      - .offset:         144
        .size:           8
        .value_kind:     by_value
      - .offset:         152
        .size:           4
        .value_kind:     by_value
      - .offset:         160
        .size:           4
        .value_kind:     hidden_block_count_x
      - .offset:         164
        .size:           4
        .value_kind:     hidden_block_count_y
      - .offset:         168
        .size:           4
        .value_kind:     hidden_block_count_z
      - .offset:         172
        .size:           2
        .value_kind:     hidden_group_size_x
      - .offset:         174
        .size:           2
        .value_kind:     hidden_group_size_y
      - .offset:         176
        .size:           2
        .value_kind:     hidden_group_size_z
      - .offset:         178
        .size:           2
        .value_kind:     hidden_remainder_x
      - .offset:         180
        .size:           2
        .value_kind:     hidden_remainder_y
      - .offset:         182
        .size:           2
        .value_kind:     hidden_remainder_z
      - .offset:         200
        .size:           8
        .value_kind:     hidden_global_offset_x
      - .offset:         208
        .size:           8
        .value_kind:     hidden_global_offset_y
      - .offset:         216
        .size:           8
        .value_kind:     hidden_global_offset_z
      - .offset:         224
        .size:           2
        .value_kind:     hidden_grid_dims
    .group_segment_fixed_size: 16384
    .kernarg_segment_align: 8
    .kernarg_segment_size: 416
    .language:       OpenCL C
    .language_version:
      - 2
      - 0
    .max_flat_workgroup_size: 1024
    .name:           _ZL20rocblas_gemvn_kernelILi64ELi16ElPK19rocblas_complex_numIdES1_KPS1_EviiT3_lPKT2_lT1_lS9_lSA_lS6_lPT4_lSA_li
    .private_segment_fixed_size: 0
    .sgpr_count:     49
    .sgpr_spill_count: 0
    .symbol:         _ZL20rocblas_gemvn_kernelILi64ELi16ElPK19rocblas_complex_numIdES1_KPS1_EviiT3_lPKT2_lT1_lS9_lSA_lS6_lPT4_lSA_li.kd
    .uniform_work_group_size: 1
    .uses_dynamic_stack: false
    .vgpr_count:     41
    .vgpr_spill_count: 0
    .wavefront_size: 32
    .workgroup_processor_mode: 1
  - .args:
      - .offset:         0
        .size:           4
        .value_kind:     by_value
      - .offset:         4
        .size:           4
        .value_kind:     by_value
      - .address_space:  global
        .offset:         8
        .size:           8
        .value_kind:     global_buffer
      - .offset:         16
        .size:           8
        .value_kind:     by_value
      - .address_space:  global
        .offset:         24
        .size:           8
        .value_kind:     global_buffer
      - .offset:         32
        .size:           8
        .value_kind:     by_value
      - .offset:         40
        .size:           4
        .value_kind:     by_value
      - .offset:         48
        .size:           8
        .value_kind:     by_value
      - .address_space:  global
        .offset:         56
        .size:           8
        .value_kind:     global_buffer
      - .offset:         64
        .size:           8
        .value_kind:     by_value
      - .offset:         72
        .size:           4
        .value_kind:     by_value
      - .offset:         80
        .size:           8
        .value_kind:     by_value
      - .address_space:  global
        .offset:         88
        .size:           8
        .value_kind:     global_buffer
      - .offset:         96
        .size:           8
        .value_kind:     by_value
      - .address_space:  global
        .offset:         104
        .size:           8
        .value_kind:     global_buffer
      - .offset:         112
        .size:           8
        .value_kind:     by_value
      - .offset:         120
        .size:           4
        .value_kind:     by_value
      - .offset:         128
        .size:           8
        .value_kind:     by_value
    .group_segment_fixed_size: 1024
    .kernarg_segment_align: 8
    .kernarg_segment_size: 136
    .language:       OpenCL C
    .language_version:
      - 2
      - 0
    .max_flat_workgroup_size: 256
    .name:           _ZL22rocblas_gemvtsm_kernelILb0ELi256EPK19rocblas_complex_numIdES3_KPS1_EviiT2_lPKT1_lilS9_lilS6_lPT3_lil
    .private_segment_fixed_size: 0
    .sgpr_count:     28
    .sgpr_spill_count: 0
    .symbol:         _ZL22rocblas_gemvtsm_kernelILb0ELi256EPK19rocblas_complex_numIdES3_KPS1_EviiT2_lPKT1_lilS9_lilS6_lPT3_lil.kd
    .uniform_work_group_size: 1
    .uses_dynamic_stack: false
    .vgpr_count:     62
    .vgpr_spill_count: 0
    .wavefront_size: 32
    .workgroup_processor_mode: 1
  - .args:
      - .offset:         0
        .size:           4
        .value_kind:     by_value
      - .offset:         4
        .size:           4
        .value_kind:     by_value
      - .offset:         8
        .size:           16
        .value_kind:     by_value
      - .offset:         24
        .size:           8
        .value_kind:     by_value
      - .address_space:  global
        .offset:         32
        .size:           8
        .value_kind:     global_buffer
      - .offset:         40
        .size:           8
        .value_kind:     by_value
      - .offset:         48
        .size:           4
        .value_kind:     by_value
      - .offset:         56
        .size:           8
        .value_kind:     by_value
      - .address_space:  global
        .offset:         64
        .size:           8
        .value_kind:     global_buffer
      - .offset:         72
        .size:           8
        .value_kind:     by_value
      - .offset:         80
        .size:           4
        .value_kind:     by_value
      - .offset:         88
        .size:           8
        .value_kind:     by_value
      - .offset:         96
        .size:           16
        .value_kind:     by_value
      - .offset:         112
        .size:           8
        .value_kind:     by_value
      - .address_space:  global
        .offset:         120
        .size:           8
        .value_kind:     global_buffer
      - .offset:         128
        .size:           8
        .value_kind:     by_value
      - .offset:         136
        .size:           4
        .value_kind:     by_value
      - .offset:         144
        .size:           8
        .value_kind:     by_value
    .group_segment_fixed_size: 1024
    .kernarg_segment_align: 8
    .kernarg_segment_size: 152
    .language:       OpenCL C
    .language_version:
      - 2
      - 0
    .max_flat_workgroup_size: 256
    .name:           _ZL22rocblas_gemvtsm_kernelILb0ELi256EPK19rocblas_complex_numIdES1_KPS1_EviiT2_lPKT1_lilS9_lilS6_lPT3_lil
    .private_segment_fixed_size: 0
    .sgpr_count:     28
    .sgpr_spill_count: 0
    .symbol:         _ZL22rocblas_gemvtsm_kernelILb0ELi256EPK19rocblas_complex_numIdES1_KPS1_EviiT2_lPKT1_lilS9_lilS6_lPT3_lil.kd
    .uniform_work_group_size: 1
    .uses_dynamic_stack: false
    .vgpr_count:     62
    .vgpr_spill_count: 0
    .wavefront_size: 32
    .workgroup_processor_mode: 1
  - .args:
      - .offset:         0
        .size:           4
        .value_kind:     by_value
      - .offset:         4
        .size:           4
        .value_kind:     by_value
      - .address_space:  global
        .offset:         8
        .size:           8
        .value_kind:     global_buffer
      - .offset:         16
        .size:           8
        .value_kind:     by_value
      - .address_space:  global
        .offset:         24
        .size:           8
        .value_kind:     global_buffer
      - .offset:         32
        .size:           8
        .value_kind:     by_value
      - .offset:         40
        .size:           4
        .value_kind:     by_value
      - .offset:         48
        .size:           8
        .value_kind:     by_value
      - .address_space:  global
        .offset:         56
        .size:           8
        .value_kind:     global_buffer
      - .offset:         64
        .size:           8
        .value_kind:     by_value
      - .offset:         72
        .size:           4
        .value_kind:     by_value
      - .offset:         80
        .size:           8
        .value_kind:     by_value
      - .address_space:  global
        .offset:         88
        .size:           8
        .value_kind:     global_buffer
      - .offset:         96
        .size:           4
        .value_kind:     by_value
      - .offset:         104
        .size:           4
        .value_kind:     hidden_block_count_x
      - .offset:         108
        .size:           4
        .value_kind:     hidden_block_count_y
      - .offset:         112
        .size:           4
        .value_kind:     hidden_block_count_z
      - .offset:         116
        .size:           2
        .value_kind:     hidden_group_size_x
      - .offset:         118
        .size:           2
        .value_kind:     hidden_group_size_y
      - .offset:         120
        .size:           2
        .value_kind:     hidden_group_size_z
      - .offset:         122
        .size:           2
        .value_kind:     hidden_remainder_x
      - .offset:         124
        .size:           2
        .value_kind:     hidden_remainder_y
      - .offset:         126
        .size:           2
        .value_kind:     hidden_remainder_z
      - .offset:         144
        .size:           8
        .value_kind:     hidden_global_offset_x
      - .offset:         152
        .size:           8
        .value_kind:     hidden_global_offset_y
      - .offset:         160
        .size:           8
        .value_kind:     hidden_global_offset_z
      - .offset:         168
        .size:           2
        .value_kind:     hidden_grid_dims
    .group_segment_fixed_size: 512
    .kernarg_segment_align: 8
    .kernarg_segment_size: 360
    .language:       OpenCL C
    .language_version:
      - 2
      - 0
    .max_flat_workgroup_size: 256
    .name:           _ZL23rocblas_gemvt_sn_kernelILb0ELi256ELi4EiPK19rocblas_complex_numIdES3_S1_EviiT4_lPKT3_lilS7_lilPT5_i
    .private_segment_fixed_size: 80
    .sgpr_count:     78
    .sgpr_spill_count: 0
    .symbol:         _ZL23rocblas_gemvt_sn_kernelILb0ELi256ELi4EiPK19rocblas_complex_numIdES3_S1_EviiT4_lPKT3_lilS7_lilPT5_i.kd
    .uniform_work_group_size: 1
    .uses_dynamic_stack: false
    .vgpr_count:     89
    .vgpr_spill_count: 0
    .wavefront_size: 32
    .workgroup_processor_mode: 1
  - .args:
      - .offset:         0
        .size:           4
        .value_kind:     by_value
      - .offset:         4
        .size:           4
        .value_kind:     by_value
      - .address_space:  global
        .offset:         8
        .size:           8
        .value_kind:     global_buffer
      - .offset:         16
        .size:           8
        .value_kind:     by_value
      - .address_space:  global
        .offset:         24
        .size:           8
        .value_kind:     global_buffer
      - .offset:         32
        .size:           8
        .value_kind:     by_value
      - .offset:         40
        .size:           4
        .value_kind:     by_value
      - .offset:         48
        .size:           8
        .value_kind:     by_value
      - .address_space:  global
        .offset:         56
        .size:           8
        .value_kind:     global_buffer
      - .offset:         64
        .size:           8
        .value_kind:     by_value
      - .offset:         72
        .size:           4
        .value_kind:     by_value
      - .offset:         80
        .size:           8
        .value_kind:     by_value
      - .address_space:  global
        .offset:         88
        .size:           8
        .value_kind:     global_buffer
      - .offset:         96
        .size:           4
        .value_kind:     by_value
      - .offset:         104
        .size:           4
        .value_kind:     hidden_block_count_x
      - .offset:         108
        .size:           4
        .value_kind:     hidden_block_count_y
      - .offset:         112
        .size:           4
        .value_kind:     hidden_block_count_z
      - .offset:         116
        .size:           2
        .value_kind:     hidden_group_size_x
      - .offset:         118
        .size:           2
        .value_kind:     hidden_group_size_y
      - .offset:         120
        .size:           2
        .value_kind:     hidden_group_size_z
      - .offset:         122
        .size:           2
        .value_kind:     hidden_remainder_x
      - .offset:         124
        .size:           2
        .value_kind:     hidden_remainder_y
      - .offset:         126
        .size:           2
        .value_kind:     hidden_remainder_z
      - .offset:         144
        .size:           8
        .value_kind:     hidden_global_offset_x
      - .offset:         152
        .size:           8
        .value_kind:     hidden_global_offset_y
      - .offset:         160
        .size:           8
        .value_kind:     hidden_global_offset_z
      - .offset:         168
        .size:           2
        .value_kind:     hidden_grid_dims
    .group_segment_fixed_size: 512
    .kernarg_segment_align: 8
    .kernarg_segment_size: 360
    .language:       OpenCL C
    .language_version:
      - 2
      - 0
    .max_flat_workgroup_size: 256
    .name:           _ZL23rocblas_gemvt_sn_kernelILb0ELi256ELi4ElPK19rocblas_complex_numIdES3_S1_EviiT4_lPKT3_lilS7_lilPT5_i
    .private_segment_fixed_size: 80
    .sgpr_count:     72
    .sgpr_spill_count: 0
    .symbol:         _ZL23rocblas_gemvt_sn_kernelILb0ELi256ELi4ElPK19rocblas_complex_numIdES3_S1_EviiT4_lPKT3_lilS7_lilPT5_i.kd
    .uniform_work_group_size: 1
    .uses_dynamic_stack: false
    .vgpr_count:     88
    .vgpr_spill_count: 0
    .wavefront_size: 32
    .workgroup_processor_mode: 1
  - .args:
      - .offset:         0
        .size:           4
        .value_kind:     by_value
      - .address_space:  global
        .offset:         8
        .size:           8
        .value_kind:     global_buffer
      - .offset:         16
        .size:           8
        .value_kind:     by_value
      - .address_space:  global
        .offset:         24
        .size:           8
        .value_kind:     global_buffer
      - .offset:         32
        .size:           8
        .value_kind:     by_value
      - .offset:         40
        .size:           4
        .value_kind:     by_value
      - .offset:         48
        .size:           8
        .value_kind:     by_value
      - .actual_access:  read_only
        .address_space:  global
        .offset:         56
        .size:           8
        .value_kind:     global_buffer
      - .offset:         64
        .size:           4
        .value_kind:     by_value
      - .offset:         72
        .size:           4
        .value_kind:     hidden_block_count_x
      - .offset:         76
        .size:           4
        .value_kind:     hidden_block_count_y
      - .offset:         80
        .size:           4
        .value_kind:     hidden_block_count_z
      - .offset:         84
        .size:           2
        .value_kind:     hidden_group_size_x
      - .offset:         86
        .size:           2
        .value_kind:     hidden_group_size_y
      - .offset:         88
        .size:           2
        .value_kind:     hidden_group_size_z
      - .offset:         90
        .size:           2
        .value_kind:     hidden_remainder_x
      - .offset:         92
        .size:           2
        .value_kind:     hidden_remainder_y
      - .offset:         94
        .size:           2
        .value_kind:     hidden_remainder_z
      - .offset:         112
        .size:           8
        .value_kind:     hidden_global_offset_x
      - .offset:         120
        .size:           8
        .value_kind:     hidden_global_offset_y
      - .offset:         128
        .size:           8
        .value_kind:     hidden_global_offset_z
      - .offset:         136
        .size:           2
        .value_kind:     hidden_grid_dims
    .group_segment_fixed_size: 512
    .kernarg_segment_align: 8
    .kernarg_segment_size: 328
    .language:       OpenCL C
    .language_version:
      - 2
      - 0
    .max_flat_workgroup_size: 256
    .name:           _ZL23rocblas_gemvt_sn_reduceILi256ELi8E19rocblas_complex_numIdEPKS1_KPS1_EviT2_lPT3_lilPT1_i
    .private_segment_fixed_size: 0
    .sgpr_count:     40
    .sgpr_spill_count: 0
    .symbol:         _ZL23rocblas_gemvt_sn_reduceILi256ELi8E19rocblas_complex_numIdEPKS1_KPS1_EviT2_lPT3_lilPT1_i.kd
    .uniform_work_group_size: 1
    .uses_dynamic_stack: false
    .vgpr_count:     61
    .vgpr_spill_count: 0
    .wavefront_size: 32
    .workgroup_processor_mode: 1
  - .args:
      - .offset:         0
        .size:           4
        .value_kind:     by_value
      - .offset:         4
        .size:           4
        .value_kind:     by_value
      - .offset:         8
        .size:           16
        .value_kind:     by_value
      - .offset:         24
        .size:           8
        .value_kind:     by_value
      - .address_space:  global
        .offset:         32
        .size:           8
        .value_kind:     global_buffer
      - .offset:         40
        .size:           8
        .value_kind:     by_value
      - .offset:         48
        .size:           4
        .value_kind:     by_value
      - .offset:         56
        .size:           8
        .value_kind:     by_value
      - .address_space:  global
        .offset:         64
        .size:           8
        .value_kind:     global_buffer
      - .offset:         72
        .size:           8
        .value_kind:     by_value
      - .offset:         80
        .size:           4
        .value_kind:     by_value
      - .offset:         88
        .size:           8
        .value_kind:     by_value
      - .address_space:  global
        .offset:         96
        .size:           8
        .value_kind:     global_buffer
      - .offset:         104
        .size:           4
        .value_kind:     by_value
      - .offset:         112
        .size:           4
        .value_kind:     hidden_block_count_x
      - .offset:         116
        .size:           4
        .value_kind:     hidden_block_count_y
      - .offset:         120
        .size:           4
        .value_kind:     hidden_block_count_z
      - .offset:         124
        .size:           2
        .value_kind:     hidden_group_size_x
      - .offset:         126
        .size:           2
        .value_kind:     hidden_group_size_y
      - .offset:         128
        .size:           2
        .value_kind:     hidden_group_size_z
      - .offset:         130
        .size:           2
        .value_kind:     hidden_remainder_x
      - .offset:         132
        .size:           2
        .value_kind:     hidden_remainder_y
      - .offset:         134
        .size:           2
        .value_kind:     hidden_remainder_z
      - .offset:         152
        .size:           8
        .value_kind:     hidden_global_offset_x
      - .offset:         160
        .size:           8
        .value_kind:     hidden_global_offset_y
      - .offset:         168
        .size:           8
        .value_kind:     hidden_global_offset_z
      - .offset:         176
        .size:           2
        .value_kind:     hidden_grid_dims
    .group_segment_fixed_size: 512
    .kernarg_segment_align: 8
    .kernarg_segment_size: 368
    .language:       OpenCL C
    .language_version:
      - 2
      - 0
    .max_flat_workgroup_size: 256
    .name:           _ZL23rocblas_gemvt_sn_kernelILb0ELi256ELi4EiPK19rocblas_complex_numIdES1_S1_EviiT4_lPKT3_lilS7_lilPT5_i
    .private_segment_fixed_size: 80
    .sgpr_count:     80
    .sgpr_spill_count: 0
    .symbol:         _ZL23rocblas_gemvt_sn_kernelILb0ELi256ELi4EiPK19rocblas_complex_numIdES1_S1_EviiT4_lPKT3_lilS7_lilPT5_i.kd
    .uniform_work_group_size: 1
    .uses_dynamic_stack: false
    .vgpr_count:     136
    .vgpr_spill_count: 0
    .wavefront_size: 32
    .workgroup_processor_mode: 1
  - .args:
      - .offset:         0
        .size:           4
        .value_kind:     by_value
      - .offset:         4
        .size:           4
        .value_kind:     by_value
      - .offset:         8
        .size:           16
        .value_kind:     by_value
      - .offset:         24
        .size:           8
        .value_kind:     by_value
      - .address_space:  global
        .offset:         32
        .size:           8
        .value_kind:     global_buffer
      - .offset:         40
        .size:           8
        .value_kind:     by_value
      - .offset:         48
        .size:           4
        .value_kind:     by_value
      - .offset:         56
        .size:           8
        .value_kind:     by_value
      - .address_space:  global
        .offset:         64
        .size:           8
        .value_kind:     global_buffer
      - .offset:         72
        .size:           8
        .value_kind:     by_value
      - .offset:         80
        .size:           4
        .value_kind:     by_value
      - .offset:         88
        .size:           8
        .value_kind:     by_value
      - .address_space:  global
        .offset:         96
        .size:           8
        .value_kind:     global_buffer
      - .offset:         104
        .size:           4
        .value_kind:     by_value
      - .offset:         112
        .size:           4
        .value_kind:     hidden_block_count_x
      - .offset:         116
        .size:           4
        .value_kind:     hidden_block_count_y
      - .offset:         120
        .size:           4
        .value_kind:     hidden_block_count_z
      - .offset:         124
        .size:           2
        .value_kind:     hidden_group_size_x
      - .offset:         126
        .size:           2
        .value_kind:     hidden_group_size_y
      - .offset:         128
        .size:           2
        .value_kind:     hidden_group_size_z
      - .offset:         130
        .size:           2
        .value_kind:     hidden_remainder_x
      - .offset:         132
        .size:           2
        .value_kind:     hidden_remainder_y
      - .offset:         134
        .size:           2
        .value_kind:     hidden_remainder_z
      - .offset:         152
        .size:           8
        .value_kind:     hidden_global_offset_x
      - .offset:         160
        .size:           8
        .value_kind:     hidden_global_offset_y
      - .offset:         168
        .size:           8
        .value_kind:     hidden_global_offset_z
      - .offset:         176
        .size:           2
        .value_kind:     hidden_grid_dims
    .group_segment_fixed_size: 512
    .kernarg_segment_align: 8
    .kernarg_segment_size: 368
    .language:       OpenCL C
    .language_version:
      - 2
      - 0
    .max_flat_workgroup_size: 256
    .name:           _ZL23rocblas_gemvt_sn_kernelILb0ELi256ELi4ElPK19rocblas_complex_numIdES1_S1_EviiT4_lPKT3_lilS7_lilPT5_i
    .private_segment_fixed_size: 80
    .sgpr_count:     72
    .sgpr_spill_count: 0
    .symbol:         _ZL23rocblas_gemvt_sn_kernelILb0ELi256ELi4ElPK19rocblas_complex_numIdES1_S1_EviiT4_lPKT3_lilS7_lilPT5_i.kd
    .uniform_work_group_size: 1
    .uses_dynamic_stack: false
    .vgpr_count:     135
    .vgpr_spill_count: 0
    .wavefront_size: 32
    .workgroup_processor_mode: 1
  - .args:
      - .offset:         0
        .size:           4
        .value_kind:     by_value
      - .offset:         8
        .size:           16
        .value_kind:     by_value
      - .offset:         24
        .size:           8
        .value_kind:     by_value
      - .address_space:  global
        .offset:         32
        .size:           8
        .value_kind:     global_buffer
      - .offset:         40
        .size:           8
        .value_kind:     by_value
      - .offset:         48
        .size:           4
        .value_kind:     by_value
      - .offset:         56
        .size:           8
        .value_kind:     by_value
      - .actual_access:  read_only
        .address_space:  global
        .offset:         64
        .size:           8
        .value_kind:     global_buffer
      - .offset:         72
        .size:           4
        .value_kind:     by_value
      - .offset:         80
        .size:           4
        .value_kind:     hidden_block_count_x
      - .offset:         84
        .size:           4
        .value_kind:     hidden_block_count_y
      - .offset:         88
        .size:           4
        .value_kind:     hidden_block_count_z
      - .offset:         92
        .size:           2
        .value_kind:     hidden_group_size_x
      - .offset:         94
        .size:           2
        .value_kind:     hidden_group_size_y
      - .offset:         96
        .size:           2
        .value_kind:     hidden_group_size_z
      - .offset:         98
        .size:           2
        .value_kind:     hidden_remainder_x
      - .offset:         100
        .size:           2
        .value_kind:     hidden_remainder_y
      - .offset:         102
        .size:           2
        .value_kind:     hidden_remainder_z
      - .offset:         120
        .size:           8
        .value_kind:     hidden_global_offset_x
      - .offset:         128
        .size:           8
        .value_kind:     hidden_global_offset_y
      - .offset:         136
        .size:           8
        .value_kind:     hidden_global_offset_z
      - .offset:         144
        .size:           2
        .value_kind:     hidden_grid_dims
    .group_segment_fixed_size: 512
    .kernarg_segment_align: 8
    .kernarg_segment_size: 336
    .language:       OpenCL C
    .language_version:
      - 2
      - 0
    .max_flat_workgroup_size: 256
    .name:           _ZL23rocblas_gemvt_sn_reduceILi256ELi8E19rocblas_complex_numIdES1_KPS1_EviT2_lPT3_lilPT1_i
    .private_segment_fixed_size: 0
    .sgpr_count:     40
    .sgpr_spill_count: 0
    .symbol:         _ZL23rocblas_gemvt_sn_reduceILi256ELi8E19rocblas_complex_numIdES1_KPS1_EviT2_lPT3_lilPT1_i.kd
    .uniform_work_group_size: 1
    .uses_dynamic_stack: false
    .vgpr_count:     56
    .vgpr_spill_count: 0
    .wavefront_size: 32
    .workgroup_processor_mode: 1
  - .args:
      - .offset:         0
        .size:           4
        .value_kind:     by_value
      - .offset:         4
        .size:           4
        .value_kind:     by_value
      - .address_space:  global
        .offset:         8
        .size:           8
        .value_kind:     global_buffer
      - .offset:         16
        .size:           8
        .value_kind:     by_value
      - .address_space:  global
        .offset:         24
        .size:           8
        .value_kind:     global_buffer
      - .offset:         32
        .size:           8
        .value_kind:     by_value
      - .offset:         40
        .size:           4
        .value_kind:     by_value
      - .offset:         48
        .size:           8
        .value_kind:     by_value
      - .address_space:  global
        .offset:         56
        .size:           8
        .value_kind:     global_buffer
      - .offset:         64
        .size:           8
        .value_kind:     by_value
      - .offset:         72
        .size:           4
        .value_kind:     by_value
      - .offset:         80
        .size:           8
        .value_kind:     by_value
      - .address_space:  global
        .offset:         88
        .size:           8
        .value_kind:     global_buffer
      - .offset:         96
        .size:           8
        .value_kind:     by_value
      - .address_space:  global
        .offset:         104
        .size:           8
        .value_kind:     global_buffer
      - .offset:         112
        .size:           8
        .value_kind:     by_value
      - .offset:         120
        .size:           4
        .value_kind:     by_value
      - .offset:         128
        .size:           8
        .value_kind:     by_value
      - .offset:         136
        .size:           4
        .value_kind:     by_value
    .group_segment_fixed_size: 512
    .kernarg_segment_align: 8
    .kernarg_segment_size: 140
    .language:       OpenCL C
    .language_version:
      - 2
      - 0
    .max_flat_workgroup_size: 256
    .name:           _ZL32rocblas_gemvt_warp_reduce_kernelILb0ELi256EiPK19rocblas_complex_numIdES3_KPS1_EviiT3_lPKT2_lT1_lS9_lSA_lS6_lPT4_lSA_li
    .private_segment_fixed_size: 0
    .sgpr_count:     44
    .sgpr_spill_count: 0
    .symbol:         _ZL32rocblas_gemvt_warp_reduce_kernelILb0ELi256EiPK19rocblas_complex_numIdES3_KPS1_EviiT3_lPKT2_lT1_lS9_lSA_lS6_lPT4_lSA_li.kd
    .uniform_work_group_size: 1
    .uses_dynamic_stack: false
    .vgpr_count:     44
    .vgpr_spill_count: 0
    .wavefront_size: 32
    .workgroup_processor_mode: 1
  - .args:
      - .offset:         0
        .size:           4
        .value_kind:     by_value
      - .offset:         4
        .size:           4
        .value_kind:     by_value
      - .address_space:  global
        .offset:         8
        .size:           8
        .value_kind:     global_buffer
      - .offset:         16
        .size:           8
        .value_kind:     by_value
      - .address_space:  global
        .offset:         24
        .size:           8
        .value_kind:     global_buffer
      - .offset:         32
        .size:           8
        .value_kind:     by_value
      - .offset:         40
        .size:           8
        .value_kind:     by_value
      - .offset:         48
        .size:           8
        .value_kind:     by_value
      - .address_space:  global
        .offset:         56
        .size:           8
        .value_kind:     global_buffer
      - .offset:         64
        .size:           8
        .value_kind:     by_value
      - .offset:         72
        .size:           8
        .value_kind:     by_value
      - .offset:         80
        .size:           8
        .value_kind:     by_value
      - .address_space:  global
        .offset:         88
        .size:           8
        .value_kind:     global_buffer
      - .offset:         96
        .size:           8
        .value_kind:     by_value
      - .address_space:  global
        .offset:         104
        .size:           8
        .value_kind:     global_buffer
      - .offset:         112
        .size:           8
        .value_kind:     by_value
      - .offset:         120
        .size:           8
        .value_kind:     by_value
      - .offset:         128
        .size:           8
        .value_kind:     by_value
      - .offset:         136
        .size:           4
        .value_kind:     by_value
    .group_segment_fixed_size: 512
    .kernarg_segment_align: 8
    .kernarg_segment_size: 140
    .language:       OpenCL C
    .language_version:
      - 2
      - 0
    .max_flat_workgroup_size: 256
    .name:           _ZL32rocblas_gemvt_warp_reduce_kernelILb0ELi256ElPK19rocblas_complex_numIdES3_KPS1_EviiT3_lPKT2_lT1_lS9_lSA_lS6_lPT4_lSA_li
    .private_segment_fixed_size: 0
    .sgpr_count:     46
    .sgpr_spill_count: 0
    .symbol:         _ZL32rocblas_gemvt_warp_reduce_kernelILb0ELi256ElPK19rocblas_complex_numIdES3_KPS1_EviiT3_lPKT2_lT1_lS9_lSA_lS6_lPT4_lSA_li.kd
    .uniform_work_group_size: 1
    .uses_dynamic_stack: false
    .vgpr_count:     45
    .vgpr_spill_count: 0
    .wavefront_size: 32
    .workgroup_processor_mode: 1
  - .args:
      - .offset:         0
        .size:           4
        .value_kind:     by_value
      - .offset:         4
        .size:           4
        .value_kind:     by_value
      - .offset:         8
        .size:           16
        .value_kind:     by_value
      - .offset:         24
        .size:           8
        .value_kind:     by_value
      - .address_space:  global
        .offset:         32
        .size:           8
        .value_kind:     global_buffer
      - .offset:         40
        .size:           8
        .value_kind:     by_value
      - .offset:         48
        .size:           4
        .value_kind:     by_value
      - .offset:         56
        .size:           8
        .value_kind:     by_value
      - .address_space:  global
        .offset:         64
        .size:           8
        .value_kind:     global_buffer
      - .offset:         72
        .size:           8
        .value_kind:     by_value
      - .offset:         80
        .size:           4
        .value_kind:     by_value
      - .offset:         88
        .size:           8
        .value_kind:     by_value
      - .offset:         96
        .size:           16
        .value_kind:     by_value
      - .offset:         112
        .size:           8
        .value_kind:     by_value
      - .address_space:  global
        .offset:         120
        .size:           8
        .value_kind:     global_buffer
      - .offset:         128
        .size:           8
        .value_kind:     by_value
      - .offset:         136
        .size:           4
        .value_kind:     by_value
      - .offset:         144
        .size:           8
        .value_kind:     by_value
      - .offset:         152
        .size:           4
        .value_kind:     by_value
    .group_segment_fixed_size: 512
    .kernarg_segment_align: 8
    .kernarg_segment_size: 156
    .language:       OpenCL C
    .language_version:
      - 2
      - 0
    .max_flat_workgroup_size: 256
    .name:           _ZL32rocblas_gemvt_warp_reduce_kernelILb0ELi256EiPK19rocblas_complex_numIdES1_KPS1_EviiT3_lPKT2_lT1_lS9_lSA_lS6_lPT4_lSA_li
    .private_segment_fixed_size: 0
    .sgpr_count:     48
    .sgpr_spill_count: 0
    .symbol:         _ZL32rocblas_gemvt_warp_reduce_kernelILb0ELi256EiPK19rocblas_complex_numIdES1_KPS1_EviiT3_lPKT2_lT1_lS9_lSA_lS6_lPT4_lSA_li.kd
    .uniform_work_group_size: 1
    .uses_dynamic_stack: false
    .vgpr_count:     37
    .vgpr_spill_count: 0
    .wavefront_size: 32
    .workgroup_processor_mode: 1
  - .args:
      - .offset:         0
        .size:           4
        .value_kind:     by_value
      - .offset:         4
        .size:           4
        .value_kind:     by_value
      - .offset:         8
        .size:           16
        .value_kind:     by_value
      - .offset:         24
        .size:           8
        .value_kind:     by_value
      - .address_space:  global
        .offset:         32
        .size:           8
        .value_kind:     global_buffer
      - .offset:         40
        .size:           8
        .value_kind:     by_value
      - .offset:         48
        .size:           8
        .value_kind:     by_value
      - .offset:         56
        .size:           8
        .value_kind:     by_value
      - .address_space:  global
        .offset:         64
        .size:           8
        .value_kind:     global_buffer
      - .offset:         72
        .size:           8
        .value_kind:     by_value
      - .offset:         80
        .size:           8
        .value_kind:     by_value
      - .offset:         88
        .size:           8
        .value_kind:     by_value
      - .offset:         96
        .size:           16
        .value_kind:     by_value
      - .offset:         112
        .size:           8
        .value_kind:     by_value
      - .address_space:  global
        .offset:         120
        .size:           8
        .value_kind:     global_buffer
      - .offset:         128
        .size:           8
        .value_kind:     by_value
      - .offset:         136
        .size:           8
        .value_kind:     by_value
      - .offset:         144
        .size:           8
        .value_kind:     by_value
      - .offset:         152
        .size:           4
        .value_kind:     by_value
    .group_segment_fixed_size: 512
    .kernarg_segment_align: 8
    .kernarg_segment_size: 156
    .language:       OpenCL C
    .language_version:
      - 2
      - 0
    .max_flat_workgroup_size: 256
    .name:           _ZL32rocblas_gemvt_warp_reduce_kernelILb0ELi256ElPK19rocblas_complex_numIdES1_KPS1_EviiT3_lPKT2_lT1_lS9_lSA_lS6_lPT4_lSA_li
    .private_segment_fixed_size: 0
    .sgpr_count:     48
    .sgpr_spill_count: 0
    .symbol:         _ZL32rocblas_gemvt_warp_reduce_kernelILb0ELi256ElPK19rocblas_complex_numIdES1_KPS1_EviiT3_lPKT2_lT1_lS9_lSA_lS6_lPT4_lSA_li.kd
    .uniform_work_group_size: 1
    .uses_dynamic_stack: false
    .vgpr_count:     38
    .vgpr_spill_count: 0
    .wavefront_size: 32
    .workgroup_processor_mode: 1
  - .args:
      - .offset:         0
        .size:           4
        .value_kind:     by_value
      - .offset:         4
        .size:           4
        .value_kind:     by_value
      - .address_space:  global
        .offset:         8
        .size:           8
        .value_kind:     global_buffer
      - .offset:         16
        .size:           8
        .value_kind:     by_value
      - .address_space:  global
        .offset:         24
        .size:           8
        .value_kind:     global_buffer
      - .offset:         32
        .size:           8
        .value_kind:     by_value
      - .offset:         40
        .size:           4
        .value_kind:     by_value
      - .offset:         48
        .size:           8
        .value_kind:     by_value
      - .address_space:  global
        .offset:         56
        .size:           8
        .value_kind:     global_buffer
      - .offset:         64
        .size:           8
        .value_kind:     by_value
      - .offset:         72
        .size:           4
        .value_kind:     by_value
      - .offset:         80
        .size:           8
        .value_kind:     by_value
      - .address_space:  global
        .offset:         88
        .size:           8
        .value_kind:     global_buffer
      - .offset:         96
        .size:           8
        .value_kind:     by_value
      - .address_space:  global
        .offset:         104
        .size:           8
        .value_kind:     global_buffer
      - .offset:         112
        .size:           8
        .value_kind:     by_value
      - .offset:         120
        .size:           4
        .value_kind:     by_value
      - .offset:         128
        .size:           8
        .value_kind:     by_value
      - .offset:         136
        .size:           4
        .value_kind:     by_value
    .group_segment_fixed_size: 4096
    .kernarg_segment_align: 8
    .kernarg_segment_size: 140
    .language:       OpenCL C
    .language_version:
      - 2
      - 0
    .max_flat_workgroup_size: 256
    .name:           _ZL20rocblas_gemvt_kernelILb0ELi256EPK19rocblas_complex_numIdES3_KPS1_EviiT2_lPKT1_lilS9_lilS6_lPT3_lili
    .private_segment_fixed_size: 0
    .sgpr_count:     50
    .sgpr_spill_count: 0
    .symbol:         _ZL20rocblas_gemvt_kernelILb0ELi256EPK19rocblas_complex_numIdES3_KPS1_EviiT2_lPKT1_lilS9_lilS6_lPT3_lili.kd
    .uniform_work_group_size: 1
    .uses_dynamic_stack: false
    .vgpr_count:     41
    .vgpr_spill_count: 0
    .wavefront_size: 32
    .workgroup_processor_mode: 1
  - .args:
      - .offset:         0
        .size:           4
        .value_kind:     by_value
      - .offset:         4
        .size:           4
        .value_kind:     by_value
      - .offset:         8
        .size:           16
        .value_kind:     by_value
      - .offset:         24
        .size:           8
        .value_kind:     by_value
      - .address_space:  global
        .offset:         32
        .size:           8
        .value_kind:     global_buffer
      - .offset:         40
        .size:           8
        .value_kind:     by_value
      - .offset:         48
        .size:           4
        .value_kind:     by_value
      - .offset:         56
        .size:           8
        .value_kind:     by_value
      - .address_space:  global
        .offset:         64
        .size:           8
        .value_kind:     global_buffer
      - .offset:         72
        .size:           8
        .value_kind:     by_value
      - .offset:         80
        .size:           4
        .value_kind:     by_value
      - .offset:         88
        .size:           8
        .value_kind:     by_value
      - .offset:         96
        .size:           16
        .value_kind:     by_value
      - .offset:         112
        .size:           8
        .value_kind:     by_value
      - .address_space:  global
        .offset:         120
        .size:           8
        .value_kind:     global_buffer
      - .offset:         128
        .size:           8
        .value_kind:     by_value
      - .offset:         136
        .size:           4
        .value_kind:     by_value
      - .offset:         144
        .size:           8
        .value_kind:     by_value
      - .offset:         152
        .size:           4
        .value_kind:     by_value
    .group_segment_fixed_size: 4096
    .kernarg_segment_align: 8
    .kernarg_segment_size: 156
    .language:       OpenCL C
    .language_version:
      - 2
      - 0
    .max_flat_workgroup_size: 256
    .name:           _ZL20rocblas_gemvt_kernelILb0ELi256EPK19rocblas_complex_numIdES1_KPS1_EviiT2_lPKT1_lilS9_lilS6_lPT3_lili
    .private_segment_fixed_size: 0
    .sgpr_count:     52
    .sgpr_spill_count: 0
    .symbol:         _ZL20rocblas_gemvt_kernelILb0ELi256EPK19rocblas_complex_numIdES1_KPS1_EviiT2_lPKT1_lilS9_lilS6_lPT3_lili.kd
    .uniform_work_group_size: 1
    .uses_dynamic_stack: false
    .vgpr_count:     34
    .vgpr_spill_count: 0
    .wavefront_size: 32
    .workgroup_processor_mode: 1
  - .args:
      - .offset:         0
        .size:           4
        .value_kind:     by_value
      - .offset:         4
        .size:           4
        .value_kind:     by_value
      - .address_space:  global
        .offset:         8
        .size:           8
        .value_kind:     global_buffer
      - .offset:         16
        .size:           8
        .value_kind:     by_value
      - .address_space:  global
        .offset:         24
        .size:           8
        .value_kind:     global_buffer
      - .offset:         32
        .size:           8
        .value_kind:     by_value
      - .offset:         40
        .size:           4
        .value_kind:     by_value
      - .offset:         48
        .size:           8
        .value_kind:     by_value
      - .address_space:  global
        .offset:         56
        .size:           8
        .value_kind:     global_buffer
      - .offset:         64
        .size:           8
        .value_kind:     by_value
      - .offset:         72
        .size:           4
        .value_kind:     by_value
      - .offset:         80
        .size:           8
        .value_kind:     by_value
      - .address_space:  global
        .offset:         88
        .size:           8
        .value_kind:     global_buffer
      - .offset:         96
        .size:           8
        .value_kind:     by_value
      - .address_space:  global
        .offset:         104
        .size:           8
        .value_kind:     global_buffer
      - .offset:         112
        .size:           8
        .value_kind:     by_value
      - .offset:         120
        .size:           4
        .value_kind:     by_value
      - .offset:         128
        .size:           8
        .value_kind:     by_value
      - .offset:         136
        .size:           4
        .value_kind:     by_value
    .group_segment_fixed_size: 512
    .kernarg_segment_align: 8
    .kernarg_segment_size: 140
    .language:       OpenCL C
    .language_version:
      - 2
      - 0
    .max_flat_workgroup_size: 1024
    .name:           _ZL32rocblas_gemvt_warp_reduce_kernelILb0ELi1024EiPK19rocblas_complex_numIdES3_KPS1_EviiT3_lPKT2_lT1_lS9_lSA_lS6_lPT4_lSA_li
    .private_segment_fixed_size: 0
    .sgpr_count:     44
    .sgpr_spill_count: 0
    .symbol:         _ZL32rocblas_gemvt_warp_reduce_kernelILb0ELi1024EiPK19rocblas_complex_numIdES3_KPS1_EviiT3_lPKT2_lT1_lS9_lSA_lS6_lPT4_lSA_li.kd
    .uniform_work_group_size: 1
    .uses_dynamic_stack: false
    .vgpr_count:     44
    .vgpr_spill_count: 0
    .wavefront_size: 32
    .workgroup_processor_mode: 1
  - .args:
      - .offset:         0
        .size:           4
        .value_kind:     by_value
      - .offset:         4
        .size:           4
        .value_kind:     by_value
      - .address_space:  global
        .offset:         8
        .size:           8
        .value_kind:     global_buffer
      - .offset:         16
        .size:           8
        .value_kind:     by_value
      - .address_space:  global
        .offset:         24
        .size:           8
        .value_kind:     global_buffer
      - .offset:         32
        .size:           8
        .value_kind:     by_value
      - .offset:         40
        .size:           8
        .value_kind:     by_value
      - .offset:         48
        .size:           8
        .value_kind:     by_value
      - .address_space:  global
        .offset:         56
        .size:           8
        .value_kind:     global_buffer
      - .offset:         64
        .size:           8
        .value_kind:     by_value
      - .offset:         72
        .size:           8
        .value_kind:     by_value
      - .offset:         80
        .size:           8
        .value_kind:     by_value
      - .address_space:  global
        .offset:         88
        .size:           8
        .value_kind:     global_buffer
      - .offset:         96
        .size:           8
        .value_kind:     by_value
      - .address_space:  global
        .offset:         104
        .size:           8
        .value_kind:     global_buffer
      - .offset:         112
        .size:           8
        .value_kind:     by_value
      - .offset:         120
        .size:           8
        .value_kind:     by_value
      - .offset:         128
        .size:           8
        .value_kind:     by_value
      - .offset:         136
        .size:           4
        .value_kind:     by_value
    .group_segment_fixed_size: 512
    .kernarg_segment_align: 8
    .kernarg_segment_size: 140
    .language:       OpenCL C
    .language_version:
      - 2
      - 0
    .max_flat_workgroup_size: 1024
    .name:           _ZL32rocblas_gemvt_warp_reduce_kernelILb0ELi1024ElPK19rocblas_complex_numIdES3_KPS1_EviiT3_lPKT2_lT1_lS9_lSA_lS6_lPT4_lSA_li
    .private_segment_fixed_size: 0
    .sgpr_count:     44
    .sgpr_spill_count: 0
    .symbol:         _ZL32rocblas_gemvt_warp_reduce_kernelILb0ELi1024ElPK19rocblas_complex_numIdES3_KPS1_EviiT3_lPKT2_lT1_lS9_lSA_lS6_lPT4_lSA_li.kd
    .uniform_work_group_size: 1
    .uses_dynamic_stack: false
    .vgpr_count:     45
    .vgpr_spill_count: 0
    .wavefront_size: 32
    .workgroup_processor_mode: 1
  - .args:
      - .offset:         0
        .size:           4
        .value_kind:     by_value
      - .offset:         4
        .size:           4
        .value_kind:     by_value
      - .offset:         8
        .size:           16
        .value_kind:     by_value
      - .offset:         24
        .size:           8
        .value_kind:     by_value
      - .address_space:  global
        .offset:         32
        .size:           8
        .value_kind:     global_buffer
      - .offset:         40
        .size:           8
        .value_kind:     by_value
      - .offset:         48
        .size:           4
        .value_kind:     by_value
      - .offset:         56
        .size:           8
        .value_kind:     by_value
      - .address_space:  global
        .offset:         64
        .size:           8
        .value_kind:     global_buffer
      - .offset:         72
        .size:           8
        .value_kind:     by_value
      - .offset:         80
        .size:           4
        .value_kind:     by_value
      - .offset:         88
        .size:           8
        .value_kind:     by_value
      - .offset:         96
        .size:           16
        .value_kind:     by_value
      - .offset:         112
        .size:           8
        .value_kind:     by_value
      - .address_space:  global
        .offset:         120
        .size:           8
        .value_kind:     global_buffer
      - .offset:         128
        .size:           8
        .value_kind:     by_value
      - .offset:         136
        .size:           4
        .value_kind:     by_value
      - .offset:         144
        .size:           8
        .value_kind:     by_value
      - .offset:         152
        .size:           4
        .value_kind:     by_value
    .group_segment_fixed_size: 512
    .kernarg_segment_align: 8
    .kernarg_segment_size: 156
    .language:       OpenCL C
    .language_version:
      - 2
      - 0
    .max_flat_workgroup_size: 1024
    .name:           _ZL32rocblas_gemvt_warp_reduce_kernelILb0ELi1024EiPK19rocblas_complex_numIdES1_KPS1_EviiT3_lPKT2_lT1_lS9_lSA_lS6_lPT4_lSA_li
    .private_segment_fixed_size: 0
    .sgpr_count:     46
    .sgpr_spill_count: 0
    .symbol:         _ZL32rocblas_gemvt_warp_reduce_kernelILb0ELi1024EiPK19rocblas_complex_numIdES1_KPS1_EviiT3_lPKT2_lT1_lS9_lSA_lS6_lPT4_lSA_li.kd
    .uniform_work_group_size: 1
    .uses_dynamic_stack: false
    .vgpr_count:     37
    .vgpr_spill_count: 0
    .wavefront_size: 32
    .workgroup_processor_mode: 1
  - .args:
      - .offset:         0
        .size:           4
        .value_kind:     by_value
      - .offset:         4
        .size:           4
        .value_kind:     by_value
      - .offset:         8
        .size:           16
        .value_kind:     by_value
      - .offset:         24
        .size:           8
        .value_kind:     by_value
      - .address_space:  global
        .offset:         32
        .size:           8
        .value_kind:     global_buffer
      - .offset:         40
        .size:           8
        .value_kind:     by_value
      - .offset:         48
        .size:           8
        .value_kind:     by_value
      - .offset:         56
        .size:           8
        .value_kind:     by_value
      - .address_space:  global
        .offset:         64
        .size:           8
        .value_kind:     global_buffer
      - .offset:         72
        .size:           8
        .value_kind:     by_value
      - .offset:         80
        .size:           8
        .value_kind:     by_value
      - .offset:         88
        .size:           8
        .value_kind:     by_value
      - .offset:         96
        .size:           16
        .value_kind:     by_value
      - .offset:         112
        .size:           8
        .value_kind:     by_value
      - .address_space:  global
        .offset:         120
        .size:           8
        .value_kind:     global_buffer
      - .offset:         128
        .size:           8
        .value_kind:     by_value
      - .offset:         136
        .size:           8
        .value_kind:     by_value
      - .offset:         144
        .size:           8
        .value_kind:     by_value
      - .offset:         152
        .size:           4
        .value_kind:     by_value
    .group_segment_fixed_size: 512
    .kernarg_segment_align: 8
    .kernarg_segment_size: 156
    .language:       OpenCL C
    .language_version:
      - 2
      - 0
    .max_flat_workgroup_size: 1024
    .name:           _ZL32rocblas_gemvt_warp_reduce_kernelILb0ELi1024ElPK19rocblas_complex_numIdES1_KPS1_EviiT3_lPKT2_lT1_lS9_lSA_lS6_lPT4_lSA_li
    .private_segment_fixed_size: 0
    .sgpr_count:     48
    .sgpr_spill_count: 0
    .symbol:         _ZL32rocblas_gemvt_warp_reduce_kernelILb0ELi1024ElPK19rocblas_complex_numIdES1_KPS1_EviiT3_lPKT2_lT1_lS9_lSA_lS6_lPT4_lSA_li.kd
    .uniform_work_group_size: 1
    .uses_dynamic_stack: false
    .vgpr_count:     38
    .vgpr_spill_count: 0
    .wavefront_size: 32
    .workgroup_processor_mode: 1
  - .args:
      - .offset:         0
        .size:           4
        .value_kind:     by_value
      - .offset:         4
        .size:           4
        .value_kind:     by_value
      - .address_space:  global
        .offset:         8
        .size:           8
        .value_kind:     global_buffer
      - .offset:         16
        .size:           8
        .value_kind:     by_value
      - .address_space:  global
        .offset:         24
        .size:           8
        .value_kind:     global_buffer
      - .offset:         32
        .size:           8
        .value_kind:     by_value
      - .offset:         40
        .size:           4
        .value_kind:     by_value
      - .offset:         48
        .size:           8
        .value_kind:     by_value
      - .address_space:  global
        .offset:         56
        .size:           8
        .value_kind:     global_buffer
      - .offset:         64
        .size:           8
        .value_kind:     by_value
      - .offset:         72
        .size:           4
        .value_kind:     by_value
      - .offset:         80
        .size:           8
        .value_kind:     by_value
      - .address_space:  global
        .offset:         88
        .size:           8
        .value_kind:     global_buffer
      - .offset:         96
        .size:           8
        .value_kind:     by_value
      - .address_space:  global
        .offset:         104
        .size:           8
        .value_kind:     global_buffer
      - .offset:         112
        .size:           8
        .value_kind:     by_value
      - .offset:         120
        .size:           4
        .value_kind:     by_value
      - .offset:         128
        .size:           8
        .value_kind:     by_value
    .group_segment_fixed_size: 1024
    .kernarg_segment_align: 8
    .kernarg_segment_size: 136
    .language:       OpenCL C
    .language_version:
      - 2
      - 0
    .max_flat_workgroup_size: 256
    .name:           _ZL22rocblas_gemvtsm_kernelILb1ELi256EPK19rocblas_complex_numIdES3_KPS1_EviiT2_lPKT1_lilS9_lilS6_lPT3_lil
    .private_segment_fixed_size: 0
    .sgpr_count:     28
    .sgpr_spill_count: 0
    .symbol:         _ZL22rocblas_gemvtsm_kernelILb1ELi256EPK19rocblas_complex_numIdES3_KPS1_EviiT2_lPKT1_lilS9_lilS6_lPT3_lil.kd
    .uniform_work_group_size: 1
    .uses_dynamic_stack: false
    .vgpr_count:     62
    .vgpr_spill_count: 0
    .wavefront_size: 32
    .workgroup_processor_mode: 1
  - .args:
      - .offset:         0
        .size:           4
        .value_kind:     by_value
      - .offset:         4
        .size:           4
        .value_kind:     by_value
      - .offset:         8
        .size:           16
        .value_kind:     by_value
      - .offset:         24
        .size:           8
        .value_kind:     by_value
      - .address_space:  global
        .offset:         32
        .size:           8
        .value_kind:     global_buffer
      - .offset:         40
        .size:           8
        .value_kind:     by_value
      - .offset:         48
        .size:           4
        .value_kind:     by_value
      - .offset:         56
        .size:           8
        .value_kind:     by_value
      - .address_space:  global
        .offset:         64
        .size:           8
        .value_kind:     global_buffer
      - .offset:         72
        .size:           8
        .value_kind:     by_value
      - .offset:         80
        .size:           4
        .value_kind:     by_value
      - .offset:         88
        .size:           8
        .value_kind:     by_value
      - .offset:         96
        .size:           16
        .value_kind:     by_value
      - .offset:         112
        .size:           8
        .value_kind:     by_value
      - .address_space:  global
        .offset:         120
        .size:           8
        .value_kind:     global_buffer
      - .offset:         128
        .size:           8
        .value_kind:     by_value
      - .offset:         136
        .size:           4
        .value_kind:     by_value
      - .offset:         144
        .size:           8
        .value_kind:     by_value
    .group_segment_fixed_size: 1024
    .kernarg_segment_align: 8
    .kernarg_segment_size: 152
    .language:       OpenCL C
    .language_version:
      - 2
      - 0
    .max_flat_workgroup_size: 256
    .name:           _ZL22rocblas_gemvtsm_kernelILb1ELi256EPK19rocblas_complex_numIdES1_KPS1_EviiT2_lPKT1_lilS9_lilS6_lPT3_lil
    .private_segment_fixed_size: 0
    .sgpr_count:     28
    .sgpr_spill_count: 0
    .symbol:         _ZL22rocblas_gemvtsm_kernelILb1ELi256EPK19rocblas_complex_numIdES1_KPS1_EviiT2_lPKT1_lilS9_lilS6_lPT3_lil.kd
    .uniform_work_group_size: 1
    .uses_dynamic_stack: false
    .vgpr_count:     62
    .vgpr_spill_count: 0
    .wavefront_size: 32
    .workgroup_processor_mode: 1
  - .args:
      - .offset:         0
        .size:           4
        .value_kind:     by_value
      - .offset:         4
        .size:           4
        .value_kind:     by_value
      - .address_space:  global
        .offset:         8
        .size:           8
        .value_kind:     global_buffer
      - .offset:         16
        .size:           8
        .value_kind:     by_value
      - .address_space:  global
        .offset:         24
        .size:           8
        .value_kind:     global_buffer
      - .offset:         32
        .size:           8
        .value_kind:     by_value
      - .offset:         40
        .size:           4
        .value_kind:     by_value
      - .offset:         48
        .size:           8
        .value_kind:     by_value
      - .address_space:  global
        .offset:         56
        .size:           8
        .value_kind:     global_buffer
      - .offset:         64
        .size:           8
        .value_kind:     by_value
      - .offset:         72
        .size:           4
        .value_kind:     by_value
      - .offset:         80
        .size:           8
        .value_kind:     by_value
      - .address_space:  global
        .offset:         88
        .size:           8
        .value_kind:     global_buffer
      - .offset:         96
        .size:           4
        .value_kind:     by_value
      - .offset:         104
        .size:           4
        .value_kind:     hidden_block_count_x
      - .offset:         108
        .size:           4
        .value_kind:     hidden_block_count_y
      - .offset:         112
        .size:           4
        .value_kind:     hidden_block_count_z
      - .offset:         116
        .size:           2
        .value_kind:     hidden_group_size_x
      - .offset:         118
        .size:           2
        .value_kind:     hidden_group_size_y
      - .offset:         120
        .size:           2
        .value_kind:     hidden_group_size_z
      - .offset:         122
        .size:           2
        .value_kind:     hidden_remainder_x
      - .offset:         124
        .size:           2
        .value_kind:     hidden_remainder_y
      - .offset:         126
        .size:           2
        .value_kind:     hidden_remainder_z
      - .offset:         144
        .size:           8
        .value_kind:     hidden_global_offset_x
      - .offset:         152
        .size:           8
        .value_kind:     hidden_global_offset_y
      - .offset:         160
        .size:           8
        .value_kind:     hidden_global_offset_z
      - .offset:         168
        .size:           2
        .value_kind:     hidden_grid_dims
    .group_segment_fixed_size: 512
    .kernarg_segment_align: 8
    .kernarg_segment_size: 360
    .language:       OpenCL C
    .language_version:
      - 2
      - 0
    .max_flat_workgroup_size: 256
    .name:           _ZL23rocblas_gemvt_sn_kernelILb1ELi256ELi4EiPK19rocblas_complex_numIdES3_S1_EviiT4_lPKT3_lilS7_lilPT5_i
    .private_segment_fixed_size: 80
    .sgpr_count:     78
    .sgpr_spill_count: 0
    .symbol:         _ZL23rocblas_gemvt_sn_kernelILb1ELi256ELi4EiPK19rocblas_complex_numIdES3_S1_EviiT4_lPKT3_lilS7_lilPT5_i.kd
    .uniform_work_group_size: 1
    .uses_dynamic_stack: false
    .vgpr_count:     89
    .vgpr_spill_count: 0
    .wavefront_size: 32
    .workgroup_processor_mode: 1
  - .args:
      - .offset:         0
        .size:           4
        .value_kind:     by_value
      - .offset:         4
        .size:           4
        .value_kind:     by_value
      - .address_space:  global
        .offset:         8
        .size:           8
        .value_kind:     global_buffer
      - .offset:         16
        .size:           8
        .value_kind:     by_value
      - .address_space:  global
        .offset:         24
        .size:           8
        .value_kind:     global_buffer
      - .offset:         32
        .size:           8
        .value_kind:     by_value
      - .offset:         40
        .size:           4
        .value_kind:     by_value
      - .offset:         48
        .size:           8
        .value_kind:     by_value
      - .address_space:  global
        .offset:         56
        .size:           8
        .value_kind:     global_buffer
      - .offset:         64
        .size:           8
        .value_kind:     by_value
      - .offset:         72
        .size:           4
        .value_kind:     by_value
      - .offset:         80
        .size:           8
        .value_kind:     by_value
      - .address_space:  global
        .offset:         88
        .size:           8
        .value_kind:     global_buffer
      - .offset:         96
        .size:           4
        .value_kind:     by_value
      - .offset:         104
        .size:           4
        .value_kind:     hidden_block_count_x
      - .offset:         108
        .size:           4
        .value_kind:     hidden_block_count_y
      - .offset:         112
        .size:           4
        .value_kind:     hidden_block_count_z
      - .offset:         116
        .size:           2
        .value_kind:     hidden_group_size_x
      - .offset:         118
        .size:           2
        .value_kind:     hidden_group_size_y
      - .offset:         120
        .size:           2
        .value_kind:     hidden_group_size_z
      - .offset:         122
        .size:           2
        .value_kind:     hidden_remainder_x
      - .offset:         124
        .size:           2
        .value_kind:     hidden_remainder_y
      - .offset:         126
        .size:           2
        .value_kind:     hidden_remainder_z
      - .offset:         144
        .size:           8
        .value_kind:     hidden_global_offset_x
      - .offset:         152
        .size:           8
        .value_kind:     hidden_global_offset_y
      - .offset:         160
        .size:           8
        .value_kind:     hidden_global_offset_z
      - .offset:         168
        .size:           2
        .value_kind:     hidden_grid_dims
    .group_segment_fixed_size: 512
    .kernarg_segment_align: 8
    .kernarg_segment_size: 360
    .language:       OpenCL C
    .language_version:
      - 2
      - 0
    .max_flat_workgroup_size: 256
    .name:           _ZL23rocblas_gemvt_sn_kernelILb1ELi256ELi4ElPK19rocblas_complex_numIdES3_S1_EviiT4_lPKT3_lilS7_lilPT5_i
    .private_segment_fixed_size: 80
    .sgpr_count:     72
    .sgpr_spill_count: 0
    .symbol:         _ZL23rocblas_gemvt_sn_kernelILb1ELi256ELi4ElPK19rocblas_complex_numIdES3_S1_EviiT4_lPKT3_lilS7_lilPT5_i.kd
    .uniform_work_group_size: 1
    .uses_dynamic_stack: false
    .vgpr_count:     88
    .vgpr_spill_count: 0
    .wavefront_size: 32
    .workgroup_processor_mode: 1
  - .args:
      - .offset:         0
        .size:           4
        .value_kind:     by_value
      - .offset:         4
        .size:           4
        .value_kind:     by_value
      - .offset:         8
        .size:           16
        .value_kind:     by_value
      - .offset:         24
        .size:           8
        .value_kind:     by_value
      - .address_space:  global
        .offset:         32
        .size:           8
        .value_kind:     global_buffer
      - .offset:         40
        .size:           8
        .value_kind:     by_value
      - .offset:         48
        .size:           4
        .value_kind:     by_value
      - .offset:         56
        .size:           8
        .value_kind:     by_value
      - .address_space:  global
        .offset:         64
        .size:           8
        .value_kind:     global_buffer
      - .offset:         72
        .size:           8
        .value_kind:     by_value
      - .offset:         80
        .size:           4
        .value_kind:     by_value
      - .offset:         88
        .size:           8
        .value_kind:     by_value
      - .address_space:  global
        .offset:         96
        .size:           8
        .value_kind:     global_buffer
      - .offset:         104
        .size:           4
        .value_kind:     by_value
      - .offset:         112
        .size:           4
        .value_kind:     hidden_block_count_x
      - .offset:         116
        .size:           4
        .value_kind:     hidden_block_count_y
      - .offset:         120
        .size:           4
        .value_kind:     hidden_block_count_z
      - .offset:         124
        .size:           2
        .value_kind:     hidden_group_size_x
      - .offset:         126
        .size:           2
        .value_kind:     hidden_group_size_y
      - .offset:         128
        .size:           2
        .value_kind:     hidden_group_size_z
      - .offset:         130
        .size:           2
        .value_kind:     hidden_remainder_x
      - .offset:         132
        .size:           2
        .value_kind:     hidden_remainder_y
      - .offset:         134
        .size:           2
        .value_kind:     hidden_remainder_z
      - .offset:         152
        .size:           8
        .value_kind:     hidden_global_offset_x
      - .offset:         160
        .size:           8
        .value_kind:     hidden_global_offset_y
      - .offset:         168
        .size:           8
        .value_kind:     hidden_global_offset_z
      - .offset:         176
        .size:           2
        .value_kind:     hidden_grid_dims
    .group_segment_fixed_size: 512
    .kernarg_segment_align: 8
    .kernarg_segment_size: 368
    .language:       OpenCL C
    .language_version:
      - 2
      - 0
    .max_flat_workgroup_size: 256
    .name:           _ZL23rocblas_gemvt_sn_kernelILb1ELi256ELi4EiPK19rocblas_complex_numIdES1_S1_EviiT4_lPKT3_lilS7_lilPT5_i
    .private_segment_fixed_size: 80
    .sgpr_count:     80
    .sgpr_spill_count: 0
    .symbol:         _ZL23rocblas_gemvt_sn_kernelILb1ELi256ELi4EiPK19rocblas_complex_numIdES1_S1_EviiT4_lPKT3_lilS7_lilPT5_i.kd
    .uniform_work_group_size: 1
    .uses_dynamic_stack: false
    .vgpr_count:     136
    .vgpr_spill_count: 0
    .wavefront_size: 32
    .workgroup_processor_mode: 1
  - .args:
      - .offset:         0
        .size:           4
        .value_kind:     by_value
      - .offset:         4
        .size:           4
        .value_kind:     by_value
      - .offset:         8
        .size:           16
        .value_kind:     by_value
      - .offset:         24
        .size:           8
        .value_kind:     by_value
      - .address_space:  global
        .offset:         32
        .size:           8
        .value_kind:     global_buffer
      - .offset:         40
        .size:           8
        .value_kind:     by_value
      - .offset:         48
        .size:           4
        .value_kind:     by_value
      - .offset:         56
        .size:           8
        .value_kind:     by_value
      - .address_space:  global
        .offset:         64
        .size:           8
        .value_kind:     global_buffer
      - .offset:         72
        .size:           8
        .value_kind:     by_value
      - .offset:         80
        .size:           4
        .value_kind:     by_value
      - .offset:         88
        .size:           8
        .value_kind:     by_value
      - .address_space:  global
        .offset:         96
        .size:           8
        .value_kind:     global_buffer
      - .offset:         104
        .size:           4
        .value_kind:     by_value
      - .offset:         112
        .size:           4
        .value_kind:     hidden_block_count_x
      - .offset:         116
        .size:           4
        .value_kind:     hidden_block_count_y
      - .offset:         120
        .size:           4
        .value_kind:     hidden_block_count_z
      - .offset:         124
        .size:           2
        .value_kind:     hidden_group_size_x
      - .offset:         126
        .size:           2
        .value_kind:     hidden_group_size_y
      - .offset:         128
        .size:           2
        .value_kind:     hidden_group_size_z
      - .offset:         130
        .size:           2
        .value_kind:     hidden_remainder_x
      - .offset:         132
        .size:           2
        .value_kind:     hidden_remainder_y
      - .offset:         134
        .size:           2
        .value_kind:     hidden_remainder_z
      - .offset:         152
        .size:           8
        .value_kind:     hidden_global_offset_x
      - .offset:         160
        .size:           8
        .value_kind:     hidden_global_offset_y
      - .offset:         168
        .size:           8
        .value_kind:     hidden_global_offset_z
      - .offset:         176
        .size:           2
        .value_kind:     hidden_grid_dims
    .group_segment_fixed_size: 512
    .kernarg_segment_align: 8
    .kernarg_segment_size: 368
    .language:       OpenCL C
    .language_version:
      - 2
      - 0
    .max_flat_workgroup_size: 256
    .name:           _ZL23rocblas_gemvt_sn_kernelILb1ELi256ELi4ElPK19rocblas_complex_numIdES1_S1_EviiT4_lPKT3_lilS7_lilPT5_i
    .private_segment_fixed_size: 80
    .sgpr_count:     72
    .sgpr_spill_count: 0
    .symbol:         _ZL23rocblas_gemvt_sn_kernelILb1ELi256ELi4ElPK19rocblas_complex_numIdES1_S1_EviiT4_lPKT3_lilS7_lilPT5_i.kd
    .uniform_work_group_size: 1
    .uses_dynamic_stack: false
    .vgpr_count:     135
    .vgpr_spill_count: 0
    .wavefront_size: 32
    .workgroup_processor_mode: 1
  - .args:
      - .offset:         0
        .size:           4
        .value_kind:     by_value
      - .offset:         4
        .size:           4
        .value_kind:     by_value
      - .address_space:  global
        .offset:         8
        .size:           8
        .value_kind:     global_buffer
      - .offset:         16
        .size:           8
        .value_kind:     by_value
      - .address_space:  global
        .offset:         24
        .size:           8
        .value_kind:     global_buffer
      - .offset:         32
        .size:           8
        .value_kind:     by_value
      - .offset:         40
        .size:           4
        .value_kind:     by_value
      - .offset:         48
        .size:           8
        .value_kind:     by_value
      - .address_space:  global
        .offset:         56
        .size:           8
        .value_kind:     global_buffer
      - .offset:         64
        .size:           8
        .value_kind:     by_value
      - .offset:         72
        .size:           4
        .value_kind:     by_value
      - .offset:         80
        .size:           8
        .value_kind:     by_value
      - .address_space:  global
        .offset:         88
        .size:           8
        .value_kind:     global_buffer
      - .offset:         96
        .size:           8
        .value_kind:     by_value
      - .address_space:  global
        .offset:         104
        .size:           8
        .value_kind:     global_buffer
      - .offset:         112
        .size:           8
        .value_kind:     by_value
      - .offset:         120
        .size:           4
        .value_kind:     by_value
      - .offset:         128
        .size:           8
        .value_kind:     by_value
      - .offset:         136
        .size:           4
        .value_kind:     by_value
    .group_segment_fixed_size: 4096
    .kernarg_segment_align: 8
    .kernarg_segment_size: 140
    .language:       OpenCL C
    .language_version:
      - 2
      - 0
    .max_flat_workgroup_size: 256
    .name:           _ZL20rocblas_gemvt_kernelILb1ELi256EPK19rocblas_complex_numIdES3_KPS1_EviiT2_lPKT1_lilS9_lilS6_lPT3_lili
    .private_segment_fixed_size: 0
    .sgpr_count:     50
    .sgpr_spill_count: 0
    .symbol:         _ZL20rocblas_gemvt_kernelILb1ELi256EPK19rocblas_complex_numIdES3_KPS1_EviiT2_lPKT1_lilS9_lilS6_lPT3_lili.kd
    .uniform_work_group_size: 1
    .uses_dynamic_stack: false
    .vgpr_count:     41
    .vgpr_spill_count: 0
    .wavefront_size: 32
    .workgroup_processor_mode: 1
  - .args:
      - .offset:         0
        .size:           4
        .value_kind:     by_value
      - .offset:         4
        .size:           4
        .value_kind:     by_value
      - .offset:         8
        .size:           16
        .value_kind:     by_value
      - .offset:         24
        .size:           8
        .value_kind:     by_value
      - .address_space:  global
        .offset:         32
        .size:           8
        .value_kind:     global_buffer
      - .offset:         40
        .size:           8
        .value_kind:     by_value
      - .offset:         48
        .size:           4
        .value_kind:     by_value
      - .offset:         56
        .size:           8
        .value_kind:     by_value
      - .address_space:  global
        .offset:         64
        .size:           8
        .value_kind:     global_buffer
      - .offset:         72
        .size:           8
        .value_kind:     by_value
      - .offset:         80
        .size:           4
        .value_kind:     by_value
      - .offset:         88
        .size:           8
        .value_kind:     by_value
      - .offset:         96
        .size:           16
        .value_kind:     by_value
      - .offset:         112
        .size:           8
        .value_kind:     by_value
      - .address_space:  global
        .offset:         120
        .size:           8
        .value_kind:     global_buffer
      - .offset:         128
        .size:           8
        .value_kind:     by_value
      - .offset:         136
        .size:           4
        .value_kind:     by_value
      - .offset:         144
        .size:           8
        .value_kind:     by_value
      - .offset:         152
        .size:           4
        .value_kind:     by_value
    .group_segment_fixed_size: 4096
    .kernarg_segment_align: 8
    .kernarg_segment_size: 156
    .language:       OpenCL C
    .language_version:
      - 2
      - 0
    .max_flat_workgroup_size: 256
    .name:           _ZL20rocblas_gemvt_kernelILb1ELi256EPK19rocblas_complex_numIdES1_KPS1_EviiT2_lPKT1_lilS9_lilS6_lPT3_lili
    .private_segment_fixed_size: 0
    .sgpr_count:     52
    .sgpr_spill_count: 0
    .symbol:         _ZL20rocblas_gemvt_kernelILb1ELi256EPK19rocblas_complex_numIdES1_KPS1_EviiT2_lPKT1_lilS9_lilS6_lPT3_lili.kd
    .uniform_work_group_size: 1
    .uses_dynamic_stack: false
    .vgpr_count:     34
    .vgpr_spill_count: 0
    .wavefront_size: 32
    .workgroup_processor_mode: 1
  - .args:
      - .offset:         0
        .size:           4
        .value_kind:     by_value
      - .offset:         4
        .size:           4
        .value_kind:     by_value
      - .address_space:  global
        .offset:         8
        .size:           8
        .value_kind:     global_buffer
      - .offset:         16
        .size:           8
        .value_kind:     by_value
      - .address_space:  global
        .offset:         24
        .size:           8
        .value_kind:     global_buffer
      - .offset:         32
        .size:           8
        .value_kind:     by_value
      - .offset:         40
        .size:           4
        .value_kind:     by_value
      - .offset:         48
        .size:           8
        .value_kind:     by_value
      - .address_space:  global
        .offset:         56
        .size:           8
        .value_kind:     global_buffer
      - .offset:         64
        .size:           8
        .value_kind:     by_value
      - .offset:         72
        .size:           4
        .value_kind:     by_value
      - .offset:         80
        .size:           8
        .value_kind:     by_value
      - .address_space:  global
        .offset:         88
        .size:           8
        .value_kind:     global_buffer
      - .offset:         96
        .size:           8
        .value_kind:     by_value
      - .address_space:  global
        .offset:         104
        .size:           8
        .value_kind:     global_buffer
      - .offset:         112
        .size:           8
        .value_kind:     by_value
      - .offset:         120
        .size:           4
        .value_kind:     by_value
      - .offset:         128
        .size:           8
        .value_kind:     by_value
      - .offset:         136
        .size:           4
        .value_kind:     by_value
    .group_segment_fixed_size: 512
    .kernarg_segment_align: 8
    .kernarg_segment_size: 140
    .language:       OpenCL C
    .language_version:
      - 2
      - 0
    .max_flat_workgroup_size: 1024
    .name:           _ZL32rocblas_gemvt_warp_reduce_kernelILb1ELi1024EiPK19rocblas_complex_numIdES3_KPS1_EviiT3_lPKT2_lT1_lS9_lSA_lS6_lPT4_lSA_li
    .private_segment_fixed_size: 0
    .sgpr_count:     44
    .sgpr_spill_count: 0
    .symbol:         _ZL32rocblas_gemvt_warp_reduce_kernelILb1ELi1024EiPK19rocblas_complex_numIdES3_KPS1_EviiT3_lPKT2_lT1_lS9_lSA_lS6_lPT4_lSA_li.kd
    .uniform_work_group_size: 1
    .uses_dynamic_stack: false
    .vgpr_count:     44
    .vgpr_spill_count: 0
    .wavefront_size: 32
    .workgroup_processor_mode: 1
  - .args:
      - .offset:         0
        .size:           4
        .value_kind:     by_value
      - .offset:         4
        .size:           4
        .value_kind:     by_value
      - .address_space:  global
        .offset:         8
        .size:           8
        .value_kind:     global_buffer
      - .offset:         16
        .size:           8
        .value_kind:     by_value
      - .address_space:  global
        .offset:         24
        .size:           8
        .value_kind:     global_buffer
      - .offset:         32
        .size:           8
        .value_kind:     by_value
      - .offset:         40
        .size:           8
        .value_kind:     by_value
      - .offset:         48
        .size:           8
        .value_kind:     by_value
      - .address_space:  global
        .offset:         56
        .size:           8
        .value_kind:     global_buffer
      - .offset:         64
        .size:           8
        .value_kind:     by_value
      - .offset:         72
        .size:           8
        .value_kind:     by_value
      - .offset:         80
        .size:           8
        .value_kind:     by_value
      - .address_space:  global
        .offset:         88
        .size:           8
        .value_kind:     global_buffer
      - .offset:         96
        .size:           8
        .value_kind:     by_value
      - .address_space:  global
        .offset:         104
        .size:           8
        .value_kind:     global_buffer
      - .offset:         112
        .size:           8
        .value_kind:     by_value
      - .offset:         120
        .size:           8
        .value_kind:     by_value
      - .offset:         128
        .size:           8
        .value_kind:     by_value
      - .offset:         136
        .size:           4
        .value_kind:     by_value
    .group_segment_fixed_size: 512
    .kernarg_segment_align: 8
    .kernarg_segment_size: 140
    .language:       OpenCL C
    .language_version:
      - 2
      - 0
    .max_flat_workgroup_size: 1024
    .name:           _ZL32rocblas_gemvt_warp_reduce_kernelILb1ELi1024ElPK19rocblas_complex_numIdES3_KPS1_EviiT3_lPKT2_lT1_lS9_lSA_lS6_lPT4_lSA_li
    .private_segment_fixed_size: 0
    .sgpr_count:     44
    .sgpr_spill_count: 0
    .symbol:         _ZL32rocblas_gemvt_warp_reduce_kernelILb1ELi1024ElPK19rocblas_complex_numIdES3_KPS1_EviiT3_lPKT2_lT1_lS9_lSA_lS6_lPT4_lSA_li.kd
    .uniform_work_group_size: 1
    .uses_dynamic_stack: false
    .vgpr_count:     45
    .vgpr_spill_count: 0
    .wavefront_size: 32
    .workgroup_processor_mode: 1
  - .args:
      - .offset:         0
        .size:           4
        .value_kind:     by_value
      - .offset:         4
        .size:           4
        .value_kind:     by_value
      - .offset:         8
        .size:           16
        .value_kind:     by_value
      - .offset:         24
        .size:           8
        .value_kind:     by_value
      - .address_space:  global
        .offset:         32
        .size:           8
        .value_kind:     global_buffer
      - .offset:         40
        .size:           8
        .value_kind:     by_value
      - .offset:         48
        .size:           4
        .value_kind:     by_value
      - .offset:         56
        .size:           8
        .value_kind:     by_value
      - .address_space:  global
        .offset:         64
        .size:           8
        .value_kind:     global_buffer
      - .offset:         72
        .size:           8
        .value_kind:     by_value
      - .offset:         80
        .size:           4
        .value_kind:     by_value
      - .offset:         88
        .size:           8
        .value_kind:     by_value
      - .offset:         96
        .size:           16
        .value_kind:     by_value
      - .offset:         112
        .size:           8
        .value_kind:     by_value
      - .address_space:  global
        .offset:         120
        .size:           8
        .value_kind:     global_buffer
      - .offset:         128
        .size:           8
        .value_kind:     by_value
      - .offset:         136
        .size:           4
        .value_kind:     by_value
      - .offset:         144
        .size:           8
        .value_kind:     by_value
      - .offset:         152
        .size:           4
        .value_kind:     by_value
    .group_segment_fixed_size: 512
    .kernarg_segment_align: 8
    .kernarg_segment_size: 156
    .language:       OpenCL C
    .language_version:
      - 2
      - 0
    .max_flat_workgroup_size: 1024
    .name:           _ZL32rocblas_gemvt_warp_reduce_kernelILb1ELi1024EiPK19rocblas_complex_numIdES1_KPS1_EviiT3_lPKT2_lT1_lS9_lSA_lS6_lPT4_lSA_li
    .private_segment_fixed_size: 0
    .sgpr_count:     46
    .sgpr_spill_count: 0
    .symbol:         _ZL32rocblas_gemvt_warp_reduce_kernelILb1ELi1024EiPK19rocblas_complex_numIdES1_KPS1_EviiT3_lPKT2_lT1_lS9_lSA_lS6_lPT4_lSA_li.kd
    .uniform_work_group_size: 1
    .uses_dynamic_stack: false
    .vgpr_count:     37
    .vgpr_spill_count: 0
    .wavefront_size: 32
    .workgroup_processor_mode: 1
  - .args:
      - .offset:         0
        .size:           4
        .value_kind:     by_value
      - .offset:         4
        .size:           4
        .value_kind:     by_value
      - .offset:         8
        .size:           16
        .value_kind:     by_value
      - .offset:         24
        .size:           8
        .value_kind:     by_value
      - .address_space:  global
        .offset:         32
        .size:           8
        .value_kind:     global_buffer
      - .offset:         40
        .size:           8
        .value_kind:     by_value
      - .offset:         48
        .size:           8
        .value_kind:     by_value
      - .offset:         56
        .size:           8
        .value_kind:     by_value
      - .address_space:  global
        .offset:         64
        .size:           8
        .value_kind:     global_buffer
      - .offset:         72
        .size:           8
        .value_kind:     by_value
      - .offset:         80
        .size:           8
        .value_kind:     by_value
      - .offset:         88
        .size:           8
        .value_kind:     by_value
      - .offset:         96
        .size:           16
        .value_kind:     by_value
      - .offset:         112
        .size:           8
        .value_kind:     by_value
      - .address_space:  global
        .offset:         120
        .size:           8
        .value_kind:     global_buffer
      - .offset:         128
        .size:           8
        .value_kind:     by_value
      - .offset:         136
        .size:           8
        .value_kind:     by_value
      - .offset:         144
        .size:           8
        .value_kind:     by_value
      - .offset:         152
        .size:           4
        .value_kind:     by_value
    .group_segment_fixed_size: 512
    .kernarg_segment_align: 8
    .kernarg_segment_size: 156
    .language:       OpenCL C
    .language_version:
      - 2
      - 0
    .max_flat_workgroup_size: 1024
    .name:           _ZL32rocblas_gemvt_warp_reduce_kernelILb1ELi1024ElPK19rocblas_complex_numIdES1_KPS1_EviiT3_lPKT2_lT1_lS9_lSA_lS6_lPT4_lSA_li
    .private_segment_fixed_size: 0
    .sgpr_count:     48
    .sgpr_spill_count: 0
    .symbol:         _ZL32rocblas_gemvt_warp_reduce_kernelILb1ELi1024ElPK19rocblas_complex_numIdES1_KPS1_EviiT3_lPKT2_lT1_lS9_lSA_lS6_lPT4_lSA_li.kd
    .uniform_work_group_size: 1
    .uses_dynamic_stack: false
    .vgpr_count:     38
    .vgpr_spill_count: 0
    .wavefront_size: 32
    .workgroup_processor_mode: 1
  - .args:
      - .offset:         0
        .size:           4
        .value_kind:     by_value
      - .offset:         4
        .size:           4
        .value_kind:     by_value
      - .address_space:  global
        .offset:         8
        .size:           8
        .value_kind:     global_buffer
      - .offset:         16
        .size:           8
        .value_kind:     by_value
      - .address_space:  global
        .offset:         24
        .size:           8
        .value_kind:     global_buffer
      - .offset:         32
        .size:           8
        .value_kind:     by_value
      - .offset:         40
        .size:           4
        .value_kind:     by_value
      - .offset:         48
        .size:           8
        .value_kind:     by_value
      - .address_space:  global
        .offset:         56
        .size:           8
        .value_kind:     global_buffer
      - .offset:         64
        .size:           8
        .value_kind:     by_value
      - .offset:         72
        .size:           4
        .value_kind:     by_value
      - .offset:         80
        .size:           8
        .value_kind:     by_value
      - .address_space:  global
        .offset:         88
        .size:           8
        .value_kind:     global_buffer
      - .offset:         96
        .size:           8
        .value_kind:     by_value
      - .address_space:  global
        .offset:         104
        .size:           8
        .value_kind:     global_buffer
      - .offset:         112
        .size:           8
        .value_kind:     by_value
      - .offset:         120
        .size:           4
        .value_kind:     by_value
      - .offset:         128
        .size:           8
        .value_kind:     by_value
      - .offset:         136
        .size:           4
        .value_kind:     by_value
    .group_segment_fixed_size: 0
    .kernarg_segment_align: 8
    .kernarg_segment_size: 140
    .language:       OpenCL C
    .language_version:
      - 2
      - 0
    .max_flat_workgroup_size: 768
    .name:           _ZL34rocblas_gemvn_sm_mn_batched_kernelILi32ELi24EDF16_PKfDF16_EviiT2_lPKT1_lilS5_lilS2_lPT3_lili
    .private_segment_fixed_size: 0
    .sgpr_count:     0
    .sgpr_spill_count: 0
    .symbol:         _ZL34rocblas_gemvn_sm_mn_batched_kernelILi32ELi24EDF16_PKfDF16_EviiT2_lPKT1_lilS5_lilS2_lPT3_lili.kd
    .uniform_work_group_size: 1
    .uses_dynamic_stack: false
    .vgpr_count:     0
    .vgpr_spill_count: 0
    .wavefront_size: 32
    .workgroup_processor_mode: 1
  - .args:
      - .offset:         0
        .size:           4
        .value_kind:     by_value
      - .offset:         4
        .size:           4
        .value_kind:     by_value
      - .offset:         8
        .size:           4
        .value_kind:     by_value
      - .offset:         16
        .size:           8
        .value_kind:     by_value
      - .address_space:  global
        .offset:         24
        .size:           8
        .value_kind:     global_buffer
      - .offset:         32
        .size:           8
        .value_kind:     by_value
      - .offset:         40
        .size:           4
        .value_kind:     by_value
      - .offset:         48
        .size:           8
        .value_kind:     by_value
      - .address_space:  global
        .offset:         56
        .size:           8
        .value_kind:     global_buffer
      - .offset:         64
        .size:           8
        .value_kind:     by_value
      - .offset:         72
        .size:           4
        .value_kind:     by_value
      - .offset:         80
        .size:           8
        .value_kind:     by_value
      - .offset:         88
        .size:           4
        .value_kind:     by_value
      - .offset:         96
        .size:           8
        .value_kind:     by_value
      - .address_space:  global
        .offset:         104
        .size:           8
        .value_kind:     global_buffer
      - .offset:         112
        .size:           8
        .value_kind:     by_value
      - .offset:         120
        .size:           4
        .value_kind:     by_value
      - .offset:         128
        .size:           8
        .value_kind:     by_value
      - .offset:         136
        .size:           4
        .value_kind:     by_value
    .group_segment_fixed_size: 0
    .kernarg_segment_align: 8
    .kernarg_segment_size: 140
    .language:       OpenCL C
    .language_version:
      - 2
      - 0
    .max_flat_workgroup_size: 768
    .name:           _ZL34rocblas_gemvn_sm_mn_batched_kernelILi32ELi24EDF16_fDF16_EviiT2_lPKT1_lilS3_lilS0_lPT3_lili
    .private_segment_fixed_size: 0
    .sgpr_count:     0
    .sgpr_spill_count: 0
    .symbol:         _ZL34rocblas_gemvn_sm_mn_batched_kernelILi32ELi24EDF16_fDF16_EviiT2_lPKT1_lilS3_lilS0_lPT3_lili.kd
    .uniform_work_group_size: 1
    .uses_dynamic_stack: false
    .vgpr_count:     0
    .vgpr_spill_count: 0
    .wavefront_size: 32
    .workgroup_processor_mode: 1
  - .args:
      - .offset:         0
        .size:           4
        .value_kind:     by_value
      - .offset:         4
        .size:           4
        .value_kind:     by_value
      - .address_space:  global
        .offset:         8
        .size:           8
        .value_kind:     global_buffer
      - .offset:         16
        .size:           8
        .value_kind:     by_value
      - .address_space:  global
        .offset:         24
        .size:           8
        .value_kind:     global_buffer
      - .offset:         32
        .size:           8
        .value_kind:     by_value
      - .offset:         40
        .size:           4
        .value_kind:     by_value
      - .offset:         48
        .size:           8
        .value_kind:     by_value
      - .address_space:  global
        .offset:         56
        .size:           8
        .value_kind:     global_buffer
      - .offset:         64
        .size:           8
        .value_kind:     by_value
      - .offset:         72
        .size:           4
        .value_kind:     by_value
      - .offset:         80
        .size:           8
        .value_kind:     by_value
      - .address_space:  global
        .offset:         88
        .size:           8
        .value_kind:     global_buffer
      - .offset:         96
        .size:           8
        .value_kind:     by_value
      - .address_space:  global
        .offset:         104
        .size:           8
        .value_kind:     global_buffer
      - .offset:         112
        .size:           8
        .value_kind:     by_value
      - .offset:         120
        .size:           4
        .value_kind:     by_value
      - .offset:         128
        .size:           8
        .value_kind:     by_value
      - .offset:         136
        .size:           4
        .value_kind:     by_value
      - .offset:         144
        .size:           4
        .value_kind:     hidden_block_count_x
      - .offset:         148
        .size:           4
        .value_kind:     hidden_block_count_y
      - .offset:         152
        .size:           4
        .value_kind:     hidden_block_count_z
      - .offset:         156
        .size:           2
        .value_kind:     hidden_group_size_x
      - .offset:         158
        .size:           2
        .value_kind:     hidden_group_size_y
      - .offset:         160
        .size:           2
        .value_kind:     hidden_group_size_z
      - .offset:         162
        .size:           2
        .value_kind:     hidden_remainder_x
      - .offset:         164
        .size:           2
        .value_kind:     hidden_remainder_y
      - .offset:         166
        .size:           2
        .value_kind:     hidden_remainder_z
      - .offset:         184
        .size:           8
        .value_kind:     hidden_global_offset_x
      - .offset:         192
        .size:           8
        .value_kind:     hidden_global_offset_y
      - .offset:         200
        .size:           8
        .value_kind:     hidden_global_offset_z
      - .offset:         208
        .size:           2
        .value_kind:     hidden_grid_dims
    .group_segment_fixed_size: 4096
    .kernarg_segment_align: 8
    .kernarg_segment_size: 400
    .language:       OpenCL C
    .language_version:
      - 2
      - 0
    .max_flat_workgroup_size: 256
    .name:           _ZL20rocblas_gemvn_kernelILi64ELi4EiDF16_PKfDF16_EviiT3_lPKT2_lT1_lS5_lS6_lS2_lPT4_lS6_li
    .private_segment_fixed_size: 0
    .sgpr_count:     57
    .sgpr_spill_count: 0
    .symbol:         _ZL20rocblas_gemvn_kernelILi64ELi4EiDF16_PKfDF16_EviiT3_lPKT2_lT1_lS5_lS6_lS2_lPT4_lS6_li.kd
    .uniform_work_group_size: 1
    .uses_dynamic_stack: false
    .vgpr_count:     57
    .vgpr_spill_count: 0
    .wavefront_size: 32
    .workgroup_processor_mode: 1
  - .args:
      - .offset:         0
        .size:           4
        .value_kind:     by_value
      - .offset:         4
        .size:           4
        .value_kind:     by_value
      - .address_space:  global
        .offset:         8
        .size:           8
        .value_kind:     global_buffer
      - .offset:         16
        .size:           8
        .value_kind:     by_value
      - .address_space:  global
        .offset:         24
        .size:           8
        .value_kind:     global_buffer
      - .offset:         32
        .size:           8
        .value_kind:     by_value
      - .offset:         40
        .size:           8
        .value_kind:     by_value
      - .offset:         48
        .size:           8
        .value_kind:     by_value
      - .address_space:  global
        .offset:         56
        .size:           8
        .value_kind:     global_buffer
      - .offset:         64
        .size:           8
        .value_kind:     by_value
      - .offset:         72
        .size:           8
        .value_kind:     by_value
      - .offset:         80
        .size:           8
        .value_kind:     by_value
      - .address_space:  global
        .offset:         88
        .size:           8
        .value_kind:     global_buffer
      - .offset:         96
        .size:           8
        .value_kind:     by_value
      - .address_space:  global
        .offset:         104
        .size:           8
        .value_kind:     global_buffer
      - .offset:         112
        .size:           8
        .value_kind:     by_value
      - .offset:         120
        .size:           8
        .value_kind:     by_value
      - .offset:         128
        .size:           8
        .value_kind:     by_value
      - .offset:         136
        .size:           4
        .value_kind:     by_value
      - .offset:         144
        .size:           4
        .value_kind:     hidden_block_count_x
      - .offset:         148
        .size:           4
        .value_kind:     hidden_block_count_y
      - .offset:         152
        .size:           4
        .value_kind:     hidden_block_count_z
      - .offset:         156
        .size:           2
        .value_kind:     hidden_group_size_x
      - .offset:         158
        .size:           2
        .value_kind:     hidden_group_size_y
      - .offset:         160
        .size:           2
        .value_kind:     hidden_group_size_z
      - .offset:         162
        .size:           2
        .value_kind:     hidden_remainder_x
      - .offset:         164
        .size:           2
        .value_kind:     hidden_remainder_y
      - .offset:         166
        .size:           2
        .value_kind:     hidden_remainder_z
      - .offset:         184
        .size:           8
        .value_kind:     hidden_global_offset_x
      - .offset:         192
        .size:           8
        .value_kind:     hidden_global_offset_y
      - .offset:         200
        .size:           8
        .value_kind:     hidden_global_offset_z
      - .offset:         208
        .size:           2
        .value_kind:     hidden_grid_dims
    .group_segment_fixed_size: 4096
    .kernarg_segment_align: 8
    .kernarg_segment_size: 400
    .language:       OpenCL C
    .language_version:
      - 2
      - 0
    .max_flat_workgroup_size: 256
    .name:           _ZL20rocblas_gemvn_kernelILi64ELi4ElDF16_PKfDF16_EviiT3_lPKT2_lT1_lS5_lS6_lS2_lPT4_lS6_li
    .private_segment_fixed_size: 0
    .sgpr_count:     62
    .sgpr_spill_count: 0
    .symbol:         _ZL20rocblas_gemvn_kernelILi64ELi4ElDF16_PKfDF16_EviiT3_lPKT2_lT1_lS5_lS6_lS2_lPT4_lS6_li.kd
    .uniform_work_group_size: 1
    .uses_dynamic_stack: false
    .vgpr_count:     78
    .vgpr_spill_count: 0
    .wavefront_size: 32
    .workgroup_processor_mode: 1
  - .args:
      - .offset:         0
        .size:           4
        .value_kind:     by_value
      - .offset:         4
        .size:           4
        .value_kind:     by_value
      - .offset:         8
        .size:           4
        .value_kind:     by_value
      - .offset:         16
        .size:           8
        .value_kind:     by_value
      - .address_space:  global
        .offset:         24
        .size:           8
        .value_kind:     global_buffer
      - .offset:         32
        .size:           8
        .value_kind:     by_value
      - .offset:         40
        .size:           4
        .value_kind:     by_value
      - .offset:         48
        .size:           8
        .value_kind:     by_value
      - .address_space:  global
        .offset:         56
        .size:           8
        .value_kind:     global_buffer
      - .offset:         64
        .size:           8
        .value_kind:     by_value
      - .offset:         72
        .size:           4
        .value_kind:     by_value
      - .offset:         80
        .size:           8
        .value_kind:     by_value
      - .offset:         88
        .size:           4
        .value_kind:     by_value
      - .offset:         96
        .size:           8
        .value_kind:     by_value
      - .address_space:  global
        .offset:         104
        .size:           8
        .value_kind:     global_buffer
      - .offset:         112
        .size:           8
        .value_kind:     by_value
      - .offset:         120
        .size:           4
        .value_kind:     by_value
      - .offset:         128
        .size:           8
        .value_kind:     by_value
      - .offset:         136
        .size:           4
        .value_kind:     by_value
      - .offset:         144
        .size:           4
        .value_kind:     hidden_block_count_x
      - .offset:         148
        .size:           4
        .value_kind:     hidden_block_count_y
      - .offset:         152
        .size:           4
        .value_kind:     hidden_block_count_z
      - .offset:         156
        .size:           2
        .value_kind:     hidden_group_size_x
      - .offset:         158
        .size:           2
        .value_kind:     hidden_group_size_y
      - .offset:         160
        .size:           2
        .value_kind:     hidden_group_size_z
      - .offset:         162
        .size:           2
        .value_kind:     hidden_remainder_x
      - .offset:         164
        .size:           2
        .value_kind:     hidden_remainder_y
      - .offset:         166
        .size:           2
        .value_kind:     hidden_remainder_z
      - .offset:         184
        .size:           8
        .value_kind:     hidden_global_offset_x
      - .offset:         192
        .size:           8
        .value_kind:     hidden_global_offset_y
      - .offset:         200
        .size:           8
        .value_kind:     hidden_global_offset_z
      - .offset:         208
        .size:           2
        .value_kind:     hidden_grid_dims
    .group_segment_fixed_size: 4096
    .kernarg_segment_align: 8
    .kernarg_segment_size: 400
    .language:       OpenCL C
    .language_version:
      - 2
      - 0
    .max_flat_workgroup_size: 256
    .name:           _ZL20rocblas_gemvn_kernelILi64ELi4EiDF16_fDF16_EviiT3_lPKT2_lT1_lS3_lS4_lS0_lPT4_lS4_li
    .private_segment_fixed_size: 0
    .sgpr_count:     53
    .sgpr_spill_count: 0
    .symbol:         _ZL20rocblas_gemvn_kernelILi64ELi4EiDF16_fDF16_EviiT3_lPKT2_lT1_lS3_lS4_lS0_lPT4_lS4_li.kd
    .uniform_work_group_size: 1
    .uses_dynamic_stack: false
    .vgpr_count:     55
    .vgpr_spill_count: 0
    .wavefront_size: 32
    .workgroup_processor_mode: 1
  - .args:
      - .offset:         0
        .size:           4
        .value_kind:     by_value
      - .offset:         4
        .size:           4
        .value_kind:     by_value
      - .offset:         8
        .size:           4
        .value_kind:     by_value
      - .offset:         16
        .size:           8
        .value_kind:     by_value
      - .address_space:  global
        .offset:         24
        .size:           8
        .value_kind:     global_buffer
      - .offset:         32
        .size:           8
        .value_kind:     by_value
      - .offset:         40
        .size:           8
        .value_kind:     by_value
      - .offset:         48
        .size:           8
        .value_kind:     by_value
      - .address_space:  global
        .offset:         56
        .size:           8
        .value_kind:     global_buffer
      - .offset:         64
        .size:           8
        .value_kind:     by_value
      - .offset:         72
        .size:           8
        .value_kind:     by_value
      - .offset:         80
        .size:           8
        .value_kind:     by_value
      - .offset:         88
        .size:           4
        .value_kind:     by_value
      - .offset:         96
        .size:           8
        .value_kind:     by_value
      - .address_space:  global
        .offset:         104
        .size:           8
        .value_kind:     global_buffer
      - .offset:         112
        .size:           8
        .value_kind:     by_value
      - .offset:         120
        .size:           8
        .value_kind:     by_value
      - .offset:         128
        .size:           8
        .value_kind:     by_value
      - .offset:         136
        .size:           4
        .value_kind:     by_value
      - .offset:         144
        .size:           4
        .value_kind:     hidden_block_count_x
      - .offset:         148
        .size:           4
        .value_kind:     hidden_block_count_y
      - .offset:         152
        .size:           4
        .value_kind:     hidden_block_count_z
      - .offset:         156
        .size:           2
        .value_kind:     hidden_group_size_x
      - .offset:         158
        .size:           2
        .value_kind:     hidden_group_size_y
      - .offset:         160
        .size:           2
        .value_kind:     hidden_group_size_z
      - .offset:         162
        .size:           2
        .value_kind:     hidden_remainder_x
      - .offset:         164
        .size:           2
        .value_kind:     hidden_remainder_y
      - .offset:         166
        .size:           2
        .value_kind:     hidden_remainder_z
      - .offset:         184
        .size:           8
        .value_kind:     hidden_global_offset_x
      - .offset:         192
        .size:           8
        .value_kind:     hidden_global_offset_y
      - .offset:         200
        .size:           8
        .value_kind:     hidden_global_offset_z
      - .offset:         208
        .size:           2
        .value_kind:     hidden_grid_dims
    .group_segment_fixed_size: 4096
    .kernarg_segment_align: 8
    .kernarg_segment_size: 400
    .language:       OpenCL C
    .language_version:
      - 2
      - 0
    .max_flat_workgroup_size: 256
    .name:           _ZL20rocblas_gemvn_kernelILi64ELi4ElDF16_fDF16_EviiT3_lPKT2_lT1_lS3_lS4_lS0_lPT4_lS4_li
    .private_segment_fixed_size: 0
    .sgpr_count:     58
    .sgpr_spill_count: 0
    .symbol:         _ZL20rocblas_gemvn_kernelILi64ELi4ElDF16_fDF16_EviiT3_lPKT2_lT1_lS3_lS4_lS0_lPT4_lS4_li.kd
    .uniform_work_group_size: 1
    .uses_dynamic_stack: false
    .vgpr_count:     76
    .vgpr_spill_count: 0
    .wavefront_size: 32
    .workgroup_processor_mode: 1
  - .args:
      - .offset:         0
        .size:           4
        .value_kind:     by_value
      - .offset:         4
        .size:           4
        .value_kind:     by_value
      - .address_space:  global
        .offset:         8
        .size:           8
        .value_kind:     global_buffer
      - .offset:         16
        .size:           8
        .value_kind:     by_value
      - .address_space:  global
        .offset:         24
        .size:           8
        .value_kind:     global_buffer
      - .offset:         32
        .size:           8
        .value_kind:     by_value
      - .offset:         40
        .size:           4
        .value_kind:     by_value
      - .offset:         48
        .size:           8
        .value_kind:     by_value
      - .address_space:  global
        .offset:         56
        .size:           8
        .value_kind:     global_buffer
      - .offset:         64
        .size:           8
        .value_kind:     by_value
      - .offset:         72
        .size:           4
        .value_kind:     by_value
      - .offset:         80
        .size:           8
        .value_kind:     by_value
      - .address_space:  global
        .offset:         88
        .size:           8
        .value_kind:     global_buffer
      - .offset:         96
        .size:           8
        .value_kind:     by_value
      - .address_space:  global
        .offset:         104
        .size:           8
        .value_kind:     global_buffer
      - .offset:         112
        .size:           8
        .value_kind:     by_value
      - .offset:         120
        .size:           4
        .value_kind:     by_value
      - .offset:         128
        .size:           8
        .value_kind:     by_value
      - .offset:         136
        .size:           4
        .value_kind:     by_value
      - .offset:         144
        .size:           4
        .value_kind:     hidden_block_count_x
      - .offset:         148
        .size:           4
        .value_kind:     hidden_block_count_y
      - .offset:         152
        .size:           4
        .value_kind:     hidden_block_count_z
      - .offset:         156
        .size:           2
        .value_kind:     hidden_group_size_x
      - .offset:         158
        .size:           2
        .value_kind:     hidden_group_size_y
      - .offset:         160
        .size:           2
        .value_kind:     hidden_group_size_z
      - .offset:         162
        .size:           2
        .value_kind:     hidden_remainder_x
      - .offset:         164
        .size:           2
        .value_kind:     hidden_remainder_y
      - .offset:         166
        .size:           2
        .value_kind:     hidden_remainder_z
      - .offset:         184
        .size:           8
        .value_kind:     hidden_global_offset_x
      - .offset:         192
        .size:           8
        .value_kind:     hidden_global_offset_y
      - .offset:         200
        .size:           8
        .value_kind:     hidden_global_offset_z
      - .offset:         208
        .size:           2
        .value_kind:     hidden_grid_dims
    .group_segment_fixed_size: 8192
    .kernarg_segment_align: 8
    .kernarg_segment_size: 400
    .language:       OpenCL C
    .language_version:
      - 2
      - 0
    .max_flat_workgroup_size: 512
    .name:           _ZL20rocblas_gemvn_kernelILi32ELi16EiDF16_PKfDF16_EviiT3_lPKT2_lT1_lS5_lS6_lS2_lPT4_lS6_li
    .private_segment_fixed_size: 0
    .sgpr_count:     57
    .sgpr_spill_count: 0
    .symbol:         _ZL20rocblas_gemvn_kernelILi32ELi16EiDF16_PKfDF16_EviiT3_lPKT2_lT1_lS5_lS6_lS2_lPT4_lS6_li.kd
    .uniform_work_group_size: 1
    .uses_dynamic_stack: false
    .vgpr_count:     59
    .vgpr_spill_count: 0
    .wavefront_size: 32
    .workgroup_processor_mode: 1
  - .args:
      - .offset:         0
        .size:           4
        .value_kind:     by_value
      - .offset:         4
        .size:           4
        .value_kind:     by_value
      - .address_space:  global
        .offset:         8
        .size:           8
        .value_kind:     global_buffer
      - .offset:         16
        .size:           8
        .value_kind:     by_value
      - .address_space:  global
        .offset:         24
        .size:           8
        .value_kind:     global_buffer
      - .offset:         32
        .size:           8
        .value_kind:     by_value
      - .offset:         40
        .size:           8
        .value_kind:     by_value
      - .offset:         48
        .size:           8
        .value_kind:     by_value
      - .address_space:  global
        .offset:         56
        .size:           8
        .value_kind:     global_buffer
      - .offset:         64
        .size:           8
        .value_kind:     by_value
      - .offset:         72
        .size:           8
        .value_kind:     by_value
      - .offset:         80
        .size:           8
        .value_kind:     by_value
      - .address_space:  global
        .offset:         88
        .size:           8
        .value_kind:     global_buffer
      - .offset:         96
        .size:           8
        .value_kind:     by_value
      - .address_space:  global
        .offset:         104
        .size:           8
        .value_kind:     global_buffer
      - .offset:         112
        .size:           8
        .value_kind:     by_value
      - .offset:         120
        .size:           8
        .value_kind:     by_value
      - .offset:         128
        .size:           8
        .value_kind:     by_value
      - .offset:         136
        .size:           4
        .value_kind:     by_value
      - .offset:         144
        .size:           4
        .value_kind:     hidden_block_count_x
      - .offset:         148
        .size:           4
        .value_kind:     hidden_block_count_y
      - .offset:         152
        .size:           4
        .value_kind:     hidden_block_count_z
      - .offset:         156
        .size:           2
        .value_kind:     hidden_group_size_x
      - .offset:         158
        .size:           2
        .value_kind:     hidden_group_size_y
      - .offset:         160
        .size:           2
        .value_kind:     hidden_group_size_z
      - .offset:         162
        .size:           2
        .value_kind:     hidden_remainder_x
      - .offset:         164
        .size:           2
        .value_kind:     hidden_remainder_y
      - .offset:         166
        .size:           2
        .value_kind:     hidden_remainder_z
      - .offset:         184
        .size:           8
        .value_kind:     hidden_global_offset_x
      - .offset:         192
        .size:           8
        .value_kind:     hidden_global_offset_y
      - .offset:         200
        .size:           8
        .value_kind:     hidden_global_offset_z
      - .offset:         208
        .size:           2
        .value_kind:     hidden_grid_dims
    .group_segment_fixed_size: 8192
    .kernarg_segment_align: 8
    .kernarg_segment_size: 400
    .language:       OpenCL C
    .language_version:
      - 2
      - 0
    .max_flat_workgroup_size: 512
    .name:           _ZL20rocblas_gemvn_kernelILi32ELi16ElDF16_PKfDF16_EviiT3_lPKT2_lT1_lS5_lS6_lS2_lPT4_lS6_li
    .private_segment_fixed_size: 0
    .sgpr_count:     62
    .sgpr_spill_count: 0
    .symbol:         _ZL20rocblas_gemvn_kernelILi32ELi16ElDF16_PKfDF16_EviiT3_lPKT2_lT1_lS5_lS6_lS2_lPT4_lS6_li.kd
    .uniform_work_group_size: 1
    .uses_dynamic_stack: false
    .vgpr_count:     78
    .vgpr_spill_count: 0
    .wavefront_size: 32
    .workgroup_processor_mode: 1
  - .args:
      - .offset:         0
        .size:           4
        .value_kind:     by_value
      - .offset:         4
        .size:           4
        .value_kind:     by_value
      - .offset:         8
        .size:           4
        .value_kind:     by_value
      - .offset:         16
        .size:           8
        .value_kind:     by_value
      - .address_space:  global
        .offset:         24
        .size:           8
        .value_kind:     global_buffer
      - .offset:         32
        .size:           8
        .value_kind:     by_value
      - .offset:         40
        .size:           4
        .value_kind:     by_value
      - .offset:         48
        .size:           8
        .value_kind:     by_value
      - .address_space:  global
        .offset:         56
        .size:           8
        .value_kind:     global_buffer
      - .offset:         64
        .size:           8
        .value_kind:     by_value
      - .offset:         72
        .size:           4
        .value_kind:     by_value
      - .offset:         80
        .size:           8
        .value_kind:     by_value
      - .offset:         88
        .size:           4
        .value_kind:     by_value
      - .offset:         96
        .size:           8
        .value_kind:     by_value
      - .address_space:  global
        .offset:         104
        .size:           8
        .value_kind:     global_buffer
      - .offset:         112
        .size:           8
        .value_kind:     by_value
      - .offset:         120
        .size:           4
        .value_kind:     by_value
      - .offset:         128
        .size:           8
        .value_kind:     by_value
      - .offset:         136
        .size:           4
        .value_kind:     by_value
      - .offset:         144
        .size:           4
        .value_kind:     hidden_block_count_x
      - .offset:         148
        .size:           4
        .value_kind:     hidden_block_count_y
      - .offset:         152
        .size:           4
        .value_kind:     hidden_block_count_z
      - .offset:         156
        .size:           2
        .value_kind:     hidden_group_size_x
      - .offset:         158
        .size:           2
        .value_kind:     hidden_group_size_y
      - .offset:         160
        .size:           2
        .value_kind:     hidden_group_size_z
      - .offset:         162
        .size:           2
        .value_kind:     hidden_remainder_x
      - .offset:         164
        .size:           2
        .value_kind:     hidden_remainder_y
      - .offset:         166
        .size:           2
        .value_kind:     hidden_remainder_z
      - .offset:         184
        .size:           8
        .value_kind:     hidden_global_offset_x
      - .offset:         192
        .size:           8
        .value_kind:     hidden_global_offset_y
      - .offset:         200
        .size:           8
        .value_kind:     hidden_global_offset_z
      - .offset:         208
        .size:           2
        .value_kind:     hidden_grid_dims
    .group_segment_fixed_size: 8192
    .kernarg_segment_align: 8
    .kernarg_segment_size: 400
    .language:       OpenCL C
    .language_version:
      - 2
      - 0
    .max_flat_workgroup_size: 512
    .name:           _ZL20rocblas_gemvn_kernelILi32ELi16EiDF16_fDF16_EviiT3_lPKT2_lT1_lS3_lS4_lS0_lPT4_lS4_li
    .private_segment_fixed_size: 0
    .sgpr_count:     53
    .sgpr_spill_count: 0
    .symbol:         _ZL20rocblas_gemvn_kernelILi32ELi16EiDF16_fDF16_EviiT3_lPKT2_lT1_lS3_lS4_lS0_lPT4_lS4_li.kd
    .uniform_work_group_size: 1
    .uses_dynamic_stack: false
    .vgpr_count:     57
    .vgpr_spill_count: 0
    .wavefront_size: 32
    .workgroup_processor_mode: 1
  - .args:
      - .offset:         0
        .size:           4
        .value_kind:     by_value
      - .offset:         4
        .size:           4
        .value_kind:     by_value
      - .offset:         8
        .size:           4
        .value_kind:     by_value
      - .offset:         16
        .size:           8
        .value_kind:     by_value
      - .address_space:  global
        .offset:         24
        .size:           8
        .value_kind:     global_buffer
      - .offset:         32
        .size:           8
        .value_kind:     by_value
      - .offset:         40
        .size:           8
        .value_kind:     by_value
      - .offset:         48
        .size:           8
        .value_kind:     by_value
      - .address_space:  global
        .offset:         56
        .size:           8
        .value_kind:     global_buffer
      - .offset:         64
        .size:           8
        .value_kind:     by_value
      - .offset:         72
        .size:           8
        .value_kind:     by_value
      - .offset:         80
        .size:           8
        .value_kind:     by_value
      - .offset:         88
        .size:           4
        .value_kind:     by_value
      - .offset:         96
        .size:           8
        .value_kind:     by_value
      - .address_space:  global
        .offset:         104
        .size:           8
        .value_kind:     global_buffer
      - .offset:         112
        .size:           8
        .value_kind:     by_value
      - .offset:         120
        .size:           8
        .value_kind:     by_value
      - .offset:         128
        .size:           8
        .value_kind:     by_value
      - .offset:         136
        .size:           4
        .value_kind:     by_value
      - .offset:         144
        .size:           4
        .value_kind:     hidden_block_count_x
      - .offset:         148
        .size:           4
        .value_kind:     hidden_block_count_y
      - .offset:         152
        .size:           4
        .value_kind:     hidden_block_count_z
      - .offset:         156
        .size:           2
        .value_kind:     hidden_group_size_x
      - .offset:         158
        .size:           2
        .value_kind:     hidden_group_size_y
      - .offset:         160
        .size:           2
        .value_kind:     hidden_group_size_z
      - .offset:         162
        .size:           2
        .value_kind:     hidden_remainder_x
      - .offset:         164
        .size:           2
        .value_kind:     hidden_remainder_y
      - .offset:         166
        .size:           2
        .value_kind:     hidden_remainder_z
      - .offset:         184
        .size:           8
        .value_kind:     hidden_global_offset_x
      - .offset:         192
        .size:           8
        .value_kind:     hidden_global_offset_y
      - .offset:         200
        .size:           8
        .value_kind:     hidden_global_offset_z
      - .offset:         208
        .size:           2
        .value_kind:     hidden_grid_dims
    .group_segment_fixed_size: 8192
    .kernarg_segment_align: 8
    .kernarg_segment_size: 400
    .language:       OpenCL C
    .language_version:
      - 2
      - 0
    .max_flat_workgroup_size: 512
    .name:           _ZL20rocblas_gemvn_kernelILi32ELi16ElDF16_fDF16_EviiT3_lPKT2_lT1_lS3_lS4_lS0_lPT4_lS4_li
    .private_segment_fixed_size: 0
    .sgpr_count:     58
    .sgpr_spill_count: 0
    .symbol:         _ZL20rocblas_gemvn_kernelILi32ELi16ElDF16_fDF16_EviiT3_lPKT2_lT1_lS3_lS4_lS0_lPT4_lS4_li.kd
    .uniform_work_group_size: 1
    .uses_dynamic_stack: false
    .vgpr_count:     76
    .vgpr_spill_count: 0
    .wavefront_size: 32
    .workgroup_processor_mode: 1
  - .args:
      - .offset:         0
        .size:           4
        .value_kind:     by_value
      - .offset:         4
        .size:           4
        .value_kind:     by_value
      - .address_space:  global
        .offset:         8
        .size:           8
        .value_kind:     global_buffer
      - .offset:         16
        .size:           8
        .value_kind:     by_value
      - .address_space:  global
        .offset:         24
        .size:           8
        .value_kind:     global_buffer
      - .offset:         32
        .size:           8
        .value_kind:     by_value
      - .offset:         40
        .size:           4
        .value_kind:     by_value
      - .offset:         48
        .size:           8
        .value_kind:     by_value
      - .address_space:  global
        .offset:         56
        .size:           8
        .value_kind:     global_buffer
      - .offset:         64
        .size:           8
        .value_kind:     by_value
      - .offset:         72
        .size:           4
        .value_kind:     by_value
      - .offset:         80
        .size:           8
        .value_kind:     by_value
      - .address_space:  global
        .offset:         88
        .size:           8
        .value_kind:     global_buffer
      - .offset:         96
        .size:           8
        .value_kind:     by_value
      - .address_space:  global
        .offset:         104
        .size:           8
        .value_kind:     global_buffer
      - .offset:         112
        .size:           8
        .value_kind:     by_value
      - .offset:         120
        .size:           4
        .value_kind:     by_value
      - .offset:         128
        .size:           8
        .value_kind:     by_value
      - .offset:         136
        .size:           4
        .value_kind:     by_value
      - .offset:         144
        .size:           4
        .value_kind:     hidden_block_count_x
      - .offset:         148
        .size:           4
        .value_kind:     hidden_block_count_y
      - .offset:         152
        .size:           4
        .value_kind:     hidden_block_count_z
      - .offset:         156
        .size:           2
        .value_kind:     hidden_group_size_x
      - .offset:         158
        .size:           2
        .value_kind:     hidden_group_size_y
      - .offset:         160
        .size:           2
        .value_kind:     hidden_group_size_z
      - .offset:         162
        .size:           2
        .value_kind:     hidden_remainder_x
      - .offset:         164
        .size:           2
        .value_kind:     hidden_remainder_y
      - .offset:         166
        .size:           2
        .value_kind:     hidden_remainder_z
      - .offset:         184
        .size:           8
        .value_kind:     hidden_global_offset_x
      - .offset:         192
        .size:           8
        .value_kind:     hidden_global_offset_y
      - .offset:         200
        .size:           8
        .value_kind:     hidden_global_offset_z
      - .offset:         208
        .size:           2
        .value_kind:     hidden_grid_dims
    .group_segment_fixed_size: 16384
    .kernarg_segment_align: 8
    .kernarg_segment_size: 400
    .language:       OpenCL C
    .language_version:
      - 2
      - 0
    .max_flat_workgroup_size: 1024
    .name:           _ZL20rocblas_gemvn_kernelILi64ELi16EiDF16_PKfDF16_EviiT3_lPKT2_lT1_lS5_lS6_lS2_lPT4_lS6_li
    .private_segment_fixed_size: 0
    .sgpr_count:     57
    .sgpr_spill_count: 0
    .symbol:         _ZL20rocblas_gemvn_kernelILi64ELi16EiDF16_PKfDF16_EviiT3_lPKT2_lT1_lS5_lS6_lS2_lPT4_lS6_li.kd
    .uniform_work_group_size: 1
    .uses_dynamic_stack: false
    .vgpr_count:     57
    .vgpr_spill_count: 0
    .wavefront_size: 32
    .workgroup_processor_mode: 1
  - .args:
      - .offset:         0
        .size:           4
        .value_kind:     by_value
      - .offset:         4
        .size:           4
        .value_kind:     by_value
      - .address_space:  global
        .offset:         8
        .size:           8
        .value_kind:     global_buffer
      - .offset:         16
        .size:           8
        .value_kind:     by_value
      - .address_space:  global
        .offset:         24
        .size:           8
        .value_kind:     global_buffer
      - .offset:         32
        .size:           8
        .value_kind:     by_value
      - .offset:         40
        .size:           8
        .value_kind:     by_value
      - .offset:         48
        .size:           8
        .value_kind:     by_value
      - .address_space:  global
        .offset:         56
        .size:           8
        .value_kind:     global_buffer
      - .offset:         64
        .size:           8
        .value_kind:     by_value
      - .offset:         72
        .size:           8
        .value_kind:     by_value
      - .offset:         80
        .size:           8
        .value_kind:     by_value
      - .address_space:  global
        .offset:         88
        .size:           8
        .value_kind:     global_buffer
      - .offset:         96
        .size:           8
        .value_kind:     by_value
      - .address_space:  global
        .offset:         104
        .size:           8
        .value_kind:     global_buffer
      - .offset:         112
        .size:           8
        .value_kind:     by_value
      - .offset:         120
        .size:           8
        .value_kind:     by_value
      - .offset:         128
        .size:           8
        .value_kind:     by_value
      - .offset:         136
        .size:           4
        .value_kind:     by_value
      - .offset:         144
        .size:           4
        .value_kind:     hidden_block_count_x
      - .offset:         148
        .size:           4
        .value_kind:     hidden_block_count_y
      - .offset:         152
        .size:           4
        .value_kind:     hidden_block_count_z
      - .offset:         156
        .size:           2
        .value_kind:     hidden_group_size_x
      - .offset:         158
        .size:           2
        .value_kind:     hidden_group_size_y
      - .offset:         160
        .size:           2
        .value_kind:     hidden_group_size_z
      - .offset:         162
        .size:           2
        .value_kind:     hidden_remainder_x
      - .offset:         164
        .size:           2
        .value_kind:     hidden_remainder_y
      - .offset:         166
        .size:           2
        .value_kind:     hidden_remainder_z
      - .offset:         184
        .size:           8
        .value_kind:     hidden_global_offset_x
      - .offset:         192
        .size:           8
        .value_kind:     hidden_global_offset_y
      - .offset:         200
        .size:           8
        .value_kind:     hidden_global_offset_z
      - .offset:         208
        .size:           2
        .value_kind:     hidden_grid_dims
    .group_segment_fixed_size: 16384
    .kernarg_segment_align: 8
    .kernarg_segment_size: 400
    .language:       OpenCL C
    .language_version:
      - 2
      - 0
    .max_flat_workgroup_size: 1024
    .name:           _ZL20rocblas_gemvn_kernelILi64ELi16ElDF16_PKfDF16_EviiT3_lPKT2_lT1_lS5_lS6_lS2_lPT4_lS6_li
    .private_segment_fixed_size: 0
    .sgpr_count:     62
    .sgpr_spill_count: 0
    .symbol:         _ZL20rocblas_gemvn_kernelILi64ELi16ElDF16_PKfDF16_EviiT3_lPKT2_lT1_lS5_lS6_lS2_lPT4_lS6_li.kd
    .uniform_work_group_size: 1
    .uses_dynamic_stack: false
    .vgpr_count:     78
    .vgpr_spill_count: 0
    .wavefront_size: 32
    .workgroup_processor_mode: 1
  - .args:
      - .offset:         0
        .size:           4
        .value_kind:     by_value
      - .offset:         4
        .size:           4
        .value_kind:     by_value
      - .offset:         8
        .size:           4
        .value_kind:     by_value
      - .offset:         16
        .size:           8
        .value_kind:     by_value
      - .address_space:  global
        .offset:         24
        .size:           8
        .value_kind:     global_buffer
      - .offset:         32
        .size:           8
        .value_kind:     by_value
      - .offset:         40
        .size:           4
        .value_kind:     by_value
      - .offset:         48
        .size:           8
        .value_kind:     by_value
      - .address_space:  global
        .offset:         56
        .size:           8
        .value_kind:     global_buffer
      - .offset:         64
        .size:           8
        .value_kind:     by_value
      - .offset:         72
        .size:           4
        .value_kind:     by_value
      - .offset:         80
        .size:           8
        .value_kind:     by_value
      - .offset:         88
        .size:           4
        .value_kind:     by_value
      - .offset:         96
        .size:           8
        .value_kind:     by_value
      - .address_space:  global
        .offset:         104
        .size:           8
        .value_kind:     global_buffer
      - .offset:         112
        .size:           8
        .value_kind:     by_value
      - .offset:         120
        .size:           4
        .value_kind:     by_value
      - .offset:         128
        .size:           8
        .value_kind:     by_value
      - .offset:         136
        .size:           4
        .value_kind:     by_value
      - .offset:         144
        .size:           4
        .value_kind:     hidden_block_count_x
      - .offset:         148
        .size:           4
        .value_kind:     hidden_block_count_y
      - .offset:         152
        .size:           4
        .value_kind:     hidden_block_count_z
      - .offset:         156
        .size:           2
        .value_kind:     hidden_group_size_x
      - .offset:         158
        .size:           2
        .value_kind:     hidden_group_size_y
      - .offset:         160
        .size:           2
        .value_kind:     hidden_group_size_z
      - .offset:         162
        .size:           2
        .value_kind:     hidden_remainder_x
      - .offset:         164
        .size:           2
        .value_kind:     hidden_remainder_y
      - .offset:         166
        .size:           2
        .value_kind:     hidden_remainder_z
      - .offset:         184
        .size:           8
        .value_kind:     hidden_global_offset_x
      - .offset:         192
        .size:           8
        .value_kind:     hidden_global_offset_y
      - .offset:         200
        .size:           8
        .value_kind:     hidden_global_offset_z
      - .offset:         208
        .size:           2
        .value_kind:     hidden_grid_dims
    .group_segment_fixed_size: 16384
    .kernarg_segment_align: 8
    .kernarg_segment_size: 400
    .language:       OpenCL C
    .language_version:
      - 2
      - 0
    .max_flat_workgroup_size: 1024
    .name:           _ZL20rocblas_gemvn_kernelILi64ELi16EiDF16_fDF16_EviiT3_lPKT2_lT1_lS3_lS4_lS0_lPT4_lS4_li
    .private_segment_fixed_size: 0
    .sgpr_count:     53
    .sgpr_spill_count: 0
    .symbol:         _ZL20rocblas_gemvn_kernelILi64ELi16EiDF16_fDF16_EviiT3_lPKT2_lT1_lS3_lS4_lS0_lPT4_lS4_li.kd
    .uniform_work_group_size: 1
    .uses_dynamic_stack: false
    .vgpr_count:     55
    .vgpr_spill_count: 0
    .wavefront_size: 32
    .workgroup_processor_mode: 1
  - .args:
      - .offset:         0
        .size:           4
        .value_kind:     by_value
      - .offset:         4
        .size:           4
        .value_kind:     by_value
      - .offset:         8
        .size:           4
        .value_kind:     by_value
      - .offset:         16
        .size:           8
        .value_kind:     by_value
      - .address_space:  global
        .offset:         24
        .size:           8
        .value_kind:     global_buffer
      - .offset:         32
        .size:           8
        .value_kind:     by_value
      - .offset:         40
        .size:           8
        .value_kind:     by_value
      - .offset:         48
        .size:           8
        .value_kind:     by_value
      - .address_space:  global
        .offset:         56
        .size:           8
        .value_kind:     global_buffer
      - .offset:         64
        .size:           8
        .value_kind:     by_value
      - .offset:         72
        .size:           8
        .value_kind:     by_value
      - .offset:         80
        .size:           8
        .value_kind:     by_value
      - .offset:         88
        .size:           4
        .value_kind:     by_value
      - .offset:         96
        .size:           8
        .value_kind:     by_value
      - .address_space:  global
        .offset:         104
        .size:           8
        .value_kind:     global_buffer
      - .offset:         112
        .size:           8
        .value_kind:     by_value
      - .offset:         120
        .size:           8
        .value_kind:     by_value
      - .offset:         128
        .size:           8
        .value_kind:     by_value
      - .offset:         136
        .size:           4
        .value_kind:     by_value
      - .offset:         144
        .size:           4
        .value_kind:     hidden_block_count_x
      - .offset:         148
        .size:           4
        .value_kind:     hidden_block_count_y
      - .offset:         152
        .size:           4
        .value_kind:     hidden_block_count_z
      - .offset:         156
        .size:           2
        .value_kind:     hidden_group_size_x
      - .offset:         158
        .size:           2
        .value_kind:     hidden_group_size_y
      - .offset:         160
        .size:           2
        .value_kind:     hidden_group_size_z
      - .offset:         162
        .size:           2
        .value_kind:     hidden_remainder_x
      - .offset:         164
        .size:           2
        .value_kind:     hidden_remainder_y
      - .offset:         166
        .size:           2
        .value_kind:     hidden_remainder_z
      - .offset:         184
        .size:           8
        .value_kind:     hidden_global_offset_x
      - .offset:         192
        .size:           8
        .value_kind:     hidden_global_offset_y
      - .offset:         200
        .size:           8
        .value_kind:     hidden_global_offset_z
      - .offset:         208
        .size:           2
        .value_kind:     hidden_grid_dims
    .group_segment_fixed_size: 16384
    .kernarg_segment_align: 8
    .kernarg_segment_size: 400
    .language:       OpenCL C
    .language_version:
      - 2
      - 0
    .max_flat_workgroup_size: 1024
    .name:           _ZL20rocblas_gemvn_kernelILi64ELi16ElDF16_fDF16_EviiT3_lPKT2_lT1_lS3_lS4_lS0_lPT4_lS4_li
    .private_segment_fixed_size: 0
    .sgpr_count:     58
    .sgpr_spill_count: 0
    .symbol:         _ZL20rocblas_gemvn_kernelILi64ELi16ElDF16_fDF16_EviiT3_lPKT2_lT1_lS3_lS4_lS0_lPT4_lS4_li.kd
    .uniform_work_group_size: 1
    .uses_dynamic_stack: false
    .vgpr_count:     76
    .vgpr_spill_count: 0
    .wavefront_size: 32
    .workgroup_processor_mode: 1
  - .args:
      - .offset:         0
        .size:           4
        .value_kind:     by_value
      - .offset:         4
        .size:           4
        .value_kind:     by_value
      - .address_space:  global
        .offset:         8
        .size:           8
        .value_kind:     global_buffer
      - .offset:         16
        .size:           8
        .value_kind:     by_value
      - .address_space:  global
        .offset:         24
        .size:           8
        .value_kind:     global_buffer
      - .offset:         32
        .size:           8
        .value_kind:     by_value
      - .offset:         40
        .size:           4
        .value_kind:     by_value
      - .offset:         48
        .size:           8
        .value_kind:     by_value
      - .address_space:  global
        .offset:         56
        .size:           8
        .value_kind:     global_buffer
      - .offset:         64
        .size:           8
        .value_kind:     by_value
      - .offset:         72
        .size:           4
        .value_kind:     by_value
      - .offset:         80
        .size:           8
        .value_kind:     by_value
      - .address_space:  global
        .offset:         88
        .size:           8
        .value_kind:     global_buffer
      - .offset:         96
        .size:           8
        .value_kind:     by_value
      - .address_space:  global
        .offset:         104
        .size:           8
        .value_kind:     global_buffer
      - .offset:         112
        .size:           8
        .value_kind:     by_value
      - .offset:         120
        .size:           4
        .value_kind:     by_value
      - .offset:         128
        .size:           8
        .value_kind:     by_value
    .group_segment_fixed_size: 256
    .kernarg_segment_align: 8
    .kernarg_segment_size: 136
    .language:       OpenCL C
    .language_version:
      - 2
      - 0
    .max_flat_workgroup_size: 256
    .name:           _ZL22rocblas_gemvtsm_kernelILb0ELi256EDF16_PKfDF16_EviiT2_lPKT1_lilS5_lilS2_lPT3_lil
    .private_segment_fixed_size: 0
    .sgpr_count:     32
    .sgpr_spill_count: 0
    .symbol:         _ZL22rocblas_gemvtsm_kernelILb0ELi256EDF16_PKfDF16_EviiT2_lPKT1_lilS5_lilS2_lPT3_lil.kd
    .uniform_work_group_size: 1
    .uses_dynamic_stack: false
    .vgpr_count:     22
    .vgpr_spill_count: 0
    .wavefront_size: 32
    .workgroup_processor_mode: 1
  - .args:
      - .offset:         0
        .size:           4
        .value_kind:     by_value
      - .offset:         4
        .size:           4
        .value_kind:     by_value
      - .offset:         8
        .size:           4
        .value_kind:     by_value
      - .offset:         16
        .size:           8
        .value_kind:     by_value
      - .address_space:  global
        .offset:         24
        .size:           8
        .value_kind:     global_buffer
      - .offset:         32
        .size:           8
        .value_kind:     by_value
      - .offset:         40
        .size:           4
        .value_kind:     by_value
      - .offset:         48
        .size:           8
        .value_kind:     by_value
      - .address_space:  global
        .offset:         56
        .size:           8
        .value_kind:     global_buffer
      - .offset:         64
        .size:           8
        .value_kind:     by_value
      - .offset:         72
        .size:           4
        .value_kind:     by_value
      - .offset:         80
        .size:           8
        .value_kind:     by_value
      - .offset:         88
        .size:           4
        .value_kind:     by_value
      - .offset:         96
        .size:           8
        .value_kind:     by_value
      - .address_space:  global
        .offset:         104
        .size:           8
        .value_kind:     global_buffer
      - .offset:         112
        .size:           8
        .value_kind:     by_value
      - .offset:         120
        .size:           4
        .value_kind:     by_value
      - .offset:         128
        .size:           8
        .value_kind:     by_value
    .group_segment_fixed_size: 256
    .kernarg_segment_align: 8
    .kernarg_segment_size: 136
    .language:       OpenCL C
    .language_version:
      - 2
      - 0
    .max_flat_workgroup_size: 256
    .name:           _ZL22rocblas_gemvtsm_kernelILb0ELi256EDF16_fDF16_EviiT2_lPKT1_lilS3_lilS0_lPT3_lil
    .private_segment_fixed_size: 0
    .sgpr_count:     28
    .sgpr_spill_count: 0
    .symbol:         _ZL22rocblas_gemvtsm_kernelILb0ELi256EDF16_fDF16_EviiT2_lPKT1_lilS3_lilS0_lPT3_lil.kd
    .uniform_work_group_size: 1
    .uses_dynamic_stack: false
    .vgpr_count:     22
    .vgpr_spill_count: 0
    .wavefront_size: 32
    .workgroup_processor_mode: 1
  - .args:
      - .offset:         0
        .size:           4
        .value_kind:     by_value
      - .offset:         4
        .size:           4
        .value_kind:     by_value
      - .address_space:  global
        .offset:         8
        .size:           8
        .value_kind:     global_buffer
      - .offset:         16
        .size:           8
        .value_kind:     by_value
      - .address_space:  global
        .offset:         24
        .size:           8
        .value_kind:     global_buffer
      - .offset:         32
        .size:           8
        .value_kind:     by_value
      - .offset:         40
        .size:           4
        .value_kind:     by_value
      - .offset:         48
        .size:           8
        .value_kind:     by_value
      - .address_space:  global
        .offset:         56
        .size:           8
        .value_kind:     global_buffer
      - .offset:         64
        .size:           8
        .value_kind:     by_value
      - .offset:         72
        .size:           4
        .value_kind:     by_value
      - .offset:         80
        .size:           8
        .value_kind:     by_value
      - .address_space:  global
        .offset:         88
        .size:           8
        .value_kind:     global_buffer
      - .offset:         96
        .size:           4
        .value_kind:     by_value
      - .offset:         104
        .size:           4
        .value_kind:     hidden_block_count_x
      - .offset:         108
        .size:           4
        .value_kind:     hidden_block_count_y
      - .offset:         112
        .size:           4
        .value_kind:     hidden_block_count_z
      - .offset:         116
        .size:           2
        .value_kind:     hidden_group_size_x
      - .offset:         118
        .size:           2
        .value_kind:     hidden_group_size_y
      - .offset:         120
        .size:           2
        .value_kind:     hidden_group_size_z
      - .offset:         122
        .size:           2
        .value_kind:     hidden_remainder_x
      - .offset:         124
        .size:           2
        .value_kind:     hidden_remainder_y
      - .offset:         126
        .size:           2
        .value_kind:     hidden_remainder_z
      - .offset:         144
        .size:           8
        .value_kind:     hidden_global_offset_x
      - .offset:         152
        .size:           8
        .value_kind:     hidden_global_offset_y
      - .offset:         160
        .size:           8
        .value_kind:     hidden_global_offset_z
      - .offset:         168
        .size:           2
        .value_kind:     hidden_grid_dims
    .group_segment_fixed_size: 128
    .kernarg_segment_align: 8
    .kernarg_segment_size: 360
    .language:       OpenCL C
    .language_version:
      - 2
      - 0
    .max_flat_workgroup_size: 256
    .name:           _ZL23rocblas_gemvt_sn_kernelILb0ELi256ELi4EiDF16_PKffEviiT4_lPKT3_lilS5_lilPT5_i
    .private_segment_fixed_size: 0
    .sgpr_count:     80
    .sgpr_spill_count: 0
    .symbol:         _ZL23rocblas_gemvt_sn_kernelILb0ELi256ELi4EiDF16_PKffEviiT4_lPKT3_lilS5_lilPT5_i.kd
    .uniform_work_group_size: 1
    .uses_dynamic_stack: false
    .vgpr_count:     51
    .vgpr_spill_count: 0
    .wavefront_size: 32
    .workgroup_processor_mode: 1
  - .args:
      - .offset:         0
        .size:           4
        .value_kind:     by_value
      - .offset:         4
        .size:           4
        .value_kind:     by_value
      - .address_space:  global
        .offset:         8
        .size:           8
        .value_kind:     global_buffer
      - .offset:         16
        .size:           8
        .value_kind:     by_value
      - .address_space:  global
        .offset:         24
        .size:           8
        .value_kind:     global_buffer
      - .offset:         32
        .size:           8
        .value_kind:     by_value
      - .offset:         40
        .size:           4
        .value_kind:     by_value
      - .offset:         48
        .size:           8
        .value_kind:     by_value
      - .address_space:  global
        .offset:         56
        .size:           8
        .value_kind:     global_buffer
      - .offset:         64
        .size:           8
        .value_kind:     by_value
      - .offset:         72
        .size:           4
        .value_kind:     by_value
      - .offset:         80
        .size:           8
        .value_kind:     by_value
      - .address_space:  global
        .offset:         88
        .size:           8
        .value_kind:     global_buffer
      - .offset:         96
        .size:           4
        .value_kind:     by_value
      - .offset:         104
        .size:           4
        .value_kind:     hidden_block_count_x
      - .offset:         108
        .size:           4
        .value_kind:     hidden_block_count_y
      - .offset:         112
        .size:           4
        .value_kind:     hidden_block_count_z
      - .offset:         116
        .size:           2
        .value_kind:     hidden_group_size_x
      - .offset:         118
        .size:           2
        .value_kind:     hidden_group_size_y
      - .offset:         120
        .size:           2
        .value_kind:     hidden_group_size_z
      - .offset:         122
        .size:           2
        .value_kind:     hidden_remainder_x
      - .offset:         124
        .size:           2
        .value_kind:     hidden_remainder_y
      - .offset:         126
        .size:           2
        .value_kind:     hidden_remainder_z
      - .offset:         144
        .size:           8
        .value_kind:     hidden_global_offset_x
      - .offset:         152
        .size:           8
        .value_kind:     hidden_global_offset_y
      - .offset:         160
        .size:           8
        .value_kind:     hidden_global_offset_z
      - .offset:         168
        .size:           2
        .value_kind:     hidden_grid_dims
    .group_segment_fixed_size: 128
    .kernarg_segment_align: 8
    .kernarg_segment_size: 360
    .language:       OpenCL C
    .language_version:
      - 2
      - 0
    .max_flat_workgroup_size: 256
    .name:           _ZL23rocblas_gemvt_sn_kernelILb0ELi256ELi4ElDF16_PKffEviiT4_lPKT3_lilS5_lilPT5_i
    .private_segment_fixed_size: 0
    .sgpr_count:     74
    .sgpr_spill_count: 0
    .symbol:         _ZL23rocblas_gemvt_sn_kernelILb0ELi256ELi4ElDF16_PKffEviiT4_lPKT3_lilS5_lilPT5_i.kd
    .uniform_work_group_size: 1
    .uses_dynamic_stack: false
    .vgpr_count:     53
    .vgpr_spill_count: 0
    .wavefront_size: 32
    .workgroup_processor_mode: 1
  - .args:
      - .offset:         0
        .size:           4
        .value_kind:     by_value
      - .address_space:  global
        .offset:         8
        .size:           8
        .value_kind:     global_buffer
      - .offset:         16
        .size:           8
        .value_kind:     by_value
      - .address_space:  global
        .offset:         24
        .size:           8
        .value_kind:     global_buffer
      - .offset:         32
        .size:           8
        .value_kind:     by_value
      - .offset:         40
        .size:           4
        .value_kind:     by_value
      - .offset:         48
        .size:           8
        .value_kind:     by_value
      - .actual_access:  read_only
        .address_space:  global
        .offset:         56
        .size:           8
        .value_kind:     global_buffer
      - .offset:         64
        .size:           4
        .value_kind:     by_value
      - .offset:         72
        .size:           4
        .value_kind:     hidden_block_count_x
      - .offset:         76
        .size:           4
        .value_kind:     hidden_block_count_y
      - .offset:         80
        .size:           4
        .value_kind:     hidden_block_count_z
      - .offset:         84
        .size:           2
        .value_kind:     hidden_group_size_x
      - .offset:         86
        .size:           2
        .value_kind:     hidden_group_size_y
      - .offset:         88
        .size:           2
        .value_kind:     hidden_group_size_z
      - .offset:         90
        .size:           2
        .value_kind:     hidden_remainder_x
      - .offset:         92
        .size:           2
        .value_kind:     hidden_remainder_y
      - .offset:         94
        .size:           2
        .value_kind:     hidden_remainder_z
      - .offset:         112
        .size:           8
        .value_kind:     hidden_global_offset_x
      - .offset:         120
        .size:           8
        .value_kind:     hidden_global_offset_y
      - .offset:         128
        .size:           8
        .value_kind:     hidden_global_offset_z
      - .offset:         136
        .size:           2
        .value_kind:     hidden_grid_dims
    .group_segment_fixed_size: 128
    .kernarg_segment_align: 8
    .kernarg_segment_size: 328
    .language:       OpenCL C
    .language_version:
      - 2
      - 0
    .max_flat_workgroup_size: 256
    .name:           _ZL23rocblas_gemvt_sn_reduceILi256ELi8EfPKfDF16_EviT2_lPT3_lilPT1_i
    .private_segment_fixed_size: 0
    .sgpr_count:     40
    .sgpr_spill_count: 0
    .symbol:         _ZL23rocblas_gemvt_sn_reduceILi256ELi8EfPKfDF16_EviT2_lPT3_lilPT1_i.kd
    .uniform_work_group_size: 1
    .uses_dynamic_stack: false
    .vgpr_count:     26
    .vgpr_spill_count: 0
    .wavefront_size: 32
    .workgroup_processor_mode: 1
  - .args:
      - .offset:         0
        .size:           4
        .value_kind:     by_value
      - .offset:         4
        .size:           4
        .value_kind:     by_value
      - .offset:         8
        .size:           4
        .value_kind:     by_value
      - .offset:         16
        .size:           8
        .value_kind:     by_value
      - .address_space:  global
        .offset:         24
        .size:           8
        .value_kind:     global_buffer
      - .offset:         32
        .size:           8
        .value_kind:     by_value
      - .offset:         40
        .size:           4
        .value_kind:     by_value
      - .offset:         48
        .size:           8
        .value_kind:     by_value
      - .address_space:  global
        .offset:         56
        .size:           8
        .value_kind:     global_buffer
      - .offset:         64
        .size:           8
        .value_kind:     by_value
      - .offset:         72
        .size:           4
        .value_kind:     by_value
      - .offset:         80
        .size:           8
        .value_kind:     by_value
      - .address_space:  global
        .offset:         88
        .size:           8
        .value_kind:     global_buffer
      - .offset:         96
        .size:           4
        .value_kind:     by_value
      - .offset:         104
        .size:           4
        .value_kind:     hidden_block_count_x
      - .offset:         108
        .size:           4
        .value_kind:     hidden_block_count_y
      - .offset:         112
        .size:           4
        .value_kind:     hidden_block_count_z
      - .offset:         116
        .size:           2
        .value_kind:     hidden_group_size_x
      - .offset:         118
        .size:           2
        .value_kind:     hidden_group_size_y
      - .offset:         120
        .size:           2
        .value_kind:     hidden_group_size_z
      - .offset:         122
        .size:           2
        .value_kind:     hidden_remainder_x
      - .offset:         124
        .size:           2
        .value_kind:     hidden_remainder_y
      - .offset:         126
        .size:           2
        .value_kind:     hidden_remainder_z
      - .offset:         144
        .size:           8
        .value_kind:     hidden_global_offset_x
      - .offset:         152
        .size:           8
        .value_kind:     hidden_global_offset_y
      - .offset:         160
        .size:           8
        .value_kind:     hidden_global_offset_z
      - .offset:         168
        .size:           2
        .value_kind:     hidden_grid_dims
    .group_segment_fixed_size: 128
    .kernarg_segment_align: 8
    .kernarg_segment_size: 360
    .language:       OpenCL C
    .language_version:
      - 2
      - 0
    .max_flat_workgroup_size: 256
    .name:           _ZL23rocblas_gemvt_sn_kernelILb0ELi256ELi4EiDF16_ffEviiT4_lPKT3_lilS3_lilPT5_i
    .private_segment_fixed_size: 0
    .sgpr_count:     78
    .sgpr_spill_count: 0
    .symbol:         _ZL23rocblas_gemvt_sn_kernelILb0ELi256ELi4EiDF16_ffEviiT4_lPKT3_lilS3_lilPT5_i.kd
    .uniform_work_group_size: 1
    .uses_dynamic_stack: false
    .vgpr_count:     50
    .vgpr_spill_count: 0
    .wavefront_size: 32
    .workgroup_processor_mode: 1
  - .args:
      - .offset:         0
        .size:           4
        .value_kind:     by_value
      - .offset:         4
        .size:           4
        .value_kind:     by_value
      - .offset:         8
        .size:           4
        .value_kind:     by_value
      - .offset:         16
        .size:           8
        .value_kind:     by_value
      - .address_space:  global
        .offset:         24
        .size:           8
        .value_kind:     global_buffer
      - .offset:         32
        .size:           8
        .value_kind:     by_value
      - .offset:         40
        .size:           4
        .value_kind:     by_value
      - .offset:         48
        .size:           8
        .value_kind:     by_value
      - .address_space:  global
        .offset:         56
        .size:           8
        .value_kind:     global_buffer
      - .offset:         64
        .size:           8
        .value_kind:     by_value
      - .offset:         72
        .size:           4
        .value_kind:     by_value
      - .offset:         80
        .size:           8
        .value_kind:     by_value
      - .address_space:  global
        .offset:         88
        .size:           8
        .value_kind:     global_buffer
      - .offset:         96
        .size:           4
        .value_kind:     by_value
      - .offset:         104
        .size:           4
        .value_kind:     hidden_block_count_x
      - .offset:         108
        .size:           4
        .value_kind:     hidden_block_count_y
      - .offset:         112
        .size:           4
        .value_kind:     hidden_block_count_z
      - .offset:         116
        .size:           2
        .value_kind:     hidden_group_size_x
      - .offset:         118
        .size:           2
        .value_kind:     hidden_group_size_y
      - .offset:         120
        .size:           2
        .value_kind:     hidden_group_size_z
      - .offset:         122
        .size:           2
        .value_kind:     hidden_remainder_x
      - .offset:         124
        .size:           2
        .value_kind:     hidden_remainder_y
      - .offset:         126
        .size:           2
        .value_kind:     hidden_remainder_z
      - .offset:         144
        .size:           8
        .value_kind:     hidden_global_offset_x
      - .offset:         152
        .size:           8
        .value_kind:     hidden_global_offset_y
      - .offset:         160
        .size:           8
        .value_kind:     hidden_global_offset_z
      - .offset:         168
        .size:           2
        .value_kind:     hidden_grid_dims
    .group_segment_fixed_size: 128
    .kernarg_segment_align: 8
    .kernarg_segment_size: 360
    .language:       OpenCL C
    .language_version:
      - 2
      - 0
    .max_flat_workgroup_size: 256
    .name:           _ZL23rocblas_gemvt_sn_kernelILb0ELi256ELi4ElDF16_ffEviiT4_lPKT3_lilS3_lilPT5_i
    .private_segment_fixed_size: 0
    .sgpr_count:     72
    .sgpr_spill_count: 0
    .symbol:         _ZL23rocblas_gemvt_sn_kernelILb0ELi256ELi4ElDF16_ffEviiT4_lPKT3_lilS3_lilPT5_i.kd
    .uniform_work_group_size: 1
    .uses_dynamic_stack: false
    .vgpr_count:     52
    .vgpr_spill_count: 0
    .wavefront_size: 32
    .workgroup_processor_mode: 1
  - .args:
      - .offset:         0
        .size:           4
        .value_kind:     by_value
      - .offset:         4
        .size:           4
        .value_kind:     by_value
      - .offset:         8
        .size:           8
        .value_kind:     by_value
      - .address_space:  global
        .offset:         16
        .size:           8
        .value_kind:     global_buffer
      - .offset:         24
        .size:           8
        .value_kind:     by_value
      - .offset:         32
        .size:           4
        .value_kind:     by_value
      - .offset:         40
        .size:           8
        .value_kind:     by_value
      - .actual_access:  read_only
        .address_space:  global
        .offset:         48
        .size:           8
        .value_kind:     global_buffer
      - .offset:         56
        .size:           4
        .value_kind:     by_value
      - .offset:         64
        .size:           4
        .value_kind:     hidden_block_count_x
      - .offset:         68
        .size:           4
        .value_kind:     hidden_block_count_y
      - .offset:         72
        .size:           4
        .value_kind:     hidden_block_count_z
      - .offset:         76
        .size:           2
        .value_kind:     hidden_group_size_x
      - .offset:         78
        .size:           2
        .value_kind:     hidden_group_size_y
      - .offset:         80
        .size:           2
        .value_kind:     hidden_group_size_z
      - .offset:         82
        .size:           2
        .value_kind:     hidden_remainder_x
      - .offset:         84
        .size:           2
        .value_kind:     hidden_remainder_y
      - .offset:         86
        .size:           2
        .value_kind:     hidden_remainder_z
      - .offset:         104
        .size:           8
        .value_kind:     hidden_global_offset_x
      - .offset:         112
        .size:           8
        .value_kind:     hidden_global_offset_y
      - .offset:         120
        .size:           8
        .value_kind:     hidden_global_offset_z
      - .offset:         128
        .size:           2
        .value_kind:     hidden_grid_dims
    .group_segment_fixed_size: 128
    .kernarg_segment_align: 8
    .kernarg_segment_size: 320
    .language:       OpenCL C
    .language_version:
      - 2
      - 0
    .max_flat_workgroup_size: 256
    .name:           _ZL23rocblas_gemvt_sn_reduceILi256ELi8EffDF16_EviT2_lPT3_lilPT1_i
    .private_segment_fixed_size: 0
    .sgpr_count:     36
    .sgpr_spill_count: 0
    .symbol:         _ZL23rocblas_gemvt_sn_reduceILi256ELi8EffDF16_EviT2_lPT3_lilPT1_i.kd
    .uniform_work_group_size: 1
    .uses_dynamic_stack: false
    .vgpr_count:     25
    .vgpr_spill_count: 0
    .wavefront_size: 32
    .workgroup_processor_mode: 1
  - .args:
      - .offset:         0
        .size:           4
        .value_kind:     by_value
      - .offset:         4
        .size:           4
        .value_kind:     by_value
      - .address_space:  global
        .offset:         8
        .size:           8
        .value_kind:     global_buffer
      - .offset:         16
        .size:           8
        .value_kind:     by_value
      - .address_space:  global
        .offset:         24
        .size:           8
        .value_kind:     global_buffer
      - .offset:         32
        .size:           8
        .value_kind:     by_value
      - .offset:         40
        .size:           4
        .value_kind:     by_value
      - .offset:         48
        .size:           8
        .value_kind:     by_value
      - .address_space:  global
        .offset:         56
        .size:           8
        .value_kind:     global_buffer
      - .offset:         64
        .size:           8
        .value_kind:     by_value
      - .offset:         72
        .size:           4
        .value_kind:     by_value
      - .offset:         80
        .size:           8
        .value_kind:     by_value
      - .address_space:  global
        .offset:         88
        .size:           8
        .value_kind:     global_buffer
      - .offset:         96
        .size:           8
        .value_kind:     by_value
      - .address_space:  global
        .offset:         104
        .size:           8
        .value_kind:     global_buffer
      - .offset:         112
        .size:           8
        .value_kind:     by_value
      - .offset:         120
        .size:           4
        .value_kind:     by_value
      - .offset:         128
        .size:           8
        .value_kind:     by_value
      - .offset:         136
        .size:           4
        .value_kind:     by_value
    .group_segment_fixed_size: 128
    .kernarg_segment_align: 8
    .kernarg_segment_size: 140
    .language:       OpenCL C
    .language_version:
      - 2
      - 0
    .max_flat_workgroup_size: 256
    .name:           _ZL32rocblas_gemvt_warp_reduce_kernelILb0ELi256EiDF16_PKfDF16_EviiT3_lPKT2_lT1_lS5_lS6_lS2_lPT4_lS6_li
    .private_segment_fixed_size: 0
    .sgpr_count:     48
    .sgpr_spill_count: 0
    .symbol:         _ZL32rocblas_gemvt_warp_reduce_kernelILb0ELi256EiDF16_PKfDF16_EviiT3_lPKT2_lT1_lS5_lS6_lS2_lPT4_lS6_li.kd
    .uniform_work_group_size: 1
    .uses_dynamic_stack: false
    .vgpr_count:     22
    .vgpr_spill_count: 0
    .wavefront_size: 32
    .workgroup_processor_mode: 1
  - .args:
      - .offset:         0
        .size:           4
        .value_kind:     by_value
      - .offset:         4
        .size:           4
        .value_kind:     by_value
      - .address_space:  global
        .offset:         8
        .size:           8
        .value_kind:     global_buffer
      - .offset:         16
        .size:           8
        .value_kind:     by_value
      - .address_space:  global
        .offset:         24
        .size:           8
        .value_kind:     global_buffer
      - .offset:         32
        .size:           8
        .value_kind:     by_value
      - .offset:         40
        .size:           8
        .value_kind:     by_value
      - .offset:         48
        .size:           8
        .value_kind:     by_value
      - .address_space:  global
        .offset:         56
        .size:           8
        .value_kind:     global_buffer
      - .offset:         64
        .size:           8
        .value_kind:     by_value
      - .offset:         72
        .size:           8
        .value_kind:     by_value
      - .offset:         80
        .size:           8
        .value_kind:     by_value
      - .address_space:  global
        .offset:         88
        .size:           8
        .value_kind:     global_buffer
      - .offset:         96
        .size:           8
        .value_kind:     by_value
      - .address_space:  global
        .offset:         104
        .size:           8
        .value_kind:     global_buffer
      - .offset:         112
        .size:           8
        .value_kind:     by_value
      - .offset:         120
        .size:           8
        .value_kind:     by_value
      - .offset:         128
        .size:           8
        .value_kind:     by_value
      - .offset:         136
        .size:           4
        .value_kind:     by_value
    .group_segment_fixed_size: 128
    .kernarg_segment_align: 8
    .kernarg_segment_size: 140
    .language:       OpenCL C
    .language_version:
      - 2
      - 0
    .max_flat_workgroup_size: 256
    .name:           _ZL32rocblas_gemvt_warp_reduce_kernelILb0ELi256ElDF16_PKfDF16_EviiT3_lPKT2_lT1_lS5_lS6_lS2_lPT4_lS6_li
    .private_segment_fixed_size: 0
    .sgpr_count:     54
    .sgpr_spill_count: 0
    .symbol:         _ZL32rocblas_gemvt_warp_reduce_kernelILb0ELi256ElDF16_PKfDF16_EviiT3_lPKT2_lT1_lS5_lS6_lS2_lPT4_lS6_li.kd
    .uniform_work_group_size: 1
    .uses_dynamic_stack: false
    .vgpr_count:     23
    .vgpr_spill_count: 0
    .wavefront_size: 32
    .workgroup_processor_mode: 1
  - .args:
      - .offset:         0
        .size:           4
        .value_kind:     by_value
      - .offset:         4
        .size:           4
        .value_kind:     by_value
      - .offset:         8
        .size:           4
        .value_kind:     by_value
      - .offset:         16
        .size:           8
        .value_kind:     by_value
      - .address_space:  global
        .offset:         24
        .size:           8
        .value_kind:     global_buffer
      - .offset:         32
        .size:           8
        .value_kind:     by_value
      - .offset:         40
        .size:           4
        .value_kind:     by_value
      - .offset:         48
        .size:           8
        .value_kind:     by_value
      - .address_space:  global
        .offset:         56
        .size:           8
        .value_kind:     global_buffer
      - .offset:         64
        .size:           8
        .value_kind:     by_value
      - .offset:         72
        .size:           4
        .value_kind:     by_value
      - .offset:         80
        .size:           8
        .value_kind:     by_value
      - .offset:         88
        .size:           4
        .value_kind:     by_value
      - .offset:         96
        .size:           8
        .value_kind:     by_value
      - .address_space:  global
        .offset:         104
        .size:           8
        .value_kind:     global_buffer
      - .offset:         112
        .size:           8
        .value_kind:     by_value
      - .offset:         120
        .size:           4
        .value_kind:     by_value
      - .offset:         128
        .size:           8
        .value_kind:     by_value
      - .offset:         136
        .size:           4
        .value_kind:     by_value
    .group_segment_fixed_size: 128
    .kernarg_segment_align: 8
    .kernarg_segment_size: 140
    .language:       OpenCL C
    .language_version:
      - 2
      - 0
    .max_flat_workgroup_size: 256
    .name:           _ZL32rocblas_gemvt_warp_reduce_kernelILb0ELi256EiDF16_fDF16_EviiT3_lPKT2_lT1_lS3_lS4_lS0_lPT4_lS4_li
    .private_segment_fixed_size: 0
    .sgpr_count:     44
    .sgpr_spill_count: 0
    .symbol:         _ZL32rocblas_gemvt_warp_reduce_kernelILb0ELi256EiDF16_fDF16_EviiT3_lPKT2_lT1_lS3_lS4_lS0_lPT4_lS4_li.kd
    .uniform_work_group_size: 1
    .uses_dynamic_stack: false
    .vgpr_count:     21
    .vgpr_spill_count: 0
    .wavefront_size: 32
    .workgroup_processor_mode: 1
  - .args:
      - .offset:         0
        .size:           4
        .value_kind:     by_value
      - .offset:         4
        .size:           4
        .value_kind:     by_value
      - .offset:         8
        .size:           4
        .value_kind:     by_value
      - .offset:         16
        .size:           8
        .value_kind:     by_value
      - .address_space:  global
        .offset:         24
        .size:           8
        .value_kind:     global_buffer
      - .offset:         32
        .size:           8
        .value_kind:     by_value
      - .offset:         40
        .size:           8
        .value_kind:     by_value
      - .offset:         48
        .size:           8
        .value_kind:     by_value
      - .address_space:  global
        .offset:         56
        .size:           8
        .value_kind:     global_buffer
      - .offset:         64
        .size:           8
        .value_kind:     by_value
      - .offset:         72
        .size:           8
        .value_kind:     by_value
      - .offset:         80
        .size:           8
        .value_kind:     by_value
      - .offset:         88
        .size:           4
        .value_kind:     by_value
      - .offset:         96
        .size:           8
        .value_kind:     by_value
      - .address_space:  global
        .offset:         104
        .size:           8
        .value_kind:     global_buffer
      - .offset:         112
        .size:           8
        .value_kind:     by_value
      - .offset:         120
        .size:           8
        .value_kind:     by_value
      - .offset:         128
        .size:           8
        .value_kind:     by_value
      - .offset:         136
        .size:           4
        .value_kind:     by_value
    .group_segment_fixed_size: 128
    .kernarg_segment_align: 8
    .kernarg_segment_size: 140
    .language:       OpenCL C
    .language_version:
      - 2
      - 0
    .max_flat_workgroup_size: 256
    .name:           _ZL32rocblas_gemvt_warp_reduce_kernelILb0ELi256ElDF16_fDF16_EviiT3_lPKT2_lT1_lS3_lS4_lS0_lPT4_lS4_li
    .private_segment_fixed_size: 0
    .sgpr_count:     46
    .sgpr_spill_count: 0
    .symbol:         _ZL32rocblas_gemvt_warp_reduce_kernelILb0ELi256ElDF16_fDF16_EviiT3_lPKT2_lT1_lS3_lS4_lS0_lPT4_lS4_li.kd
    .uniform_work_group_size: 1
    .uses_dynamic_stack: false
    .vgpr_count:     22
    .vgpr_spill_count: 0
    .wavefront_size: 32
    .workgroup_processor_mode: 1
  - .args:
      - .offset:         0
        .size:           4
        .value_kind:     by_value
      - .offset:         4
        .size:           4
        .value_kind:     by_value
      - .address_space:  global
        .offset:         8
        .size:           8
        .value_kind:     global_buffer
      - .offset:         16
        .size:           8
        .value_kind:     by_value
      - .address_space:  global
        .offset:         24
        .size:           8
        .value_kind:     global_buffer
      - .offset:         32
        .size:           8
        .value_kind:     by_value
      - .offset:         40
        .size:           4
        .value_kind:     by_value
      - .offset:         48
        .size:           8
        .value_kind:     by_value
      - .address_space:  global
        .offset:         56
        .size:           8
        .value_kind:     global_buffer
      - .offset:         64
        .size:           8
        .value_kind:     by_value
      - .offset:         72
        .size:           4
        .value_kind:     by_value
      - .offset:         80
        .size:           8
        .value_kind:     by_value
      - .address_space:  global
        .offset:         88
        .size:           8
        .value_kind:     global_buffer
      - .offset:         96
        .size:           8
        .value_kind:     by_value
      - .address_space:  global
        .offset:         104
        .size:           8
        .value_kind:     global_buffer
      - .offset:         112
        .size:           8
        .value_kind:     by_value
      - .offset:         120
        .size:           4
        .value_kind:     by_value
      - .offset:         128
        .size:           8
        .value_kind:     by_value
      - .offset:         136
        .size:           4
        .value_kind:     by_value
    .group_segment_fixed_size: 1024
    .kernarg_segment_align: 8
    .kernarg_segment_size: 140
    .language:       OpenCL C
    .language_version:
      - 2
      - 0
    .max_flat_workgroup_size: 256
    .name:           _ZL20rocblas_gemvt_kernelILb0ELi256EDF16_PKfDF16_EviiT2_lPKT1_lilS5_lilS2_lPT3_lili
    .private_segment_fixed_size: 0
    .sgpr_count:     54
    .sgpr_spill_count: 0
    .symbol:         _ZL20rocblas_gemvt_kernelILb0ELi256EDF16_PKfDF16_EviiT2_lPKT1_lilS5_lilS2_lPT3_lili.kd
    .uniform_work_group_size: 1
    .uses_dynamic_stack: false
    .vgpr_count:     18
    .vgpr_spill_count: 0
    .wavefront_size: 32
    .workgroup_processor_mode: 1
  - .args:
      - .offset:         0
        .size:           4
        .value_kind:     by_value
      - .offset:         4
        .size:           4
        .value_kind:     by_value
      - .offset:         8
        .size:           4
        .value_kind:     by_value
      - .offset:         16
        .size:           8
        .value_kind:     by_value
      - .address_space:  global
        .offset:         24
        .size:           8
        .value_kind:     global_buffer
      - .offset:         32
        .size:           8
        .value_kind:     by_value
      - .offset:         40
        .size:           4
        .value_kind:     by_value
      - .offset:         48
        .size:           8
        .value_kind:     by_value
      - .address_space:  global
        .offset:         56
        .size:           8
        .value_kind:     global_buffer
      - .offset:         64
        .size:           8
        .value_kind:     by_value
      - .offset:         72
        .size:           4
        .value_kind:     by_value
      - .offset:         80
        .size:           8
        .value_kind:     by_value
      - .offset:         88
        .size:           4
        .value_kind:     by_value
      - .offset:         96
        .size:           8
        .value_kind:     by_value
      - .address_space:  global
        .offset:         104
        .size:           8
        .value_kind:     global_buffer
      - .offset:         112
        .size:           8
        .value_kind:     by_value
      - .offset:         120
        .size:           4
        .value_kind:     by_value
      - .offset:         128
        .size:           8
        .value_kind:     by_value
      - .offset:         136
        .size:           4
        .value_kind:     by_value
    .group_segment_fixed_size: 1024
    .kernarg_segment_align: 8
    .kernarg_segment_size: 140
    .language:       OpenCL C
    .language_version:
      - 2
      - 0
    .max_flat_workgroup_size: 256
    .name:           _ZL20rocblas_gemvt_kernelILb0ELi256EDF16_fDF16_EviiT2_lPKT1_lilS3_lilS0_lPT3_lili
    .private_segment_fixed_size: 0
    .sgpr_count:     50
    .sgpr_spill_count: 0
    .symbol:         _ZL20rocblas_gemvt_kernelILb0ELi256EDF16_fDF16_EviiT2_lPKT1_lilS3_lilS0_lPT3_lili.kd
    .uniform_work_group_size: 1
    .uses_dynamic_stack: false
    .vgpr_count:     17
    .vgpr_spill_count: 0
    .wavefront_size: 32
    .workgroup_processor_mode: 1
  - .args:
      - .offset:         0
        .size:           4
        .value_kind:     by_value
      - .offset:         4
        .size:           4
        .value_kind:     by_value
      - .address_space:  global
        .offset:         8
        .size:           8
        .value_kind:     global_buffer
      - .offset:         16
        .size:           8
        .value_kind:     by_value
      - .address_space:  global
        .offset:         24
        .size:           8
        .value_kind:     global_buffer
      - .offset:         32
        .size:           8
        .value_kind:     by_value
      - .offset:         40
        .size:           4
        .value_kind:     by_value
      - .offset:         48
        .size:           8
        .value_kind:     by_value
      - .address_space:  global
        .offset:         56
        .size:           8
        .value_kind:     global_buffer
      - .offset:         64
        .size:           8
        .value_kind:     by_value
      - .offset:         72
        .size:           4
        .value_kind:     by_value
      - .offset:         80
        .size:           8
        .value_kind:     by_value
      - .address_space:  global
        .offset:         88
        .size:           8
        .value_kind:     global_buffer
      - .offset:         96
        .size:           8
        .value_kind:     by_value
      - .address_space:  global
        .offset:         104
        .size:           8
        .value_kind:     global_buffer
      - .offset:         112
        .size:           8
        .value_kind:     by_value
      - .offset:         120
        .size:           4
        .value_kind:     by_value
      - .offset:         128
        .size:           8
        .value_kind:     by_value
      - .offset:         136
        .size:           4
        .value_kind:     by_value
    .group_segment_fixed_size: 128
    .kernarg_segment_align: 8
    .kernarg_segment_size: 140
    .language:       OpenCL C
    .language_version:
      - 2
      - 0
    .max_flat_workgroup_size: 1024
    .name:           _ZL32rocblas_gemvt_warp_reduce_kernelILb0ELi1024EiDF16_PKfDF16_EviiT3_lPKT2_lT1_lS5_lS6_lS2_lPT4_lS6_li
    .private_segment_fixed_size: 0
    .sgpr_count:     46
    .sgpr_spill_count: 0
    .symbol:         _ZL32rocblas_gemvt_warp_reduce_kernelILb0ELi1024EiDF16_PKfDF16_EviiT3_lPKT2_lT1_lS5_lS6_lS2_lPT4_lS6_li.kd
    .uniform_work_group_size: 1
    .uses_dynamic_stack: false
    .vgpr_count:     22
    .vgpr_spill_count: 0
    .wavefront_size: 32
    .workgroup_processor_mode: 1
  - .args:
      - .offset:         0
        .size:           4
        .value_kind:     by_value
      - .offset:         4
        .size:           4
        .value_kind:     by_value
      - .address_space:  global
        .offset:         8
        .size:           8
        .value_kind:     global_buffer
      - .offset:         16
        .size:           8
        .value_kind:     by_value
      - .address_space:  global
        .offset:         24
        .size:           8
        .value_kind:     global_buffer
      - .offset:         32
        .size:           8
        .value_kind:     by_value
      - .offset:         40
        .size:           8
        .value_kind:     by_value
      - .offset:         48
        .size:           8
        .value_kind:     by_value
      - .address_space:  global
        .offset:         56
        .size:           8
        .value_kind:     global_buffer
      - .offset:         64
        .size:           8
        .value_kind:     by_value
      - .offset:         72
        .size:           8
        .value_kind:     by_value
      - .offset:         80
        .size:           8
        .value_kind:     by_value
      - .address_space:  global
        .offset:         88
        .size:           8
        .value_kind:     global_buffer
      - .offset:         96
        .size:           8
        .value_kind:     by_value
      - .address_space:  global
        .offset:         104
        .size:           8
        .value_kind:     global_buffer
      - .offset:         112
        .size:           8
        .value_kind:     by_value
      - .offset:         120
        .size:           8
        .value_kind:     by_value
      - .offset:         128
        .size:           8
        .value_kind:     by_value
      - .offset:         136
        .size:           4
        .value_kind:     by_value
    .group_segment_fixed_size: 128
    .kernarg_segment_align: 8
    .kernarg_segment_size: 140
    .language:       OpenCL C
    .language_version:
      - 2
      - 0
    .max_flat_workgroup_size: 1024
    .name:           _ZL32rocblas_gemvt_warp_reduce_kernelILb0ELi1024ElDF16_PKfDF16_EviiT3_lPKT2_lT1_lS5_lS6_lS2_lPT4_lS6_li
    .private_segment_fixed_size: 0
    .sgpr_count:     54
    .sgpr_spill_count: 0
    .symbol:         _ZL32rocblas_gemvt_warp_reduce_kernelILb0ELi1024ElDF16_PKfDF16_EviiT3_lPKT2_lT1_lS5_lS6_lS2_lPT4_lS6_li.kd
    .uniform_work_group_size: 1
    .uses_dynamic_stack: false
    .vgpr_count:     23
    .vgpr_spill_count: 0
    .wavefront_size: 32
    .workgroup_processor_mode: 1
  - .args:
      - .offset:         0
        .size:           4
        .value_kind:     by_value
      - .offset:         4
        .size:           4
        .value_kind:     by_value
      - .offset:         8
        .size:           4
        .value_kind:     by_value
      - .offset:         16
        .size:           8
        .value_kind:     by_value
      - .address_space:  global
        .offset:         24
        .size:           8
        .value_kind:     global_buffer
      - .offset:         32
        .size:           8
        .value_kind:     by_value
      - .offset:         40
        .size:           4
        .value_kind:     by_value
      - .offset:         48
        .size:           8
        .value_kind:     by_value
      - .address_space:  global
        .offset:         56
        .size:           8
        .value_kind:     global_buffer
      - .offset:         64
        .size:           8
        .value_kind:     by_value
      - .offset:         72
        .size:           4
        .value_kind:     by_value
      - .offset:         80
        .size:           8
        .value_kind:     by_value
      - .offset:         88
        .size:           4
        .value_kind:     by_value
      - .offset:         96
        .size:           8
        .value_kind:     by_value
      - .address_space:  global
        .offset:         104
        .size:           8
        .value_kind:     global_buffer
      - .offset:         112
        .size:           8
        .value_kind:     by_value
      - .offset:         120
        .size:           4
        .value_kind:     by_value
      - .offset:         128
        .size:           8
        .value_kind:     by_value
      - .offset:         136
        .size:           4
        .value_kind:     by_value
    .group_segment_fixed_size: 128
    .kernarg_segment_align: 8
    .kernarg_segment_size: 140
    .language:       OpenCL C
    .language_version:
      - 2
      - 0
    .max_flat_workgroup_size: 1024
    .name:           _ZL32rocblas_gemvt_warp_reduce_kernelILb0ELi1024EiDF16_fDF16_EviiT3_lPKT2_lT1_lS3_lS4_lS0_lPT4_lS4_li
    .private_segment_fixed_size: 0
    .sgpr_count:     44
    .sgpr_spill_count: 0
    .symbol:         _ZL32rocblas_gemvt_warp_reduce_kernelILb0ELi1024EiDF16_fDF16_EviiT3_lPKT2_lT1_lS3_lS4_lS0_lPT4_lS4_li.kd
    .uniform_work_group_size: 1
    .uses_dynamic_stack: false
    .vgpr_count:     21
    .vgpr_spill_count: 0
    .wavefront_size: 32
    .workgroup_processor_mode: 1
  - .args:
      - .offset:         0
        .size:           4
        .value_kind:     by_value
      - .offset:         4
        .size:           4
        .value_kind:     by_value
      - .offset:         8
        .size:           4
        .value_kind:     by_value
      - .offset:         16
        .size:           8
        .value_kind:     by_value
      - .address_space:  global
        .offset:         24
        .size:           8
        .value_kind:     global_buffer
      - .offset:         32
        .size:           8
        .value_kind:     by_value
      - .offset:         40
        .size:           8
        .value_kind:     by_value
      - .offset:         48
        .size:           8
        .value_kind:     by_value
      - .address_space:  global
        .offset:         56
        .size:           8
        .value_kind:     global_buffer
      - .offset:         64
        .size:           8
        .value_kind:     by_value
      - .offset:         72
        .size:           8
        .value_kind:     by_value
      - .offset:         80
        .size:           8
        .value_kind:     by_value
      - .offset:         88
        .size:           4
        .value_kind:     by_value
      - .offset:         96
        .size:           8
        .value_kind:     by_value
      - .address_space:  global
        .offset:         104
        .size:           8
        .value_kind:     global_buffer
      - .offset:         112
        .size:           8
        .value_kind:     by_value
      - .offset:         120
        .size:           8
        .value_kind:     by_value
      - .offset:         128
        .size:           8
        .value_kind:     by_value
      - .offset:         136
        .size:           4
        .value_kind:     by_value
    .group_segment_fixed_size: 128
    .kernarg_segment_align: 8
    .kernarg_segment_size: 140
    .language:       OpenCL C
    .language_version:
      - 2
      - 0
    .max_flat_workgroup_size: 1024
    .name:           _ZL32rocblas_gemvt_warp_reduce_kernelILb0ELi1024ElDF16_fDF16_EviiT3_lPKT2_lT1_lS3_lS4_lS0_lPT4_lS4_li
    .private_segment_fixed_size: 0
    .sgpr_count:     46
    .sgpr_spill_count: 0
    .symbol:         _ZL32rocblas_gemvt_warp_reduce_kernelILb0ELi1024ElDF16_fDF16_EviiT3_lPKT2_lT1_lS3_lS4_lS0_lPT4_lS4_li.kd
    .uniform_work_group_size: 1
    .uses_dynamic_stack: false
    .vgpr_count:     22
    .vgpr_spill_count: 0
    .wavefront_size: 32
    .workgroup_processor_mode: 1
  - .args:
      - .offset:         0
        .size:           4
        .value_kind:     by_value
      - .offset:         4
        .size:           4
        .value_kind:     by_value
      - .address_space:  global
        .offset:         8
        .size:           8
        .value_kind:     global_buffer
      - .offset:         16
        .size:           8
        .value_kind:     by_value
      - .address_space:  global
        .offset:         24
        .size:           8
        .value_kind:     global_buffer
      - .offset:         32
        .size:           8
        .value_kind:     by_value
      - .offset:         40
        .size:           4
        .value_kind:     by_value
      - .offset:         48
        .size:           8
        .value_kind:     by_value
      - .address_space:  global
        .offset:         56
        .size:           8
        .value_kind:     global_buffer
      - .offset:         64
        .size:           8
        .value_kind:     by_value
      - .offset:         72
        .size:           4
        .value_kind:     by_value
      - .offset:         80
        .size:           8
        .value_kind:     by_value
      - .address_space:  global
        .offset:         88
        .size:           8
        .value_kind:     global_buffer
      - .offset:         96
        .size:           8
        .value_kind:     by_value
      - .address_space:  global
        .offset:         104
        .size:           8
        .value_kind:     global_buffer
      - .offset:         112
        .size:           8
        .value_kind:     by_value
      - .offset:         120
        .size:           4
        .value_kind:     by_value
      - .offset:         128
        .size:           8
        .value_kind:     by_value
    .group_segment_fixed_size: 256
    .kernarg_segment_align: 8
    .kernarg_segment_size: 136
    .language:       OpenCL C
    .language_version:
      - 2
      - 0
    .max_flat_workgroup_size: 256
    .name:           _ZL22rocblas_gemvtsm_kernelILb1ELi256EDF16_PKfDF16_EviiT2_lPKT1_lilS5_lilS2_lPT3_lil
    .private_segment_fixed_size: 0
    .sgpr_count:     32
    .sgpr_spill_count: 0
    .symbol:         _ZL22rocblas_gemvtsm_kernelILb1ELi256EDF16_PKfDF16_EviiT2_lPKT1_lilS5_lilS2_lPT3_lil.kd
    .uniform_work_group_size: 1
    .uses_dynamic_stack: false
    .vgpr_count:     22
    .vgpr_spill_count: 0
    .wavefront_size: 32
    .workgroup_processor_mode: 1
  - .args:
      - .offset:         0
        .size:           4
        .value_kind:     by_value
      - .offset:         4
        .size:           4
        .value_kind:     by_value
      - .offset:         8
        .size:           4
        .value_kind:     by_value
      - .offset:         16
        .size:           8
        .value_kind:     by_value
      - .address_space:  global
        .offset:         24
        .size:           8
        .value_kind:     global_buffer
      - .offset:         32
        .size:           8
        .value_kind:     by_value
      - .offset:         40
        .size:           4
        .value_kind:     by_value
      - .offset:         48
        .size:           8
        .value_kind:     by_value
      - .address_space:  global
        .offset:         56
        .size:           8
        .value_kind:     global_buffer
      - .offset:         64
        .size:           8
        .value_kind:     by_value
      - .offset:         72
        .size:           4
        .value_kind:     by_value
      - .offset:         80
        .size:           8
        .value_kind:     by_value
      - .offset:         88
        .size:           4
        .value_kind:     by_value
      - .offset:         96
        .size:           8
        .value_kind:     by_value
      - .address_space:  global
        .offset:         104
        .size:           8
        .value_kind:     global_buffer
      - .offset:         112
        .size:           8
        .value_kind:     by_value
      - .offset:         120
        .size:           4
        .value_kind:     by_value
      - .offset:         128
        .size:           8
        .value_kind:     by_value
    .group_segment_fixed_size: 256
    .kernarg_segment_align: 8
    .kernarg_segment_size: 136
    .language:       OpenCL C
    .language_version:
      - 2
      - 0
    .max_flat_workgroup_size: 256
    .name:           _ZL22rocblas_gemvtsm_kernelILb1ELi256EDF16_fDF16_EviiT2_lPKT1_lilS3_lilS0_lPT3_lil
    .private_segment_fixed_size: 0
    .sgpr_count:     28
    .sgpr_spill_count: 0
    .symbol:         _ZL22rocblas_gemvtsm_kernelILb1ELi256EDF16_fDF16_EviiT2_lPKT1_lilS3_lilS0_lPT3_lil.kd
    .uniform_work_group_size: 1
    .uses_dynamic_stack: false
    .vgpr_count:     22
    .vgpr_spill_count: 0
    .wavefront_size: 32
    .workgroup_processor_mode: 1
  - .args:
      - .offset:         0
        .size:           4
        .value_kind:     by_value
      - .offset:         4
        .size:           4
        .value_kind:     by_value
      - .address_space:  global
        .offset:         8
        .size:           8
        .value_kind:     global_buffer
      - .offset:         16
        .size:           8
        .value_kind:     by_value
      - .address_space:  global
        .offset:         24
        .size:           8
        .value_kind:     global_buffer
      - .offset:         32
        .size:           8
        .value_kind:     by_value
      - .offset:         40
        .size:           4
        .value_kind:     by_value
      - .offset:         48
        .size:           8
        .value_kind:     by_value
      - .address_space:  global
        .offset:         56
        .size:           8
        .value_kind:     global_buffer
      - .offset:         64
        .size:           8
        .value_kind:     by_value
      - .offset:         72
        .size:           4
        .value_kind:     by_value
      - .offset:         80
        .size:           8
        .value_kind:     by_value
      - .address_space:  global
        .offset:         88
        .size:           8
        .value_kind:     global_buffer
      - .offset:         96
        .size:           4
        .value_kind:     by_value
      - .offset:         104
        .size:           4
        .value_kind:     hidden_block_count_x
      - .offset:         108
        .size:           4
        .value_kind:     hidden_block_count_y
      - .offset:         112
        .size:           4
        .value_kind:     hidden_block_count_z
      - .offset:         116
        .size:           2
        .value_kind:     hidden_group_size_x
      - .offset:         118
        .size:           2
        .value_kind:     hidden_group_size_y
      - .offset:         120
        .size:           2
        .value_kind:     hidden_group_size_z
      - .offset:         122
        .size:           2
        .value_kind:     hidden_remainder_x
      - .offset:         124
        .size:           2
        .value_kind:     hidden_remainder_y
      - .offset:         126
        .size:           2
        .value_kind:     hidden_remainder_z
      - .offset:         144
        .size:           8
        .value_kind:     hidden_global_offset_x
      - .offset:         152
        .size:           8
        .value_kind:     hidden_global_offset_y
      - .offset:         160
        .size:           8
        .value_kind:     hidden_global_offset_z
      - .offset:         168
        .size:           2
        .value_kind:     hidden_grid_dims
    .group_segment_fixed_size: 128
    .kernarg_segment_align: 8
    .kernarg_segment_size: 360
    .language:       OpenCL C
    .language_version:
      - 2
      - 0
    .max_flat_workgroup_size: 256
    .name:           _ZL23rocblas_gemvt_sn_kernelILb1ELi256ELi4EiDF16_PKffEviiT4_lPKT3_lilS5_lilPT5_i
    .private_segment_fixed_size: 0
    .sgpr_count:     80
    .sgpr_spill_count: 0
    .symbol:         _ZL23rocblas_gemvt_sn_kernelILb1ELi256ELi4EiDF16_PKffEviiT4_lPKT3_lilS5_lilPT5_i.kd
    .uniform_work_group_size: 1
    .uses_dynamic_stack: false
    .vgpr_count:     51
    .vgpr_spill_count: 0
    .wavefront_size: 32
    .workgroup_processor_mode: 1
  - .args:
      - .offset:         0
        .size:           4
        .value_kind:     by_value
      - .offset:         4
        .size:           4
        .value_kind:     by_value
      - .address_space:  global
        .offset:         8
        .size:           8
        .value_kind:     global_buffer
      - .offset:         16
        .size:           8
        .value_kind:     by_value
      - .address_space:  global
        .offset:         24
        .size:           8
        .value_kind:     global_buffer
      - .offset:         32
        .size:           8
        .value_kind:     by_value
      - .offset:         40
        .size:           4
        .value_kind:     by_value
      - .offset:         48
        .size:           8
        .value_kind:     by_value
      - .address_space:  global
        .offset:         56
        .size:           8
        .value_kind:     global_buffer
      - .offset:         64
        .size:           8
        .value_kind:     by_value
      - .offset:         72
        .size:           4
        .value_kind:     by_value
      - .offset:         80
        .size:           8
        .value_kind:     by_value
      - .address_space:  global
        .offset:         88
        .size:           8
        .value_kind:     global_buffer
      - .offset:         96
        .size:           4
        .value_kind:     by_value
      - .offset:         104
        .size:           4
        .value_kind:     hidden_block_count_x
      - .offset:         108
        .size:           4
        .value_kind:     hidden_block_count_y
      - .offset:         112
        .size:           4
        .value_kind:     hidden_block_count_z
      - .offset:         116
        .size:           2
        .value_kind:     hidden_group_size_x
      - .offset:         118
        .size:           2
        .value_kind:     hidden_group_size_y
      - .offset:         120
        .size:           2
        .value_kind:     hidden_group_size_z
      - .offset:         122
        .size:           2
        .value_kind:     hidden_remainder_x
      - .offset:         124
        .size:           2
        .value_kind:     hidden_remainder_y
      - .offset:         126
        .size:           2
        .value_kind:     hidden_remainder_z
      - .offset:         144
        .size:           8
        .value_kind:     hidden_global_offset_x
      - .offset:         152
        .size:           8
        .value_kind:     hidden_global_offset_y
      - .offset:         160
        .size:           8
        .value_kind:     hidden_global_offset_z
      - .offset:         168
        .size:           2
        .value_kind:     hidden_grid_dims
    .group_segment_fixed_size: 128
    .kernarg_segment_align: 8
    .kernarg_segment_size: 360
    .language:       OpenCL C
    .language_version:
      - 2
      - 0
    .max_flat_workgroup_size: 256
    .name:           _ZL23rocblas_gemvt_sn_kernelILb1ELi256ELi4ElDF16_PKffEviiT4_lPKT3_lilS5_lilPT5_i
    .private_segment_fixed_size: 0
    .sgpr_count:     74
    .sgpr_spill_count: 0
    .symbol:         _ZL23rocblas_gemvt_sn_kernelILb1ELi256ELi4ElDF16_PKffEviiT4_lPKT3_lilS5_lilPT5_i.kd
    .uniform_work_group_size: 1
    .uses_dynamic_stack: false
    .vgpr_count:     53
    .vgpr_spill_count: 0
    .wavefront_size: 32
    .workgroup_processor_mode: 1
  - .args:
      - .offset:         0
        .size:           4
        .value_kind:     by_value
      - .offset:         4
        .size:           4
        .value_kind:     by_value
      - .offset:         8
        .size:           4
        .value_kind:     by_value
      - .offset:         16
        .size:           8
        .value_kind:     by_value
      - .address_space:  global
        .offset:         24
        .size:           8
        .value_kind:     global_buffer
      - .offset:         32
        .size:           8
        .value_kind:     by_value
      - .offset:         40
        .size:           4
        .value_kind:     by_value
      - .offset:         48
        .size:           8
        .value_kind:     by_value
      - .address_space:  global
        .offset:         56
        .size:           8
        .value_kind:     global_buffer
      - .offset:         64
        .size:           8
        .value_kind:     by_value
      - .offset:         72
        .size:           4
        .value_kind:     by_value
      - .offset:         80
        .size:           8
        .value_kind:     by_value
      - .address_space:  global
        .offset:         88
        .size:           8
        .value_kind:     global_buffer
      - .offset:         96
        .size:           4
        .value_kind:     by_value
      - .offset:         104
        .size:           4
        .value_kind:     hidden_block_count_x
      - .offset:         108
        .size:           4
        .value_kind:     hidden_block_count_y
      - .offset:         112
        .size:           4
        .value_kind:     hidden_block_count_z
      - .offset:         116
        .size:           2
        .value_kind:     hidden_group_size_x
      - .offset:         118
        .size:           2
        .value_kind:     hidden_group_size_y
      - .offset:         120
        .size:           2
        .value_kind:     hidden_group_size_z
      - .offset:         122
        .size:           2
        .value_kind:     hidden_remainder_x
      - .offset:         124
        .size:           2
        .value_kind:     hidden_remainder_y
      - .offset:         126
        .size:           2
        .value_kind:     hidden_remainder_z
      - .offset:         144
        .size:           8
        .value_kind:     hidden_global_offset_x
      - .offset:         152
        .size:           8
        .value_kind:     hidden_global_offset_y
      - .offset:         160
        .size:           8
        .value_kind:     hidden_global_offset_z
      - .offset:         168
        .size:           2
        .value_kind:     hidden_grid_dims
    .group_segment_fixed_size: 128
    .kernarg_segment_align: 8
    .kernarg_segment_size: 360
    .language:       OpenCL C
    .language_version:
      - 2
      - 0
    .max_flat_workgroup_size: 256
    .name:           _ZL23rocblas_gemvt_sn_kernelILb1ELi256ELi4EiDF16_ffEviiT4_lPKT3_lilS3_lilPT5_i
    .private_segment_fixed_size: 0
    .sgpr_count:     78
    .sgpr_spill_count: 0
    .symbol:         _ZL23rocblas_gemvt_sn_kernelILb1ELi256ELi4EiDF16_ffEviiT4_lPKT3_lilS3_lilPT5_i.kd
    .uniform_work_group_size: 1
    .uses_dynamic_stack: false
    .vgpr_count:     50
    .vgpr_spill_count: 0
    .wavefront_size: 32
    .workgroup_processor_mode: 1
  - .args:
      - .offset:         0
        .size:           4
        .value_kind:     by_value
      - .offset:         4
        .size:           4
        .value_kind:     by_value
      - .offset:         8
        .size:           4
        .value_kind:     by_value
      - .offset:         16
        .size:           8
        .value_kind:     by_value
      - .address_space:  global
        .offset:         24
        .size:           8
        .value_kind:     global_buffer
      - .offset:         32
        .size:           8
        .value_kind:     by_value
      - .offset:         40
        .size:           4
        .value_kind:     by_value
      - .offset:         48
        .size:           8
        .value_kind:     by_value
      - .address_space:  global
        .offset:         56
        .size:           8
        .value_kind:     global_buffer
      - .offset:         64
        .size:           8
        .value_kind:     by_value
      - .offset:         72
        .size:           4
        .value_kind:     by_value
      - .offset:         80
        .size:           8
        .value_kind:     by_value
      - .address_space:  global
        .offset:         88
        .size:           8
        .value_kind:     global_buffer
      - .offset:         96
        .size:           4
        .value_kind:     by_value
      - .offset:         104
        .size:           4
        .value_kind:     hidden_block_count_x
      - .offset:         108
        .size:           4
        .value_kind:     hidden_block_count_y
      - .offset:         112
        .size:           4
        .value_kind:     hidden_block_count_z
      - .offset:         116
        .size:           2
        .value_kind:     hidden_group_size_x
      - .offset:         118
        .size:           2
        .value_kind:     hidden_group_size_y
      - .offset:         120
        .size:           2
        .value_kind:     hidden_group_size_z
      - .offset:         122
        .size:           2
        .value_kind:     hidden_remainder_x
      - .offset:         124
        .size:           2
        .value_kind:     hidden_remainder_y
      - .offset:         126
        .size:           2
        .value_kind:     hidden_remainder_z
      - .offset:         144
        .size:           8
        .value_kind:     hidden_global_offset_x
      - .offset:         152
        .size:           8
        .value_kind:     hidden_global_offset_y
      - .offset:         160
        .size:           8
        .value_kind:     hidden_global_offset_z
      - .offset:         168
        .size:           2
        .value_kind:     hidden_grid_dims
    .group_segment_fixed_size: 128
    .kernarg_segment_align: 8
    .kernarg_segment_size: 360
    .language:       OpenCL C
    .language_version:
      - 2
      - 0
    .max_flat_workgroup_size: 256
    .name:           _ZL23rocblas_gemvt_sn_kernelILb1ELi256ELi4ElDF16_ffEviiT4_lPKT3_lilS3_lilPT5_i
    .private_segment_fixed_size: 0
    .sgpr_count:     72
    .sgpr_spill_count: 0
    .symbol:         _ZL23rocblas_gemvt_sn_kernelILb1ELi256ELi4ElDF16_ffEviiT4_lPKT3_lilS3_lilPT5_i.kd
    .uniform_work_group_size: 1
    .uses_dynamic_stack: false
    .vgpr_count:     52
    .vgpr_spill_count: 0
    .wavefront_size: 32
    .workgroup_processor_mode: 1
  - .args:
      - .offset:         0
        .size:           4
        .value_kind:     by_value
      - .offset:         4
        .size:           4
        .value_kind:     by_value
      - .address_space:  global
        .offset:         8
        .size:           8
        .value_kind:     global_buffer
      - .offset:         16
        .size:           8
        .value_kind:     by_value
      - .address_space:  global
        .offset:         24
        .size:           8
        .value_kind:     global_buffer
      - .offset:         32
        .size:           8
        .value_kind:     by_value
      - .offset:         40
        .size:           4
        .value_kind:     by_value
      - .offset:         48
        .size:           8
        .value_kind:     by_value
      - .address_space:  global
        .offset:         56
        .size:           8
        .value_kind:     global_buffer
      - .offset:         64
        .size:           8
        .value_kind:     by_value
      - .offset:         72
        .size:           4
        .value_kind:     by_value
      - .offset:         80
        .size:           8
        .value_kind:     by_value
      - .address_space:  global
        .offset:         88
        .size:           8
        .value_kind:     global_buffer
      - .offset:         96
        .size:           8
        .value_kind:     by_value
      - .address_space:  global
        .offset:         104
        .size:           8
        .value_kind:     global_buffer
      - .offset:         112
        .size:           8
        .value_kind:     by_value
      - .offset:         120
        .size:           4
        .value_kind:     by_value
      - .offset:         128
        .size:           8
        .value_kind:     by_value
      - .offset:         136
        .size:           4
        .value_kind:     by_value
    .group_segment_fixed_size: 1024
    .kernarg_segment_align: 8
    .kernarg_segment_size: 140
    .language:       OpenCL C
    .language_version:
      - 2
      - 0
    .max_flat_workgroup_size: 256
    .name:           _ZL20rocblas_gemvt_kernelILb1ELi256EDF16_PKfDF16_EviiT2_lPKT1_lilS5_lilS2_lPT3_lili
    .private_segment_fixed_size: 0
    .sgpr_count:     54
    .sgpr_spill_count: 0
    .symbol:         _ZL20rocblas_gemvt_kernelILb1ELi256EDF16_PKfDF16_EviiT2_lPKT1_lilS5_lilS2_lPT3_lili.kd
    .uniform_work_group_size: 1
    .uses_dynamic_stack: false
    .vgpr_count:     18
    .vgpr_spill_count: 0
    .wavefront_size: 32
    .workgroup_processor_mode: 1
  - .args:
      - .offset:         0
        .size:           4
        .value_kind:     by_value
      - .offset:         4
        .size:           4
        .value_kind:     by_value
      - .offset:         8
        .size:           4
        .value_kind:     by_value
      - .offset:         16
        .size:           8
        .value_kind:     by_value
      - .address_space:  global
        .offset:         24
        .size:           8
        .value_kind:     global_buffer
      - .offset:         32
        .size:           8
        .value_kind:     by_value
      - .offset:         40
        .size:           4
        .value_kind:     by_value
      - .offset:         48
        .size:           8
        .value_kind:     by_value
      - .address_space:  global
        .offset:         56
        .size:           8
        .value_kind:     global_buffer
      - .offset:         64
        .size:           8
        .value_kind:     by_value
      - .offset:         72
        .size:           4
        .value_kind:     by_value
      - .offset:         80
        .size:           8
        .value_kind:     by_value
      - .offset:         88
        .size:           4
        .value_kind:     by_value
      - .offset:         96
        .size:           8
        .value_kind:     by_value
      - .address_space:  global
        .offset:         104
        .size:           8
        .value_kind:     global_buffer
      - .offset:         112
        .size:           8
        .value_kind:     by_value
      - .offset:         120
        .size:           4
        .value_kind:     by_value
      - .offset:         128
        .size:           8
        .value_kind:     by_value
      - .offset:         136
        .size:           4
        .value_kind:     by_value
    .group_segment_fixed_size: 1024
    .kernarg_segment_align: 8
    .kernarg_segment_size: 140
    .language:       OpenCL C
    .language_version:
      - 2
      - 0
    .max_flat_workgroup_size: 256
    .name:           _ZL20rocblas_gemvt_kernelILb1ELi256EDF16_fDF16_EviiT2_lPKT1_lilS3_lilS0_lPT3_lili
    .private_segment_fixed_size: 0
    .sgpr_count:     50
    .sgpr_spill_count: 0
    .symbol:         _ZL20rocblas_gemvt_kernelILb1ELi256EDF16_fDF16_EviiT2_lPKT1_lilS3_lilS0_lPT3_lili.kd
    .uniform_work_group_size: 1
    .uses_dynamic_stack: false
    .vgpr_count:     17
    .vgpr_spill_count: 0
    .wavefront_size: 32
    .workgroup_processor_mode: 1
  - .args:
      - .offset:         0
        .size:           4
        .value_kind:     by_value
      - .offset:         4
        .size:           4
        .value_kind:     by_value
      - .address_space:  global
        .offset:         8
        .size:           8
        .value_kind:     global_buffer
      - .offset:         16
        .size:           8
        .value_kind:     by_value
      - .address_space:  global
        .offset:         24
        .size:           8
        .value_kind:     global_buffer
      - .offset:         32
        .size:           8
        .value_kind:     by_value
      - .offset:         40
        .size:           4
        .value_kind:     by_value
      - .offset:         48
        .size:           8
        .value_kind:     by_value
      - .address_space:  global
        .offset:         56
        .size:           8
        .value_kind:     global_buffer
      - .offset:         64
        .size:           8
        .value_kind:     by_value
      - .offset:         72
        .size:           4
        .value_kind:     by_value
      - .offset:         80
        .size:           8
        .value_kind:     by_value
      - .address_space:  global
        .offset:         88
        .size:           8
        .value_kind:     global_buffer
      - .offset:         96
        .size:           8
        .value_kind:     by_value
      - .address_space:  global
        .offset:         104
        .size:           8
        .value_kind:     global_buffer
      - .offset:         112
        .size:           8
        .value_kind:     by_value
      - .offset:         120
        .size:           4
        .value_kind:     by_value
      - .offset:         128
        .size:           8
        .value_kind:     by_value
      - .offset:         136
        .size:           4
        .value_kind:     by_value
    .group_segment_fixed_size: 128
    .kernarg_segment_align: 8
    .kernarg_segment_size: 140
    .language:       OpenCL C
    .language_version:
      - 2
      - 0
    .max_flat_workgroup_size: 1024
    .name:           _ZL32rocblas_gemvt_warp_reduce_kernelILb1ELi1024EiDF16_PKfDF16_EviiT3_lPKT2_lT1_lS5_lS6_lS2_lPT4_lS6_li
    .private_segment_fixed_size: 0
    .sgpr_count:     46
    .sgpr_spill_count: 0
    .symbol:         _ZL32rocblas_gemvt_warp_reduce_kernelILb1ELi1024EiDF16_PKfDF16_EviiT3_lPKT2_lT1_lS5_lS6_lS2_lPT4_lS6_li.kd
    .uniform_work_group_size: 1
    .uses_dynamic_stack: false
    .vgpr_count:     22
    .vgpr_spill_count: 0
    .wavefront_size: 32
    .workgroup_processor_mode: 1
  - .args:
      - .offset:         0
        .size:           4
        .value_kind:     by_value
      - .offset:         4
        .size:           4
        .value_kind:     by_value
      - .address_space:  global
        .offset:         8
        .size:           8
        .value_kind:     global_buffer
      - .offset:         16
        .size:           8
        .value_kind:     by_value
      - .address_space:  global
        .offset:         24
        .size:           8
        .value_kind:     global_buffer
      - .offset:         32
        .size:           8
        .value_kind:     by_value
      - .offset:         40
        .size:           8
        .value_kind:     by_value
      - .offset:         48
        .size:           8
        .value_kind:     by_value
      - .address_space:  global
        .offset:         56
        .size:           8
        .value_kind:     global_buffer
      - .offset:         64
        .size:           8
        .value_kind:     by_value
      - .offset:         72
        .size:           8
        .value_kind:     by_value
      - .offset:         80
        .size:           8
        .value_kind:     by_value
      - .address_space:  global
        .offset:         88
        .size:           8
        .value_kind:     global_buffer
      - .offset:         96
        .size:           8
        .value_kind:     by_value
      - .address_space:  global
        .offset:         104
        .size:           8
        .value_kind:     global_buffer
      - .offset:         112
        .size:           8
        .value_kind:     by_value
      - .offset:         120
        .size:           8
        .value_kind:     by_value
      - .offset:         128
        .size:           8
        .value_kind:     by_value
      - .offset:         136
        .size:           4
        .value_kind:     by_value
    .group_segment_fixed_size: 128
    .kernarg_segment_align: 8
    .kernarg_segment_size: 140
    .language:       OpenCL C
    .language_version:
      - 2
      - 0
    .max_flat_workgroup_size: 1024
    .name:           _ZL32rocblas_gemvt_warp_reduce_kernelILb1ELi1024ElDF16_PKfDF16_EviiT3_lPKT2_lT1_lS5_lS6_lS2_lPT4_lS6_li
    .private_segment_fixed_size: 0
    .sgpr_count:     54
    .sgpr_spill_count: 0
    .symbol:         _ZL32rocblas_gemvt_warp_reduce_kernelILb1ELi1024ElDF16_PKfDF16_EviiT3_lPKT2_lT1_lS5_lS6_lS2_lPT4_lS6_li.kd
    .uniform_work_group_size: 1
    .uses_dynamic_stack: false
    .vgpr_count:     23
    .vgpr_spill_count: 0
    .wavefront_size: 32
    .workgroup_processor_mode: 1
  - .args:
      - .offset:         0
        .size:           4
        .value_kind:     by_value
      - .offset:         4
        .size:           4
        .value_kind:     by_value
      - .offset:         8
        .size:           4
        .value_kind:     by_value
      - .offset:         16
        .size:           8
        .value_kind:     by_value
      - .address_space:  global
        .offset:         24
        .size:           8
        .value_kind:     global_buffer
      - .offset:         32
        .size:           8
        .value_kind:     by_value
      - .offset:         40
        .size:           4
        .value_kind:     by_value
      - .offset:         48
        .size:           8
        .value_kind:     by_value
      - .address_space:  global
        .offset:         56
        .size:           8
        .value_kind:     global_buffer
      - .offset:         64
        .size:           8
        .value_kind:     by_value
      - .offset:         72
        .size:           4
        .value_kind:     by_value
      - .offset:         80
        .size:           8
        .value_kind:     by_value
      - .offset:         88
        .size:           4
        .value_kind:     by_value
      - .offset:         96
        .size:           8
        .value_kind:     by_value
      - .address_space:  global
        .offset:         104
        .size:           8
        .value_kind:     global_buffer
      - .offset:         112
        .size:           8
        .value_kind:     by_value
      - .offset:         120
        .size:           4
        .value_kind:     by_value
      - .offset:         128
        .size:           8
        .value_kind:     by_value
      - .offset:         136
        .size:           4
        .value_kind:     by_value
    .group_segment_fixed_size: 128
    .kernarg_segment_align: 8
    .kernarg_segment_size: 140
    .language:       OpenCL C
    .language_version:
      - 2
      - 0
    .max_flat_workgroup_size: 1024
    .name:           _ZL32rocblas_gemvt_warp_reduce_kernelILb1ELi1024EiDF16_fDF16_EviiT3_lPKT2_lT1_lS3_lS4_lS0_lPT4_lS4_li
    .private_segment_fixed_size: 0
    .sgpr_count:     44
    .sgpr_spill_count: 0
    .symbol:         _ZL32rocblas_gemvt_warp_reduce_kernelILb1ELi1024EiDF16_fDF16_EviiT3_lPKT2_lT1_lS3_lS4_lS0_lPT4_lS4_li.kd
    .uniform_work_group_size: 1
    .uses_dynamic_stack: false
    .vgpr_count:     21
    .vgpr_spill_count: 0
    .wavefront_size: 32
    .workgroup_processor_mode: 1
  - .args:
      - .offset:         0
        .size:           4
        .value_kind:     by_value
      - .offset:         4
        .size:           4
        .value_kind:     by_value
      - .offset:         8
        .size:           4
        .value_kind:     by_value
      - .offset:         16
        .size:           8
        .value_kind:     by_value
      - .address_space:  global
        .offset:         24
        .size:           8
        .value_kind:     global_buffer
      - .offset:         32
        .size:           8
        .value_kind:     by_value
      - .offset:         40
        .size:           8
        .value_kind:     by_value
      - .offset:         48
        .size:           8
        .value_kind:     by_value
      - .address_space:  global
        .offset:         56
        .size:           8
        .value_kind:     global_buffer
      - .offset:         64
        .size:           8
        .value_kind:     by_value
      - .offset:         72
        .size:           8
        .value_kind:     by_value
      - .offset:         80
        .size:           8
        .value_kind:     by_value
      - .offset:         88
        .size:           4
        .value_kind:     by_value
      - .offset:         96
        .size:           8
        .value_kind:     by_value
      - .address_space:  global
        .offset:         104
        .size:           8
        .value_kind:     global_buffer
      - .offset:         112
        .size:           8
        .value_kind:     by_value
      - .offset:         120
        .size:           8
        .value_kind:     by_value
      - .offset:         128
        .size:           8
        .value_kind:     by_value
      - .offset:         136
        .size:           4
        .value_kind:     by_value
    .group_segment_fixed_size: 128
    .kernarg_segment_align: 8
    .kernarg_segment_size: 140
    .language:       OpenCL C
    .language_version:
      - 2
      - 0
    .max_flat_workgroup_size: 1024
    .name:           _ZL32rocblas_gemvt_warp_reduce_kernelILb1ELi1024ElDF16_fDF16_EviiT3_lPKT2_lT1_lS3_lS4_lS0_lPT4_lS4_li
    .private_segment_fixed_size: 0
    .sgpr_count:     46
    .sgpr_spill_count: 0
    .symbol:         _ZL32rocblas_gemvt_warp_reduce_kernelILb1ELi1024ElDF16_fDF16_EviiT3_lPKT2_lT1_lS3_lS4_lS0_lPT4_lS4_li.kd
    .uniform_work_group_size: 1
    .uses_dynamic_stack: false
    .vgpr_count:     22
    .vgpr_spill_count: 0
    .wavefront_size: 32
    .workgroup_processor_mode: 1
  - .args:
      - .offset:         0
        .size:           4
        .value_kind:     by_value
      - .offset:         4
        .size:           4
        .value_kind:     by_value
      - .address_space:  global
        .offset:         8
        .size:           8
        .value_kind:     global_buffer
      - .offset:         16
        .size:           8
        .value_kind:     by_value
      - .address_space:  global
        .offset:         24
        .size:           8
        .value_kind:     global_buffer
      - .offset:         32
        .size:           8
        .value_kind:     by_value
      - .offset:         40
        .size:           4
        .value_kind:     by_value
      - .offset:         48
        .size:           8
        .value_kind:     by_value
      - .address_space:  global
        .offset:         56
        .size:           8
        .value_kind:     global_buffer
      - .offset:         64
        .size:           8
        .value_kind:     by_value
      - .offset:         72
        .size:           4
        .value_kind:     by_value
      - .offset:         80
        .size:           8
        .value_kind:     by_value
      - .address_space:  global
        .offset:         88
        .size:           8
        .value_kind:     global_buffer
      - .offset:         96
        .size:           8
        .value_kind:     by_value
      - .address_space:  global
        .offset:         104
        .size:           8
        .value_kind:     global_buffer
      - .offset:         112
        .size:           8
        .value_kind:     by_value
      - .offset:         120
        .size:           4
        .value_kind:     by_value
      - .offset:         128
        .size:           8
        .value_kind:     by_value
      - .offset:         136
        .size:           4
        .value_kind:     by_value
    .group_segment_fixed_size: 0
    .kernarg_segment_align: 8
    .kernarg_segment_size: 140
    .language:       OpenCL C
    .language_version:
      - 2
      - 0
    .max_flat_workgroup_size: 768
    .name:           _ZL34rocblas_gemvn_sm_mn_batched_kernelILi32ELi24EPKDF16_PKfKPDF16_EviiT2_lPKT1_lilS9_lilS6_lPT3_lili
    .private_segment_fixed_size: 0
    .sgpr_count:     0
    .sgpr_spill_count: 0
    .symbol:         _ZL34rocblas_gemvn_sm_mn_batched_kernelILi32ELi24EPKDF16_PKfKPDF16_EviiT2_lPKT1_lilS9_lilS6_lPT3_lili.kd
    .uniform_work_group_size: 1
    .uses_dynamic_stack: false
    .vgpr_count:     0
    .vgpr_spill_count: 0
    .wavefront_size: 32
    .workgroup_processor_mode: 1
  - .args:
      - .offset:         0
        .size:           4
        .value_kind:     by_value
      - .offset:         4
        .size:           4
        .value_kind:     by_value
      - .offset:         8
        .size:           4
        .value_kind:     by_value
      - .offset:         16
        .size:           8
        .value_kind:     by_value
      - .address_space:  global
        .offset:         24
        .size:           8
        .value_kind:     global_buffer
      - .offset:         32
        .size:           8
        .value_kind:     by_value
      - .offset:         40
        .size:           4
        .value_kind:     by_value
      - .offset:         48
        .size:           8
        .value_kind:     by_value
      - .address_space:  global
        .offset:         56
        .size:           8
        .value_kind:     global_buffer
      - .offset:         64
        .size:           8
        .value_kind:     by_value
      - .offset:         72
        .size:           4
        .value_kind:     by_value
      - .offset:         80
        .size:           8
        .value_kind:     by_value
      - .offset:         88
        .size:           4
        .value_kind:     by_value
      - .offset:         96
        .size:           8
        .value_kind:     by_value
      - .address_space:  global
        .offset:         104
        .size:           8
        .value_kind:     global_buffer
      - .offset:         112
        .size:           8
        .value_kind:     by_value
      - .offset:         120
        .size:           4
        .value_kind:     by_value
      - .offset:         128
        .size:           8
        .value_kind:     by_value
      - .offset:         136
        .size:           4
        .value_kind:     by_value
    .group_segment_fixed_size: 0
    .kernarg_segment_align: 8
    .kernarg_segment_size: 140
    .language:       OpenCL C
    .language_version:
      - 2
      - 0
    .max_flat_workgroup_size: 768
    .name:           _ZL34rocblas_gemvn_sm_mn_batched_kernelILi32ELi24EPKDF16_fKPDF16_EviiT2_lPKT1_lilS7_lilS4_lPT3_lili
    .private_segment_fixed_size: 0
    .sgpr_count:     0
    .sgpr_spill_count: 0
    .symbol:         _ZL34rocblas_gemvn_sm_mn_batched_kernelILi32ELi24EPKDF16_fKPDF16_EviiT2_lPKT1_lilS7_lilS4_lPT3_lili.kd
    .uniform_work_group_size: 1
    .uses_dynamic_stack: false
    .vgpr_count:     0
    .vgpr_spill_count: 0
    .wavefront_size: 32
    .workgroup_processor_mode: 1
  - .args:
      - .offset:         0
        .size:           4
        .value_kind:     by_value
      - .offset:         4
        .size:           4
        .value_kind:     by_value
      - .address_space:  global
        .offset:         8
        .size:           8
        .value_kind:     global_buffer
      - .offset:         16
        .size:           8
        .value_kind:     by_value
      - .address_space:  global
        .offset:         24
        .size:           8
        .value_kind:     global_buffer
      - .offset:         32
        .size:           8
        .value_kind:     by_value
      - .offset:         40
        .size:           4
        .value_kind:     by_value
      - .offset:         48
        .size:           8
        .value_kind:     by_value
      - .address_space:  global
        .offset:         56
        .size:           8
        .value_kind:     global_buffer
      - .offset:         64
        .size:           8
        .value_kind:     by_value
      - .offset:         72
        .size:           4
        .value_kind:     by_value
      - .offset:         80
        .size:           8
        .value_kind:     by_value
      - .address_space:  global
        .offset:         88
        .size:           8
        .value_kind:     global_buffer
      - .offset:         96
        .size:           8
        .value_kind:     by_value
      - .address_space:  global
        .offset:         104
        .size:           8
        .value_kind:     global_buffer
      - .offset:         112
        .size:           8
        .value_kind:     by_value
      - .offset:         120
        .size:           4
        .value_kind:     by_value
      - .offset:         128
        .size:           8
        .value_kind:     by_value
      - .offset:         136
        .size:           4
        .value_kind:     by_value
      - .offset:         144
        .size:           4
        .value_kind:     hidden_block_count_x
      - .offset:         148
        .size:           4
        .value_kind:     hidden_block_count_y
      - .offset:         152
        .size:           4
        .value_kind:     hidden_block_count_z
      - .offset:         156
        .size:           2
        .value_kind:     hidden_group_size_x
      - .offset:         158
        .size:           2
        .value_kind:     hidden_group_size_y
      - .offset:         160
        .size:           2
        .value_kind:     hidden_group_size_z
      - .offset:         162
        .size:           2
        .value_kind:     hidden_remainder_x
      - .offset:         164
        .size:           2
        .value_kind:     hidden_remainder_y
      - .offset:         166
        .size:           2
        .value_kind:     hidden_remainder_z
      - .offset:         184
        .size:           8
        .value_kind:     hidden_global_offset_x
      - .offset:         192
        .size:           8
        .value_kind:     hidden_global_offset_y
      - .offset:         200
        .size:           8
        .value_kind:     hidden_global_offset_z
      - .offset:         208
        .size:           2
        .value_kind:     hidden_grid_dims
    .group_segment_fixed_size: 4096
    .kernarg_segment_align: 8
    .kernarg_segment_size: 400
    .language:       OpenCL C
    .language_version:
      - 2
      - 0
    .max_flat_workgroup_size: 256
    .name:           _ZL20rocblas_gemvn_kernelILi64ELi4EiPKDF16_PKfKPDF16_EviiT3_lPKT2_lT1_lS9_lSA_lS6_lPT4_lSA_li
    .private_segment_fixed_size: 0
    .sgpr_count:     51
    .sgpr_spill_count: 0
    .symbol:         _ZL20rocblas_gemvn_kernelILi64ELi4EiPKDF16_PKfKPDF16_EviiT3_lPKT2_lT1_lS9_lSA_lS6_lPT4_lSA_li.kd
    .uniform_work_group_size: 1
    .uses_dynamic_stack: false
    .vgpr_count:     63
    .vgpr_spill_count: 0
    .wavefront_size: 32
    .workgroup_processor_mode: 1
  - .args:
      - .offset:         0
        .size:           4
        .value_kind:     by_value
      - .offset:         4
        .size:           4
        .value_kind:     by_value
      - .address_space:  global
        .offset:         8
        .size:           8
        .value_kind:     global_buffer
      - .offset:         16
        .size:           8
        .value_kind:     by_value
      - .address_space:  global
        .offset:         24
        .size:           8
        .value_kind:     global_buffer
      - .offset:         32
        .size:           8
        .value_kind:     by_value
      - .offset:         40
        .size:           8
        .value_kind:     by_value
      - .offset:         48
        .size:           8
        .value_kind:     by_value
      - .address_space:  global
        .offset:         56
        .size:           8
        .value_kind:     global_buffer
      - .offset:         64
        .size:           8
        .value_kind:     by_value
      - .offset:         72
        .size:           8
        .value_kind:     by_value
      - .offset:         80
        .size:           8
        .value_kind:     by_value
      - .address_space:  global
        .offset:         88
        .size:           8
        .value_kind:     global_buffer
      - .offset:         96
        .size:           8
        .value_kind:     by_value
      - .address_space:  global
        .offset:         104
        .size:           8
        .value_kind:     global_buffer
      - .offset:         112
        .size:           8
        .value_kind:     by_value
      - .offset:         120
        .size:           8
        .value_kind:     by_value
      - .offset:         128
        .size:           8
        .value_kind:     by_value
      - .offset:         136
        .size:           4
        .value_kind:     by_value
      - .offset:         144
        .size:           4
        .value_kind:     hidden_block_count_x
      - .offset:         148
        .size:           4
        .value_kind:     hidden_block_count_y
      - .offset:         152
        .size:           4
        .value_kind:     hidden_block_count_z
      - .offset:         156
        .size:           2
        .value_kind:     hidden_group_size_x
      - .offset:         158
        .size:           2
        .value_kind:     hidden_group_size_y
      - .offset:         160
        .size:           2
        .value_kind:     hidden_group_size_z
      - .offset:         162
        .size:           2
        .value_kind:     hidden_remainder_x
      - .offset:         164
        .size:           2
        .value_kind:     hidden_remainder_y
      - .offset:         166
        .size:           2
        .value_kind:     hidden_remainder_z
      - .offset:         184
        .size:           8
        .value_kind:     hidden_global_offset_x
      - .offset:         192
        .size:           8
        .value_kind:     hidden_global_offset_y
      - .offset:         200
        .size:           8
        .value_kind:     hidden_global_offset_z
      - .offset:         208
        .size:           2
        .value_kind:     hidden_grid_dims
    .group_segment_fixed_size: 4096
    .kernarg_segment_align: 8
    .kernarg_segment_size: 400
    .language:       OpenCL C
    .language_version:
      - 2
      - 0
    .max_flat_workgroup_size: 256
    .name:           _ZL20rocblas_gemvn_kernelILi64ELi4ElPKDF16_PKfKPDF16_EviiT3_lPKT2_lT1_lS9_lSA_lS6_lPT4_lSA_li
    .private_segment_fixed_size: 0
    .sgpr_count:     53
    .sgpr_spill_count: 0
    .symbol:         _ZL20rocblas_gemvn_kernelILi64ELi4ElPKDF16_PKfKPDF16_EviiT3_lPKT2_lT1_lS9_lSA_lS6_lPT4_lSA_li.kd
    .uniform_work_group_size: 1
    .uses_dynamic_stack: false
    .vgpr_count:     78
    .vgpr_spill_count: 0
    .wavefront_size: 32
    .workgroup_processor_mode: 1
  - .args:
      - .offset:         0
        .size:           4
        .value_kind:     by_value
      - .offset:         4
        .size:           4
        .value_kind:     by_value
      - .offset:         8
        .size:           4
        .value_kind:     by_value
      - .offset:         16
        .size:           8
        .value_kind:     by_value
      - .address_space:  global
        .offset:         24
        .size:           8
        .value_kind:     global_buffer
      - .offset:         32
        .size:           8
        .value_kind:     by_value
      - .offset:         40
        .size:           4
        .value_kind:     by_value
      - .offset:         48
        .size:           8
        .value_kind:     by_value
      - .address_space:  global
        .offset:         56
        .size:           8
        .value_kind:     global_buffer
      - .offset:         64
        .size:           8
        .value_kind:     by_value
      - .offset:         72
        .size:           4
        .value_kind:     by_value
      - .offset:         80
        .size:           8
        .value_kind:     by_value
      - .offset:         88
        .size:           4
        .value_kind:     by_value
      - .offset:         96
        .size:           8
        .value_kind:     by_value
      - .address_space:  global
        .offset:         104
        .size:           8
        .value_kind:     global_buffer
      - .offset:         112
        .size:           8
        .value_kind:     by_value
      - .offset:         120
        .size:           4
        .value_kind:     by_value
      - .offset:         128
        .size:           8
        .value_kind:     by_value
      - .offset:         136
        .size:           4
        .value_kind:     by_value
      - .offset:         144
        .size:           4
        .value_kind:     hidden_block_count_x
      - .offset:         148
        .size:           4
        .value_kind:     hidden_block_count_y
      - .offset:         152
        .size:           4
        .value_kind:     hidden_block_count_z
      - .offset:         156
        .size:           2
        .value_kind:     hidden_group_size_x
      - .offset:         158
        .size:           2
        .value_kind:     hidden_group_size_y
      - .offset:         160
        .size:           2
        .value_kind:     hidden_group_size_z
      - .offset:         162
        .size:           2
        .value_kind:     hidden_remainder_x
      - .offset:         164
        .size:           2
        .value_kind:     hidden_remainder_y
      - .offset:         166
        .size:           2
        .value_kind:     hidden_remainder_z
      - .offset:         184
        .size:           8
        .value_kind:     hidden_global_offset_x
      - .offset:         192
        .size:           8
        .value_kind:     hidden_global_offset_y
      - .offset:         200
        .size:           8
        .value_kind:     hidden_global_offset_z
      - .offset:         208
        .size:           2
        .value_kind:     hidden_grid_dims
    .group_segment_fixed_size: 4096
    .kernarg_segment_align: 8
    .kernarg_segment_size: 400
    .language:       OpenCL C
    .language_version:
      - 2
      - 0
    .max_flat_workgroup_size: 256
    .name:           _ZL20rocblas_gemvn_kernelILi64ELi4EiPKDF16_fKPDF16_EviiT3_lPKT2_lT1_lS7_lS8_lS4_lPT4_lS8_li
    .private_segment_fixed_size: 0
    .sgpr_count:     47
    .sgpr_spill_count: 0
    .symbol:         _ZL20rocblas_gemvn_kernelILi64ELi4EiPKDF16_fKPDF16_EviiT3_lPKT2_lT1_lS7_lS8_lS4_lPT4_lS8_li.kd
    .uniform_work_group_size: 1
    .uses_dynamic_stack: false
    .vgpr_count:     63
    .vgpr_spill_count: 0
    .wavefront_size: 32
    .workgroup_processor_mode: 1
  - .args:
      - .offset:         0
        .size:           4
        .value_kind:     by_value
      - .offset:         4
        .size:           4
        .value_kind:     by_value
      - .offset:         8
        .size:           4
        .value_kind:     by_value
      - .offset:         16
        .size:           8
        .value_kind:     by_value
      - .address_space:  global
        .offset:         24
        .size:           8
        .value_kind:     global_buffer
      - .offset:         32
        .size:           8
        .value_kind:     by_value
      - .offset:         40
        .size:           8
        .value_kind:     by_value
      - .offset:         48
        .size:           8
        .value_kind:     by_value
      - .address_space:  global
        .offset:         56
        .size:           8
        .value_kind:     global_buffer
      - .offset:         64
        .size:           8
        .value_kind:     by_value
      - .offset:         72
        .size:           8
        .value_kind:     by_value
      - .offset:         80
        .size:           8
        .value_kind:     by_value
      - .offset:         88
        .size:           4
        .value_kind:     by_value
      - .offset:         96
        .size:           8
        .value_kind:     by_value
      - .address_space:  global
        .offset:         104
        .size:           8
        .value_kind:     global_buffer
      - .offset:         112
        .size:           8
        .value_kind:     by_value
      - .offset:         120
        .size:           8
        .value_kind:     by_value
      - .offset:         128
        .size:           8
        .value_kind:     by_value
      - .offset:         136
        .size:           4
        .value_kind:     by_value
      - .offset:         144
        .size:           4
        .value_kind:     hidden_block_count_x
      - .offset:         148
        .size:           4
        .value_kind:     hidden_block_count_y
      - .offset:         152
        .size:           4
        .value_kind:     hidden_block_count_z
      - .offset:         156
        .size:           2
        .value_kind:     hidden_group_size_x
      - .offset:         158
        .size:           2
        .value_kind:     hidden_group_size_y
      - .offset:         160
        .size:           2
        .value_kind:     hidden_group_size_z
      - .offset:         162
        .size:           2
        .value_kind:     hidden_remainder_x
      - .offset:         164
        .size:           2
        .value_kind:     hidden_remainder_y
      - .offset:         166
        .size:           2
        .value_kind:     hidden_remainder_z
      - .offset:         184
        .size:           8
        .value_kind:     hidden_global_offset_x
      - .offset:         192
        .size:           8
        .value_kind:     hidden_global_offset_y
      - .offset:         200
        .size:           8
        .value_kind:     hidden_global_offset_z
      - .offset:         208
        .size:           2
        .value_kind:     hidden_grid_dims
    .group_segment_fixed_size: 4096
    .kernarg_segment_align: 8
    .kernarg_segment_size: 400
    .language:       OpenCL C
    .language_version:
      - 2
      - 0
    .max_flat_workgroup_size: 256
    .name:           _ZL20rocblas_gemvn_kernelILi64ELi4ElPKDF16_fKPDF16_EviiT3_lPKT2_lT1_lS7_lS8_lS4_lPT4_lS8_li
    .private_segment_fixed_size: 0
    .sgpr_count:     49
    .sgpr_spill_count: 0
    .symbol:         _ZL20rocblas_gemvn_kernelILi64ELi4ElPKDF16_fKPDF16_EviiT3_lPKT2_lT1_lS7_lS8_lS4_lPT4_lS8_li.kd
    .uniform_work_group_size: 1
    .uses_dynamic_stack: false
    .vgpr_count:     78
    .vgpr_spill_count: 0
    .wavefront_size: 32
    .workgroup_processor_mode: 1
  - .args:
      - .offset:         0
        .size:           4
        .value_kind:     by_value
      - .offset:         4
        .size:           4
        .value_kind:     by_value
      - .address_space:  global
        .offset:         8
        .size:           8
        .value_kind:     global_buffer
      - .offset:         16
        .size:           8
        .value_kind:     by_value
      - .address_space:  global
        .offset:         24
        .size:           8
        .value_kind:     global_buffer
      - .offset:         32
        .size:           8
        .value_kind:     by_value
      - .offset:         40
        .size:           4
        .value_kind:     by_value
      - .offset:         48
        .size:           8
        .value_kind:     by_value
      - .address_space:  global
        .offset:         56
        .size:           8
        .value_kind:     global_buffer
      - .offset:         64
        .size:           8
        .value_kind:     by_value
      - .offset:         72
        .size:           4
        .value_kind:     by_value
      - .offset:         80
        .size:           8
        .value_kind:     by_value
      - .address_space:  global
        .offset:         88
        .size:           8
        .value_kind:     global_buffer
      - .offset:         96
        .size:           8
        .value_kind:     by_value
      - .address_space:  global
        .offset:         104
        .size:           8
        .value_kind:     global_buffer
      - .offset:         112
        .size:           8
        .value_kind:     by_value
      - .offset:         120
        .size:           4
        .value_kind:     by_value
      - .offset:         128
        .size:           8
        .value_kind:     by_value
      - .offset:         136
        .size:           4
        .value_kind:     by_value
      - .offset:         144
        .size:           4
        .value_kind:     hidden_block_count_x
      - .offset:         148
        .size:           4
        .value_kind:     hidden_block_count_y
      - .offset:         152
        .size:           4
        .value_kind:     hidden_block_count_z
      - .offset:         156
        .size:           2
        .value_kind:     hidden_group_size_x
      - .offset:         158
        .size:           2
        .value_kind:     hidden_group_size_y
      - .offset:         160
        .size:           2
        .value_kind:     hidden_group_size_z
      - .offset:         162
        .size:           2
        .value_kind:     hidden_remainder_x
      - .offset:         164
        .size:           2
        .value_kind:     hidden_remainder_y
      - .offset:         166
        .size:           2
        .value_kind:     hidden_remainder_z
      - .offset:         184
        .size:           8
        .value_kind:     hidden_global_offset_x
      - .offset:         192
        .size:           8
        .value_kind:     hidden_global_offset_y
      - .offset:         200
        .size:           8
        .value_kind:     hidden_global_offset_z
      - .offset:         208
        .size:           2
        .value_kind:     hidden_grid_dims
    .group_segment_fixed_size: 8192
    .kernarg_segment_align: 8
    .kernarg_segment_size: 400
    .language:       OpenCL C
    .language_version:
      - 2
      - 0
    .max_flat_workgroup_size: 512
    .name:           _ZL20rocblas_gemvn_kernelILi32ELi16EiPKDF16_PKfKPDF16_EviiT3_lPKT2_lT1_lS9_lSA_lS6_lPT4_lSA_li
    .private_segment_fixed_size: 0
    .sgpr_count:     51
    .sgpr_spill_count: 0
    .symbol:         _ZL20rocblas_gemvn_kernelILi32ELi16EiPKDF16_PKfKPDF16_EviiT3_lPKT2_lT1_lS9_lSA_lS6_lPT4_lSA_li.kd
    .uniform_work_group_size: 1
    .uses_dynamic_stack: false
    .vgpr_count:     65
    .vgpr_spill_count: 0
    .wavefront_size: 32
    .workgroup_processor_mode: 1
  - .args:
      - .offset:         0
        .size:           4
        .value_kind:     by_value
      - .offset:         4
        .size:           4
        .value_kind:     by_value
      - .address_space:  global
        .offset:         8
        .size:           8
        .value_kind:     global_buffer
      - .offset:         16
        .size:           8
        .value_kind:     by_value
      - .address_space:  global
        .offset:         24
        .size:           8
        .value_kind:     global_buffer
      - .offset:         32
        .size:           8
        .value_kind:     by_value
      - .offset:         40
        .size:           8
        .value_kind:     by_value
      - .offset:         48
        .size:           8
        .value_kind:     by_value
      - .address_space:  global
        .offset:         56
        .size:           8
        .value_kind:     global_buffer
      - .offset:         64
        .size:           8
        .value_kind:     by_value
      - .offset:         72
        .size:           8
        .value_kind:     by_value
      - .offset:         80
        .size:           8
        .value_kind:     by_value
      - .address_space:  global
        .offset:         88
        .size:           8
        .value_kind:     global_buffer
      - .offset:         96
        .size:           8
        .value_kind:     by_value
      - .address_space:  global
        .offset:         104
        .size:           8
        .value_kind:     global_buffer
      - .offset:         112
        .size:           8
        .value_kind:     by_value
      - .offset:         120
        .size:           8
        .value_kind:     by_value
      - .offset:         128
        .size:           8
        .value_kind:     by_value
      - .offset:         136
        .size:           4
        .value_kind:     by_value
      - .offset:         144
        .size:           4
        .value_kind:     hidden_block_count_x
      - .offset:         148
        .size:           4
        .value_kind:     hidden_block_count_y
      - .offset:         152
        .size:           4
        .value_kind:     hidden_block_count_z
      - .offset:         156
        .size:           2
        .value_kind:     hidden_group_size_x
      - .offset:         158
        .size:           2
        .value_kind:     hidden_group_size_y
      - .offset:         160
        .size:           2
        .value_kind:     hidden_group_size_z
      - .offset:         162
        .size:           2
        .value_kind:     hidden_remainder_x
      - .offset:         164
        .size:           2
        .value_kind:     hidden_remainder_y
      - .offset:         166
        .size:           2
        .value_kind:     hidden_remainder_z
      - .offset:         184
        .size:           8
        .value_kind:     hidden_global_offset_x
      - .offset:         192
        .size:           8
        .value_kind:     hidden_global_offset_y
      - .offset:         200
        .size:           8
        .value_kind:     hidden_global_offset_z
      - .offset:         208
        .size:           2
        .value_kind:     hidden_grid_dims
    .group_segment_fixed_size: 8192
    .kernarg_segment_align: 8
    .kernarg_segment_size: 400
    .language:       OpenCL C
    .language_version:
      - 2
      - 0
    .max_flat_workgroup_size: 512
    .name:           _ZL20rocblas_gemvn_kernelILi32ELi16ElPKDF16_PKfKPDF16_EviiT3_lPKT2_lT1_lS9_lSA_lS6_lPT4_lSA_li
    .private_segment_fixed_size: 0
    .sgpr_count:     53
    .sgpr_spill_count: 0
    .symbol:         _ZL20rocblas_gemvn_kernelILi32ELi16ElPKDF16_PKfKPDF16_EviiT3_lPKT2_lT1_lS9_lSA_lS6_lPT4_lSA_li.kd
    .uniform_work_group_size: 1
    .uses_dynamic_stack: false
    .vgpr_count:     78
    .vgpr_spill_count: 0
    .wavefront_size: 32
    .workgroup_processor_mode: 1
  - .args:
      - .offset:         0
        .size:           4
        .value_kind:     by_value
      - .offset:         4
        .size:           4
        .value_kind:     by_value
      - .offset:         8
        .size:           4
        .value_kind:     by_value
      - .offset:         16
        .size:           8
        .value_kind:     by_value
      - .address_space:  global
        .offset:         24
        .size:           8
        .value_kind:     global_buffer
      - .offset:         32
        .size:           8
        .value_kind:     by_value
      - .offset:         40
        .size:           4
        .value_kind:     by_value
      - .offset:         48
        .size:           8
        .value_kind:     by_value
      - .address_space:  global
        .offset:         56
        .size:           8
        .value_kind:     global_buffer
      - .offset:         64
        .size:           8
        .value_kind:     by_value
      - .offset:         72
        .size:           4
        .value_kind:     by_value
      - .offset:         80
        .size:           8
        .value_kind:     by_value
      - .offset:         88
        .size:           4
        .value_kind:     by_value
      - .offset:         96
        .size:           8
        .value_kind:     by_value
      - .address_space:  global
        .offset:         104
        .size:           8
        .value_kind:     global_buffer
      - .offset:         112
        .size:           8
        .value_kind:     by_value
      - .offset:         120
        .size:           4
        .value_kind:     by_value
      - .offset:         128
        .size:           8
        .value_kind:     by_value
      - .offset:         136
        .size:           4
        .value_kind:     by_value
      - .offset:         144
        .size:           4
        .value_kind:     hidden_block_count_x
      - .offset:         148
        .size:           4
        .value_kind:     hidden_block_count_y
      - .offset:         152
        .size:           4
        .value_kind:     hidden_block_count_z
      - .offset:         156
        .size:           2
        .value_kind:     hidden_group_size_x
      - .offset:         158
        .size:           2
        .value_kind:     hidden_group_size_y
      - .offset:         160
        .size:           2
        .value_kind:     hidden_group_size_z
      - .offset:         162
        .size:           2
        .value_kind:     hidden_remainder_x
      - .offset:         164
        .size:           2
        .value_kind:     hidden_remainder_y
      - .offset:         166
        .size:           2
        .value_kind:     hidden_remainder_z
      - .offset:         184
        .size:           8
        .value_kind:     hidden_global_offset_x
      - .offset:         192
        .size:           8
        .value_kind:     hidden_global_offset_y
      - .offset:         200
        .size:           8
        .value_kind:     hidden_global_offset_z
      - .offset:         208
        .size:           2
        .value_kind:     hidden_grid_dims
    .group_segment_fixed_size: 8192
    .kernarg_segment_align: 8
    .kernarg_segment_size: 400
    .language:       OpenCL C
    .language_version:
      - 2
      - 0
    .max_flat_workgroup_size: 512
    .name:           _ZL20rocblas_gemvn_kernelILi32ELi16EiPKDF16_fKPDF16_EviiT3_lPKT2_lT1_lS7_lS8_lS4_lPT4_lS8_li
    .private_segment_fixed_size: 0
    .sgpr_count:     47
    .sgpr_spill_count: 0
    .symbol:         _ZL20rocblas_gemvn_kernelILi32ELi16EiPKDF16_fKPDF16_EviiT3_lPKT2_lT1_lS7_lS8_lS4_lPT4_lS8_li.kd
    .uniform_work_group_size: 1
    .uses_dynamic_stack: false
    .vgpr_count:     65
    .vgpr_spill_count: 0
    .wavefront_size: 32
    .workgroup_processor_mode: 1
  - .args:
      - .offset:         0
        .size:           4
        .value_kind:     by_value
      - .offset:         4
        .size:           4
        .value_kind:     by_value
      - .offset:         8
        .size:           4
        .value_kind:     by_value
      - .offset:         16
        .size:           8
        .value_kind:     by_value
      - .address_space:  global
        .offset:         24
        .size:           8
        .value_kind:     global_buffer
      - .offset:         32
        .size:           8
        .value_kind:     by_value
      - .offset:         40
        .size:           8
        .value_kind:     by_value
      - .offset:         48
        .size:           8
        .value_kind:     by_value
      - .address_space:  global
        .offset:         56
        .size:           8
        .value_kind:     global_buffer
      - .offset:         64
        .size:           8
        .value_kind:     by_value
      - .offset:         72
        .size:           8
        .value_kind:     by_value
      - .offset:         80
        .size:           8
        .value_kind:     by_value
      - .offset:         88
        .size:           4
        .value_kind:     by_value
      - .offset:         96
        .size:           8
        .value_kind:     by_value
      - .address_space:  global
        .offset:         104
        .size:           8
        .value_kind:     global_buffer
      - .offset:         112
        .size:           8
        .value_kind:     by_value
      - .offset:         120
        .size:           8
        .value_kind:     by_value
      - .offset:         128
        .size:           8
        .value_kind:     by_value
      - .offset:         136
        .size:           4
        .value_kind:     by_value
      - .offset:         144
        .size:           4
        .value_kind:     hidden_block_count_x
      - .offset:         148
        .size:           4
        .value_kind:     hidden_block_count_y
      - .offset:         152
        .size:           4
        .value_kind:     hidden_block_count_z
      - .offset:         156
        .size:           2
        .value_kind:     hidden_group_size_x
      - .offset:         158
        .size:           2
        .value_kind:     hidden_group_size_y
      - .offset:         160
        .size:           2
        .value_kind:     hidden_group_size_z
      - .offset:         162
        .size:           2
        .value_kind:     hidden_remainder_x
      - .offset:         164
        .size:           2
        .value_kind:     hidden_remainder_y
      - .offset:         166
        .size:           2
        .value_kind:     hidden_remainder_z
      - .offset:         184
        .size:           8
        .value_kind:     hidden_global_offset_x
      - .offset:         192
        .size:           8
        .value_kind:     hidden_global_offset_y
      - .offset:         200
        .size:           8
        .value_kind:     hidden_global_offset_z
      - .offset:         208
        .size:           2
        .value_kind:     hidden_grid_dims
    .group_segment_fixed_size: 8192
    .kernarg_segment_align: 8
    .kernarg_segment_size: 400
    .language:       OpenCL C
    .language_version:
      - 2
      - 0
    .max_flat_workgroup_size: 512
    .name:           _ZL20rocblas_gemvn_kernelILi32ELi16ElPKDF16_fKPDF16_EviiT3_lPKT2_lT1_lS7_lS8_lS4_lPT4_lS8_li
    .private_segment_fixed_size: 0
    .sgpr_count:     49
    .sgpr_spill_count: 0
    .symbol:         _ZL20rocblas_gemvn_kernelILi32ELi16ElPKDF16_fKPDF16_EviiT3_lPKT2_lT1_lS7_lS8_lS4_lPT4_lS8_li.kd
    .uniform_work_group_size: 1
    .uses_dynamic_stack: false
    .vgpr_count:     78
    .vgpr_spill_count: 0
    .wavefront_size: 32
    .workgroup_processor_mode: 1
  - .args:
      - .offset:         0
        .size:           4
        .value_kind:     by_value
      - .offset:         4
        .size:           4
        .value_kind:     by_value
      - .address_space:  global
        .offset:         8
        .size:           8
        .value_kind:     global_buffer
      - .offset:         16
        .size:           8
        .value_kind:     by_value
      - .address_space:  global
        .offset:         24
        .size:           8
        .value_kind:     global_buffer
      - .offset:         32
        .size:           8
        .value_kind:     by_value
      - .offset:         40
        .size:           4
        .value_kind:     by_value
      - .offset:         48
        .size:           8
        .value_kind:     by_value
      - .address_space:  global
        .offset:         56
        .size:           8
        .value_kind:     global_buffer
      - .offset:         64
        .size:           8
        .value_kind:     by_value
      - .offset:         72
        .size:           4
        .value_kind:     by_value
      - .offset:         80
        .size:           8
        .value_kind:     by_value
      - .address_space:  global
        .offset:         88
        .size:           8
        .value_kind:     global_buffer
      - .offset:         96
        .size:           8
        .value_kind:     by_value
      - .address_space:  global
        .offset:         104
        .size:           8
        .value_kind:     global_buffer
      - .offset:         112
        .size:           8
        .value_kind:     by_value
      - .offset:         120
        .size:           4
        .value_kind:     by_value
      - .offset:         128
        .size:           8
        .value_kind:     by_value
      - .offset:         136
        .size:           4
        .value_kind:     by_value
      - .offset:         144
        .size:           4
        .value_kind:     hidden_block_count_x
      - .offset:         148
        .size:           4
        .value_kind:     hidden_block_count_y
      - .offset:         152
        .size:           4
        .value_kind:     hidden_block_count_z
      - .offset:         156
        .size:           2
        .value_kind:     hidden_group_size_x
      - .offset:         158
        .size:           2
        .value_kind:     hidden_group_size_y
      - .offset:         160
        .size:           2
        .value_kind:     hidden_group_size_z
      - .offset:         162
        .size:           2
        .value_kind:     hidden_remainder_x
      - .offset:         164
        .size:           2
        .value_kind:     hidden_remainder_y
      - .offset:         166
        .size:           2
        .value_kind:     hidden_remainder_z
      - .offset:         184
        .size:           8
        .value_kind:     hidden_global_offset_x
      - .offset:         192
        .size:           8
        .value_kind:     hidden_global_offset_y
      - .offset:         200
        .size:           8
        .value_kind:     hidden_global_offset_z
      - .offset:         208
        .size:           2
        .value_kind:     hidden_grid_dims
    .group_segment_fixed_size: 16384
    .kernarg_segment_align: 8
    .kernarg_segment_size: 400
    .language:       OpenCL C
    .language_version:
      - 2
      - 0
    .max_flat_workgroup_size: 1024
    .name:           _ZL20rocblas_gemvn_kernelILi64ELi16EiPKDF16_PKfKPDF16_EviiT3_lPKT2_lT1_lS9_lSA_lS6_lPT4_lSA_li
    .private_segment_fixed_size: 0
    .sgpr_count:     51
    .sgpr_spill_count: 0
    .symbol:         _ZL20rocblas_gemvn_kernelILi64ELi16EiPKDF16_PKfKPDF16_EviiT3_lPKT2_lT1_lS9_lSA_lS6_lPT4_lSA_li.kd
    .uniform_work_group_size: 1
    .uses_dynamic_stack: false
    .vgpr_count:     63
    .vgpr_spill_count: 0
    .wavefront_size: 32
    .workgroup_processor_mode: 1
  - .args:
      - .offset:         0
        .size:           4
        .value_kind:     by_value
      - .offset:         4
        .size:           4
        .value_kind:     by_value
      - .address_space:  global
        .offset:         8
        .size:           8
        .value_kind:     global_buffer
      - .offset:         16
        .size:           8
        .value_kind:     by_value
      - .address_space:  global
        .offset:         24
        .size:           8
        .value_kind:     global_buffer
      - .offset:         32
        .size:           8
        .value_kind:     by_value
      - .offset:         40
        .size:           8
        .value_kind:     by_value
      - .offset:         48
        .size:           8
        .value_kind:     by_value
      - .address_space:  global
        .offset:         56
        .size:           8
        .value_kind:     global_buffer
      - .offset:         64
        .size:           8
        .value_kind:     by_value
      - .offset:         72
        .size:           8
        .value_kind:     by_value
      - .offset:         80
        .size:           8
        .value_kind:     by_value
      - .address_space:  global
        .offset:         88
        .size:           8
        .value_kind:     global_buffer
      - .offset:         96
        .size:           8
        .value_kind:     by_value
      - .address_space:  global
        .offset:         104
        .size:           8
        .value_kind:     global_buffer
      - .offset:         112
        .size:           8
        .value_kind:     by_value
      - .offset:         120
        .size:           8
        .value_kind:     by_value
      - .offset:         128
        .size:           8
        .value_kind:     by_value
      - .offset:         136
        .size:           4
        .value_kind:     by_value
      - .offset:         144
        .size:           4
        .value_kind:     hidden_block_count_x
      - .offset:         148
        .size:           4
        .value_kind:     hidden_block_count_y
      - .offset:         152
        .size:           4
        .value_kind:     hidden_block_count_z
      - .offset:         156
        .size:           2
        .value_kind:     hidden_group_size_x
      - .offset:         158
        .size:           2
        .value_kind:     hidden_group_size_y
      - .offset:         160
        .size:           2
        .value_kind:     hidden_group_size_z
      - .offset:         162
        .size:           2
        .value_kind:     hidden_remainder_x
      - .offset:         164
        .size:           2
        .value_kind:     hidden_remainder_y
      - .offset:         166
        .size:           2
        .value_kind:     hidden_remainder_z
      - .offset:         184
        .size:           8
        .value_kind:     hidden_global_offset_x
      - .offset:         192
        .size:           8
        .value_kind:     hidden_global_offset_y
      - .offset:         200
        .size:           8
        .value_kind:     hidden_global_offset_z
      - .offset:         208
        .size:           2
        .value_kind:     hidden_grid_dims
    .group_segment_fixed_size: 16384
    .kernarg_segment_align: 8
    .kernarg_segment_size: 400
    .language:       OpenCL C
    .language_version:
      - 2
      - 0
    .max_flat_workgroup_size: 1024
    .name:           _ZL20rocblas_gemvn_kernelILi64ELi16ElPKDF16_PKfKPDF16_EviiT3_lPKT2_lT1_lS9_lSA_lS6_lPT4_lSA_li
    .private_segment_fixed_size: 0
    .sgpr_count:     53
    .sgpr_spill_count: 0
    .symbol:         _ZL20rocblas_gemvn_kernelILi64ELi16ElPKDF16_PKfKPDF16_EviiT3_lPKT2_lT1_lS9_lSA_lS6_lPT4_lSA_li.kd
    .uniform_work_group_size: 1
    .uses_dynamic_stack: false
    .vgpr_count:     78
    .vgpr_spill_count: 0
    .wavefront_size: 32
    .workgroup_processor_mode: 1
  - .args:
      - .offset:         0
        .size:           4
        .value_kind:     by_value
      - .offset:         4
        .size:           4
        .value_kind:     by_value
      - .offset:         8
        .size:           4
        .value_kind:     by_value
      - .offset:         16
        .size:           8
        .value_kind:     by_value
      - .address_space:  global
        .offset:         24
        .size:           8
        .value_kind:     global_buffer
      - .offset:         32
        .size:           8
        .value_kind:     by_value
      - .offset:         40
        .size:           4
        .value_kind:     by_value
      - .offset:         48
        .size:           8
        .value_kind:     by_value
      - .address_space:  global
        .offset:         56
        .size:           8
        .value_kind:     global_buffer
      - .offset:         64
        .size:           8
        .value_kind:     by_value
      - .offset:         72
        .size:           4
        .value_kind:     by_value
      - .offset:         80
        .size:           8
        .value_kind:     by_value
      - .offset:         88
        .size:           4
        .value_kind:     by_value
      - .offset:         96
        .size:           8
        .value_kind:     by_value
      - .address_space:  global
        .offset:         104
        .size:           8
        .value_kind:     global_buffer
      - .offset:         112
        .size:           8
        .value_kind:     by_value
      - .offset:         120
        .size:           4
        .value_kind:     by_value
      - .offset:         128
        .size:           8
        .value_kind:     by_value
      - .offset:         136
        .size:           4
        .value_kind:     by_value
      - .offset:         144
        .size:           4
        .value_kind:     hidden_block_count_x
      - .offset:         148
        .size:           4
        .value_kind:     hidden_block_count_y
      - .offset:         152
        .size:           4
        .value_kind:     hidden_block_count_z
      - .offset:         156
        .size:           2
        .value_kind:     hidden_group_size_x
      - .offset:         158
        .size:           2
        .value_kind:     hidden_group_size_y
      - .offset:         160
        .size:           2
        .value_kind:     hidden_group_size_z
      - .offset:         162
        .size:           2
        .value_kind:     hidden_remainder_x
      - .offset:         164
        .size:           2
        .value_kind:     hidden_remainder_y
      - .offset:         166
        .size:           2
        .value_kind:     hidden_remainder_z
      - .offset:         184
        .size:           8
        .value_kind:     hidden_global_offset_x
      - .offset:         192
        .size:           8
        .value_kind:     hidden_global_offset_y
      - .offset:         200
        .size:           8
        .value_kind:     hidden_global_offset_z
      - .offset:         208
        .size:           2
        .value_kind:     hidden_grid_dims
    .group_segment_fixed_size: 16384
    .kernarg_segment_align: 8
    .kernarg_segment_size: 400
    .language:       OpenCL C
    .language_version:
      - 2
      - 0
    .max_flat_workgroup_size: 1024
    .name:           _ZL20rocblas_gemvn_kernelILi64ELi16EiPKDF16_fKPDF16_EviiT3_lPKT2_lT1_lS7_lS8_lS4_lPT4_lS8_li
    .private_segment_fixed_size: 0
    .sgpr_count:     47
    .sgpr_spill_count: 0
    .symbol:         _ZL20rocblas_gemvn_kernelILi64ELi16EiPKDF16_fKPDF16_EviiT3_lPKT2_lT1_lS7_lS8_lS4_lPT4_lS8_li.kd
    .uniform_work_group_size: 1
    .uses_dynamic_stack: false
    .vgpr_count:     63
    .vgpr_spill_count: 0
    .wavefront_size: 32
    .workgroup_processor_mode: 1
  - .args:
      - .offset:         0
        .size:           4
        .value_kind:     by_value
      - .offset:         4
        .size:           4
        .value_kind:     by_value
      - .offset:         8
        .size:           4
        .value_kind:     by_value
      - .offset:         16
        .size:           8
        .value_kind:     by_value
      - .address_space:  global
        .offset:         24
        .size:           8
        .value_kind:     global_buffer
      - .offset:         32
        .size:           8
        .value_kind:     by_value
      - .offset:         40
        .size:           8
        .value_kind:     by_value
      - .offset:         48
        .size:           8
        .value_kind:     by_value
      - .address_space:  global
        .offset:         56
        .size:           8
        .value_kind:     global_buffer
      - .offset:         64
        .size:           8
        .value_kind:     by_value
      - .offset:         72
        .size:           8
        .value_kind:     by_value
      - .offset:         80
        .size:           8
        .value_kind:     by_value
      - .offset:         88
        .size:           4
        .value_kind:     by_value
      - .offset:         96
        .size:           8
        .value_kind:     by_value
      - .address_space:  global
        .offset:         104
        .size:           8
        .value_kind:     global_buffer
      - .offset:         112
        .size:           8
        .value_kind:     by_value
      - .offset:         120
        .size:           8
        .value_kind:     by_value
      - .offset:         128
        .size:           8
        .value_kind:     by_value
      - .offset:         136
        .size:           4
        .value_kind:     by_value
      - .offset:         144
        .size:           4
        .value_kind:     hidden_block_count_x
      - .offset:         148
        .size:           4
        .value_kind:     hidden_block_count_y
      - .offset:         152
        .size:           4
        .value_kind:     hidden_block_count_z
      - .offset:         156
        .size:           2
        .value_kind:     hidden_group_size_x
      - .offset:         158
        .size:           2
        .value_kind:     hidden_group_size_y
      - .offset:         160
        .size:           2
        .value_kind:     hidden_group_size_z
      - .offset:         162
        .size:           2
        .value_kind:     hidden_remainder_x
      - .offset:         164
        .size:           2
        .value_kind:     hidden_remainder_y
      - .offset:         166
        .size:           2
        .value_kind:     hidden_remainder_z
      - .offset:         184
        .size:           8
        .value_kind:     hidden_global_offset_x
      - .offset:         192
        .size:           8
        .value_kind:     hidden_global_offset_y
      - .offset:         200
        .size:           8
        .value_kind:     hidden_global_offset_z
      - .offset:         208
        .size:           2
        .value_kind:     hidden_grid_dims
    .group_segment_fixed_size: 16384
    .kernarg_segment_align: 8
    .kernarg_segment_size: 400
    .language:       OpenCL C
    .language_version:
      - 2
      - 0
    .max_flat_workgroup_size: 1024
    .name:           _ZL20rocblas_gemvn_kernelILi64ELi16ElPKDF16_fKPDF16_EviiT3_lPKT2_lT1_lS7_lS8_lS4_lPT4_lS8_li
    .private_segment_fixed_size: 0
    .sgpr_count:     49
    .sgpr_spill_count: 0
    .symbol:         _ZL20rocblas_gemvn_kernelILi64ELi16ElPKDF16_fKPDF16_EviiT3_lPKT2_lT1_lS7_lS8_lS4_lPT4_lS8_li.kd
    .uniform_work_group_size: 1
    .uses_dynamic_stack: false
    .vgpr_count:     78
    .vgpr_spill_count: 0
    .wavefront_size: 32
    .workgroup_processor_mode: 1
  - .args:
      - .offset:         0
        .size:           4
        .value_kind:     by_value
      - .offset:         4
        .size:           4
        .value_kind:     by_value
      - .address_space:  global
        .offset:         8
        .size:           8
        .value_kind:     global_buffer
      - .offset:         16
        .size:           8
        .value_kind:     by_value
      - .address_space:  global
        .offset:         24
        .size:           8
        .value_kind:     global_buffer
      - .offset:         32
        .size:           8
        .value_kind:     by_value
      - .offset:         40
        .size:           4
        .value_kind:     by_value
      - .offset:         48
        .size:           8
        .value_kind:     by_value
      - .address_space:  global
        .offset:         56
        .size:           8
        .value_kind:     global_buffer
      - .offset:         64
        .size:           8
        .value_kind:     by_value
      - .offset:         72
        .size:           4
        .value_kind:     by_value
      - .offset:         80
        .size:           8
        .value_kind:     by_value
      - .address_space:  global
        .offset:         88
        .size:           8
        .value_kind:     global_buffer
      - .offset:         96
        .size:           8
        .value_kind:     by_value
      - .address_space:  global
        .offset:         104
        .size:           8
        .value_kind:     global_buffer
      - .offset:         112
        .size:           8
        .value_kind:     by_value
      - .offset:         120
        .size:           4
        .value_kind:     by_value
      - .offset:         128
        .size:           8
        .value_kind:     by_value
    .group_segment_fixed_size: 256
    .kernarg_segment_align: 8
    .kernarg_segment_size: 136
    .language:       OpenCL C
    .language_version:
      - 2
      - 0
    .max_flat_workgroup_size: 256
    .name:           _ZL22rocblas_gemvtsm_kernelILb0ELi256EPKDF16_PKfKPDF16_EviiT2_lPKT1_lilS9_lilS6_lPT3_lil
    .private_segment_fixed_size: 0
    .sgpr_count:     24
    .sgpr_spill_count: 0
    .symbol:         _ZL22rocblas_gemvtsm_kernelILb0ELi256EPKDF16_PKfKPDF16_EviiT2_lPKT1_lilS9_lilS6_lPT3_lil.kd
    .uniform_work_group_size: 1
    .uses_dynamic_stack: false
    .vgpr_count:     22
    .vgpr_spill_count: 0
    .wavefront_size: 32
    .workgroup_processor_mode: 1
  - .args:
      - .offset:         0
        .size:           4
        .value_kind:     by_value
      - .offset:         4
        .size:           4
        .value_kind:     by_value
      - .offset:         8
        .size:           4
        .value_kind:     by_value
      - .offset:         16
        .size:           8
        .value_kind:     by_value
      - .address_space:  global
        .offset:         24
        .size:           8
        .value_kind:     global_buffer
      - .offset:         32
        .size:           8
        .value_kind:     by_value
      - .offset:         40
        .size:           4
        .value_kind:     by_value
      - .offset:         48
        .size:           8
        .value_kind:     by_value
      - .address_space:  global
        .offset:         56
        .size:           8
        .value_kind:     global_buffer
      - .offset:         64
        .size:           8
        .value_kind:     by_value
      - .offset:         72
        .size:           4
        .value_kind:     by_value
      - .offset:         80
        .size:           8
        .value_kind:     by_value
      - .offset:         88
        .size:           4
        .value_kind:     by_value
      - .offset:         96
        .size:           8
        .value_kind:     by_value
      - .address_space:  global
        .offset:         104
        .size:           8
        .value_kind:     global_buffer
      - .offset:         112
        .size:           8
        .value_kind:     by_value
      - .offset:         120
        .size:           4
        .value_kind:     by_value
      - .offset:         128
        .size:           8
        .value_kind:     by_value
    .group_segment_fixed_size: 256
    .kernarg_segment_align: 8
    .kernarg_segment_size: 136
    .language:       OpenCL C
    .language_version:
      - 2
      - 0
    .max_flat_workgroup_size: 256
    .name:           _ZL22rocblas_gemvtsm_kernelILb0ELi256EPKDF16_fKPDF16_EviiT2_lPKT1_lilS7_lilS4_lPT3_lil
    .private_segment_fixed_size: 0
    .sgpr_count:     26
    .sgpr_spill_count: 0
    .symbol:         _ZL22rocblas_gemvtsm_kernelILb0ELi256EPKDF16_fKPDF16_EviiT2_lPKT1_lilS7_lilS4_lPT3_lil.kd
    .uniform_work_group_size: 1
    .uses_dynamic_stack: false
    .vgpr_count:     22
    .vgpr_spill_count: 0
    .wavefront_size: 32
    .workgroup_processor_mode: 1
  - .args:
      - .offset:         0
        .size:           4
        .value_kind:     by_value
      - .offset:         4
        .size:           4
        .value_kind:     by_value
      - .address_space:  global
        .offset:         8
        .size:           8
        .value_kind:     global_buffer
      - .offset:         16
        .size:           8
        .value_kind:     by_value
      - .address_space:  global
        .offset:         24
        .size:           8
        .value_kind:     global_buffer
      - .offset:         32
        .size:           8
        .value_kind:     by_value
      - .offset:         40
        .size:           4
        .value_kind:     by_value
      - .offset:         48
        .size:           8
        .value_kind:     by_value
      - .address_space:  global
        .offset:         56
        .size:           8
        .value_kind:     global_buffer
      - .offset:         64
        .size:           8
        .value_kind:     by_value
      - .offset:         72
        .size:           4
        .value_kind:     by_value
      - .offset:         80
        .size:           8
        .value_kind:     by_value
      - .address_space:  global
        .offset:         88
        .size:           8
        .value_kind:     global_buffer
      - .offset:         96
        .size:           4
        .value_kind:     by_value
      - .offset:         104
        .size:           4
        .value_kind:     hidden_block_count_x
      - .offset:         108
        .size:           4
        .value_kind:     hidden_block_count_y
      - .offset:         112
        .size:           4
        .value_kind:     hidden_block_count_z
      - .offset:         116
        .size:           2
        .value_kind:     hidden_group_size_x
      - .offset:         118
        .size:           2
        .value_kind:     hidden_group_size_y
      - .offset:         120
        .size:           2
        .value_kind:     hidden_group_size_z
      - .offset:         122
        .size:           2
        .value_kind:     hidden_remainder_x
      - .offset:         124
        .size:           2
        .value_kind:     hidden_remainder_y
      - .offset:         126
        .size:           2
        .value_kind:     hidden_remainder_z
      - .offset:         144
        .size:           8
        .value_kind:     hidden_global_offset_x
      - .offset:         152
        .size:           8
        .value_kind:     hidden_global_offset_y
      - .offset:         160
        .size:           8
        .value_kind:     hidden_global_offset_z
      - .offset:         168
        .size:           2
        .value_kind:     hidden_grid_dims
    .group_segment_fixed_size: 128
    .kernarg_segment_align: 8
    .kernarg_segment_size: 360
    .language:       OpenCL C
    .language_version:
      - 2
      - 0
    .max_flat_workgroup_size: 256
    .name:           _ZL23rocblas_gemvt_sn_kernelILb0ELi256ELi4EiPKDF16_PKffEviiT4_lPKT3_lilS7_lilPT5_i
    .private_segment_fixed_size: 0
    .sgpr_count:     76
    .sgpr_spill_count: 0
    .symbol:         _ZL23rocblas_gemvt_sn_kernelILb0ELi256ELi4EiPKDF16_PKffEviiT4_lPKT3_lilS7_lilPT5_i.kd
    .uniform_work_group_size: 1
    .uses_dynamic_stack: false
    .vgpr_count:     51
    .vgpr_spill_count: 0
    .wavefront_size: 32
    .workgroup_processor_mode: 1
  - .args:
      - .offset:         0
        .size:           4
        .value_kind:     by_value
      - .offset:         4
        .size:           4
        .value_kind:     by_value
      - .address_space:  global
        .offset:         8
        .size:           8
        .value_kind:     global_buffer
      - .offset:         16
        .size:           8
        .value_kind:     by_value
      - .address_space:  global
        .offset:         24
        .size:           8
        .value_kind:     global_buffer
      - .offset:         32
        .size:           8
        .value_kind:     by_value
      - .offset:         40
        .size:           4
        .value_kind:     by_value
      - .offset:         48
        .size:           8
        .value_kind:     by_value
      - .address_space:  global
        .offset:         56
        .size:           8
        .value_kind:     global_buffer
      - .offset:         64
        .size:           8
        .value_kind:     by_value
      - .offset:         72
        .size:           4
        .value_kind:     by_value
      - .offset:         80
        .size:           8
        .value_kind:     by_value
      - .address_space:  global
        .offset:         88
        .size:           8
        .value_kind:     global_buffer
      - .offset:         96
        .size:           4
        .value_kind:     by_value
      - .offset:         104
        .size:           4
        .value_kind:     hidden_block_count_x
      - .offset:         108
        .size:           4
        .value_kind:     hidden_block_count_y
      - .offset:         112
        .size:           4
        .value_kind:     hidden_block_count_z
      - .offset:         116
        .size:           2
        .value_kind:     hidden_group_size_x
      - .offset:         118
        .size:           2
        .value_kind:     hidden_group_size_y
      - .offset:         120
        .size:           2
        .value_kind:     hidden_group_size_z
      - .offset:         122
        .size:           2
        .value_kind:     hidden_remainder_x
      - .offset:         124
        .size:           2
        .value_kind:     hidden_remainder_y
      - .offset:         126
        .size:           2
        .value_kind:     hidden_remainder_z
      - .offset:         144
        .size:           8
        .value_kind:     hidden_global_offset_x
      - .offset:         152
        .size:           8
        .value_kind:     hidden_global_offset_y
      - .offset:         160
        .size:           8
        .value_kind:     hidden_global_offset_z
      - .offset:         168
        .size:           2
        .value_kind:     hidden_grid_dims
    .group_segment_fixed_size: 128
    .kernarg_segment_align: 8
    .kernarg_segment_size: 360
    .language:       OpenCL C
    .language_version:
      - 2
      - 0
    .max_flat_workgroup_size: 256
    .name:           _ZL23rocblas_gemvt_sn_kernelILb0ELi256ELi4ElPKDF16_PKffEviiT4_lPKT3_lilS7_lilPT5_i
    .private_segment_fixed_size: 0
    .sgpr_count:     70
    .sgpr_spill_count: 0
    .symbol:         _ZL23rocblas_gemvt_sn_kernelILb0ELi256ELi4ElPKDF16_PKffEviiT4_lPKT3_lilS7_lilPT5_i.kd
    .uniform_work_group_size: 1
    .uses_dynamic_stack: false
    .vgpr_count:     51
    .vgpr_spill_count: 0
    .wavefront_size: 32
    .workgroup_processor_mode: 1
  - .args:
      - .offset:         0
        .size:           4
        .value_kind:     by_value
      - .address_space:  global
        .offset:         8
        .size:           8
        .value_kind:     global_buffer
      - .offset:         16
        .size:           8
        .value_kind:     by_value
      - .address_space:  global
        .offset:         24
        .size:           8
        .value_kind:     global_buffer
      - .offset:         32
        .size:           8
        .value_kind:     by_value
      - .offset:         40
        .size:           4
        .value_kind:     by_value
      - .offset:         48
        .size:           8
        .value_kind:     by_value
      - .actual_access:  read_only
        .address_space:  global
        .offset:         56
        .size:           8
        .value_kind:     global_buffer
      - .offset:         64
        .size:           4
        .value_kind:     by_value
      - .offset:         72
        .size:           4
        .value_kind:     hidden_block_count_x
      - .offset:         76
        .size:           4
        .value_kind:     hidden_block_count_y
      - .offset:         80
        .size:           4
        .value_kind:     hidden_block_count_z
      - .offset:         84
        .size:           2
        .value_kind:     hidden_group_size_x
      - .offset:         86
        .size:           2
        .value_kind:     hidden_group_size_y
      - .offset:         88
        .size:           2
        .value_kind:     hidden_group_size_z
      - .offset:         90
        .size:           2
        .value_kind:     hidden_remainder_x
      - .offset:         92
        .size:           2
        .value_kind:     hidden_remainder_y
      - .offset:         94
        .size:           2
        .value_kind:     hidden_remainder_z
      - .offset:         112
        .size:           8
        .value_kind:     hidden_global_offset_x
      - .offset:         120
        .size:           8
        .value_kind:     hidden_global_offset_y
      - .offset:         128
        .size:           8
        .value_kind:     hidden_global_offset_z
      - .offset:         136
        .size:           2
        .value_kind:     hidden_grid_dims
    .group_segment_fixed_size: 128
    .kernarg_segment_align: 8
    .kernarg_segment_size: 328
    .language:       OpenCL C
    .language_version:
      - 2
      - 0
    .max_flat_workgroup_size: 256
    .name:           _ZL23rocblas_gemvt_sn_reduceILi256ELi8EfPKfKPDF16_EviT2_lPT3_lilPT1_i
    .private_segment_fixed_size: 0
    .sgpr_count:     40
    .sgpr_spill_count: 0
    .symbol:         _ZL23rocblas_gemvt_sn_reduceILi256ELi8EfPKfKPDF16_EviT2_lPT3_lilPT1_i.kd
    .uniform_work_group_size: 1
    .uses_dynamic_stack: false
    .vgpr_count:     28
    .vgpr_spill_count: 0
    .wavefront_size: 32
    .workgroup_processor_mode: 1
  - .args:
      - .offset:         0
        .size:           4
        .value_kind:     by_value
      - .offset:         4
        .size:           4
        .value_kind:     by_value
      - .offset:         8
        .size:           4
        .value_kind:     by_value
      - .offset:         16
        .size:           8
        .value_kind:     by_value
      - .address_space:  global
        .offset:         24
        .size:           8
        .value_kind:     global_buffer
      - .offset:         32
        .size:           8
        .value_kind:     by_value
      - .offset:         40
        .size:           4
        .value_kind:     by_value
      - .offset:         48
        .size:           8
        .value_kind:     by_value
      - .address_space:  global
        .offset:         56
        .size:           8
        .value_kind:     global_buffer
      - .offset:         64
        .size:           8
        .value_kind:     by_value
      - .offset:         72
        .size:           4
        .value_kind:     by_value
      - .offset:         80
        .size:           8
        .value_kind:     by_value
      - .address_space:  global
        .offset:         88
        .size:           8
        .value_kind:     global_buffer
      - .offset:         96
        .size:           4
        .value_kind:     by_value
      - .offset:         104
        .size:           4
        .value_kind:     hidden_block_count_x
      - .offset:         108
        .size:           4
        .value_kind:     hidden_block_count_y
      - .offset:         112
        .size:           4
        .value_kind:     hidden_block_count_z
      - .offset:         116
        .size:           2
        .value_kind:     hidden_group_size_x
      - .offset:         118
        .size:           2
        .value_kind:     hidden_group_size_y
      - .offset:         120
        .size:           2
        .value_kind:     hidden_group_size_z
      - .offset:         122
        .size:           2
        .value_kind:     hidden_remainder_x
      - .offset:         124
        .size:           2
        .value_kind:     hidden_remainder_y
      - .offset:         126
        .size:           2
        .value_kind:     hidden_remainder_z
      - .offset:         144
        .size:           8
        .value_kind:     hidden_global_offset_x
      - .offset:         152
        .size:           8
        .value_kind:     hidden_global_offset_y
      - .offset:         160
        .size:           8
        .value_kind:     hidden_global_offset_z
      - .offset:         168
        .size:           2
        .value_kind:     hidden_grid_dims
    .group_segment_fixed_size: 128
    .kernarg_segment_align: 8
    .kernarg_segment_size: 360
    .language:       OpenCL C
    .language_version:
      - 2
      - 0
    .max_flat_workgroup_size: 256
    .name:           _ZL23rocblas_gemvt_sn_kernelILb0ELi256ELi4EiPKDF16_ffEviiT4_lPKT3_lilS5_lilPT5_i
    .private_segment_fixed_size: 0
    .sgpr_count:     72
    .sgpr_spill_count: 0
    .symbol:         _ZL23rocblas_gemvt_sn_kernelILb0ELi256ELi4EiPKDF16_ffEviiT4_lPKT3_lilS5_lilPT5_i.kd
    .uniform_work_group_size: 1
    .uses_dynamic_stack: false
    .vgpr_count:     50
    .vgpr_spill_count: 0
    .wavefront_size: 32
    .workgroup_processor_mode: 1
  - .args:
      - .offset:         0
        .size:           4
        .value_kind:     by_value
      - .offset:         4
        .size:           4
        .value_kind:     by_value
      - .offset:         8
        .size:           4
        .value_kind:     by_value
      - .offset:         16
        .size:           8
        .value_kind:     by_value
      - .address_space:  global
        .offset:         24
        .size:           8
        .value_kind:     global_buffer
      - .offset:         32
        .size:           8
        .value_kind:     by_value
      - .offset:         40
        .size:           4
        .value_kind:     by_value
      - .offset:         48
        .size:           8
        .value_kind:     by_value
      - .address_space:  global
        .offset:         56
        .size:           8
        .value_kind:     global_buffer
      - .offset:         64
        .size:           8
        .value_kind:     by_value
      - .offset:         72
        .size:           4
        .value_kind:     by_value
      - .offset:         80
        .size:           8
        .value_kind:     by_value
      - .address_space:  global
        .offset:         88
        .size:           8
        .value_kind:     global_buffer
      - .offset:         96
        .size:           4
        .value_kind:     by_value
      - .offset:         104
        .size:           4
        .value_kind:     hidden_block_count_x
      - .offset:         108
        .size:           4
        .value_kind:     hidden_block_count_y
      - .offset:         112
        .size:           4
        .value_kind:     hidden_block_count_z
      - .offset:         116
        .size:           2
        .value_kind:     hidden_group_size_x
      - .offset:         118
        .size:           2
        .value_kind:     hidden_group_size_y
      - .offset:         120
        .size:           2
        .value_kind:     hidden_group_size_z
      - .offset:         122
        .size:           2
        .value_kind:     hidden_remainder_x
      - .offset:         124
        .size:           2
        .value_kind:     hidden_remainder_y
      - .offset:         126
        .size:           2
        .value_kind:     hidden_remainder_z
      - .offset:         144
        .size:           8
        .value_kind:     hidden_global_offset_x
      - .offset:         152
        .size:           8
        .value_kind:     hidden_global_offset_y
      - .offset:         160
        .size:           8
        .value_kind:     hidden_global_offset_z
      - .offset:         168
        .size:           2
        .value_kind:     hidden_grid_dims
    .group_segment_fixed_size: 128
    .kernarg_segment_align: 8
    .kernarg_segment_size: 360
    .language:       OpenCL C
    .language_version:
      - 2
      - 0
    .max_flat_workgroup_size: 256
    .name:           _ZL23rocblas_gemvt_sn_kernelILb0ELi256ELi4ElPKDF16_ffEviiT4_lPKT3_lilS5_lilPT5_i
    .private_segment_fixed_size: 0
    .sgpr_count:     64
    .sgpr_spill_count: 0
    .symbol:         _ZL23rocblas_gemvt_sn_kernelILb0ELi256ELi4ElPKDF16_ffEviiT4_lPKT3_lilS5_lilPT5_i.kd
    .uniform_work_group_size: 1
    .uses_dynamic_stack: false
    .vgpr_count:     50
    .vgpr_spill_count: 0
    .wavefront_size: 32
    .workgroup_processor_mode: 1
  - .args:
      - .offset:         0
        .size:           4
        .value_kind:     by_value
      - .offset:         4
        .size:           4
        .value_kind:     by_value
      - .offset:         8
        .size:           8
        .value_kind:     by_value
      - .address_space:  global
        .offset:         16
        .size:           8
        .value_kind:     global_buffer
      - .offset:         24
        .size:           8
        .value_kind:     by_value
      - .offset:         32
        .size:           4
        .value_kind:     by_value
      - .offset:         40
        .size:           8
        .value_kind:     by_value
      - .actual_access:  read_only
        .address_space:  global
        .offset:         48
        .size:           8
        .value_kind:     global_buffer
      - .offset:         56
        .size:           4
        .value_kind:     by_value
      - .offset:         64
        .size:           4
        .value_kind:     hidden_block_count_x
      - .offset:         68
        .size:           4
        .value_kind:     hidden_block_count_y
      - .offset:         72
        .size:           4
        .value_kind:     hidden_block_count_z
      - .offset:         76
        .size:           2
        .value_kind:     hidden_group_size_x
      - .offset:         78
        .size:           2
        .value_kind:     hidden_group_size_y
      - .offset:         80
        .size:           2
        .value_kind:     hidden_group_size_z
      - .offset:         82
        .size:           2
        .value_kind:     hidden_remainder_x
      - .offset:         84
        .size:           2
        .value_kind:     hidden_remainder_y
      - .offset:         86
        .size:           2
        .value_kind:     hidden_remainder_z
      - .offset:         104
        .size:           8
        .value_kind:     hidden_global_offset_x
      - .offset:         112
        .size:           8
        .value_kind:     hidden_global_offset_y
      - .offset:         120
        .size:           8
        .value_kind:     hidden_global_offset_z
      - .offset:         128
        .size:           2
        .value_kind:     hidden_grid_dims
    .group_segment_fixed_size: 128
    .kernarg_segment_align: 8
    .kernarg_segment_size: 320
    .language:       OpenCL C
    .language_version:
      - 2
      - 0
    .max_flat_workgroup_size: 256
    .name:           _ZL23rocblas_gemvt_sn_reduceILi256ELi8EffKPDF16_EviT2_lPT3_lilPT1_i
    .private_segment_fixed_size: 0
    .sgpr_count:     38
    .sgpr_spill_count: 0
    .symbol:         _ZL23rocblas_gemvt_sn_reduceILi256ELi8EffKPDF16_EviT2_lPT3_lilPT1_i.kd
    .uniform_work_group_size: 1
    .uses_dynamic_stack: false
    .vgpr_count:     27
    .vgpr_spill_count: 0
    .wavefront_size: 32
    .workgroup_processor_mode: 1
  - .args:
      - .offset:         0
        .size:           4
        .value_kind:     by_value
      - .offset:         4
        .size:           4
        .value_kind:     by_value
      - .address_space:  global
        .offset:         8
        .size:           8
        .value_kind:     global_buffer
      - .offset:         16
        .size:           8
        .value_kind:     by_value
      - .address_space:  global
        .offset:         24
        .size:           8
        .value_kind:     global_buffer
      - .offset:         32
        .size:           8
        .value_kind:     by_value
      - .offset:         40
        .size:           4
        .value_kind:     by_value
      - .offset:         48
        .size:           8
        .value_kind:     by_value
      - .address_space:  global
        .offset:         56
        .size:           8
        .value_kind:     global_buffer
      - .offset:         64
        .size:           8
        .value_kind:     by_value
      - .offset:         72
        .size:           4
        .value_kind:     by_value
      - .offset:         80
        .size:           8
        .value_kind:     by_value
      - .address_space:  global
        .offset:         88
        .size:           8
        .value_kind:     global_buffer
      - .offset:         96
        .size:           8
        .value_kind:     by_value
      - .address_space:  global
        .offset:         104
        .size:           8
        .value_kind:     global_buffer
      - .offset:         112
        .size:           8
        .value_kind:     by_value
      - .offset:         120
        .size:           4
        .value_kind:     by_value
      - .offset:         128
        .size:           8
        .value_kind:     by_value
      - .offset:         136
        .size:           4
        .value_kind:     by_value
    .group_segment_fixed_size: 128
    .kernarg_segment_align: 8
    .kernarg_segment_size: 140
    .language:       OpenCL C
    .language_version:
      - 2
      - 0
    .max_flat_workgroup_size: 256
    .name:           _ZL32rocblas_gemvt_warp_reduce_kernelILb0ELi256EiPKDF16_PKfKPDF16_EviiT3_lPKT2_lT1_lS9_lSA_lS6_lPT4_lSA_li
    .private_segment_fixed_size: 0
    .sgpr_count:     46
    .sgpr_spill_count: 0
    .symbol:         _ZL32rocblas_gemvt_warp_reduce_kernelILb0ELi256EiPKDF16_PKfKPDF16_EviiT3_lPKT2_lT1_lS9_lSA_lS6_lPT4_lSA_li.kd
    .uniform_work_group_size: 1
    .uses_dynamic_stack: false
    .vgpr_count:     25
    .vgpr_spill_count: 0
    .wavefront_size: 32
    .workgroup_processor_mode: 1
  - .args:
      - .offset:         0
        .size:           4
        .value_kind:     by_value
      - .offset:         4
        .size:           4
        .value_kind:     by_value
      - .address_space:  global
        .offset:         8
        .size:           8
        .value_kind:     global_buffer
      - .offset:         16
        .size:           8
        .value_kind:     by_value
      - .address_space:  global
        .offset:         24
        .size:           8
        .value_kind:     global_buffer
      - .offset:         32
        .size:           8
        .value_kind:     by_value
      - .offset:         40
        .size:           8
        .value_kind:     by_value
      - .offset:         48
        .size:           8
        .value_kind:     by_value
      - .address_space:  global
        .offset:         56
        .size:           8
        .value_kind:     global_buffer
      - .offset:         64
        .size:           8
        .value_kind:     by_value
      - .offset:         72
        .size:           8
        .value_kind:     by_value
      - .offset:         80
        .size:           8
        .value_kind:     by_value
      - .address_space:  global
        .offset:         88
        .size:           8
        .value_kind:     global_buffer
      - .offset:         96
        .size:           8
        .value_kind:     by_value
      - .address_space:  global
        .offset:         104
        .size:           8
        .value_kind:     global_buffer
      - .offset:         112
        .size:           8
        .value_kind:     by_value
      - .offset:         120
        .size:           8
        .value_kind:     by_value
      - .offset:         128
        .size:           8
        .value_kind:     by_value
      - .offset:         136
        .size:           4
        .value_kind:     by_value
    .group_segment_fixed_size: 128
    .kernarg_segment_align: 8
    .kernarg_segment_size: 140
    .language:       OpenCL C
    .language_version:
      - 2
      - 0
    .max_flat_workgroup_size: 256
    .name:           _ZL32rocblas_gemvt_warp_reduce_kernelILb0ELi256ElPKDF16_PKfKPDF16_EviiT3_lPKT2_lT1_lS9_lSA_lS6_lPT4_lSA_li
    .private_segment_fixed_size: 0
    .sgpr_count:     46
    .sgpr_spill_count: 0
    .symbol:         _ZL32rocblas_gemvt_warp_reduce_kernelILb0ELi256ElPKDF16_PKfKPDF16_EviiT3_lPKT2_lT1_lS9_lSA_lS6_lPT4_lSA_li.kd
    .uniform_work_group_size: 1
    .uses_dynamic_stack: false
    .vgpr_count:     26
    .vgpr_spill_count: 0
    .wavefront_size: 32
    .workgroup_processor_mode: 1
  - .args:
      - .offset:         0
        .size:           4
        .value_kind:     by_value
      - .offset:         4
        .size:           4
        .value_kind:     by_value
      - .offset:         8
        .size:           4
        .value_kind:     by_value
      - .offset:         16
        .size:           8
        .value_kind:     by_value
      - .address_space:  global
        .offset:         24
        .size:           8
        .value_kind:     global_buffer
      - .offset:         32
        .size:           8
        .value_kind:     by_value
      - .offset:         40
        .size:           4
        .value_kind:     by_value
      - .offset:         48
        .size:           8
        .value_kind:     by_value
      - .address_space:  global
        .offset:         56
        .size:           8
        .value_kind:     global_buffer
      - .offset:         64
        .size:           8
        .value_kind:     by_value
      - .offset:         72
        .size:           4
        .value_kind:     by_value
      - .offset:         80
        .size:           8
        .value_kind:     by_value
      - .offset:         88
        .size:           4
        .value_kind:     by_value
      - .offset:         96
        .size:           8
        .value_kind:     by_value
      - .address_space:  global
        .offset:         104
        .size:           8
        .value_kind:     global_buffer
      - .offset:         112
        .size:           8
        .value_kind:     by_value
      - .offset:         120
        .size:           4
        .value_kind:     by_value
      - .offset:         128
        .size:           8
        .value_kind:     by_value
      - .offset:         136
        .size:           4
        .value_kind:     by_value
    .group_segment_fixed_size: 128
    .kernarg_segment_align: 8
    .kernarg_segment_size: 140
    .language:       OpenCL C
    .language_version:
      - 2
      - 0
    .max_flat_workgroup_size: 256
    .name:           _ZL32rocblas_gemvt_warp_reduce_kernelILb0ELi256EiPKDF16_fKPDF16_EviiT3_lPKT2_lT1_lS7_lS8_lS4_lPT4_lS8_li
    .private_segment_fixed_size: 0
    .sgpr_count:     42
    .sgpr_spill_count: 0
    .symbol:         _ZL32rocblas_gemvt_warp_reduce_kernelILb0ELi256EiPKDF16_fKPDF16_EviiT3_lPKT2_lT1_lS7_lS8_lS4_lPT4_lS8_li.kd
    .uniform_work_group_size: 1
    .uses_dynamic_stack: false
    .vgpr_count:     25
    .vgpr_spill_count: 0
    .wavefront_size: 32
    .workgroup_processor_mode: 1
  - .args:
      - .offset:         0
        .size:           4
        .value_kind:     by_value
      - .offset:         4
        .size:           4
        .value_kind:     by_value
      - .offset:         8
        .size:           4
        .value_kind:     by_value
      - .offset:         16
        .size:           8
        .value_kind:     by_value
      - .address_space:  global
        .offset:         24
        .size:           8
        .value_kind:     global_buffer
      - .offset:         32
        .size:           8
        .value_kind:     by_value
      - .offset:         40
        .size:           8
        .value_kind:     by_value
      - .offset:         48
        .size:           8
        .value_kind:     by_value
      - .address_space:  global
        .offset:         56
        .size:           8
        .value_kind:     global_buffer
      - .offset:         64
        .size:           8
        .value_kind:     by_value
      - .offset:         72
        .size:           8
        .value_kind:     by_value
      - .offset:         80
        .size:           8
        .value_kind:     by_value
      - .offset:         88
        .size:           4
        .value_kind:     by_value
      - .offset:         96
        .size:           8
        .value_kind:     by_value
      - .address_space:  global
        .offset:         104
        .size:           8
        .value_kind:     global_buffer
      - .offset:         112
        .size:           8
        .value_kind:     by_value
      - .offset:         120
        .size:           8
        .value_kind:     by_value
      - .offset:         128
        .size:           8
        .value_kind:     by_value
      - .offset:         136
        .size:           4
        .value_kind:     by_value
    .group_segment_fixed_size: 128
    .kernarg_segment_align: 8
    .kernarg_segment_size: 140
    .language:       OpenCL C
    .language_version:
      - 2
      - 0
    .max_flat_workgroup_size: 256
    .name:           _ZL32rocblas_gemvt_warp_reduce_kernelILb0ELi256ElPKDF16_fKPDF16_EviiT3_lPKT2_lT1_lS7_lS8_lS4_lPT4_lS8_li
    .private_segment_fixed_size: 0
    .sgpr_count:     42
    .sgpr_spill_count: 0
    .symbol:         _ZL32rocblas_gemvt_warp_reduce_kernelILb0ELi256ElPKDF16_fKPDF16_EviiT3_lPKT2_lT1_lS7_lS8_lS4_lPT4_lS8_li.kd
    .uniform_work_group_size: 1
    .uses_dynamic_stack: false
    .vgpr_count:     26
    .vgpr_spill_count: 0
    .wavefront_size: 32
    .workgroup_processor_mode: 1
  - .args:
      - .offset:         0
        .size:           4
        .value_kind:     by_value
      - .offset:         4
        .size:           4
        .value_kind:     by_value
      - .address_space:  global
        .offset:         8
        .size:           8
        .value_kind:     global_buffer
      - .offset:         16
        .size:           8
        .value_kind:     by_value
      - .address_space:  global
        .offset:         24
        .size:           8
        .value_kind:     global_buffer
      - .offset:         32
        .size:           8
        .value_kind:     by_value
      - .offset:         40
        .size:           4
        .value_kind:     by_value
      - .offset:         48
        .size:           8
        .value_kind:     by_value
      - .address_space:  global
        .offset:         56
        .size:           8
        .value_kind:     global_buffer
      - .offset:         64
        .size:           8
        .value_kind:     by_value
      - .offset:         72
        .size:           4
        .value_kind:     by_value
      - .offset:         80
        .size:           8
        .value_kind:     by_value
      - .address_space:  global
        .offset:         88
        .size:           8
        .value_kind:     global_buffer
      - .offset:         96
        .size:           8
        .value_kind:     by_value
      - .address_space:  global
        .offset:         104
        .size:           8
        .value_kind:     global_buffer
      - .offset:         112
        .size:           8
        .value_kind:     by_value
      - .offset:         120
        .size:           4
        .value_kind:     by_value
      - .offset:         128
        .size:           8
        .value_kind:     by_value
      - .offset:         136
        .size:           4
        .value_kind:     by_value
    .group_segment_fixed_size: 1024
    .kernarg_segment_align: 8
    .kernarg_segment_size: 140
    .language:       OpenCL C
    .language_version:
      - 2
      - 0
    .max_flat_workgroup_size: 256
    .name:           _ZL20rocblas_gemvt_kernelILb0ELi256EPKDF16_PKfKPDF16_EviiT2_lPKT1_lilS9_lilS6_lPT3_lili
    .private_segment_fixed_size: 0
    .sgpr_count:     52
    .sgpr_spill_count: 0
    .symbol:         _ZL20rocblas_gemvt_kernelILb0ELi256EPKDF16_PKfKPDF16_EviiT2_lPKT1_lilS9_lilS6_lPT3_lili.kd
    .uniform_work_group_size: 1
    .uses_dynamic_stack: false
    .vgpr_count:     21
    .vgpr_spill_count: 0
    .wavefront_size: 32
    .workgroup_processor_mode: 1
  - .args:
      - .offset:         0
        .size:           4
        .value_kind:     by_value
      - .offset:         4
        .size:           4
        .value_kind:     by_value
      - .offset:         8
        .size:           4
        .value_kind:     by_value
      - .offset:         16
        .size:           8
        .value_kind:     by_value
      - .address_space:  global
        .offset:         24
        .size:           8
        .value_kind:     global_buffer
      - .offset:         32
        .size:           8
        .value_kind:     by_value
      - .offset:         40
        .size:           4
        .value_kind:     by_value
      - .offset:         48
        .size:           8
        .value_kind:     by_value
      - .address_space:  global
        .offset:         56
        .size:           8
        .value_kind:     global_buffer
      - .offset:         64
        .size:           8
        .value_kind:     by_value
      - .offset:         72
        .size:           4
        .value_kind:     by_value
      - .offset:         80
        .size:           8
        .value_kind:     by_value
      - .offset:         88
        .size:           4
        .value_kind:     by_value
      - .offset:         96
        .size:           8
        .value_kind:     by_value
      - .address_space:  global
        .offset:         104
        .size:           8
        .value_kind:     global_buffer
      - .offset:         112
        .size:           8
        .value_kind:     by_value
      - .offset:         120
        .size:           4
        .value_kind:     by_value
      - .offset:         128
        .size:           8
        .value_kind:     by_value
      - .offset:         136
        .size:           4
        .value_kind:     by_value
    .group_segment_fixed_size: 1024
    .kernarg_segment_align: 8
    .kernarg_segment_size: 140
    .language:       OpenCL C
    .language_version:
      - 2
      - 0
    .max_flat_workgroup_size: 256
    .name:           _ZL20rocblas_gemvt_kernelILb0ELi256EPKDF16_fKPDF16_EviiT2_lPKT1_lilS7_lilS4_lPT3_lili
    .private_segment_fixed_size: 0
    .sgpr_count:     46
    .sgpr_spill_count: 0
    .symbol:         _ZL20rocblas_gemvt_kernelILb0ELi256EPKDF16_fKPDF16_EviiT2_lPKT1_lilS7_lilS4_lPT3_lili.kd
    .uniform_work_group_size: 1
    .uses_dynamic_stack: false
    .vgpr_count:     21
    .vgpr_spill_count: 0
    .wavefront_size: 32
    .workgroup_processor_mode: 1
  - .args:
      - .offset:         0
        .size:           4
        .value_kind:     by_value
      - .offset:         4
        .size:           4
        .value_kind:     by_value
      - .address_space:  global
        .offset:         8
        .size:           8
        .value_kind:     global_buffer
      - .offset:         16
        .size:           8
        .value_kind:     by_value
      - .address_space:  global
        .offset:         24
        .size:           8
        .value_kind:     global_buffer
      - .offset:         32
        .size:           8
        .value_kind:     by_value
      - .offset:         40
        .size:           4
        .value_kind:     by_value
      - .offset:         48
        .size:           8
        .value_kind:     by_value
      - .address_space:  global
        .offset:         56
        .size:           8
        .value_kind:     global_buffer
      - .offset:         64
        .size:           8
        .value_kind:     by_value
      - .offset:         72
        .size:           4
        .value_kind:     by_value
      - .offset:         80
        .size:           8
        .value_kind:     by_value
      - .address_space:  global
        .offset:         88
        .size:           8
        .value_kind:     global_buffer
      - .offset:         96
        .size:           8
        .value_kind:     by_value
      - .address_space:  global
        .offset:         104
        .size:           8
        .value_kind:     global_buffer
      - .offset:         112
        .size:           8
        .value_kind:     by_value
      - .offset:         120
        .size:           4
        .value_kind:     by_value
      - .offset:         128
        .size:           8
        .value_kind:     by_value
      - .offset:         136
        .size:           4
        .value_kind:     by_value
    .group_segment_fixed_size: 128
    .kernarg_segment_align: 8
    .kernarg_segment_size: 140
    .language:       OpenCL C
    .language_version:
      - 2
      - 0
    .max_flat_workgroup_size: 1024
    .name:           _ZL32rocblas_gemvt_warp_reduce_kernelILb0ELi1024EiPKDF16_PKfKPDF16_EviiT3_lPKT2_lT1_lS9_lSA_lS6_lPT4_lSA_li
    .private_segment_fixed_size: 0
    .sgpr_count:     46
    .sgpr_spill_count: 0
    .symbol:         _ZL32rocblas_gemvt_warp_reduce_kernelILb0ELi1024EiPKDF16_PKfKPDF16_EviiT3_lPKT2_lT1_lS9_lSA_lS6_lPT4_lSA_li.kd
    .uniform_work_group_size: 1
    .uses_dynamic_stack: false
    .vgpr_count:     25
    .vgpr_spill_count: 0
    .wavefront_size: 32
    .workgroup_processor_mode: 1
  - .args:
      - .offset:         0
        .size:           4
        .value_kind:     by_value
      - .offset:         4
        .size:           4
        .value_kind:     by_value
      - .address_space:  global
        .offset:         8
        .size:           8
        .value_kind:     global_buffer
      - .offset:         16
        .size:           8
        .value_kind:     by_value
      - .address_space:  global
        .offset:         24
        .size:           8
        .value_kind:     global_buffer
      - .offset:         32
        .size:           8
        .value_kind:     by_value
      - .offset:         40
        .size:           8
        .value_kind:     by_value
      - .offset:         48
        .size:           8
        .value_kind:     by_value
      - .address_space:  global
        .offset:         56
        .size:           8
        .value_kind:     global_buffer
      - .offset:         64
        .size:           8
        .value_kind:     by_value
      - .offset:         72
        .size:           8
        .value_kind:     by_value
      - .offset:         80
        .size:           8
        .value_kind:     by_value
      - .address_space:  global
        .offset:         88
        .size:           8
        .value_kind:     global_buffer
      - .offset:         96
        .size:           8
        .value_kind:     by_value
      - .address_space:  global
        .offset:         104
        .size:           8
        .value_kind:     global_buffer
      - .offset:         112
        .size:           8
        .value_kind:     by_value
      - .offset:         120
        .size:           8
        .value_kind:     by_value
      - .offset:         128
        .size:           8
        .value_kind:     by_value
      - .offset:         136
        .size:           4
        .value_kind:     by_value
    .group_segment_fixed_size: 128
    .kernarg_segment_align: 8
    .kernarg_segment_size: 140
    .language:       OpenCL C
    .language_version:
      - 2
      - 0
    .max_flat_workgroup_size: 1024
    .name:           _ZL32rocblas_gemvt_warp_reduce_kernelILb0ELi1024ElPKDF16_PKfKPDF16_EviiT3_lPKT2_lT1_lS9_lSA_lS6_lPT4_lSA_li
    .private_segment_fixed_size: 0
    .sgpr_count:     48
    .sgpr_spill_count: 0
    .symbol:         _ZL32rocblas_gemvt_warp_reduce_kernelILb0ELi1024ElPKDF16_PKfKPDF16_EviiT3_lPKT2_lT1_lS9_lSA_lS6_lPT4_lSA_li.kd
    .uniform_work_group_size: 1
    .uses_dynamic_stack: false
    .vgpr_count:     26
    .vgpr_spill_count: 0
    .wavefront_size: 32
    .workgroup_processor_mode: 1
  - .args:
      - .offset:         0
        .size:           4
        .value_kind:     by_value
      - .offset:         4
        .size:           4
        .value_kind:     by_value
      - .offset:         8
        .size:           4
        .value_kind:     by_value
      - .offset:         16
        .size:           8
        .value_kind:     by_value
      - .address_space:  global
        .offset:         24
        .size:           8
        .value_kind:     global_buffer
      - .offset:         32
        .size:           8
        .value_kind:     by_value
      - .offset:         40
        .size:           4
        .value_kind:     by_value
      - .offset:         48
        .size:           8
        .value_kind:     by_value
      - .address_space:  global
        .offset:         56
        .size:           8
        .value_kind:     global_buffer
      - .offset:         64
        .size:           8
        .value_kind:     by_value
      - .offset:         72
        .size:           4
        .value_kind:     by_value
      - .offset:         80
        .size:           8
        .value_kind:     by_value
      - .offset:         88
        .size:           4
        .value_kind:     by_value
      - .offset:         96
        .size:           8
        .value_kind:     by_value
      - .address_space:  global
        .offset:         104
        .size:           8
        .value_kind:     global_buffer
      - .offset:         112
        .size:           8
        .value_kind:     by_value
      - .offset:         120
        .size:           4
        .value_kind:     by_value
      - .offset:         128
        .size:           8
        .value_kind:     by_value
      - .offset:         136
        .size:           4
        .value_kind:     by_value
    .group_segment_fixed_size: 128
    .kernarg_segment_align: 8
    .kernarg_segment_size: 140
    .language:       OpenCL C
    .language_version:
      - 2
      - 0
    .max_flat_workgroup_size: 1024
    .name:           _ZL32rocblas_gemvt_warp_reduce_kernelILb0ELi1024EiPKDF16_fKPDF16_EviiT3_lPKT2_lT1_lS7_lS8_lS4_lPT4_lS8_li
    .private_segment_fixed_size: 0
    .sgpr_count:     40
    .sgpr_spill_count: 0
    .symbol:         _ZL32rocblas_gemvt_warp_reduce_kernelILb0ELi1024EiPKDF16_fKPDF16_EviiT3_lPKT2_lT1_lS7_lS8_lS4_lPT4_lS8_li.kd
    .uniform_work_group_size: 1
    .uses_dynamic_stack: false
    .vgpr_count:     25
    .vgpr_spill_count: 0
    .wavefront_size: 32
    .workgroup_processor_mode: 1
  - .args:
      - .offset:         0
        .size:           4
        .value_kind:     by_value
      - .offset:         4
        .size:           4
        .value_kind:     by_value
      - .offset:         8
        .size:           4
        .value_kind:     by_value
      - .offset:         16
        .size:           8
        .value_kind:     by_value
      - .address_space:  global
        .offset:         24
        .size:           8
        .value_kind:     global_buffer
      - .offset:         32
        .size:           8
        .value_kind:     by_value
      - .offset:         40
        .size:           8
        .value_kind:     by_value
      - .offset:         48
        .size:           8
        .value_kind:     by_value
      - .address_space:  global
        .offset:         56
        .size:           8
        .value_kind:     global_buffer
      - .offset:         64
        .size:           8
        .value_kind:     by_value
      - .offset:         72
        .size:           8
        .value_kind:     by_value
      - .offset:         80
        .size:           8
        .value_kind:     by_value
      - .offset:         88
        .size:           4
        .value_kind:     by_value
      - .offset:         96
        .size:           8
        .value_kind:     by_value
      - .address_space:  global
        .offset:         104
        .size:           8
        .value_kind:     global_buffer
      - .offset:         112
        .size:           8
        .value_kind:     by_value
      - .offset:         120
        .size:           8
        .value_kind:     by_value
      - .offset:         128
        .size:           8
        .value_kind:     by_value
      - .offset:         136
        .size:           4
        .value_kind:     by_value
    .group_segment_fixed_size: 128
    .kernarg_segment_align: 8
    .kernarg_segment_size: 140
    .language:       OpenCL C
    .language_version:
      - 2
      - 0
    .max_flat_workgroup_size: 1024
    .name:           _ZL32rocblas_gemvt_warp_reduce_kernelILb0ELi1024ElPKDF16_fKPDF16_EviiT3_lPKT2_lT1_lS7_lS8_lS4_lPT4_lS8_li
    .private_segment_fixed_size: 0
    .sgpr_count:     42
    .sgpr_spill_count: 0
    .symbol:         _ZL32rocblas_gemvt_warp_reduce_kernelILb0ELi1024ElPKDF16_fKPDF16_EviiT3_lPKT2_lT1_lS7_lS8_lS4_lPT4_lS8_li.kd
    .uniform_work_group_size: 1
    .uses_dynamic_stack: false
    .vgpr_count:     26
    .vgpr_spill_count: 0
    .wavefront_size: 32
    .workgroup_processor_mode: 1
  - .args:
      - .offset:         0
        .size:           4
        .value_kind:     by_value
      - .offset:         4
        .size:           4
        .value_kind:     by_value
      - .address_space:  global
        .offset:         8
        .size:           8
        .value_kind:     global_buffer
      - .offset:         16
        .size:           8
        .value_kind:     by_value
      - .address_space:  global
        .offset:         24
        .size:           8
        .value_kind:     global_buffer
      - .offset:         32
        .size:           8
        .value_kind:     by_value
      - .offset:         40
        .size:           4
        .value_kind:     by_value
      - .offset:         48
        .size:           8
        .value_kind:     by_value
      - .address_space:  global
        .offset:         56
        .size:           8
        .value_kind:     global_buffer
      - .offset:         64
        .size:           8
        .value_kind:     by_value
      - .offset:         72
        .size:           4
        .value_kind:     by_value
      - .offset:         80
        .size:           8
        .value_kind:     by_value
      - .address_space:  global
        .offset:         88
        .size:           8
        .value_kind:     global_buffer
      - .offset:         96
        .size:           8
        .value_kind:     by_value
      - .address_space:  global
        .offset:         104
        .size:           8
        .value_kind:     global_buffer
      - .offset:         112
        .size:           8
        .value_kind:     by_value
      - .offset:         120
        .size:           4
        .value_kind:     by_value
      - .offset:         128
        .size:           8
        .value_kind:     by_value
    .group_segment_fixed_size: 256
    .kernarg_segment_align: 8
    .kernarg_segment_size: 136
    .language:       OpenCL C
    .language_version:
      - 2
      - 0
    .max_flat_workgroup_size: 256
    .name:           _ZL22rocblas_gemvtsm_kernelILb1ELi256EPKDF16_PKfKPDF16_EviiT2_lPKT1_lilS9_lilS6_lPT3_lil
    .private_segment_fixed_size: 0
    .sgpr_count:     24
    .sgpr_spill_count: 0
    .symbol:         _ZL22rocblas_gemvtsm_kernelILb1ELi256EPKDF16_PKfKPDF16_EviiT2_lPKT1_lilS9_lilS6_lPT3_lil.kd
    .uniform_work_group_size: 1
    .uses_dynamic_stack: false
    .vgpr_count:     22
    .vgpr_spill_count: 0
    .wavefront_size: 32
    .workgroup_processor_mode: 1
  - .args:
      - .offset:         0
        .size:           4
        .value_kind:     by_value
      - .offset:         4
        .size:           4
        .value_kind:     by_value
      - .offset:         8
        .size:           4
        .value_kind:     by_value
      - .offset:         16
        .size:           8
        .value_kind:     by_value
      - .address_space:  global
        .offset:         24
        .size:           8
        .value_kind:     global_buffer
      - .offset:         32
        .size:           8
        .value_kind:     by_value
      - .offset:         40
        .size:           4
        .value_kind:     by_value
      - .offset:         48
        .size:           8
        .value_kind:     by_value
      - .address_space:  global
        .offset:         56
        .size:           8
        .value_kind:     global_buffer
      - .offset:         64
        .size:           8
        .value_kind:     by_value
      - .offset:         72
        .size:           4
        .value_kind:     by_value
      - .offset:         80
        .size:           8
        .value_kind:     by_value
      - .offset:         88
        .size:           4
        .value_kind:     by_value
      - .offset:         96
        .size:           8
        .value_kind:     by_value
      - .address_space:  global
        .offset:         104
        .size:           8
        .value_kind:     global_buffer
      - .offset:         112
        .size:           8
        .value_kind:     by_value
      - .offset:         120
        .size:           4
        .value_kind:     by_value
      - .offset:         128
        .size:           8
        .value_kind:     by_value
    .group_segment_fixed_size: 256
    .kernarg_segment_align: 8
    .kernarg_segment_size: 136
    .language:       OpenCL C
    .language_version:
      - 2
      - 0
    .max_flat_workgroup_size: 256
    .name:           _ZL22rocblas_gemvtsm_kernelILb1ELi256EPKDF16_fKPDF16_EviiT2_lPKT1_lilS7_lilS4_lPT3_lil
    .private_segment_fixed_size: 0
    .sgpr_count:     26
    .sgpr_spill_count: 0
    .symbol:         _ZL22rocblas_gemvtsm_kernelILb1ELi256EPKDF16_fKPDF16_EviiT2_lPKT1_lilS7_lilS4_lPT3_lil.kd
    .uniform_work_group_size: 1
    .uses_dynamic_stack: false
    .vgpr_count:     22
    .vgpr_spill_count: 0
    .wavefront_size: 32
    .workgroup_processor_mode: 1
  - .args:
      - .offset:         0
        .size:           4
        .value_kind:     by_value
      - .offset:         4
        .size:           4
        .value_kind:     by_value
      - .address_space:  global
        .offset:         8
        .size:           8
        .value_kind:     global_buffer
      - .offset:         16
        .size:           8
        .value_kind:     by_value
      - .address_space:  global
        .offset:         24
        .size:           8
        .value_kind:     global_buffer
      - .offset:         32
        .size:           8
        .value_kind:     by_value
      - .offset:         40
        .size:           4
        .value_kind:     by_value
      - .offset:         48
        .size:           8
        .value_kind:     by_value
      - .address_space:  global
        .offset:         56
        .size:           8
        .value_kind:     global_buffer
      - .offset:         64
        .size:           8
        .value_kind:     by_value
      - .offset:         72
        .size:           4
        .value_kind:     by_value
      - .offset:         80
        .size:           8
        .value_kind:     by_value
      - .address_space:  global
        .offset:         88
        .size:           8
        .value_kind:     global_buffer
      - .offset:         96
        .size:           4
        .value_kind:     by_value
      - .offset:         104
        .size:           4
        .value_kind:     hidden_block_count_x
      - .offset:         108
        .size:           4
        .value_kind:     hidden_block_count_y
      - .offset:         112
        .size:           4
        .value_kind:     hidden_block_count_z
      - .offset:         116
        .size:           2
        .value_kind:     hidden_group_size_x
      - .offset:         118
        .size:           2
        .value_kind:     hidden_group_size_y
      - .offset:         120
        .size:           2
        .value_kind:     hidden_group_size_z
      - .offset:         122
        .size:           2
        .value_kind:     hidden_remainder_x
      - .offset:         124
        .size:           2
        .value_kind:     hidden_remainder_y
      - .offset:         126
        .size:           2
        .value_kind:     hidden_remainder_z
      - .offset:         144
        .size:           8
        .value_kind:     hidden_global_offset_x
      - .offset:         152
        .size:           8
        .value_kind:     hidden_global_offset_y
      - .offset:         160
        .size:           8
        .value_kind:     hidden_global_offset_z
      - .offset:         168
        .size:           2
        .value_kind:     hidden_grid_dims
    .group_segment_fixed_size: 128
    .kernarg_segment_align: 8
    .kernarg_segment_size: 360
    .language:       OpenCL C
    .language_version:
      - 2
      - 0
    .max_flat_workgroup_size: 256
    .name:           _ZL23rocblas_gemvt_sn_kernelILb1ELi256ELi4EiPKDF16_PKffEviiT4_lPKT3_lilS7_lilPT5_i
    .private_segment_fixed_size: 0
    .sgpr_count:     76
    .sgpr_spill_count: 0
    .symbol:         _ZL23rocblas_gemvt_sn_kernelILb1ELi256ELi4EiPKDF16_PKffEviiT4_lPKT3_lilS7_lilPT5_i.kd
    .uniform_work_group_size: 1
    .uses_dynamic_stack: false
    .vgpr_count:     51
    .vgpr_spill_count: 0
    .wavefront_size: 32
    .workgroup_processor_mode: 1
  - .args:
      - .offset:         0
        .size:           4
        .value_kind:     by_value
      - .offset:         4
        .size:           4
        .value_kind:     by_value
      - .address_space:  global
        .offset:         8
        .size:           8
        .value_kind:     global_buffer
      - .offset:         16
        .size:           8
        .value_kind:     by_value
      - .address_space:  global
        .offset:         24
        .size:           8
        .value_kind:     global_buffer
      - .offset:         32
        .size:           8
        .value_kind:     by_value
      - .offset:         40
        .size:           4
        .value_kind:     by_value
      - .offset:         48
        .size:           8
        .value_kind:     by_value
      - .address_space:  global
        .offset:         56
        .size:           8
        .value_kind:     global_buffer
      - .offset:         64
        .size:           8
        .value_kind:     by_value
      - .offset:         72
        .size:           4
        .value_kind:     by_value
      - .offset:         80
        .size:           8
        .value_kind:     by_value
      - .address_space:  global
        .offset:         88
        .size:           8
        .value_kind:     global_buffer
      - .offset:         96
        .size:           4
        .value_kind:     by_value
      - .offset:         104
        .size:           4
        .value_kind:     hidden_block_count_x
      - .offset:         108
        .size:           4
        .value_kind:     hidden_block_count_y
      - .offset:         112
        .size:           4
        .value_kind:     hidden_block_count_z
      - .offset:         116
        .size:           2
        .value_kind:     hidden_group_size_x
      - .offset:         118
        .size:           2
        .value_kind:     hidden_group_size_y
      - .offset:         120
        .size:           2
        .value_kind:     hidden_group_size_z
      - .offset:         122
        .size:           2
        .value_kind:     hidden_remainder_x
      - .offset:         124
        .size:           2
        .value_kind:     hidden_remainder_y
      - .offset:         126
        .size:           2
        .value_kind:     hidden_remainder_z
      - .offset:         144
        .size:           8
        .value_kind:     hidden_global_offset_x
      - .offset:         152
        .size:           8
        .value_kind:     hidden_global_offset_y
      - .offset:         160
        .size:           8
        .value_kind:     hidden_global_offset_z
      - .offset:         168
        .size:           2
        .value_kind:     hidden_grid_dims
    .group_segment_fixed_size: 128
    .kernarg_segment_align: 8
    .kernarg_segment_size: 360
    .language:       OpenCL C
    .language_version:
      - 2
      - 0
    .max_flat_workgroup_size: 256
    .name:           _ZL23rocblas_gemvt_sn_kernelILb1ELi256ELi4ElPKDF16_PKffEviiT4_lPKT3_lilS7_lilPT5_i
    .private_segment_fixed_size: 0
    .sgpr_count:     70
    .sgpr_spill_count: 0
    .symbol:         _ZL23rocblas_gemvt_sn_kernelILb1ELi256ELi4ElPKDF16_PKffEviiT4_lPKT3_lilS7_lilPT5_i.kd
    .uniform_work_group_size: 1
    .uses_dynamic_stack: false
    .vgpr_count:     51
    .vgpr_spill_count: 0
    .wavefront_size: 32
    .workgroup_processor_mode: 1
  - .args:
      - .offset:         0
        .size:           4
        .value_kind:     by_value
      - .offset:         4
        .size:           4
        .value_kind:     by_value
      - .offset:         8
        .size:           4
        .value_kind:     by_value
      - .offset:         16
        .size:           8
        .value_kind:     by_value
      - .address_space:  global
        .offset:         24
        .size:           8
        .value_kind:     global_buffer
      - .offset:         32
        .size:           8
        .value_kind:     by_value
      - .offset:         40
        .size:           4
        .value_kind:     by_value
      - .offset:         48
        .size:           8
        .value_kind:     by_value
      - .address_space:  global
        .offset:         56
        .size:           8
        .value_kind:     global_buffer
      - .offset:         64
        .size:           8
        .value_kind:     by_value
      - .offset:         72
        .size:           4
        .value_kind:     by_value
      - .offset:         80
        .size:           8
        .value_kind:     by_value
      - .address_space:  global
        .offset:         88
        .size:           8
        .value_kind:     global_buffer
      - .offset:         96
        .size:           4
        .value_kind:     by_value
      - .offset:         104
        .size:           4
        .value_kind:     hidden_block_count_x
      - .offset:         108
        .size:           4
        .value_kind:     hidden_block_count_y
      - .offset:         112
        .size:           4
        .value_kind:     hidden_block_count_z
      - .offset:         116
        .size:           2
        .value_kind:     hidden_group_size_x
      - .offset:         118
        .size:           2
        .value_kind:     hidden_group_size_y
      - .offset:         120
        .size:           2
        .value_kind:     hidden_group_size_z
      - .offset:         122
        .size:           2
        .value_kind:     hidden_remainder_x
      - .offset:         124
        .size:           2
        .value_kind:     hidden_remainder_y
      - .offset:         126
        .size:           2
        .value_kind:     hidden_remainder_z
      - .offset:         144
        .size:           8
        .value_kind:     hidden_global_offset_x
      - .offset:         152
        .size:           8
        .value_kind:     hidden_global_offset_y
      - .offset:         160
        .size:           8
        .value_kind:     hidden_global_offset_z
      - .offset:         168
        .size:           2
        .value_kind:     hidden_grid_dims
    .group_segment_fixed_size: 128
    .kernarg_segment_align: 8
    .kernarg_segment_size: 360
    .language:       OpenCL C
    .language_version:
      - 2
      - 0
    .max_flat_workgroup_size: 256
    .name:           _ZL23rocblas_gemvt_sn_kernelILb1ELi256ELi4EiPKDF16_ffEviiT4_lPKT3_lilS5_lilPT5_i
    .private_segment_fixed_size: 0
    .sgpr_count:     72
    .sgpr_spill_count: 0
    .symbol:         _ZL23rocblas_gemvt_sn_kernelILb1ELi256ELi4EiPKDF16_ffEviiT4_lPKT3_lilS5_lilPT5_i.kd
    .uniform_work_group_size: 1
    .uses_dynamic_stack: false
    .vgpr_count:     50
    .vgpr_spill_count: 0
    .wavefront_size: 32
    .workgroup_processor_mode: 1
  - .args:
      - .offset:         0
        .size:           4
        .value_kind:     by_value
      - .offset:         4
        .size:           4
        .value_kind:     by_value
      - .offset:         8
        .size:           4
        .value_kind:     by_value
      - .offset:         16
        .size:           8
        .value_kind:     by_value
      - .address_space:  global
        .offset:         24
        .size:           8
        .value_kind:     global_buffer
      - .offset:         32
        .size:           8
        .value_kind:     by_value
      - .offset:         40
        .size:           4
        .value_kind:     by_value
      - .offset:         48
        .size:           8
        .value_kind:     by_value
      - .address_space:  global
        .offset:         56
        .size:           8
        .value_kind:     global_buffer
      - .offset:         64
        .size:           8
        .value_kind:     by_value
      - .offset:         72
        .size:           4
        .value_kind:     by_value
      - .offset:         80
        .size:           8
        .value_kind:     by_value
      - .address_space:  global
        .offset:         88
        .size:           8
        .value_kind:     global_buffer
      - .offset:         96
        .size:           4
        .value_kind:     by_value
      - .offset:         104
        .size:           4
        .value_kind:     hidden_block_count_x
      - .offset:         108
        .size:           4
        .value_kind:     hidden_block_count_y
      - .offset:         112
        .size:           4
        .value_kind:     hidden_block_count_z
      - .offset:         116
        .size:           2
        .value_kind:     hidden_group_size_x
      - .offset:         118
        .size:           2
        .value_kind:     hidden_group_size_y
      - .offset:         120
        .size:           2
        .value_kind:     hidden_group_size_z
      - .offset:         122
        .size:           2
        .value_kind:     hidden_remainder_x
      - .offset:         124
        .size:           2
        .value_kind:     hidden_remainder_y
      - .offset:         126
        .size:           2
        .value_kind:     hidden_remainder_z
      - .offset:         144
        .size:           8
        .value_kind:     hidden_global_offset_x
      - .offset:         152
        .size:           8
        .value_kind:     hidden_global_offset_y
      - .offset:         160
        .size:           8
        .value_kind:     hidden_global_offset_z
      - .offset:         168
        .size:           2
        .value_kind:     hidden_grid_dims
    .group_segment_fixed_size: 128
    .kernarg_segment_align: 8
    .kernarg_segment_size: 360
    .language:       OpenCL C
    .language_version:
      - 2
      - 0
    .max_flat_workgroup_size: 256
    .name:           _ZL23rocblas_gemvt_sn_kernelILb1ELi256ELi4ElPKDF16_ffEviiT4_lPKT3_lilS5_lilPT5_i
    .private_segment_fixed_size: 0
    .sgpr_count:     64
    .sgpr_spill_count: 0
    .symbol:         _ZL23rocblas_gemvt_sn_kernelILb1ELi256ELi4ElPKDF16_ffEviiT4_lPKT3_lilS5_lilPT5_i.kd
    .uniform_work_group_size: 1
    .uses_dynamic_stack: false
    .vgpr_count:     50
    .vgpr_spill_count: 0
    .wavefront_size: 32
    .workgroup_processor_mode: 1
  - .args:
      - .offset:         0
        .size:           4
        .value_kind:     by_value
      - .offset:         4
        .size:           4
        .value_kind:     by_value
      - .address_space:  global
        .offset:         8
        .size:           8
        .value_kind:     global_buffer
      - .offset:         16
        .size:           8
        .value_kind:     by_value
      - .address_space:  global
        .offset:         24
        .size:           8
        .value_kind:     global_buffer
      - .offset:         32
        .size:           8
        .value_kind:     by_value
      - .offset:         40
        .size:           4
        .value_kind:     by_value
      - .offset:         48
        .size:           8
        .value_kind:     by_value
      - .address_space:  global
        .offset:         56
        .size:           8
        .value_kind:     global_buffer
      - .offset:         64
        .size:           8
        .value_kind:     by_value
      - .offset:         72
        .size:           4
        .value_kind:     by_value
      - .offset:         80
        .size:           8
        .value_kind:     by_value
      - .address_space:  global
        .offset:         88
        .size:           8
        .value_kind:     global_buffer
      - .offset:         96
        .size:           8
        .value_kind:     by_value
      - .address_space:  global
        .offset:         104
        .size:           8
        .value_kind:     global_buffer
      - .offset:         112
        .size:           8
        .value_kind:     by_value
      - .offset:         120
        .size:           4
        .value_kind:     by_value
      - .offset:         128
        .size:           8
        .value_kind:     by_value
      - .offset:         136
        .size:           4
        .value_kind:     by_value
    .group_segment_fixed_size: 1024
    .kernarg_segment_align: 8
    .kernarg_segment_size: 140
    .language:       OpenCL C
    .language_version:
      - 2
      - 0
    .max_flat_workgroup_size: 256
    .name:           _ZL20rocblas_gemvt_kernelILb1ELi256EPKDF16_PKfKPDF16_EviiT2_lPKT1_lilS9_lilS6_lPT3_lili
    .private_segment_fixed_size: 0
    .sgpr_count:     52
    .sgpr_spill_count: 0
    .symbol:         _ZL20rocblas_gemvt_kernelILb1ELi256EPKDF16_PKfKPDF16_EviiT2_lPKT1_lilS9_lilS6_lPT3_lili.kd
    .uniform_work_group_size: 1
    .uses_dynamic_stack: false
    .vgpr_count:     21
    .vgpr_spill_count: 0
    .wavefront_size: 32
    .workgroup_processor_mode: 1
  - .args:
      - .offset:         0
        .size:           4
        .value_kind:     by_value
      - .offset:         4
        .size:           4
        .value_kind:     by_value
      - .offset:         8
        .size:           4
        .value_kind:     by_value
      - .offset:         16
        .size:           8
        .value_kind:     by_value
      - .address_space:  global
        .offset:         24
        .size:           8
        .value_kind:     global_buffer
      - .offset:         32
        .size:           8
        .value_kind:     by_value
      - .offset:         40
        .size:           4
        .value_kind:     by_value
      - .offset:         48
        .size:           8
        .value_kind:     by_value
      - .address_space:  global
        .offset:         56
        .size:           8
        .value_kind:     global_buffer
      - .offset:         64
        .size:           8
        .value_kind:     by_value
      - .offset:         72
        .size:           4
        .value_kind:     by_value
      - .offset:         80
        .size:           8
        .value_kind:     by_value
      - .offset:         88
        .size:           4
        .value_kind:     by_value
      - .offset:         96
        .size:           8
        .value_kind:     by_value
      - .address_space:  global
        .offset:         104
        .size:           8
        .value_kind:     global_buffer
      - .offset:         112
        .size:           8
        .value_kind:     by_value
      - .offset:         120
        .size:           4
        .value_kind:     by_value
      - .offset:         128
        .size:           8
        .value_kind:     by_value
      - .offset:         136
        .size:           4
        .value_kind:     by_value
    .group_segment_fixed_size: 1024
    .kernarg_segment_align: 8
    .kernarg_segment_size: 140
    .language:       OpenCL C
    .language_version:
      - 2
      - 0
    .max_flat_workgroup_size: 256
    .name:           _ZL20rocblas_gemvt_kernelILb1ELi256EPKDF16_fKPDF16_EviiT2_lPKT1_lilS7_lilS4_lPT3_lili
    .private_segment_fixed_size: 0
    .sgpr_count:     46
    .sgpr_spill_count: 0
    .symbol:         _ZL20rocblas_gemvt_kernelILb1ELi256EPKDF16_fKPDF16_EviiT2_lPKT1_lilS7_lilS4_lPT3_lili.kd
    .uniform_work_group_size: 1
    .uses_dynamic_stack: false
    .vgpr_count:     21
    .vgpr_spill_count: 0
    .wavefront_size: 32
    .workgroup_processor_mode: 1
  - .args:
      - .offset:         0
        .size:           4
        .value_kind:     by_value
      - .offset:         4
        .size:           4
        .value_kind:     by_value
      - .address_space:  global
        .offset:         8
        .size:           8
        .value_kind:     global_buffer
      - .offset:         16
        .size:           8
        .value_kind:     by_value
      - .address_space:  global
        .offset:         24
        .size:           8
        .value_kind:     global_buffer
      - .offset:         32
        .size:           8
        .value_kind:     by_value
      - .offset:         40
        .size:           4
        .value_kind:     by_value
      - .offset:         48
        .size:           8
        .value_kind:     by_value
      - .address_space:  global
        .offset:         56
        .size:           8
        .value_kind:     global_buffer
      - .offset:         64
        .size:           8
        .value_kind:     by_value
      - .offset:         72
        .size:           4
        .value_kind:     by_value
      - .offset:         80
        .size:           8
        .value_kind:     by_value
      - .address_space:  global
        .offset:         88
        .size:           8
        .value_kind:     global_buffer
      - .offset:         96
        .size:           8
        .value_kind:     by_value
      - .address_space:  global
        .offset:         104
        .size:           8
        .value_kind:     global_buffer
      - .offset:         112
        .size:           8
        .value_kind:     by_value
      - .offset:         120
        .size:           4
        .value_kind:     by_value
      - .offset:         128
        .size:           8
        .value_kind:     by_value
      - .offset:         136
        .size:           4
        .value_kind:     by_value
    .group_segment_fixed_size: 128
    .kernarg_segment_align: 8
    .kernarg_segment_size: 140
    .language:       OpenCL C
    .language_version:
      - 2
      - 0
    .max_flat_workgroup_size: 1024
    .name:           _ZL32rocblas_gemvt_warp_reduce_kernelILb1ELi1024EiPKDF16_PKfKPDF16_EviiT3_lPKT2_lT1_lS9_lSA_lS6_lPT4_lSA_li
    .private_segment_fixed_size: 0
    .sgpr_count:     46
    .sgpr_spill_count: 0
    .symbol:         _ZL32rocblas_gemvt_warp_reduce_kernelILb1ELi1024EiPKDF16_PKfKPDF16_EviiT3_lPKT2_lT1_lS9_lSA_lS6_lPT4_lSA_li.kd
    .uniform_work_group_size: 1
    .uses_dynamic_stack: false
    .vgpr_count:     25
    .vgpr_spill_count: 0
    .wavefront_size: 32
    .workgroup_processor_mode: 1
  - .args:
      - .offset:         0
        .size:           4
        .value_kind:     by_value
      - .offset:         4
        .size:           4
        .value_kind:     by_value
      - .address_space:  global
        .offset:         8
        .size:           8
        .value_kind:     global_buffer
      - .offset:         16
        .size:           8
        .value_kind:     by_value
      - .address_space:  global
        .offset:         24
        .size:           8
        .value_kind:     global_buffer
      - .offset:         32
        .size:           8
        .value_kind:     by_value
      - .offset:         40
        .size:           8
        .value_kind:     by_value
      - .offset:         48
        .size:           8
        .value_kind:     by_value
      - .address_space:  global
        .offset:         56
        .size:           8
        .value_kind:     global_buffer
      - .offset:         64
        .size:           8
        .value_kind:     by_value
      - .offset:         72
        .size:           8
        .value_kind:     by_value
      - .offset:         80
        .size:           8
        .value_kind:     by_value
      - .address_space:  global
        .offset:         88
        .size:           8
        .value_kind:     global_buffer
      - .offset:         96
        .size:           8
        .value_kind:     by_value
      - .address_space:  global
        .offset:         104
        .size:           8
        .value_kind:     global_buffer
      - .offset:         112
        .size:           8
        .value_kind:     by_value
      - .offset:         120
        .size:           8
        .value_kind:     by_value
      - .offset:         128
        .size:           8
        .value_kind:     by_value
      - .offset:         136
        .size:           4
        .value_kind:     by_value
    .group_segment_fixed_size: 128
    .kernarg_segment_align: 8
    .kernarg_segment_size: 140
    .language:       OpenCL C
    .language_version:
      - 2
      - 0
    .max_flat_workgroup_size: 1024
    .name:           _ZL32rocblas_gemvt_warp_reduce_kernelILb1ELi1024ElPKDF16_PKfKPDF16_EviiT3_lPKT2_lT1_lS9_lSA_lS6_lPT4_lSA_li
    .private_segment_fixed_size: 0
    .sgpr_count:     48
    .sgpr_spill_count: 0
    .symbol:         _ZL32rocblas_gemvt_warp_reduce_kernelILb1ELi1024ElPKDF16_PKfKPDF16_EviiT3_lPKT2_lT1_lS9_lSA_lS6_lPT4_lSA_li.kd
    .uniform_work_group_size: 1
    .uses_dynamic_stack: false
    .vgpr_count:     26
    .vgpr_spill_count: 0
    .wavefront_size: 32
    .workgroup_processor_mode: 1
  - .args:
      - .offset:         0
        .size:           4
        .value_kind:     by_value
      - .offset:         4
        .size:           4
        .value_kind:     by_value
      - .offset:         8
        .size:           4
        .value_kind:     by_value
      - .offset:         16
        .size:           8
        .value_kind:     by_value
      - .address_space:  global
        .offset:         24
        .size:           8
        .value_kind:     global_buffer
      - .offset:         32
        .size:           8
        .value_kind:     by_value
      - .offset:         40
        .size:           4
        .value_kind:     by_value
      - .offset:         48
        .size:           8
        .value_kind:     by_value
      - .address_space:  global
        .offset:         56
        .size:           8
        .value_kind:     global_buffer
      - .offset:         64
        .size:           8
        .value_kind:     by_value
      - .offset:         72
        .size:           4
        .value_kind:     by_value
      - .offset:         80
        .size:           8
        .value_kind:     by_value
      - .offset:         88
        .size:           4
        .value_kind:     by_value
      - .offset:         96
        .size:           8
        .value_kind:     by_value
      - .address_space:  global
        .offset:         104
        .size:           8
        .value_kind:     global_buffer
      - .offset:         112
        .size:           8
        .value_kind:     by_value
      - .offset:         120
        .size:           4
        .value_kind:     by_value
      - .offset:         128
        .size:           8
        .value_kind:     by_value
      - .offset:         136
        .size:           4
        .value_kind:     by_value
    .group_segment_fixed_size: 128
    .kernarg_segment_align: 8
    .kernarg_segment_size: 140
    .language:       OpenCL C
    .language_version:
      - 2
      - 0
    .max_flat_workgroup_size: 1024
    .name:           _ZL32rocblas_gemvt_warp_reduce_kernelILb1ELi1024EiPKDF16_fKPDF16_EviiT3_lPKT2_lT1_lS7_lS8_lS4_lPT4_lS8_li
    .private_segment_fixed_size: 0
    .sgpr_count:     40
    .sgpr_spill_count: 0
    .symbol:         _ZL32rocblas_gemvt_warp_reduce_kernelILb1ELi1024EiPKDF16_fKPDF16_EviiT3_lPKT2_lT1_lS7_lS8_lS4_lPT4_lS8_li.kd
    .uniform_work_group_size: 1
    .uses_dynamic_stack: false
    .vgpr_count:     25
    .vgpr_spill_count: 0
    .wavefront_size: 32
    .workgroup_processor_mode: 1
  - .args:
      - .offset:         0
        .size:           4
        .value_kind:     by_value
      - .offset:         4
        .size:           4
        .value_kind:     by_value
      - .offset:         8
        .size:           4
        .value_kind:     by_value
      - .offset:         16
        .size:           8
        .value_kind:     by_value
      - .address_space:  global
        .offset:         24
        .size:           8
        .value_kind:     global_buffer
      - .offset:         32
        .size:           8
        .value_kind:     by_value
      - .offset:         40
        .size:           8
        .value_kind:     by_value
      - .offset:         48
        .size:           8
        .value_kind:     by_value
      - .address_space:  global
        .offset:         56
        .size:           8
        .value_kind:     global_buffer
      - .offset:         64
        .size:           8
        .value_kind:     by_value
      - .offset:         72
        .size:           8
        .value_kind:     by_value
      - .offset:         80
        .size:           8
        .value_kind:     by_value
      - .offset:         88
        .size:           4
        .value_kind:     by_value
      - .offset:         96
        .size:           8
        .value_kind:     by_value
      - .address_space:  global
        .offset:         104
        .size:           8
        .value_kind:     global_buffer
      - .offset:         112
        .size:           8
        .value_kind:     by_value
      - .offset:         120
        .size:           8
        .value_kind:     by_value
      - .offset:         128
        .size:           8
        .value_kind:     by_value
      - .offset:         136
        .size:           4
        .value_kind:     by_value
    .group_segment_fixed_size: 128
    .kernarg_segment_align: 8
    .kernarg_segment_size: 140
    .language:       OpenCL C
    .language_version:
      - 2
      - 0
    .max_flat_workgroup_size: 1024
    .name:           _ZL32rocblas_gemvt_warp_reduce_kernelILb1ELi1024ElPKDF16_fKPDF16_EviiT3_lPKT2_lT1_lS7_lS8_lS4_lPT4_lS8_li
    .private_segment_fixed_size: 0
    .sgpr_count:     42
    .sgpr_spill_count: 0
    .symbol:         _ZL32rocblas_gemvt_warp_reduce_kernelILb1ELi1024ElPKDF16_fKPDF16_EviiT3_lPKT2_lT1_lS7_lS8_lS4_lPT4_lS8_li.kd
    .uniform_work_group_size: 1
    .uses_dynamic_stack: false
    .vgpr_count:     26
    .vgpr_spill_count: 0
    .wavefront_size: 32
    .workgroup_processor_mode: 1
  - .args:
      - .offset:         0
        .size:           4
        .value_kind:     by_value
      - .offset:         4
        .size:           4
        .value_kind:     by_value
      - .address_space:  global
        .offset:         8
        .size:           8
        .value_kind:     global_buffer
      - .offset:         16
        .size:           8
        .value_kind:     by_value
      - .address_space:  global
        .offset:         24
        .size:           8
        .value_kind:     global_buffer
      - .offset:         32
        .size:           8
        .value_kind:     by_value
      - .offset:         40
        .size:           4
        .value_kind:     by_value
      - .offset:         48
        .size:           8
        .value_kind:     by_value
      - .address_space:  global
        .offset:         56
        .size:           8
        .value_kind:     global_buffer
      - .offset:         64
        .size:           8
        .value_kind:     by_value
      - .offset:         72
        .size:           4
        .value_kind:     by_value
      - .offset:         80
        .size:           8
        .value_kind:     by_value
      - .address_space:  global
        .offset:         88
        .size:           8
        .value_kind:     global_buffer
      - .offset:         96
        .size:           8
        .value_kind:     by_value
      - .address_space:  global
        .offset:         104
        .size:           8
        .value_kind:     global_buffer
      - .offset:         112
        .size:           8
        .value_kind:     by_value
      - .offset:         120
        .size:           4
        .value_kind:     by_value
      - .offset:         128
        .size:           8
        .value_kind:     by_value
      - .offset:         136
        .size:           4
        .value_kind:     by_value
    .group_segment_fixed_size: 0
    .kernarg_segment_align: 8
    .kernarg_segment_size: 140
    .language:       OpenCL C
    .language_version:
      - 2
      - 0
    .max_flat_workgroup_size: 768
    .name:           _ZL34rocblas_gemvn_sm_mn_batched_kernelILi32ELi24EDF16_PKffEviiT2_lPKT1_lilS5_lilS2_lPT3_lili
    .private_segment_fixed_size: 0
    .sgpr_count:     0
    .sgpr_spill_count: 0
    .symbol:         _ZL34rocblas_gemvn_sm_mn_batched_kernelILi32ELi24EDF16_PKffEviiT2_lPKT1_lilS5_lilS2_lPT3_lili.kd
    .uniform_work_group_size: 1
    .uses_dynamic_stack: false
    .vgpr_count:     0
    .vgpr_spill_count: 0
    .wavefront_size: 32
    .workgroup_processor_mode: 1
  - .args:
      - .offset:         0
        .size:           4
        .value_kind:     by_value
      - .offset:         4
        .size:           4
        .value_kind:     by_value
      - .offset:         8
        .size:           4
        .value_kind:     by_value
      - .offset:         16
        .size:           8
        .value_kind:     by_value
      - .address_space:  global
        .offset:         24
        .size:           8
        .value_kind:     global_buffer
      - .offset:         32
        .size:           8
        .value_kind:     by_value
      - .offset:         40
        .size:           4
        .value_kind:     by_value
      - .offset:         48
        .size:           8
        .value_kind:     by_value
      - .address_space:  global
        .offset:         56
        .size:           8
        .value_kind:     global_buffer
      - .offset:         64
        .size:           8
        .value_kind:     by_value
      - .offset:         72
        .size:           4
        .value_kind:     by_value
      - .offset:         80
        .size:           8
        .value_kind:     by_value
      - .offset:         88
        .size:           4
        .value_kind:     by_value
      - .offset:         96
        .size:           8
        .value_kind:     by_value
      - .address_space:  global
        .offset:         104
        .size:           8
        .value_kind:     global_buffer
      - .offset:         112
        .size:           8
        .value_kind:     by_value
      - .offset:         120
        .size:           4
        .value_kind:     by_value
      - .offset:         128
        .size:           8
        .value_kind:     by_value
      - .offset:         136
        .size:           4
        .value_kind:     by_value
    .group_segment_fixed_size: 0
    .kernarg_segment_align: 8
    .kernarg_segment_size: 140
    .language:       OpenCL C
    .language_version:
      - 2
      - 0
    .max_flat_workgroup_size: 768
    .name:           _ZL34rocblas_gemvn_sm_mn_batched_kernelILi32ELi24EDF16_ffEviiT2_lPKT1_lilS3_lilS0_lPT3_lili
    .private_segment_fixed_size: 0
    .sgpr_count:     0
    .sgpr_spill_count: 0
    .symbol:         _ZL34rocblas_gemvn_sm_mn_batched_kernelILi32ELi24EDF16_ffEviiT2_lPKT1_lilS3_lilS0_lPT3_lili.kd
    .uniform_work_group_size: 1
    .uses_dynamic_stack: false
    .vgpr_count:     0
    .vgpr_spill_count: 0
    .wavefront_size: 32
    .workgroup_processor_mode: 1
  - .args:
      - .offset:         0
        .size:           4
        .value_kind:     by_value
      - .offset:         4
        .size:           4
        .value_kind:     by_value
      - .address_space:  global
        .offset:         8
        .size:           8
        .value_kind:     global_buffer
      - .offset:         16
        .size:           8
        .value_kind:     by_value
      - .address_space:  global
        .offset:         24
        .size:           8
        .value_kind:     global_buffer
      - .offset:         32
        .size:           8
        .value_kind:     by_value
      - .offset:         40
        .size:           4
        .value_kind:     by_value
      - .offset:         48
        .size:           8
        .value_kind:     by_value
      - .address_space:  global
        .offset:         56
        .size:           8
        .value_kind:     global_buffer
      - .offset:         64
        .size:           8
        .value_kind:     by_value
      - .offset:         72
        .size:           4
        .value_kind:     by_value
      - .offset:         80
        .size:           8
        .value_kind:     by_value
      - .address_space:  global
        .offset:         88
        .size:           8
        .value_kind:     global_buffer
      - .offset:         96
        .size:           8
        .value_kind:     by_value
      - .address_space:  global
        .offset:         104
        .size:           8
        .value_kind:     global_buffer
      - .offset:         112
        .size:           8
        .value_kind:     by_value
      - .offset:         120
        .size:           4
        .value_kind:     by_value
      - .offset:         128
        .size:           8
        .value_kind:     by_value
      - .offset:         136
        .size:           4
        .value_kind:     by_value
      - .offset:         144
        .size:           4
        .value_kind:     hidden_block_count_x
      - .offset:         148
        .size:           4
        .value_kind:     hidden_block_count_y
      - .offset:         152
        .size:           4
        .value_kind:     hidden_block_count_z
      - .offset:         156
        .size:           2
        .value_kind:     hidden_group_size_x
      - .offset:         158
        .size:           2
        .value_kind:     hidden_group_size_y
      - .offset:         160
        .size:           2
        .value_kind:     hidden_group_size_z
      - .offset:         162
        .size:           2
        .value_kind:     hidden_remainder_x
      - .offset:         164
        .size:           2
        .value_kind:     hidden_remainder_y
      - .offset:         166
        .size:           2
        .value_kind:     hidden_remainder_z
      - .offset:         184
        .size:           8
        .value_kind:     hidden_global_offset_x
      - .offset:         192
        .size:           8
        .value_kind:     hidden_global_offset_y
      - .offset:         200
        .size:           8
        .value_kind:     hidden_global_offset_z
      - .offset:         208
        .size:           2
        .value_kind:     hidden_grid_dims
    .group_segment_fixed_size: 4096
    .kernarg_segment_align: 8
    .kernarg_segment_size: 400
    .language:       OpenCL C
    .language_version:
      - 2
      - 0
    .max_flat_workgroup_size: 256
    .name:           _ZL20rocblas_gemvn_kernelILi64ELi4EiDF16_PKffEviiT3_lPKT2_lT1_lS5_lS6_lS2_lPT4_lS6_li
    .private_segment_fixed_size: 0
    .sgpr_count:     57
    .sgpr_spill_count: 0
    .symbol:         _ZL20rocblas_gemvn_kernelILi64ELi4EiDF16_PKffEviiT3_lPKT2_lT1_lS5_lS6_lS2_lPT4_lS6_li.kd
    .uniform_work_group_size: 1
    .uses_dynamic_stack: false
    .vgpr_count:     57
    .vgpr_spill_count: 0
    .wavefront_size: 32
    .workgroup_processor_mode: 1
  - .args:
      - .offset:         0
        .size:           4
        .value_kind:     by_value
      - .offset:         4
        .size:           4
        .value_kind:     by_value
      - .address_space:  global
        .offset:         8
        .size:           8
        .value_kind:     global_buffer
      - .offset:         16
        .size:           8
        .value_kind:     by_value
      - .address_space:  global
        .offset:         24
        .size:           8
        .value_kind:     global_buffer
      - .offset:         32
        .size:           8
        .value_kind:     by_value
      - .offset:         40
        .size:           8
        .value_kind:     by_value
      - .offset:         48
        .size:           8
        .value_kind:     by_value
      - .address_space:  global
        .offset:         56
        .size:           8
        .value_kind:     global_buffer
      - .offset:         64
        .size:           8
        .value_kind:     by_value
      - .offset:         72
        .size:           8
        .value_kind:     by_value
      - .offset:         80
        .size:           8
        .value_kind:     by_value
      - .address_space:  global
        .offset:         88
        .size:           8
        .value_kind:     global_buffer
      - .offset:         96
        .size:           8
        .value_kind:     by_value
      - .address_space:  global
        .offset:         104
        .size:           8
        .value_kind:     global_buffer
      - .offset:         112
        .size:           8
        .value_kind:     by_value
      - .offset:         120
        .size:           8
        .value_kind:     by_value
      - .offset:         128
        .size:           8
        .value_kind:     by_value
      - .offset:         136
        .size:           4
        .value_kind:     by_value
      - .offset:         144
        .size:           4
        .value_kind:     hidden_block_count_x
      - .offset:         148
        .size:           4
        .value_kind:     hidden_block_count_y
      - .offset:         152
        .size:           4
        .value_kind:     hidden_block_count_z
      - .offset:         156
        .size:           2
        .value_kind:     hidden_group_size_x
      - .offset:         158
        .size:           2
        .value_kind:     hidden_group_size_y
      - .offset:         160
        .size:           2
        .value_kind:     hidden_group_size_z
      - .offset:         162
        .size:           2
        .value_kind:     hidden_remainder_x
      - .offset:         164
        .size:           2
        .value_kind:     hidden_remainder_y
      - .offset:         166
        .size:           2
        .value_kind:     hidden_remainder_z
      - .offset:         184
        .size:           8
        .value_kind:     hidden_global_offset_x
      - .offset:         192
        .size:           8
        .value_kind:     hidden_global_offset_y
      - .offset:         200
        .size:           8
        .value_kind:     hidden_global_offset_z
      - .offset:         208
        .size:           2
        .value_kind:     hidden_grid_dims
    .group_segment_fixed_size: 4096
    .kernarg_segment_align: 8
    .kernarg_segment_size: 400
    .language:       OpenCL C
    .language_version:
      - 2
      - 0
    .max_flat_workgroup_size: 256
    .name:           _ZL20rocblas_gemvn_kernelILi64ELi4ElDF16_PKffEviiT3_lPKT2_lT1_lS5_lS6_lS2_lPT4_lS6_li
    .private_segment_fixed_size: 0
    .sgpr_count:     62
    .sgpr_spill_count: 0
    .symbol:         _ZL20rocblas_gemvn_kernelILi64ELi4ElDF16_PKffEviiT3_lPKT2_lT1_lS5_lS6_lS2_lPT4_lS6_li.kd
    .uniform_work_group_size: 1
    .uses_dynamic_stack: false
    .vgpr_count:     78
    .vgpr_spill_count: 0
    .wavefront_size: 32
    .workgroup_processor_mode: 1
  - .args:
      - .offset:         0
        .size:           4
        .value_kind:     by_value
      - .offset:         4
        .size:           4
        .value_kind:     by_value
      - .offset:         8
        .size:           4
        .value_kind:     by_value
      - .offset:         16
        .size:           8
        .value_kind:     by_value
      - .address_space:  global
        .offset:         24
        .size:           8
        .value_kind:     global_buffer
      - .offset:         32
        .size:           8
        .value_kind:     by_value
      - .offset:         40
        .size:           4
        .value_kind:     by_value
      - .offset:         48
        .size:           8
        .value_kind:     by_value
      - .address_space:  global
        .offset:         56
        .size:           8
        .value_kind:     global_buffer
      - .offset:         64
        .size:           8
        .value_kind:     by_value
      - .offset:         72
        .size:           4
        .value_kind:     by_value
      - .offset:         80
        .size:           8
        .value_kind:     by_value
      - .offset:         88
        .size:           4
        .value_kind:     by_value
      - .offset:         96
        .size:           8
        .value_kind:     by_value
      - .address_space:  global
        .offset:         104
        .size:           8
        .value_kind:     global_buffer
      - .offset:         112
        .size:           8
        .value_kind:     by_value
      - .offset:         120
        .size:           4
        .value_kind:     by_value
      - .offset:         128
        .size:           8
        .value_kind:     by_value
      - .offset:         136
        .size:           4
        .value_kind:     by_value
      - .offset:         144
        .size:           4
        .value_kind:     hidden_block_count_x
      - .offset:         148
        .size:           4
        .value_kind:     hidden_block_count_y
      - .offset:         152
        .size:           4
        .value_kind:     hidden_block_count_z
      - .offset:         156
        .size:           2
        .value_kind:     hidden_group_size_x
      - .offset:         158
        .size:           2
        .value_kind:     hidden_group_size_y
      - .offset:         160
        .size:           2
        .value_kind:     hidden_group_size_z
      - .offset:         162
        .size:           2
        .value_kind:     hidden_remainder_x
      - .offset:         164
        .size:           2
        .value_kind:     hidden_remainder_y
      - .offset:         166
        .size:           2
        .value_kind:     hidden_remainder_z
      - .offset:         184
        .size:           8
        .value_kind:     hidden_global_offset_x
      - .offset:         192
        .size:           8
        .value_kind:     hidden_global_offset_y
      - .offset:         200
        .size:           8
        .value_kind:     hidden_global_offset_z
      - .offset:         208
        .size:           2
        .value_kind:     hidden_grid_dims
    .group_segment_fixed_size: 4096
    .kernarg_segment_align: 8
    .kernarg_segment_size: 400
    .language:       OpenCL C
    .language_version:
      - 2
      - 0
    .max_flat_workgroup_size: 256
    .name:           _ZL20rocblas_gemvn_kernelILi64ELi4EiDF16_ffEviiT3_lPKT2_lT1_lS3_lS4_lS0_lPT4_lS4_li
    .private_segment_fixed_size: 0
    .sgpr_count:     53
    .sgpr_spill_count: 0
    .symbol:         _ZL20rocblas_gemvn_kernelILi64ELi4EiDF16_ffEviiT3_lPKT2_lT1_lS3_lS4_lS0_lPT4_lS4_li.kd
    .uniform_work_group_size: 1
    .uses_dynamic_stack: false
    .vgpr_count:     55
    .vgpr_spill_count: 0
    .wavefront_size: 32
    .workgroup_processor_mode: 1
  - .args:
      - .offset:         0
        .size:           4
        .value_kind:     by_value
      - .offset:         4
        .size:           4
        .value_kind:     by_value
      - .offset:         8
        .size:           4
        .value_kind:     by_value
      - .offset:         16
        .size:           8
        .value_kind:     by_value
      - .address_space:  global
        .offset:         24
        .size:           8
        .value_kind:     global_buffer
      - .offset:         32
        .size:           8
        .value_kind:     by_value
      - .offset:         40
        .size:           8
        .value_kind:     by_value
      - .offset:         48
        .size:           8
        .value_kind:     by_value
      - .address_space:  global
        .offset:         56
        .size:           8
        .value_kind:     global_buffer
      - .offset:         64
        .size:           8
        .value_kind:     by_value
      - .offset:         72
        .size:           8
        .value_kind:     by_value
      - .offset:         80
        .size:           8
        .value_kind:     by_value
      - .offset:         88
        .size:           4
        .value_kind:     by_value
      - .offset:         96
        .size:           8
        .value_kind:     by_value
      - .address_space:  global
        .offset:         104
        .size:           8
        .value_kind:     global_buffer
      - .offset:         112
        .size:           8
        .value_kind:     by_value
      - .offset:         120
        .size:           8
        .value_kind:     by_value
      - .offset:         128
        .size:           8
        .value_kind:     by_value
      - .offset:         136
        .size:           4
        .value_kind:     by_value
      - .offset:         144
        .size:           4
        .value_kind:     hidden_block_count_x
      - .offset:         148
        .size:           4
        .value_kind:     hidden_block_count_y
      - .offset:         152
        .size:           4
        .value_kind:     hidden_block_count_z
      - .offset:         156
        .size:           2
        .value_kind:     hidden_group_size_x
      - .offset:         158
        .size:           2
        .value_kind:     hidden_group_size_y
      - .offset:         160
        .size:           2
        .value_kind:     hidden_group_size_z
      - .offset:         162
        .size:           2
        .value_kind:     hidden_remainder_x
      - .offset:         164
        .size:           2
        .value_kind:     hidden_remainder_y
      - .offset:         166
        .size:           2
        .value_kind:     hidden_remainder_z
      - .offset:         184
        .size:           8
        .value_kind:     hidden_global_offset_x
      - .offset:         192
        .size:           8
        .value_kind:     hidden_global_offset_y
      - .offset:         200
        .size:           8
        .value_kind:     hidden_global_offset_z
      - .offset:         208
        .size:           2
        .value_kind:     hidden_grid_dims
    .group_segment_fixed_size: 4096
    .kernarg_segment_align: 8
    .kernarg_segment_size: 400
    .language:       OpenCL C
    .language_version:
      - 2
      - 0
    .max_flat_workgroup_size: 256
    .name:           _ZL20rocblas_gemvn_kernelILi64ELi4ElDF16_ffEviiT3_lPKT2_lT1_lS3_lS4_lS0_lPT4_lS4_li
    .private_segment_fixed_size: 0
    .sgpr_count:     58
    .sgpr_spill_count: 0
    .symbol:         _ZL20rocblas_gemvn_kernelILi64ELi4ElDF16_ffEviiT3_lPKT2_lT1_lS3_lS4_lS0_lPT4_lS4_li.kd
    .uniform_work_group_size: 1
    .uses_dynamic_stack: false
    .vgpr_count:     76
    .vgpr_spill_count: 0
    .wavefront_size: 32
    .workgroup_processor_mode: 1
  - .args:
      - .offset:         0
        .size:           4
        .value_kind:     by_value
      - .offset:         4
        .size:           4
        .value_kind:     by_value
      - .address_space:  global
        .offset:         8
        .size:           8
        .value_kind:     global_buffer
      - .offset:         16
        .size:           8
        .value_kind:     by_value
      - .address_space:  global
        .offset:         24
        .size:           8
        .value_kind:     global_buffer
      - .offset:         32
        .size:           8
        .value_kind:     by_value
      - .offset:         40
        .size:           4
        .value_kind:     by_value
      - .offset:         48
        .size:           8
        .value_kind:     by_value
      - .address_space:  global
        .offset:         56
        .size:           8
        .value_kind:     global_buffer
      - .offset:         64
        .size:           8
        .value_kind:     by_value
      - .offset:         72
        .size:           4
        .value_kind:     by_value
      - .offset:         80
        .size:           8
        .value_kind:     by_value
      - .address_space:  global
        .offset:         88
        .size:           8
        .value_kind:     global_buffer
      - .offset:         96
        .size:           8
        .value_kind:     by_value
      - .address_space:  global
        .offset:         104
        .size:           8
        .value_kind:     global_buffer
      - .offset:         112
        .size:           8
        .value_kind:     by_value
      - .offset:         120
        .size:           4
        .value_kind:     by_value
      - .offset:         128
        .size:           8
        .value_kind:     by_value
      - .offset:         136
        .size:           4
        .value_kind:     by_value
      - .offset:         144
        .size:           4
        .value_kind:     hidden_block_count_x
      - .offset:         148
        .size:           4
        .value_kind:     hidden_block_count_y
      - .offset:         152
        .size:           4
        .value_kind:     hidden_block_count_z
      - .offset:         156
        .size:           2
        .value_kind:     hidden_group_size_x
      - .offset:         158
        .size:           2
        .value_kind:     hidden_group_size_y
      - .offset:         160
        .size:           2
        .value_kind:     hidden_group_size_z
      - .offset:         162
        .size:           2
        .value_kind:     hidden_remainder_x
      - .offset:         164
        .size:           2
        .value_kind:     hidden_remainder_y
      - .offset:         166
        .size:           2
        .value_kind:     hidden_remainder_z
      - .offset:         184
        .size:           8
        .value_kind:     hidden_global_offset_x
      - .offset:         192
        .size:           8
        .value_kind:     hidden_global_offset_y
      - .offset:         200
        .size:           8
        .value_kind:     hidden_global_offset_z
      - .offset:         208
        .size:           2
        .value_kind:     hidden_grid_dims
    .group_segment_fixed_size: 8192
    .kernarg_segment_align: 8
    .kernarg_segment_size: 400
    .language:       OpenCL C
    .language_version:
      - 2
      - 0
    .max_flat_workgroup_size: 512
    .name:           _ZL20rocblas_gemvn_kernelILi32ELi16EiDF16_PKffEviiT3_lPKT2_lT1_lS5_lS6_lS2_lPT4_lS6_li
    .private_segment_fixed_size: 0
    .sgpr_count:     57
    .sgpr_spill_count: 0
    .symbol:         _ZL20rocblas_gemvn_kernelILi32ELi16EiDF16_PKffEviiT3_lPKT2_lT1_lS5_lS6_lS2_lPT4_lS6_li.kd
    .uniform_work_group_size: 1
    .uses_dynamic_stack: false
    .vgpr_count:     59
    .vgpr_spill_count: 0
    .wavefront_size: 32
    .workgroup_processor_mode: 1
  - .args:
      - .offset:         0
        .size:           4
        .value_kind:     by_value
      - .offset:         4
        .size:           4
        .value_kind:     by_value
      - .address_space:  global
        .offset:         8
        .size:           8
        .value_kind:     global_buffer
      - .offset:         16
        .size:           8
        .value_kind:     by_value
      - .address_space:  global
        .offset:         24
        .size:           8
        .value_kind:     global_buffer
      - .offset:         32
        .size:           8
        .value_kind:     by_value
      - .offset:         40
        .size:           8
        .value_kind:     by_value
      - .offset:         48
        .size:           8
        .value_kind:     by_value
      - .address_space:  global
        .offset:         56
        .size:           8
        .value_kind:     global_buffer
      - .offset:         64
        .size:           8
        .value_kind:     by_value
      - .offset:         72
        .size:           8
        .value_kind:     by_value
      - .offset:         80
        .size:           8
        .value_kind:     by_value
      - .address_space:  global
        .offset:         88
        .size:           8
        .value_kind:     global_buffer
      - .offset:         96
        .size:           8
        .value_kind:     by_value
      - .address_space:  global
        .offset:         104
        .size:           8
        .value_kind:     global_buffer
      - .offset:         112
        .size:           8
        .value_kind:     by_value
      - .offset:         120
        .size:           8
        .value_kind:     by_value
      - .offset:         128
        .size:           8
        .value_kind:     by_value
      - .offset:         136
        .size:           4
        .value_kind:     by_value
      - .offset:         144
        .size:           4
        .value_kind:     hidden_block_count_x
      - .offset:         148
        .size:           4
        .value_kind:     hidden_block_count_y
      - .offset:         152
        .size:           4
        .value_kind:     hidden_block_count_z
      - .offset:         156
        .size:           2
        .value_kind:     hidden_group_size_x
      - .offset:         158
        .size:           2
        .value_kind:     hidden_group_size_y
      - .offset:         160
        .size:           2
        .value_kind:     hidden_group_size_z
      - .offset:         162
        .size:           2
        .value_kind:     hidden_remainder_x
      - .offset:         164
        .size:           2
        .value_kind:     hidden_remainder_y
      - .offset:         166
        .size:           2
        .value_kind:     hidden_remainder_z
      - .offset:         184
        .size:           8
        .value_kind:     hidden_global_offset_x
      - .offset:         192
        .size:           8
        .value_kind:     hidden_global_offset_y
      - .offset:         200
        .size:           8
        .value_kind:     hidden_global_offset_z
      - .offset:         208
        .size:           2
        .value_kind:     hidden_grid_dims
    .group_segment_fixed_size: 8192
    .kernarg_segment_align: 8
    .kernarg_segment_size: 400
    .language:       OpenCL C
    .language_version:
      - 2
      - 0
    .max_flat_workgroup_size: 512
    .name:           _ZL20rocblas_gemvn_kernelILi32ELi16ElDF16_PKffEviiT3_lPKT2_lT1_lS5_lS6_lS2_lPT4_lS6_li
    .private_segment_fixed_size: 0
    .sgpr_count:     62
    .sgpr_spill_count: 0
    .symbol:         _ZL20rocblas_gemvn_kernelILi32ELi16ElDF16_PKffEviiT3_lPKT2_lT1_lS5_lS6_lS2_lPT4_lS6_li.kd
    .uniform_work_group_size: 1
    .uses_dynamic_stack: false
    .vgpr_count:     78
    .vgpr_spill_count: 0
    .wavefront_size: 32
    .workgroup_processor_mode: 1
  - .args:
      - .offset:         0
        .size:           4
        .value_kind:     by_value
      - .offset:         4
        .size:           4
        .value_kind:     by_value
      - .offset:         8
        .size:           4
        .value_kind:     by_value
      - .offset:         16
        .size:           8
        .value_kind:     by_value
      - .address_space:  global
        .offset:         24
        .size:           8
        .value_kind:     global_buffer
      - .offset:         32
        .size:           8
        .value_kind:     by_value
      - .offset:         40
        .size:           4
        .value_kind:     by_value
      - .offset:         48
        .size:           8
        .value_kind:     by_value
      - .address_space:  global
        .offset:         56
        .size:           8
        .value_kind:     global_buffer
      - .offset:         64
        .size:           8
        .value_kind:     by_value
      - .offset:         72
        .size:           4
        .value_kind:     by_value
      - .offset:         80
        .size:           8
        .value_kind:     by_value
      - .offset:         88
        .size:           4
        .value_kind:     by_value
      - .offset:         96
        .size:           8
        .value_kind:     by_value
      - .address_space:  global
        .offset:         104
        .size:           8
        .value_kind:     global_buffer
      - .offset:         112
        .size:           8
        .value_kind:     by_value
      - .offset:         120
        .size:           4
        .value_kind:     by_value
      - .offset:         128
        .size:           8
        .value_kind:     by_value
      - .offset:         136
        .size:           4
        .value_kind:     by_value
      - .offset:         144
        .size:           4
        .value_kind:     hidden_block_count_x
      - .offset:         148
        .size:           4
        .value_kind:     hidden_block_count_y
      - .offset:         152
        .size:           4
        .value_kind:     hidden_block_count_z
      - .offset:         156
        .size:           2
        .value_kind:     hidden_group_size_x
      - .offset:         158
        .size:           2
        .value_kind:     hidden_group_size_y
      - .offset:         160
        .size:           2
        .value_kind:     hidden_group_size_z
      - .offset:         162
        .size:           2
        .value_kind:     hidden_remainder_x
      - .offset:         164
        .size:           2
        .value_kind:     hidden_remainder_y
      - .offset:         166
        .size:           2
        .value_kind:     hidden_remainder_z
      - .offset:         184
        .size:           8
        .value_kind:     hidden_global_offset_x
      - .offset:         192
        .size:           8
        .value_kind:     hidden_global_offset_y
      - .offset:         200
        .size:           8
        .value_kind:     hidden_global_offset_z
      - .offset:         208
        .size:           2
        .value_kind:     hidden_grid_dims
    .group_segment_fixed_size: 8192
    .kernarg_segment_align: 8
    .kernarg_segment_size: 400
    .language:       OpenCL C
    .language_version:
      - 2
      - 0
    .max_flat_workgroup_size: 512
    .name:           _ZL20rocblas_gemvn_kernelILi32ELi16EiDF16_ffEviiT3_lPKT2_lT1_lS3_lS4_lS0_lPT4_lS4_li
    .private_segment_fixed_size: 0
    .sgpr_count:     53
    .sgpr_spill_count: 0
    .symbol:         _ZL20rocblas_gemvn_kernelILi32ELi16EiDF16_ffEviiT3_lPKT2_lT1_lS3_lS4_lS0_lPT4_lS4_li.kd
    .uniform_work_group_size: 1
    .uses_dynamic_stack: false
    .vgpr_count:     57
    .vgpr_spill_count: 0
    .wavefront_size: 32
    .workgroup_processor_mode: 1
  - .args:
      - .offset:         0
        .size:           4
        .value_kind:     by_value
      - .offset:         4
        .size:           4
        .value_kind:     by_value
      - .offset:         8
        .size:           4
        .value_kind:     by_value
      - .offset:         16
        .size:           8
        .value_kind:     by_value
      - .address_space:  global
        .offset:         24
        .size:           8
        .value_kind:     global_buffer
      - .offset:         32
        .size:           8
        .value_kind:     by_value
      - .offset:         40
        .size:           8
        .value_kind:     by_value
      - .offset:         48
        .size:           8
        .value_kind:     by_value
      - .address_space:  global
        .offset:         56
        .size:           8
        .value_kind:     global_buffer
      - .offset:         64
        .size:           8
        .value_kind:     by_value
      - .offset:         72
        .size:           8
        .value_kind:     by_value
      - .offset:         80
        .size:           8
        .value_kind:     by_value
      - .offset:         88
        .size:           4
        .value_kind:     by_value
      - .offset:         96
        .size:           8
        .value_kind:     by_value
      - .address_space:  global
        .offset:         104
        .size:           8
        .value_kind:     global_buffer
      - .offset:         112
        .size:           8
        .value_kind:     by_value
      - .offset:         120
        .size:           8
        .value_kind:     by_value
      - .offset:         128
        .size:           8
        .value_kind:     by_value
      - .offset:         136
        .size:           4
        .value_kind:     by_value
      - .offset:         144
        .size:           4
        .value_kind:     hidden_block_count_x
      - .offset:         148
        .size:           4
        .value_kind:     hidden_block_count_y
      - .offset:         152
        .size:           4
        .value_kind:     hidden_block_count_z
      - .offset:         156
        .size:           2
        .value_kind:     hidden_group_size_x
      - .offset:         158
        .size:           2
        .value_kind:     hidden_group_size_y
      - .offset:         160
        .size:           2
        .value_kind:     hidden_group_size_z
      - .offset:         162
        .size:           2
        .value_kind:     hidden_remainder_x
      - .offset:         164
        .size:           2
        .value_kind:     hidden_remainder_y
      - .offset:         166
        .size:           2
        .value_kind:     hidden_remainder_z
      - .offset:         184
        .size:           8
        .value_kind:     hidden_global_offset_x
      - .offset:         192
        .size:           8
        .value_kind:     hidden_global_offset_y
      - .offset:         200
        .size:           8
        .value_kind:     hidden_global_offset_z
      - .offset:         208
        .size:           2
        .value_kind:     hidden_grid_dims
    .group_segment_fixed_size: 8192
    .kernarg_segment_align: 8
    .kernarg_segment_size: 400
    .language:       OpenCL C
    .language_version:
      - 2
      - 0
    .max_flat_workgroup_size: 512
    .name:           _ZL20rocblas_gemvn_kernelILi32ELi16ElDF16_ffEviiT3_lPKT2_lT1_lS3_lS4_lS0_lPT4_lS4_li
    .private_segment_fixed_size: 0
    .sgpr_count:     58
    .sgpr_spill_count: 0
    .symbol:         _ZL20rocblas_gemvn_kernelILi32ELi16ElDF16_ffEviiT3_lPKT2_lT1_lS3_lS4_lS0_lPT4_lS4_li.kd
    .uniform_work_group_size: 1
    .uses_dynamic_stack: false
    .vgpr_count:     76
    .vgpr_spill_count: 0
    .wavefront_size: 32
    .workgroup_processor_mode: 1
  - .args:
      - .offset:         0
        .size:           4
        .value_kind:     by_value
      - .offset:         4
        .size:           4
        .value_kind:     by_value
      - .address_space:  global
        .offset:         8
        .size:           8
        .value_kind:     global_buffer
      - .offset:         16
        .size:           8
        .value_kind:     by_value
      - .address_space:  global
        .offset:         24
        .size:           8
        .value_kind:     global_buffer
      - .offset:         32
        .size:           8
        .value_kind:     by_value
      - .offset:         40
        .size:           4
        .value_kind:     by_value
      - .offset:         48
        .size:           8
        .value_kind:     by_value
      - .address_space:  global
        .offset:         56
        .size:           8
        .value_kind:     global_buffer
      - .offset:         64
        .size:           8
        .value_kind:     by_value
      - .offset:         72
        .size:           4
        .value_kind:     by_value
      - .offset:         80
        .size:           8
        .value_kind:     by_value
      - .address_space:  global
        .offset:         88
        .size:           8
        .value_kind:     global_buffer
      - .offset:         96
        .size:           8
        .value_kind:     by_value
      - .address_space:  global
        .offset:         104
        .size:           8
        .value_kind:     global_buffer
      - .offset:         112
        .size:           8
        .value_kind:     by_value
      - .offset:         120
        .size:           4
        .value_kind:     by_value
      - .offset:         128
        .size:           8
        .value_kind:     by_value
      - .offset:         136
        .size:           4
        .value_kind:     by_value
      - .offset:         144
        .size:           4
        .value_kind:     hidden_block_count_x
      - .offset:         148
        .size:           4
        .value_kind:     hidden_block_count_y
      - .offset:         152
        .size:           4
        .value_kind:     hidden_block_count_z
      - .offset:         156
        .size:           2
        .value_kind:     hidden_group_size_x
      - .offset:         158
        .size:           2
        .value_kind:     hidden_group_size_y
      - .offset:         160
        .size:           2
        .value_kind:     hidden_group_size_z
      - .offset:         162
        .size:           2
        .value_kind:     hidden_remainder_x
      - .offset:         164
        .size:           2
        .value_kind:     hidden_remainder_y
      - .offset:         166
        .size:           2
        .value_kind:     hidden_remainder_z
      - .offset:         184
        .size:           8
        .value_kind:     hidden_global_offset_x
      - .offset:         192
        .size:           8
        .value_kind:     hidden_global_offset_y
      - .offset:         200
        .size:           8
        .value_kind:     hidden_global_offset_z
      - .offset:         208
        .size:           2
        .value_kind:     hidden_grid_dims
    .group_segment_fixed_size: 16384
    .kernarg_segment_align: 8
    .kernarg_segment_size: 400
    .language:       OpenCL C
    .language_version:
      - 2
      - 0
    .max_flat_workgroup_size: 1024
    .name:           _ZL20rocblas_gemvn_kernelILi64ELi16EiDF16_PKffEviiT3_lPKT2_lT1_lS5_lS6_lS2_lPT4_lS6_li
    .private_segment_fixed_size: 0
    .sgpr_count:     57
    .sgpr_spill_count: 0
    .symbol:         _ZL20rocblas_gemvn_kernelILi64ELi16EiDF16_PKffEviiT3_lPKT2_lT1_lS5_lS6_lS2_lPT4_lS6_li.kd
    .uniform_work_group_size: 1
    .uses_dynamic_stack: false
    .vgpr_count:     57
    .vgpr_spill_count: 0
    .wavefront_size: 32
    .workgroup_processor_mode: 1
  - .args:
      - .offset:         0
        .size:           4
        .value_kind:     by_value
      - .offset:         4
        .size:           4
        .value_kind:     by_value
      - .address_space:  global
        .offset:         8
        .size:           8
        .value_kind:     global_buffer
      - .offset:         16
        .size:           8
        .value_kind:     by_value
      - .address_space:  global
        .offset:         24
        .size:           8
        .value_kind:     global_buffer
      - .offset:         32
        .size:           8
        .value_kind:     by_value
      - .offset:         40
        .size:           8
        .value_kind:     by_value
      - .offset:         48
        .size:           8
        .value_kind:     by_value
      - .address_space:  global
        .offset:         56
        .size:           8
        .value_kind:     global_buffer
      - .offset:         64
        .size:           8
        .value_kind:     by_value
      - .offset:         72
        .size:           8
        .value_kind:     by_value
      - .offset:         80
        .size:           8
        .value_kind:     by_value
      - .address_space:  global
        .offset:         88
        .size:           8
        .value_kind:     global_buffer
      - .offset:         96
        .size:           8
        .value_kind:     by_value
      - .address_space:  global
        .offset:         104
        .size:           8
        .value_kind:     global_buffer
      - .offset:         112
        .size:           8
        .value_kind:     by_value
      - .offset:         120
        .size:           8
        .value_kind:     by_value
      - .offset:         128
        .size:           8
        .value_kind:     by_value
      - .offset:         136
        .size:           4
        .value_kind:     by_value
      - .offset:         144
        .size:           4
        .value_kind:     hidden_block_count_x
      - .offset:         148
        .size:           4
        .value_kind:     hidden_block_count_y
      - .offset:         152
        .size:           4
        .value_kind:     hidden_block_count_z
      - .offset:         156
        .size:           2
        .value_kind:     hidden_group_size_x
      - .offset:         158
        .size:           2
        .value_kind:     hidden_group_size_y
      - .offset:         160
        .size:           2
        .value_kind:     hidden_group_size_z
      - .offset:         162
        .size:           2
        .value_kind:     hidden_remainder_x
      - .offset:         164
        .size:           2
        .value_kind:     hidden_remainder_y
      - .offset:         166
        .size:           2
        .value_kind:     hidden_remainder_z
      - .offset:         184
        .size:           8
        .value_kind:     hidden_global_offset_x
      - .offset:         192
        .size:           8
        .value_kind:     hidden_global_offset_y
      - .offset:         200
        .size:           8
        .value_kind:     hidden_global_offset_z
      - .offset:         208
        .size:           2
        .value_kind:     hidden_grid_dims
    .group_segment_fixed_size: 16384
    .kernarg_segment_align: 8
    .kernarg_segment_size: 400
    .language:       OpenCL C
    .language_version:
      - 2
      - 0
    .max_flat_workgroup_size: 1024
    .name:           _ZL20rocblas_gemvn_kernelILi64ELi16ElDF16_PKffEviiT3_lPKT2_lT1_lS5_lS6_lS2_lPT4_lS6_li
    .private_segment_fixed_size: 0
    .sgpr_count:     62
    .sgpr_spill_count: 0
    .symbol:         _ZL20rocblas_gemvn_kernelILi64ELi16ElDF16_PKffEviiT3_lPKT2_lT1_lS5_lS6_lS2_lPT4_lS6_li.kd
    .uniform_work_group_size: 1
    .uses_dynamic_stack: false
    .vgpr_count:     78
    .vgpr_spill_count: 0
    .wavefront_size: 32
    .workgroup_processor_mode: 1
  - .args:
      - .offset:         0
        .size:           4
        .value_kind:     by_value
      - .offset:         4
        .size:           4
        .value_kind:     by_value
      - .offset:         8
        .size:           4
        .value_kind:     by_value
      - .offset:         16
        .size:           8
        .value_kind:     by_value
      - .address_space:  global
        .offset:         24
        .size:           8
        .value_kind:     global_buffer
      - .offset:         32
        .size:           8
        .value_kind:     by_value
      - .offset:         40
        .size:           4
        .value_kind:     by_value
      - .offset:         48
        .size:           8
        .value_kind:     by_value
      - .address_space:  global
        .offset:         56
        .size:           8
        .value_kind:     global_buffer
      - .offset:         64
        .size:           8
        .value_kind:     by_value
      - .offset:         72
        .size:           4
        .value_kind:     by_value
      - .offset:         80
        .size:           8
        .value_kind:     by_value
      - .offset:         88
        .size:           4
        .value_kind:     by_value
      - .offset:         96
        .size:           8
        .value_kind:     by_value
      - .address_space:  global
        .offset:         104
        .size:           8
        .value_kind:     global_buffer
      - .offset:         112
        .size:           8
        .value_kind:     by_value
      - .offset:         120
        .size:           4
        .value_kind:     by_value
      - .offset:         128
        .size:           8
        .value_kind:     by_value
      - .offset:         136
        .size:           4
        .value_kind:     by_value
      - .offset:         144
        .size:           4
        .value_kind:     hidden_block_count_x
      - .offset:         148
        .size:           4
        .value_kind:     hidden_block_count_y
      - .offset:         152
        .size:           4
        .value_kind:     hidden_block_count_z
      - .offset:         156
        .size:           2
        .value_kind:     hidden_group_size_x
      - .offset:         158
        .size:           2
        .value_kind:     hidden_group_size_y
      - .offset:         160
        .size:           2
        .value_kind:     hidden_group_size_z
      - .offset:         162
        .size:           2
        .value_kind:     hidden_remainder_x
      - .offset:         164
        .size:           2
        .value_kind:     hidden_remainder_y
      - .offset:         166
        .size:           2
        .value_kind:     hidden_remainder_z
      - .offset:         184
        .size:           8
        .value_kind:     hidden_global_offset_x
      - .offset:         192
        .size:           8
        .value_kind:     hidden_global_offset_y
      - .offset:         200
        .size:           8
        .value_kind:     hidden_global_offset_z
      - .offset:         208
        .size:           2
        .value_kind:     hidden_grid_dims
    .group_segment_fixed_size: 16384
    .kernarg_segment_align: 8
    .kernarg_segment_size: 400
    .language:       OpenCL C
    .language_version:
      - 2
      - 0
    .max_flat_workgroup_size: 1024
    .name:           _ZL20rocblas_gemvn_kernelILi64ELi16EiDF16_ffEviiT3_lPKT2_lT1_lS3_lS4_lS0_lPT4_lS4_li
    .private_segment_fixed_size: 0
    .sgpr_count:     53
    .sgpr_spill_count: 0
    .symbol:         _ZL20rocblas_gemvn_kernelILi64ELi16EiDF16_ffEviiT3_lPKT2_lT1_lS3_lS4_lS0_lPT4_lS4_li.kd
    .uniform_work_group_size: 1
    .uses_dynamic_stack: false
    .vgpr_count:     55
    .vgpr_spill_count: 0
    .wavefront_size: 32
    .workgroup_processor_mode: 1
  - .args:
      - .offset:         0
        .size:           4
        .value_kind:     by_value
      - .offset:         4
        .size:           4
        .value_kind:     by_value
      - .offset:         8
        .size:           4
        .value_kind:     by_value
      - .offset:         16
        .size:           8
        .value_kind:     by_value
      - .address_space:  global
        .offset:         24
        .size:           8
        .value_kind:     global_buffer
      - .offset:         32
        .size:           8
        .value_kind:     by_value
      - .offset:         40
        .size:           8
        .value_kind:     by_value
      - .offset:         48
        .size:           8
        .value_kind:     by_value
      - .address_space:  global
        .offset:         56
        .size:           8
        .value_kind:     global_buffer
      - .offset:         64
        .size:           8
        .value_kind:     by_value
      - .offset:         72
        .size:           8
        .value_kind:     by_value
      - .offset:         80
        .size:           8
        .value_kind:     by_value
      - .offset:         88
        .size:           4
        .value_kind:     by_value
      - .offset:         96
        .size:           8
        .value_kind:     by_value
      - .address_space:  global
        .offset:         104
        .size:           8
        .value_kind:     global_buffer
      - .offset:         112
        .size:           8
        .value_kind:     by_value
      - .offset:         120
        .size:           8
        .value_kind:     by_value
      - .offset:         128
        .size:           8
        .value_kind:     by_value
      - .offset:         136
        .size:           4
        .value_kind:     by_value
      - .offset:         144
        .size:           4
        .value_kind:     hidden_block_count_x
      - .offset:         148
        .size:           4
        .value_kind:     hidden_block_count_y
      - .offset:         152
        .size:           4
        .value_kind:     hidden_block_count_z
      - .offset:         156
        .size:           2
        .value_kind:     hidden_group_size_x
      - .offset:         158
        .size:           2
        .value_kind:     hidden_group_size_y
      - .offset:         160
        .size:           2
        .value_kind:     hidden_group_size_z
      - .offset:         162
        .size:           2
        .value_kind:     hidden_remainder_x
      - .offset:         164
        .size:           2
        .value_kind:     hidden_remainder_y
      - .offset:         166
        .size:           2
        .value_kind:     hidden_remainder_z
      - .offset:         184
        .size:           8
        .value_kind:     hidden_global_offset_x
      - .offset:         192
        .size:           8
        .value_kind:     hidden_global_offset_y
      - .offset:         200
        .size:           8
        .value_kind:     hidden_global_offset_z
      - .offset:         208
        .size:           2
        .value_kind:     hidden_grid_dims
    .group_segment_fixed_size: 16384
    .kernarg_segment_align: 8
    .kernarg_segment_size: 400
    .language:       OpenCL C
    .language_version:
      - 2
      - 0
    .max_flat_workgroup_size: 1024
    .name:           _ZL20rocblas_gemvn_kernelILi64ELi16ElDF16_ffEviiT3_lPKT2_lT1_lS3_lS4_lS0_lPT4_lS4_li
    .private_segment_fixed_size: 0
    .sgpr_count:     58
    .sgpr_spill_count: 0
    .symbol:         _ZL20rocblas_gemvn_kernelILi64ELi16ElDF16_ffEviiT3_lPKT2_lT1_lS3_lS4_lS0_lPT4_lS4_li.kd
    .uniform_work_group_size: 1
    .uses_dynamic_stack: false
    .vgpr_count:     76
    .vgpr_spill_count: 0
    .wavefront_size: 32
    .workgroup_processor_mode: 1
  - .args:
      - .offset:         0
        .size:           4
        .value_kind:     by_value
      - .offset:         4
        .size:           4
        .value_kind:     by_value
      - .address_space:  global
        .offset:         8
        .size:           8
        .value_kind:     global_buffer
      - .offset:         16
        .size:           8
        .value_kind:     by_value
      - .address_space:  global
        .offset:         24
        .size:           8
        .value_kind:     global_buffer
      - .offset:         32
        .size:           8
        .value_kind:     by_value
      - .offset:         40
        .size:           4
        .value_kind:     by_value
      - .offset:         48
        .size:           8
        .value_kind:     by_value
      - .address_space:  global
        .offset:         56
        .size:           8
        .value_kind:     global_buffer
      - .offset:         64
        .size:           8
        .value_kind:     by_value
      - .offset:         72
        .size:           4
        .value_kind:     by_value
      - .offset:         80
        .size:           8
        .value_kind:     by_value
      - .address_space:  global
        .offset:         88
        .size:           8
        .value_kind:     global_buffer
      - .offset:         96
        .size:           8
        .value_kind:     by_value
      - .address_space:  global
        .offset:         104
        .size:           8
        .value_kind:     global_buffer
      - .offset:         112
        .size:           8
        .value_kind:     by_value
      - .offset:         120
        .size:           4
        .value_kind:     by_value
      - .offset:         128
        .size:           8
        .value_kind:     by_value
    .group_segment_fixed_size: 256
    .kernarg_segment_align: 8
    .kernarg_segment_size: 136
    .language:       OpenCL C
    .language_version:
      - 2
      - 0
    .max_flat_workgroup_size: 256
    .name:           _ZL22rocblas_gemvtsm_kernelILb0ELi256EDF16_PKffEviiT2_lPKT1_lilS5_lilS2_lPT3_lil
    .private_segment_fixed_size: 0
    .sgpr_count:     32
    .sgpr_spill_count: 0
    .symbol:         _ZL22rocblas_gemvtsm_kernelILb0ELi256EDF16_PKffEviiT2_lPKT1_lilS5_lilS2_lPT3_lil.kd
    .uniform_work_group_size: 1
    .uses_dynamic_stack: false
    .vgpr_count:     22
    .vgpr_spill_count: 0
    .wavefront_size: 32
    .workgroup_processor_mode: 1
  - .args:
      - .offset:         0
        .size:           4
        .value_kind:     by_value
      - .offset:         4
        .size:           4
        .value_kind:     by_value
      - .offset:         8
        .size:           4
        .value_kind:     by_value
      - .offset:         16
        .size:           8
        .value_kind:     by_value
      - .address_space:  global
        .offset:         24
        .size:           8
        .value_kind:     global_buffer
      - .offset:         32
        .size:           8
        .value_kind:     by_value
      - .offset:         40
        .size:           4
        .value_kind:     by_value
      - .offset:         48
        .size:           8
        .value_kind:     by_value
      - .address_space:  global
        .offset:         56
        .size:           8
        .value_kind:     global_buffer
      - .offset:         64
        .size:           8
        .value_kind:     by_value
      - .offset:         72
        .size:           4
        .value_kind:     by_value
      - .offset:         80
        .size:           8
        .value_kind:     by_value
      - .offset:         88
        .size:           4
        .value_kind:     by_value
      - .offset:         96
        .size:           8
        .value_kind:     by_value
      - .address_space:  global
        .offset:         104
        .size:           8
        .value_kind:     global_buffer
      - .offset:         112
        .size:           8
        .value_kind:     by_value
      - .offset:         120
        .size:           4
        .value_kind:     by_value
      - .offset:         128
        .size:           8
        .value_kind:     by_value
    .group_segment_fixed_size: 256
    .kernarg_segment_align: 8
    .kernarg_segment_size: 136
    .language:       OpenCL C
    .language_version:
      - 2
      - 0
    .max_flat_workgroup_size: 256
    .name:           _ZL22rocblas_gemvtsm_kernelILb0ELi256EDF16_ffEviiT2_lPKT1_lilS3_lilS0_lPT3_lil
    .private_segment_fixed_size: 0
    .sgpr_count:     28
    .sgpr_spill_count: 0
    .symbol:         _ZL22rocblas_gemvtsm_kernelILb0ELi256EDF16_ffEviiT2_lPKT1_lilS3_lilS0_lPT3_lil.kd
    .uniform_work_group_size: 1
    .uses_dynamic_stack: false
    .vgpr_count:     22
    .vgpr_spill_count: 0
    .wavefront_size: 32
    .workgroup_processor_mode: 1
  - .args:
      - .offset:         0
        .size:           4
        .value_kind:     by_value
      - .address_space:  global
        .offset:         8
        .size:           8
        .value_kind:     global_buffer
      - .offset:         16
        .size:           8
        .value_kind:     by_value
      - .address_space:  global
        .offset:         24
        .size:           8
        .value_kind:     global_buffer
      - .offset:         32
        .size:           8
        .value_kind:     by_value
      - .offset:         40
        .size:           4
        .value_kind:     by_value
      - .offset:         48
        .size:           8
        .value_kind:     by_value
      - .actual_access:  read_only
        .address_space:  global
        .offset:         56
        .size:           8
        .value_kind:     global_buffer
      - .offset:         64
        .size:           4
        .value_kind:     by_value
      - .offset:         72
        .size:           4
        .value_kind:     hidden_block_count_x
      - .offset:         76
        .size:           4
        .value_kind:     hidden_block_count_y
      - .offset:         80
        .size:           4
        .value_kind:     hidden_block_count_z
      - .offset:         84
        .size:           2
        .value_kind:     hidden_group_size_x
      - .offset:         86
        .size:           2
        .value_kind:     hidden_group_size_y
      - .offset:         88
        .size:           2
        .value_kind:     hidden_group_size_z
      - .offset:         90
        .size:           2
        .value_kind:     hidden_remainder_x
      - .offset:         92
        .size:           2
        .value_kind:     hidden_remainder_y
      - .offset:         94
        .size:           2
        .value_kind:     hidden_remainder_z
      - .offset:         112
        .size:           8
        .value_kind:     hidden_global_offset_x
      - .offset:         120
        .size:           8
        .value_kind:     hidden_global_offset_y
      - .offset:         128
        .size:           8
        .value_kind:     hidden_global_offset_z
      - .offset:         136
        .size:           2
        .value_kind:     hidden_grid_dims
    .group_segment_fixed_size: 128
    .kernarg_segment_align: 8
    .kernarg_segment_size: 328
    .language:       OpenCL C
    .language_version:
      - 2
      - 0
    .max_flat_workgroup_size: 256
    .name:           _ZL23rocblas_gemvt_sn_reduceILi256ELi8EfPKffEviT2_lPT3_lilPT1_i
    .private_segment_fixed_size: 0
    .sgpr_count:     40
    .sgpr_spill_count: 0
    .symbol:         _ZL23rocblas_gemvt_sn_reduceILi256ELi8EfPKffEviT2_lPT3_lilPT1_i.kd
    .uniform_work_group_size: 1
    .uses_dynamic_stack: false
    .vgpr_count:     26
    .vgpr_spill_count: 0
    .wavefront_size: 32
    .workgroup_processor_mode: 1
  - .args:
      - .offset:         0
        .size:           4
        .value_kind:     by_value
      - .offset:         4
        .size:           4
        .value_kind:     by_value
      - .offset:         8
        .size:           8
        .value_kind:     by_value
      - .address_space:  global
        .offset:         16
        .size:           8
        .value_kind:     global_buffer
      - .offset:         24
        .size:           8
        .value_kind:     by_value
      - .offset:         32
        .size:           4
        .value_kind:     by_value
      - .offset:         40
        .size:           8
        .value_kind:     by_value
      - .actual_access:  read_only
        .address_space:  global
        .offset:         48
        .size:           8
        .value_kind:     global_buffer
      - .offset:         56
        .size:           4
        .value_kind:     by_value
      - .offset:         64
        .size:           4
        .value_kind:     hidden_block_count_x
      - .offset:         68
        .size:           4
        .value_kind:     hidden_block_count_y
      - .offset:         72
        .size:           4
        .value_kind:     hidden_block_count_z
      - .offset:         76
        .size:           2
        .value_kind:     hidden_group_size_x
      - .offset:         78
        .size:           2
        .value_kind:     hidden_group_size_y
      - .offset:         80
        .size:           2
        .value_kind:     hidden_group_size_z
      - .offset:         82
        .size:           2
        .value_kind:     hidden_remainder_x
      - .offset:         84
        .size:           2
        .value_kind:     hidden_remainder_y
      - .offset:         86
        .size:           2
        .value_kind:     hidden_remainder_z
      - .offset:         104
        .size:           8
        .value_kind:     hidden_global_offset_x
      - .offset:         112
        .size:           8
        .value_kind:     hidden_global_offset_y
      - .offset:         120
        .size:           8
        .value_kind:     hidden_global_offset_z
      - .offset:         128
        .size:           2
        .value_kind:     hidden_grid_dims
    .group_segment_fixed_size: 128
    .kernarg_segment_align: 8
    .kernarg_segment_size: 320
    .language:       OpenCL C
    .language_version:
      - 2
      - 0
    .max_flat_workgroup_size: 256
    .name:           _ZL23rocblas_gemvt_sn_reduceILi256ELi8EfffEviT2_lPT3_lilPT1_i
    .private_segment_fixed_size: 0
    .sgpr_count:     36
    .sgpr_spill_count: 0
    .symbol:         _ZL23rocblas_gemvt_sn_reduceILi256ELi8EfffEviT2_lPT3_lilPT1_i.kd
    .uniform_work_group_size: 1
    .uses_dynamic_stack: false
    .vgpr_count:     25
    .vgpr_spill_count: 0
    .wavefront_size: 32
    .workgroup_processor_mode: 1
  - .args:
      - .offset:         0
        .size:           4
        .value_kind:     by_value
      - .offset:         4
        .size:           4
        .value_kind:     by_value
      - .address_space:  global
        .offset:         8
        .size:           8
        .value_kind:     global_buffer
      - .offset:         16
        .size:           8
        .value_kind:     by_value
      - .address_space:  global
        .offset:         24
        .size:           8
        .value_kind:     global_buffer
      - .offset:         32
        .size:           8
        .value_kind:     by_value
      - .offset:         40
        .size:           4
        .value_kind:     by_value
      - .offset:         48
        .size:           8
        .value_kind:     by_value
      - .address_space:  global
        .offset:         56
        .size:           8
        .value_kind:     global_buffer
      - .offset:         64
        .size:           8
        .value_kind:     by_value
      - .offset:         72
        .size:           4
        .value_kind:     by_value
      - .offset:         80
        .size:           8
        .value_kind:     by_value
      - .address_space:  global
        .offset:         88
        .size:           8
        .value_kind:     global_buffer
      - .offset:         96
        .size:           8
        .value_kind:     by_value
      - .address_space:  global
        .offset:         104
        .size:           8
        .value_kind:     global_buffer
      - .offset:         112
        .size:           8
        .value_kind:     by_value
      - .offset:         120
        .size:           4
        .value_kind:     by_value
      - .offset:         128
        .size:           8
        .value_kind:     by_value
      - .offset:         136
        .size:           4
        .value_kind:     by_value
    .group_segment_fixed_size: 128
    .kernarg_segment_align: 8
    .kernarg_segment_size: 140
    .language:       OpenCL C
    .language_version:
      - 2
      - 0
    .max_flat_workgroup_size: 256
    .name:           _ZL32rocblas_gemvt_warp_reduce_kernelILb0ELi256EiDF16_PKffEviiT3_lPKT2_lT1_lS5_lS6_lS2_lPT4_lS6_li
    .private_segment_fixed_size: 0
    .sgpr_count:     48
    .sgpr_spill_count: 0
    .symbol:         _ZL32rocblas_gemvt_warp_reduce_kernelILb0ELi256EiDF16_PKffEviiT3_lPKT2_lT1_lS5_lS6_lS2_lPT4_lS6_li.kd
    .uniform_work_group_size: 1
    .uses_dynamic_stack: false
    .vgpr_count:     22
    .vgpr_spill_count: 0
    .wavefront_size: 32
    .workgroup_processor_mode: 1
  - .args:
      - .offset:         0
        .size:           4
        .value_kind:     by_value
      - .offset:         4
        .size:           4
        .value_kind:     by_value
      - .address_space:  global
        .offset:         8
        .size:           8
        .value_kind:     global_buffer
      - .offset:         16
        .size:           8
        .value_kind:     by_value
      - .address_space:  global
        .offset:         24
        .size:           8
        .value_kind:     global_buffer
      - .offset:         32
        .size:           8
        .value_kind:     by_value
      - .offset:         40
        .size:           8
        .value_kind:     by_value
      - .offset:         48
        .size:           8
        .value_kind:     by_value
      - .address_space:  global
        .offset:         56
        .size:           8
        .value_kind:     global_buffer
      - .offset:         64
        .size:           8
        .value_kind:     by_value
      - .offset:         72
        .size:           8
        .value_kind:     by_value
      - .offset:         80
        .size:           8
        .value_kind:     by_value
      - .address_space:  global
        .offset:         88
        .size:           8
        .value_kind:     global_buffer
      - .offset:         96
        .size:           8
        .value_kind:     by_value
      - .address_space:  global
        .offset:         104
        .size:           8
        .value_kind:     global_buffer
      - .offset:         112
        .size:           8
        .value_kind:     by_value
      - .offset:         120
        .size:           8
        .value_kind:     by_value
      - .offset:         128
        .size:           8
        .value_kind:     by_value
      - .offset:         136
        .size:           4
        .value_kind:     by_value
    .group_segment_fixed_size: 128
    .kernarg_segment_align: 8
    .kernarg_segment_size: 140
    .language:       OpenCL C
    .language_version:
      - 2
      - 0
    .max_flat_workgroup_size: 256
    .name:           _ZL32rocblas_gemvt_warp_reduce_kernelILb0ELi256ElDF16_PKffEviiT3_lPKT2_lT1_lS5_lS6_lS2_lPT4_lS6_li
    .private_segment_fixed_size: 0
    .sgpr_count:     54
    .sgpr_spill_count: 0
    .symbol:         _ZL32rocblas_gemvt_warp_reduce_kernelILb0ELi256ElDF16_PKffEviiT3_lPKT2_lT1_lS5_lS6_lS2_lPT4_lS6_li.kd
    .uniform_work_group_size: 1
    .uses_dynamic_stack: false
    .vgpr_count:     23
    .vgpr_spill_count: 0
    .wavefront_size: 32
    .workgroup_processor_mode: 1
  - .args:
      - .offset:         0
        .size:           4
        .value_kind:     by_value
      - .offset:         4
        .size:           4
        .value_kind:     by_value
      - .offset:         8
        .size:           4
        .value_kind:     by_value
      - .offset:         16
        .size:           8
        .value_kind:     by_value
      - .address_space:  global
        .offset:         24
        .size:           8
        .value_kind:     global_buffer
      - .offset:         32
        .size:           8
        .value_kind:     by_value
      - .offset:         40
        .size:           4
        .value_kind:     by_value
      - .offset:         48
        .size:           8
        .value_kind:     by_value
      - .address_space:  global
        .offset:         56
        .size:           8
        .value_kind:     global_buffer
      - .offset:         64
        .size:           8
        .value_kind:     by_value
      - .offset:         72
        .size:           4
        .value_kind:     by_value
      - .offset:         80
        .size:           8
        .value_kind:     by_value
      - .offset:         88
        .size:           4
        .value_kind:     by_value
      - .offset:         96
        .size:           8
        .value_kind:     by_value
      - .address_space:  global
        .offset:         104
        .size:           8
        .value_kind:     global_buffer
      - .offset:         112
        .size:           8
        .value_kind:     by_value
      - .offset:         120
        .size:           4
        .value_kind:     by_value
      - .offset:         128
        .size:           8
        .value_kind:     by_value
      - .offset:         136
        .size:           4
        .value_kind:     by_value
    .group_segment_fixed_size: 128
    .kernarg_segment_align: 8
    .kernarg_segment_size: 140
    .language:       OpenCL C
    .language_version:
      - 2
      - 0
    .max_flat_workgroup_size: 256
    .name:           _ZL32rocblas_gemvt_warp_reduce_kernelILb0ELi256EiDF16_ffEviiT3_lPKT2_lT1_lS3_lS4_lS0_lPT4_lS4_li
    .private_segment_fixed_size: 0
    .sgpr_count:     44
    .sgpr_spill_count: 0
    .symbol:         _ZL32rocblas_gemvt_warp_reduce_kernelILb0ELi256EiDF16_ffEviiT3_lPKT2_lT1_lS3_lS4_lS0_lPT4_lS4_li.kd
    .uniform_work_group_size: 1
    .uses_dynamic_stack: false
    .vgpr_count:     21
    .vgpr_spill_count: 0
    .wavefront_size: 32
    .workgroup_processor_mode: 1
  - .args:
      - .offset:         0
        .size:           4
        .value_kind:     by_value
      - .offset:         4
        .size:           4
        .value_kind:     by_value
      - .offset:         8
        .size:           4
        .value_kind:     by_value
      - .offset:         16
        .size:           8
        .value_kind:     by_value
      - .address_space:  global
        .offset:         24
        .size:           8
        .value_kind:     global_buffer
      - .offset:         32
        .size:           8
        .value_kind:     by_value
      - .offset:         40
        .size:           8
        .value_kind:     by_value
      - .offset:         48
        .size:           8
        .value_kind:     by_value
      - .address_space:  global
        .offset:         56
        .size:           8
        .value_kind:     global_buffer
      - .offset:         64
        .size:           8
        .value_kind:     by_value
      - .offset:         72
        .size:           8
        .value_kind:     by_value
      - .offset:         80
        .size:           8
        .value_kind:     by_value
      - .offset:         88
        .size:           4
        .value_kind:     by_value
      - .offset:         96
        .size:           8
        .value_kind:     by_value
      - .address_space:  global
        .offset:         104
        .size:           8
        .value_kind:     global_buffer
      - .offset:         112
        .size:           8
        .value_kind:     by_value
      - .offset:         120
        .size:           8
        .value_kind:     by_value
      - .offset:         128
        .size:           8
        .value_kind:     by_value
      - .offset:         136
        .size:           4
        .value_kind:     by_value
    .group_segment_fixed_size: 128
    .kernarg_segment_align: 8
    .kernarg_segment_size: 140
    .language:       OpenCL C
    .language_version:
      - 2
      - 0
    .max_flat_workgroup_size: 256
    .name:           _ZL32rocblas_gemvt_warp_reduce_kernelILb0ELi256ElDF16_ffEviiT3_lPKT2_lT1_lS3_lS4_lS0_lPT4_lS4_li
    .private_segment_fixed_size: 0
    .sgpr_count:     46
    .sgpr_spill_count: 0
    .symbol:         _ZL32rocblas_gemvt_warp_reduce_kernelILb0ELi256ElDF16_ffEviiT3_lPKT2_lT1_lS3_lS4_lS0_lPT4_lS4_li.kd
    .uniform_work_group_size: 1
    .uses_dynamic_stack: false
    .vgpr_count:     22
    .vgpr_spill_count: 0
    .wavefront_size: 32
    .workgroup_processor_mode: 1
  - .args:
      - .offset:         0
        .size:           4
        .value_kind:     by_value
      - .offset:         4
        .size:           4
        .value_kind:     by_value
      - .address_space:  global
        .offset:         8
        .size:           8
        .value_kind:     global_buffer
      - .offset:         16
        .size:           8
        .value_kind:     by_value
      - .address_space:  global
        .offset:         24
        .size:           8
        .value_kind:     global_buffer
      - .offset:         32
        .size:           8
        .value_kind:     by_value
      - .offset:         40
        .size:           4
        .value_kind:     by_value
      - .offset:         48
        .size:           8
        .value_kind:     by_value
      - .address_space:  global
        .offset:         56
        .size:           8
        .value_kind:     global_buffer
      - .offset:         64
        .size:           8
        .value_kind:     by_value
      - .offset:         72
        .size:           4
        .value_kind:     by_value
      - .offset:         80
        .size:           8
        .value_kind:     by_value
      - .address_space:  global
        .offset:         88
        .size:           8
        .value_kind:     global_buffer
      - .offset:         96
        .size:           8
        .value_kind:     by_value
      - .address_space:  global
        .offset:         104
        .size:           8
        .value_kind:     global_buffer
      - .offset:         112
        .size:           8
        .value_kind:     by_value
      - .offset:         120
        .size:           4
        .value_kind:     by_value
      - .offset:         128
        .size:           8
        .value_kind:     by_value
      - .offset:         136
        .size:           4
        .value_kind:     by_value
    .group_segment_fixed_size: 1024
    .kernarg_segment_align: 8
    .kernarg_segment_size: 140
    .language:       OpenCL C
    .language_version:
      - 2
      - 0
    .max_flat_workgroup_size: 256
    .name:           _ZL20rocblas_gemvt_kernelILb0ELi256EDF16_PKffEviiT2_lPKT1_lilS5_lilS2_lPT3_lili
    .private_segment_fixed_size: 0
    .sgpr_count:     54
    .sgpr_spill_count: 0
    .symbol:         _ZL20rocblas_gemvt_kernelILb0ELi256EDF16_PKffEviiT2_lPKT1_lilS5_lilS2_lPT3_lili.kd
    .uniform_work_group_size: 1
    .uses_dynamic_stack: false
    .vgpr_count:     19
    .vgpr_spill_count: 0
    .wavefront_size: 32
    .workgroup_processor_mode: 1
  - .args:
      - .offset:         0
        .size:           4
        .value_kind:     by_value
      - .offset:         4
        .size:           4
        .value_kind:     by_value
      - .offset:         8
        .size:           4
        .value_kind:     by_value
      - .offset:         16
        .size:           8
        .value_kind:     by_value
      - .address_space:  global
        .offset:         24
        .size:           8
        .value_kind:     global_buffer
      - .offset:         32
        .size:           8
        .value_kind:     by_value
      - .offset:         40
        .size:           4
        .value_kind:     by_value
      - .offset:         48
        .size:           8
        .value_kind:     by_value
      - .address_space:  global
        .offset:         56
        .size:           8
        .value_kind:     global_buffer
      - .offset:         64
        .size:           8
        .value_kind:     by_value
      - .offset:         72
        .size:           4
        .value_kind:     by_value
      - .offset:         80
        .size:           8
        .value_kind:     by_value
      - .offset:         88
        .size:           4
        .value_kind:     by_value
      - .offset:         96
        .size:           8
        .value_kind:     by_value
      - .address_space:  global
        .offset:         104
        .size:           8
        .value_kind:     global_buffer
      - .offset:         112
        .size:           8
        .value_kind:     by_value
      - .offset:         120
        .size:           4
        .value_kind:     by_value
      - .offset:         128
        .size:           8
        .value_kind:     by_value
      - .offset:         136
        .size:           4
        .value_kind:     by_value
    .group_segment_fixed_size: 1024
    .kernarg_segment_align: 8
    .kernarg_segment_size: 140
    .language:       OpenCL C
    .language_version:
      - 2
      - 0
    .max_flat_workgroup_size: 256
    .name:           _ZL20rocblas_gemvt_kernelILb0ELi256EDF16_ffEviiT2_lPKT1_lilS3_lilS0_lPT3_lili
    .private_segment_fixed_size: 0
    .sgpr_count:     50
    .sgpr_spill_count: 0
    .symbol:         _ZL20rocblas_gemvt_kernelILb0ELi256EDF16_ffEviiT2_lPKT1_lilS3_lilS0_lPT3_lili.kd
    .uniform_work_group_size: 1
    .uses_dynamic_stack: false
    .vgpr_count:     17
    .vgpr_spill_count: 0
    .wavefront_size: 32
    .workgroup_processor_mode: 1
  - .args:
      - .offset:         0
        .size:           4
        .value_kind:     by_value
      - .offset:         4
        .size:           4
        .value_kind:     by_value
      - .address_space:  global
        .offset:         8
        .size:           8
        .value_kind:     global_buffer
      - .offset:         16
        .size:           8
        .value_kind:     by_value
      - .address_space:  global
        .offset:         24
        .size:           8
        .value_kind:     global_buffer
      - .offset:         32
        .size:           8
        .value_kind:     by_value
      - .offset:         40
        .size:           4
        .value_kind:     by_value
      - .offset:         48
        .size:           8
        .value_kind:     by_value
      - .address_space:  global
        .offset:         56
        .size:           8
        .value_kind:     global_buffer
      - .offset:         64
        .size:           8
        .value_kind:     by_value
      - .offset:         72
        .size:           4
        .value_kind:     by_value
      - .offset:         80
        .size:           8
        .value_kind:     by_value
      - .address_space:  global
        .offset:         88
        .size:           8
        .value_kind:     global_buffer
      - .offset:         96
        .size:           8
        .value_kind:     by_value
      - .address_space:  global
        .offset:         104
        .size:           8
        .value_kind:     global_buffer
      - .offset:         112
        .size:           8
        .value_kind:     by_value
      - .offset:         120
        .size:           4
        .value_kind:     by_value
      - .offset:         128
        .size:           8
        .value_kind:     by_value
      - .offset:         136
        .size:           4
        .value_kind:     by_value
    .group_segment_fixed_size: 128
    .kernarg_segment_align: 8
    .kernarg_segment_size: 140
    .language:       OpenCL C
    .language_version:
      - 2
      - 0
    .max_flat_workgroup_size: 1024
    .name:           _ZL32rocblas_gemvt_warp_reduce_kernelILb0ELi1024EiDF16_PKffEviiT3_lPKT2_lT1_lS5_lS6_lS2_lPT4_lS6_li
    .private_segment_fixed_size: 0
    .sgpr_count:     46
    .sgpr_spill_count: 0
    .symbol:         _ZL32rocblas_gemvt_warp_reduce_kernelILb0ELi1024EiDF16_PKffEviiT3_lPKT2_lT1_lS5_lS6_lS2_lPT4_lS6_li.kd
    .uniform_work_group_size: 1
    .uses_dynamic_stack: false
    .vgpr_count:     22
    .vgpr_spill_count: 0
    .wavefront_size: 32
    .workgroup_processor_mode: 1
  - .args:
      - .offset:         0
        .size:           4
        .value_kind:     by_value
      - .offset:         4
        .size:           4
        .value_kind:     by_value
      - .address_space:  global
        .offset:         8
        .size:           8
        .value_kind:     global_buffer
      - .offset:         16
        .size:           8
        .value_kind:     by_value
      - .address_space:  global
        .offset:         24
        .size:           8
        .value_kind:     global_buffer
      - .offset:         32
        .size:           8
        .value_kind:     by_value
      - .offset:         40
        .size:           8
        .value_kind:     by_value
      - .offset:         48
        .size:           8
        .value_kind:     by_value
      - .address_space:  global
        .offset:         56
        .size:           8
        .value_kind:     global_buffer
      - .offset:         64
        .size:           8
        .value_kind:     by_value
      - .offset:         72
        .size:           8
        .value_kind:     by_value
      - .offset:         80
        .size:           8
        .value_kind:     by_value
      - .address_space:  global
        .offset:         88
        .size:           8
        .value_kind:     global_buffer
      - .offset:         96
        .size:           8
        .value_kind:     by_value
      - .address_space:  global
        .offset:         104
        .size:           8
        .value_kind:     global_buffer
      - .offset:         112
        .size:           8
        .value_kind:     by_value
      - .offset:         120
        .size:           8
        .value_kind:     by_value
      - .offset:         128
        .size:           8
        .value_kind:     by_value
      - .offset:         136
        .size:           4
        .value_kind:     by_value
    .group_segment_fixed_size: 128
    .kernarg_segment_align: 8
    .kernarg_segment_size: 140
    .language:       OpenCL C
    .language_version:
      - 2
      - 0
    .max_flat_workgroup_size: 1024
    .name:           _ZL32rocblas_gemvt_warp_reduce_kernelILb0ELi1024ElDF16_PKffEviiT3_lPKT2_lT1_lS5_lS6_lS2_lPT4_lS6_li
    .private_segment_fixed_size: 0
    .sgpr_count:     54
    .sgpr_spill_count: 0
    .symbol:         _ZL32rocblas_gemvt_warp_reduce_kernelILb0ELi1024ElDF16_PKffEviiT3_lPKT2_lT1_lS5_lS6_lS2_lPT4_lS6_li.kd
    .uniform_work_group_size: 1
    .uses_dynamic_stack: false
    .vgpr_count:     23
    .vgpr_spill_count: 0
    .wavefront_size: 32
    .workgroup_processor_mode: 1
  - .args:
      - .offset:         0
        .size:           4
        .value_kind:     by_value
      - .offset:         4
        .size:           4
        .value_kind:     by_value
      - .offset:         8
        .size:           4
        .value_kind:     by_value
      - .offset:         16
        .size:           8
        .value_kind:     by_value
      - .address_space:  global
        .offset:         24
        .size:           8
        .value_kind:     global_buffer
      - .offset:         32
        .size:           8
        .value_kind:     by_value
      - .offset:         40
        .size:           4
        .value_kind:     by_value
      - .offset:         48
        .size:           8
        .value_kind:     by_value
      - .address_space:  global
        .offset:         56
        .size:           8
        .value_kind:     global_buffer
      - .offset:         64
        .size:           8
        .value_kind:     by_value
      - .offset:         72
        .size:           4
        .value_kind:     by_value
      - .offset:         80
        .size:           8
        .value_kind:     by_value
      - .offset:         88
        .size:           4
        .value_kind:     by_value
      - .offset:         96
        .size:           8
        .value_kind:     by_value
      - .address_space:  global
        .offset:         104
        .size:           8
        .value_kind:     global_buffer
      - .offset:         112
        .size:           8
        .value_kind:     by_value
      - .offset:         120
        .size:           4
        .value_kind:     by_value
      - .offset:         128
        .size:           8
        .value_kind:     by_value
      - .offset:         136
        .size:           4
        .value_kind:     by_value
    .group_segment_fixed_size: 128
    .kernarg_segment_align: 8
    .kernarg_segment_size: 140
    .language:       OpenCL C
    .language_version:
      - 2
      - 0
    .max_flat_workgroup_size: 1024
    .name:           _ZL32rocblas_gemvt_warp_reduce_kernelILb0ELi1024EiDF16_ffEviiT3_lPKT2_lT1_lS3_lS4_lS0_lPT4_lS4_li
    .private_segment_fixed_size: 0
    .sgpr_count:     44
    .sgpr_spill_count: 0
    .symbol:         _ZL32rocblas_gemvt_warp_reduce_kernelILb0ELi1024EiDF16_ffEviiT3_lPKT2_lT1_lS3_lS4_lS0_lPT4_lS4_li.kd
    .uniform_work_group_size: 1
    .uses_dynamic_stack: false
    .vgpr_count:     21
    .vgpr_spill_count: 0
    .wavefront_size: 32
    .workgroup_processor_mode: 1
  - .args:
      - .offset:         0
        .size:           4
        .value_kind:     by_value
      - .offset:         4
        .size:           4
        .value_kind:     by_value
      - .offset:         8
        .size:           4
        .value_kind:     by_value
      - .offset:         16
        .size:           8
        .value_kind:     by_value
      - .address_space:  global
        .offset:         24
        .size:           8
        .value_kind:     global_buffer
      - .offset:         32
        .size:           8
        .value_kind:     by_value
      - .offset:         40
        .size:           8
        .value_kind:     by_value
      - .offset:         48
        .size:           8
        .value_kind:     by_value
      - .address_space:  global
        .offset:         56
        .size:           8
        .value_kind:     global_buffer
      - .offset:         64
        .size:           8
        .value_kind:     by_value
      - .offset:         72
        .size:           8
        .value_kind:     by_value
      - .offset:         80
        .size:           8
        .value_kind:     by_value
      - .offset:         88
        .size:           4
        .value_kind:     by_value
      - .offset:         96
        .size:           8
        .value_kind:     by_value
      - .address_space:  global
        .offset:         104
        .size:           8
        .value_kind:     global_buffer
      - .offset:         112
        .size:           8
        .value_kind:     by_value
      - .offset:         120
        .size:           8
        .value_kind:     by_value
      - .offset:         128
        .size:           8
        .value_kind:     by_value
      - .offset:         136
        .size:           4
        .value_kind:     by_value
    .group_segment_fixed_size: 128
    .kernarg_segment_align: 8
    .kernarg_segment_size: 140
    .language:       OpenCL C
    .language_version:
      - 2
      - 0
    .max_flat_workgroup_size: 1024
    .name:           _ZL32rocblas_gemvt_warp_reduce_kernelILb0ELi1024ElDF16_ffEviiT3_lPKT2_lT1_lS3_lS4_lS0_lPT4_lS4_li
    .private_segment_fixed_size: 0
    .sgpr_count:     46
    .sgpr_spill_count: 0
    .symbol:         _ZL32rocblas_gemvt_warp_reduce_kernelILb0ELi1024ElDF16_ffEviiT3_lPKT2_lT1_lS3_lS4_lS0_lPT4_lS4_li.kd
    .uniform_work_group_size: 1
    .uses_dynamic_stack: false
    .vgpr_count:     22
    .vgpr_spill_count: 0
    .wavefront_size: 32
    .workgroup_processor_mode: 1
  - .args:
      - .offset:         0
        .size:           4
        .value_kind:     by_value
      - .offset:         4
        .size:           4
        .value_kind:     by_value
      - .address_space:  global
        .offset:         8
        .size:           8
        .value_kind:     global_buffer
      - .offset:         16
        .size:           8
        .value_kind:     by_value
      - .address_space:  global
        .offset:         24
        .size:           8
        .value_kind:     global_buffer
      - .offset:         32
        .size:           8
        .value_kind:     by_value
      - .offset:         40
        .size:           4
        .value_kind:     by_value
      - .offset:         48
        .size:           8
        .value_kind:     by_value
      - .address_space:  global
        .offset:         56
        .size:           8
        .value_kind:     global_buffer
      - .offset:         64
        .size:           8
        .value_kind:     by_value
      - .offset:         72
        .size:           4
        .value_kind:     by_value
      - .offset:         80
        .size:           8
        .value_kind:     by_value
      - .address_space:  global
        .offset:         88
        .size:           8
        .value_kind:     global_buffer
      - .offset:         96
        .size:           8
        .value_kind:     by_value
      - .address_space:  global
        .offset:         104
        .size:           8
        .value_kind:     global_buffer
      - .offset:         112
        .size:           8
        .value_kind:     by_value
      - .offset:         120
        .size:           4
        .value_kind:     by_value
      - .offset:         128
        .size:           8
        .value_kind:     by_value
    .group_segment_fixed_size: 256
    .kernarg_segment_align: 8
    .kernarg_segment_size: 136
    .language:       OpenCL C
    .language_version:
      - 2
      - 0
    .max_flat_workgroup_size: 256
    .name:           _ZL22rocblas_gemvtsm_kernelILb1ELi256EDF16_PKffEviiT2_lPKT1_lilS5_lilS2_lPT3_lil
    .private_segment_fixed_size: 0
    .sgpr_count:     32
    .sgpr_spill_count: 0
    .symbol:         _ZL22rocblas_gemvtsm_kernelILb1ELi256EDF16_PKffEviiT2_lPKT1_lilS5_lilS2_lPT3_lil.kd
    .uniform_work_group_size: 1
    .uses_dynamic_stack: false
    .vgpr_count:     22
    .vgpr_spill_count: 0
    .wavefront_size: 32
    .workgroup_processor_mode: 1
  - .args:
      - .offset:         0
        .size:           4
        .value_kind:     by_value
      - .offset:         4
        .size:           4
        .value_kind:     by_value
      - .offset:         8
        .size:           4
        .value_kind:     by_value
      - .offset:         16
        .size:           8
        .value_kind:     by_value
      - .address_space:  global
        .offset:         24
        .size:           8
        .value_kind:     global_buffer
      - .offset:         32
        .size:           8
        .value_kind:     by_value
      - .offset:         40
        .size:           4
        .value_kind:     by_value
      - .offset:         48
        .size:           8
        .value_kind:     by_value
      - .address_space:  global
        .offset:         56
        .size:           8
        .value_kind:     global_buffer
      - .offset:         64
        .size:           8
        .value_kind:     by_value
      - .offset:         72
        .size:           4
        .value_kind:     by_value
      - .offset:         80
        .size:           8
        .value_kind:     by_value
      - .offset:         88
        .size:           4
        .value_kind:     by_value
      - .offset:         96
        .size:           8
        .value_kind:     by_value
      - .address_space:  global
        .offset:         104
        .size:           8
        .value_kind:     global_buffer
      - .offset:         112
        .size:           8
        .value_kind:     by_value
      - .offset:         120
        .size:           4
        .value_kind:     by_value
      - .offset:         128
        .size:           8
        .value_kind:     by_value
    .group_segment_fixed_size: 256
    .kernarg_segment_align: 8
    .kernarg_segment_size: 136
    .language:       OpenCL C
    .language_version:
      - 2
      - 0
    .max_flat_workgroup_size: 256
    .name:           _ZL22rocblas_gemvtsm_kernelILb1ELi256EDF16_ffEviiT2_lPKT1_lilS3_lilS0_lPT3_lil
    .private_segment_fixed_size: 0
    .sgpr_count:     28
    .sgpr_spill_count: 0
    .symbol:         _ZL22rocblas_gemvtsm_kernelILb1ELi256EDF16_ffEviiT2_lPKT1_lilS3_lilS0_lPT3_lil.kd
    .uniform_work_group_size: 1
    .uses_dynamic_stack: false
    .vgpr_count:     22
    .vgpr_spill_count: 0
    .wavefront_size: 32
    .workgroup_processor_mode: 1
  - .args:
      - .offset:         0
        .size:           4
        .value_kind:     by_value
      - .offset:         4
        .size:           4
        .value_kind:     by_value
      - .address_space:  global
        .offset:         8
        .size:           8
        .value_kind:     global_buffer
      - .offset:         16
        .size:           8
        .value_kind:     by_value
      - .address_space:  global
        .offset:         24
        .size:           8
        .value_kind:     global_buffer
      - .offset:         32
        .size:           8
        .value_kind:     by_value
      - .offset:         40
        .size:           4
        .value_kind:     by_value
      - .offset:         48
        .size:           8
        .value_kind:     by_value
      - .address_space:  global
        .offset:         56
        .size:           8
        .value_kind:     global_buffer
      - .offset:         64
        .size:           8
        .value_kind:     by_value
      - .offset:         72
        .size:           4
        .value_kind:     by_value
      - .offset:         80
        .size:           8
        .value_kind:     by_value
      - .address_space:  global
        .offset:         88
        .size:           8
        .value_kind:     global_buffer
      - .offset:         96
        .size:           8
        .value_kind:     by_value
      - .address_space:  global
        .offset:         104
        .size:           8
        .value_kind:     global_buffer
      - .offset:         112
        .size:           8
        .value_kind:     by_value
      - .offset:         120
        .size:           4
        .value_kind:     by_value
      - .offset:         128
        .size:           8
        .value_kind:     by_value
      - .offset:         136
        .size:           4
        .value_kind:     by_value
    .group_segment_fixed_size: 1024
    .kernarg_segment_align: 8
    .kernarg_segment_size: 140
    .language:       OpenCL C
    .language_version:
      - 2
      - 0
    .max_flat_workgroup_size: 256
    .name:           _ZL20rocblas_gemvt_kernelILb1ELi256EDF16_PKffEviiT2_lPKT1_lilS5_lilS2_lPT3_lili
    .private_segment_fixed_size: 0
    .sgpr_count:     54
    .sgpr_spill_count: 0
    .symbol:         _ZL20rocblas_gemvt_kernelILb1ELi256EDF16_PKffEviiT2_lPKT1_lilS5_lilS2_lPT3_lili.kd
    .uniform_work_group_size: 1
    .uses_dynamic_stack: false
    .vgpr_count:     19
    .vgpr_spill_count: 0
    .wavefront_size: 32
    .workgroup_processor_mode: 1
  - .args:
      - .offset:         0
        .size:           4
        .value_kind:     by_value
      - .offset:         4
        .size:           4
        .value_kind:     by_value
      - .offset:         8
        .size:           4
        .value_kind:     by_value
      - .offset:         16
        .size:           8
        .value_kind:     by_value
      - .address_space:  global
        .offset:         24
        .size:           8
        .value_kind:     global_buffer
      - .offset:         32
        .size:           8
        .value_kind:     by_value
      - .offset:         40
        .size:           4
        .value_kind:     by_value
      - .offset:         48
        .size:           8
        .value_kind:     by_value
      - .address_space:  global
        .offset:         56
        .size:           8
        .value_kind:     global_buffer
      - .offset:         64
        .size:           8
        .value_kind:     by_value
      - .offset:         72
        .size:           4
        .value_kind:     by_value
      - .offset:         80
        .size:           8
        .value_kind:     by_value
      - .offset:         88
        .size:           4
        .value_kind:     by_value
      - .offset:         96
        .size:           8
        .value_kind:     by_value
      - .address_space:  global
        .offset:         104
        .size:           8
        .value_kind:     global_buffer
      - .offset:         112
        .size:           8
        .value_kind:     by_value
      - .offset:         120
        .size:           4
        .value_kind:     by_value
      - .offset:         128
        .size:           8
        .value_kind:     by_value
      - .offset:         136
        .size:           4
        .value_kind:     by_value
    .group_segment_fixed_size: 1024
    .kernarg_segment_align: 8
    .kernarg_segment_size: 140
    .language:       OpenCL C
    .language_version:
      - 2
      - 0
    .max_flat_workgroup_size: 256
    .name:           _ZL20rocblas_gemvt_kernelILb1ELi256EDF16_ffEviiT2_lPKT1_lilS3_lilS0_lPT3_lili
    .private_segment_fixed_size: 0
    .sgpr_count:     50
    .sgpr_spill_count: 0
    .symbol:         _ZL20rocblas_gemvt_kernelILb1ELi256EDF16_ffEviiT2_lPKT1_lilS3_lilS0_lPT3_lili.kd
    .uniform_work_group_size: 1
    .uses_dynamic_stack: false
    .vgpr_count:     17
    .vgpr_spill_count: 0
    .wavefront_size: 32
    .workgroup_processor_mode: 1
  - .args:
      - .offset:         0
        .size:           4
        .value_kind:     by_value
      - .offset:         4
        .size:           4
        .value_kind:     by_value
      - .address_space:  global
        .offset:         8
        .size:           8
        .value_kind:     global_buffer
      - .offset:         16
        .size:           8
        .value_kind:     by_value
      - .address_space:  global
        .offset:         24
        .size:           8
        .value_kind:     global_buffer
      - .offset:         32
        .size:           8
        .value_kind:     by_value
      - .offset:         40
        .size:           4
        .value_kind:     by_value
      - .offset:         48
        .size:           8
        .value_kind:     by_value
      - .address_space:  global
        .offset:         56
        .size:           8
        .value_kind:     global_buffer
      - .offset:         64
        .size:           8
        .value_kind:     by_value
      - .offset:         72
        .size:           4
        .value_kind:     by_value
      - .offset:         80
        .size:           8
        .value_kind:     by_value
      - .address_space:  global
        .offset:         88
        .size:           8
        .value_kind:     global_buffer
      - .offset:         96
        .size:           8
        .value_kind:     by_value
      - .address_space:  global
        .offset:         104
        .size:           8
        .value_kind:     global_buffer
      - .offset:         112
        .size:           8
        .value_kind:     by_value
      - .offset:         120
        .size:           4
        .value_kind:     by_value
      - .offset:         128
        .size:           8
        .value_kind:     by_value
      - .offset:         136
        .size:           4
        .value_kind:     by_value
    .group_segment_fixed_size: 128
    .kernarg_segment_align: 8
    .kernarg_segment_size: 140
    .language:       OpenCL C
    .language_version:
      - 2
      - 0
    .max_flat_workgroup_size: 1024
    .name:           _ZL32rocblas_gemvt_warp_reduce_kernelILb1ELi1024EiDF16_PKffEviiT3_lPKT2_lT1_lS5_lS6_lS2_lPT4_lS6_li
    .private_segment_fixed_size: 0
    .sgpr_count:     46
    .sgpr_spill_count: 0
    .symbol:         _ZL32rocblas_gemvt_warp_reduce_kernelILb1ELi1024EiDF16_PKffEviiT3_lPKT2_lT1_lS5_lS6_lS2_lPT4_lS6_li.kd
    .uniform_work_group_size: 1
    .uses_dynamic_stack: false
    .vgpr_count:     22
    .vgpr_spill_count: 0
    .wavefront_size: 32
    .workgroup_processor_mode: 1
  - .args:
      - .offset:         0
        .size:           4
        .value_kind:     by_value
      - .offset:         4
        .size:           4
        .value_kind:     by_value
      - .address_space:  global
        .offset:         8
        .size:           8
        .value_kind:     global_buffer
      - .offset:         16
        .size:           8
        .value_kind:     by_value
      - .address_space:  global
        .offset:         24
        .size:           8
        .value_kind:     global_buffer
      - .offset:         32
        .size:           8
        .value_kind:     by_value
      - .offset:         40
        .size:           8
        .value_kind:     by_value
      - .offset:         48
        .size:           8
        .value_kind:     by_value
      - .address_space:  global
        .offset:         56
        .size:           8
        .value_kind:     global_buffer
      - .offset:         64
        .size:           8
        .value_kind:     by_value
      - .offset:         72
        .size:           8
        .value_kind:     by_value
      - .offset:         80
        .size:           8
        .value_kind:     by_value
      - .address_space:  global
        .offset:         88
        .size:           8
        .value_kind:     global_buffer
      - .offset:         96
        .size:           8
        .value_kind:     by_value
      - .address_space:  global
        .offset:         104
        .size:           8
        .value_kind:     global_buffer
      - .offset:         112
        .size:           8
        .value_kind:     by_value
      - .offset:         120
        .size:           8
        .value_kind:     by_value
      - .offset:         128
        .size:           8
        .value_kind:     by_value
      - .offset:         136
        .size:           4
        .value_kind:     by_value
    .group_segment_fixed_size: 128
    .kernarg_segment_align: 8
    .kernarg_segment_size: 140
    .language:       OpenCL C
    .language_version:
      - 2
      - 0
    .max_flat_workgroup_size: 1024
    .name:           _ZL32rocblas_gemvt_warp_reduce_kernelILb1ELi1024ElDF16_PKffEviiT3_lPKT2_lT1_lS5_lS6_lS2_lPT4_lS6_li
    .private_segment_fixed_size: 0
    .sgpr_count:     54
    .sgpr_spill_count: 0
    .symbol:         _ZL32rocblas_gemvt_warp_reduce_kernelILb1ELi1024ElDF16_PKffEviiT3_lPKT2_lT1_lS5_lS6_lS2_lPT4_lS6_li.kd
    .uniform_work_group_size: 1
    .uses_dynamic_stack: false
    .vgpr_count:     23
    .vgpr_spill_count: 0
    .wavefront_size: 32
    .workgroup_processor_mode: 1
  - .args:
      - .offset:         0
        .size:           4
        .value_kind:     by_value
      - .offset:         4
        .size:           4
        .value_kind:     by_value
      - .offset:         8
        .size:           4
        .value_kind:     by_value
      - .offset:         16
        .size:           8
        .value_kind:     by_value
      - .address_space:  global
        .offset:         24
        .size:           8
        .value_kind:     global_buffer
      - .offset:         32
        .size:           8
        .value_kind:     by_value
      - .offset:         40
        .size:           4
        .value_kind:     by_value
      - .offset:         48
        .size:           8
        .value_kind:     by_value
      - .address_space:  global
        .offset:         56
        .size:           8
        .value_kind:     global_buffer
      - .offset:         64
        .size:           8
        .value_kind:     by_value
      - .offset:         72
        .size:           4
        .value_kind:     by_value
      - .offset:         80
        .size:           8
        .value_kind:     by_value
      - .offset:         88
        .size:           4
        .value_kind:     by_value
      - .offset:         96
        .size:           8
        .value_kind:     by_value
      - .address_space:  global
        .offset:         104
        .size:           8
        .value_kind:     global_buffer
      - .offset:         112
        .size:           8
        .value_kind:     by_value
      - .offset:         120
        .size:           4
        .value_kind:     by_value
      - .offset:         128
        .size:           8
        .value_kind:     by_value
      - .offset:         136
        .size:           4
        .value_kind:     by_value
    .group_segment_fixed_size: 128
    .kernarg_segment_align: 8
    .kernarg_segment_size: 140
    .language:       OpenCL C
    .language_version:
      - 2
      - 0
    .max_flat_workgroup_size: 1024
    .name:           _ZL32rocblas_gemvt_warp_reduce_kernelILb1ELi1024EiDF16_ffEviiT3_lPKT2_lT1_lS3_lS4_lS0_lPT4_lS4_li
    .private_segment_fixed_size: 0
    .sgpr_count:     44
    .sgpr_spill_count: 0
    .symbol:         _ZL32rocblas_gemvt_warp_reduce_kernelILb1ELi1024EiDF16_ffEviiT3_lPKT2_lT1_lS3_lS4_lS0_lPT4_lS4_li.kd
    .uniform_work_group_size: 1
    .uses_dynamic_stack: false
    .vgpr_count:     21
    .vgpr_spill_count: 0
    .wavefront_size: 32
    .workgroup_processor_mode: 1
  - .args:
      - .offset:         0
        .size:           4
        .value_kind:     by_value
      - .offset:         4
        .size:           4
        .value_kind:     by_value
      - .offset:         8
        .size:           4
        .value_kind:     by_value
      - .offset:         16
        .size:           8
        .value_kind:     by_value
      - .address_space:  global
        .offset:         24
        .size:           8
        .value_kind:     global_buffer
      - .offset:         32
        .size:           8
        .value_kind:     by_value
      - .offset:         40
        .size:           8
        .value_kind:     by_value
      - .offset:         48
        .size:           8
        .value_kind:     by_value
      - .address_space:  global
        .offset:         56
        .size:           8
        .value_kind:     global_buffer
      - .offset:         64
        .size:           8
        .value_kind:     by_value
      - .offset:         72
        .size:           8
        .value_kind:     by_value
      - .offset:         80
        .size:           8
        .value_kind:     by_value
      - .offset:         88
        .size:           4
        .value_kind:     by_value
      - .offset:         96
        .size:           8
        .value_kind:     by_value
      - .address_space:  global
        .offset:         104
        .size:           8
        .value_kind:     global_buffer
      - .offset:         112
        .size:           8
        .value_kind:     by_value
      - .offset:         120
        .size:           8
        .value_kind:     by_value
      - .offset:         128
        .size:           8
        .value_kind:     by_value
      - .offset:         136
        .size:           4
        .value_kind:     by_value
    .group_segment_fixed_size: 128
    .kernarg_segment_align: 8
    .kernarg_segment_size: 140
    .language:       OpenCL C
    .language_version:
      - 2
      - 0
    .max_flat_workgroup_size: 1024
    .name:           _ZL32rocblas_gemvt_warp_reduce_kernelILb1ELi1024ElDF16_ffEviiT3_lPKT2_lT1_lS3_lS4_lS0_lPT4_lS4_li
    .private_segment_fixed_size: 0
    .sgpr_count:     46
    .sgpr_spill_count: 0
    .symbol:         _ZL32rocblas_gemvt_warp_reduce_kernelILb1ELi1024ElDF16_ffEviiT3_lPKT2_lT1_lS3_lS4_lS0_lPT4_lS4_li.kd
    .uniform_work_group_size: 1
    .uses_dynamic_stack: false
    .vgpr_count:     22
    .vgpr_spill_count: 0
    .wavefront_size: 32
    .workgroup_processor_mode: 1
  - .args:
      - .offset:         0
        .size:           4
        .value_kind:     by_value
      - .offset:         4
        .size:           4
        .value_kind:     by_value
      - .address_space:  global
        .offset:         8
        .size:           8
        .value_kind:     global_buffer
      - .offset:         16
        .size:           8
        .value_kind:     by_value
      - .address_space:  global
        .offset:         24
        .size:           8
        .value_kind:     global_buffer
      - .offset:         32
        .size:           8
        .value_kind:     by_value
      - .offset:         40
        .size:           4
        .value_kind:     by_value
      - .offset:         48
        .size:           8
        .value_kind:     by_value
      - .address_space:  global
        .offset:         56
        .size:           8
        .value_kind:     global_buffer
      - .offset:         64
        .size:           8
        .value_kind:     by_value
      - .offset:         72
        .size:           4
        .value_kind:     by_value
      - .offset:         80
        .size:           8
        .value_kind:     by_value
      - .address_space:  global
        .offset:         88
        .size:           8
        .value_kind:     global_buffer
      - .offset:         96
        .size:           8
        .value_kind:     by_value
      - .address_space:  global
        .offset:         104
        .size:           8
        .value_kind:     global_buffer
      - .offset:         112
        .size:           8
        .value_kind:     by_value
      - .offset:         120
        .size:           4
        .value_kind:     by_value
      - .offset:         128
        .size:           8
        .value_kind:     by_value
      - .offset:         136
        .size:           4
        .value_kind:     by_value
    .group_segment_fixed_size: 0
    .kernarg_segment_align: 8
    .kernarg_segment_size: 140
    .language:       OpenCL C
    .language_version:
      - 2
      - 0
    .max_flat_workgroup_size: 768
    .name:           _ZL34rocblas_gemvn_sm_mn_batched_kernelILi32ELi24EPKDF16_PKfKPfEviiT2_lPKT1_lilS9_lilS6_lPT3_lili
    .private_segment_fixed_size: 0
    .sgpr_count:     0
    .sgpr_spill_count: 0
    .symbol:         _ZL34rocblas_gemvn_sm_mn_batched_kernelILi32ELi24EPKDF16_PKfKPfEviiT2_lPKT1_lilS9_lilS6_lPT3_lili.kd
    .uniform_work_group_size: 1
    .uses_dynamic_stack: false
    .vgpr_count:     0
    .vgpr_spill_count: 0
    .wavefront_size: 32
    .workgroup_processor_mode: 1
  - .args:
      - .offset:         0
        .size:           4
        .value_kind:     by_value
      - .offset:         4
        .size:           4
        .value_kind:     by_value
      - .offset:         8
        .size:           4
        .value_kind:     by_value
      - .offset:         16
        .size:           8
        .value_kind:     by_value
      - .address_space:  global
        .offset:         24
        .size:           8
        .value_kind:     global_buffer
      - .offset:         32
        .size:           8
        .value_kind:     by_value
      - .offset:         40
        .size:           4
        .value_kind:     by_value
      - .offset:         48
        .size:           8
        .value_kind:     by_value
      - .address_space:  global
        .offset:         56
        .size:           8
        .value_kind:     global_buffer
      - .offset:         64
        .size:           8
        .value_kind:     by_value
      - .offset:         72
        .size:           4
        .value_kind:     by_value
      - .offset:         80
        .size:           8
        .value_kind:     by_value
      - .offset:         88
        .size:           4
        .value_kind:     by_value
      - .offset:         96
        .size:           8
        .value_kind:     by_value
      - .address_space:  global
        .offset:         104
        .size:           8
        .value_kind:     global_buffer
      - .offset:         112
        .size:           8
        .value_kind:     by_value
      - .offset:         120
        .size:           4
        .value_kind:     by_value
      - .offset:         128
        .size:           8
        .value_kind:     by_value
      - .offset:         136
        .size:           4
        .value_kind:     by_value
    .group_segment_fixed_size: 0
    .kernarg_segment_align: 8
    .kernarg_segment_size: 140
    .language:       OpenCL C
    .language_version:
      - 2
      - 0
    .max_flat_workgroup_size: 768
    .name:           _ZL34rocblas_gemvn_sm_mn_batched_kernelILi32ELi24EPKDF16_fKPfEviiT2_lPKT1_lilS7_lilS4_lPT3_lili
    .private_segment_fixed_size: 0
    .sgpr_count:     0
    .sgpr_spill_count: 0
    .symbol:         _ZL34rocblas_gemvn_sm_mn_batched_kernelILi32ELi24EPKDF16_fKPfEviiT2_lPKT1_lilS7_lilS4_lPT3_lili.kd
    .uniform_work_group_size: 1
    .uses_dynamic_stack: false
    .vgpr_count:     0
    .vgpr_spill_count: 0
    .wavefront_size: 32
    .workgroup_processor_mode: 1
  - .args:
      - .offset:         0
        .size:           4
        .value_kind:     by_value
      - .offset:         4
        .size:           4
        .value_kind:     by_value
      - .address_space:  global
        .offset:         8
        .size:           8
        .value_kind:     global_buffer
      - .offset:         16
        .size:           8
        .value_kind:     by_value
      - .address_space:  global
        .offset:         24
        .size:           8
        .value_kind:     global_buffer
      - .offset:         32
        .size:           8
        .value_kind:     by_value
      - .offset:         40
        .size:           4
        .value_kind:     by_value
      - .offset:         48
        .size:           8
        .value_kind:     by_value
      - .address_space:  global
        .offset:         56
        .size:           8
        .value_kind:     global_buffer
      - .offset:         64
        .size:           8
        .value_kind:     by_value
      - .offset:         72
        .size:           4
        .value_kind:     by_value
      - .offset:         80
        .size:           8
        .value_kind:     by_value
      - .address_space:  global
        .offset:         88
        .size:           8
        .value_kind:     global_buffer
      - .offset:         96
        .size:           8
        .value_kind:     by_value
      - .address_space:  global
        .offset:         104
        .size:           8
        .value_kind:     global_buffer
      - .offset:         112
        .size:           8
        .value_kind:     by_value
      - .offset:         120
        .size:           4
        .value_kind:     by_value
      - .offset:         128
        .size:           8
        .value_kind:     by_value
      - .offset:         136
        .size:           4
        .value_kind:     by_value
      - .offset:         144
        .size:           4
        .value_kind:     hidden_block_count_x
      - .offset:         148
        .size:           4
        .value_kind:     hidden_block_count_y
      - .offset:         152
        .size:           4
        .value_kind:     hidden_block_count_z
      - .offset:         156
        .size:           2
        .value_kind:     hidden_group_size_x
      - .offset:         158
        .size:           2
        .value_kind:     hidden_group_size_y
      - .offset:         160
        .size:           2
        .value_kind:     hidden_group_size_z
      - .offset:         162
        .size:           2
        .value_kind:     hidden_remainder_x
      - .offset:         164
        .size:           2
        .value_kind:     hidden_remainder_y
      - .offset:         166
        .size:           2
        .value_kind:     hidden_remainder_z
      - .offset:         184
        .size:           8
        .value_kind:     hidden_global_offset_x
      - .offset:         192
        .size:           8
        .value_kind:     hidden_global_offset_y
      - .offset:         200
        .size:           8
        .value_kind:     hidden_global_offset_z
      - .offset:         208
        .size:           2
        .value_kind:     hidden_grid_dims
    .group_segment_fixed_size: 4096
    .kernarg_segment_align: 8
    .kernarg_segment_size: 400
    .language:       OpenCL C
    .language_version:
      - 2
      - 0
    .max_flat_workgroup_size: 256
    .name:           _ZL20rocblas_gemvn_kernelILi64ELi4EiPKDF16_PKfKPfEviiT3_lPKT2_lT1_lS9_lSA_lS6_lPT4_lSA_li
    .private_segment_fixed_size: 0
    .sgpr_count:     51
    .sgpr_spill_count: 0
    .symbol:         _ZL20rocblas_gemvn_kernelILi64ELi4EiPKDF16_PKfKPfEviiT3_lPKT2_lT1_lS9_lSA_lS6_lPT4_lSA_li.kd
    .uniform_work_group_size: 1
    .uses_dynamic_stack: false
    .vgpr_count:     63
    .vgpr_spill_count: 0
    .wavefront_size: 32
    .workgroup_processor_mode: 1
  - .args:
      - .offset:         0
        .size:           4
        .value_kind:     by_value
      - .offset:         4
        .size:           4
        .value_kind:     by_value
      - .address_space:  global
        .offset:         8
        .size:           8
        .value_kind:     global_buffer
      - .offset:         16
        .size:           8
        .value_kind:     by_value
      - .address_space:  global
        .offset:         24
        .size:           8
        .value_kind:     global_buffer
      - .offset:         32
        .size:           8
        .value_kind:     by_value
      - .offset:         40
        .size:           8
        .value_kind:     by_value
      - .offset:         48
        .size:           8
        .value_kind:     by_value
      - .address_space:  global
        .offset:         56
        .size:           8
        .value_kind:     global_buffer
      - .offset:         64
        .size:           8
        .value_kind:     by_value
      - .offset:         72
        .size:           8
        .value_kind:     by_value
      - .offset:         80
        .size:           8
        .value_kind:     by_value
      - .address_space:  global
        .offset:         88
        .size:           8
        .value_kind:     global_buffer
      - .offset:         96
        .size:           8
        .value_kind:     by_value
      - .address_space:  global
        .offset:         104
        .size:           8
        .value_kind:     global_buffer
      - .offset:         112
        .size:           8
        .value_kind:     by_value
      - .offset:         120
        .size:           8
        .value_kind:     by_value
      - .offset:         128
        .size:           8
        .value_kind:     by_value
      - .offset:         136
        .size:           4
        .value_kind:     by_value
      - .offset:         144
        .size:           4
        .value_kind:     hidden_block_count_x
      - .offset:         148
        .size:           4
        .value_kind:     hidden_block_count_y
      - .offset:         152
        .size:           4
        .value_kind:     hidden_block_count_z
      - .offset:         156
        .size:           2
        .value_kind:     hidden_group_size_x
      - .offset:         158
        .size:           2
        .value_kind:     hidden_group_size_y
      - .offset:         160
        .size:           2
        .value_kind:     hidden_group_size_z
      - .offset:         162
        .size:           2
        .value_kind:     hidden_remainder_x
      - .offset:         164
        .size:           2
        .value_kind:     hidden_remainder_y
      - .offset:         166
        .size:           2
        .value_kind:     hidden_remainder_z
      - .offset:         184
        .size:           8
        .value_kind:     hidden_global_offset_x
      - .offset:         192
        .size:           8
        .value_kind:     hidden_global_offset_y
      - .offset:         200
        .size:           8
        .value_kind:     hidden_global_offset_z
      - .offset:         208
        .size:           2
        .value_kind:     hidden_grid_dims
    .group_segment_fixed_size: 4096
    .kernarg_segment_align: 8
    .kernarg_segment_size: 400
    .language:       OpenCL C
    .language_version:
      - 2
      - 0
    .max_flat_workgroup_size: 256
    .name:           _ZL20rocblas_gemvn_kernelILi64ELi4ElPKDF16_PKfKPfEviiT3_lPKT2_lT1_lS9_lSA_lS6_lPT4_lSA_li
    .private_segment_fixed_size: 0
    .sgpr_count:     53
    .sgpr_spill_count: 0
    .symbol:         _ZL20rocblas_gemvn_kernelILi64ELi4ElPKDF16_PKfKPfEviiT3_lPKT2_lT1_lS9_lSA_lS6_lPT4_lSA_li.kd
    .uniform_work_group_size: 1
    .uses_dynamic_stack: false
    .vgpr_count:     78
    .vgpr_spill_count: 0
    .wavefront_size: 32
    .workgroup_processor_mode: 1
  - .args:
      - .offset:         0
        .size:           4
        .value_kind:     by_value
      - .offset:         4
        .size:           4
        .value_kind:     by_value
      - .offset:         8
        .size:           4
        .value_kind:     by_value
      - .offset:         16
        .size:           8
        .value_kind:     by_value
      - .address_space:  global
        .offset:         24
        .size:           8
        .value_kind:     global_buffer
      - .offset:         32
        .size:           8
        .value_kind:     by_value
      - .offset:         40
        .size:           4
        .value_kind:     by_value
      - .offset:         48
        .size:           8
        .value_kind:     by_value
      - .address_space:  global
        .offset:         56
        .size:           8
        .value_kind:     global_buffer
      - .offset:         64
        .size:           8
        .value_kind:     by_value
      - .offset:         72
        .size:           4
        .value_kind:     by_value
      - .offset:         80
        .size:           8
        .value_kind:     by_value
      - .offset:         88
        .size:           4
        .value_kind:     by_value
      - .offset:         96
        .size:           8
        .value_kind:     by_value
      - .address_space:  global
        .offset:         104
        .size:           8
        .value_kind:     global_buffer
      - .offset:         112
        .size:           8
        .value_kind:     by_value
      - .offset:         120
        .size:           4
        .value_kind:     by_value
      - .offset:         128
        .size:           8
        .value_kind:     by_value
      - .offset:         136
        .size:           4
        .value_kind:     by_value
      - .offset:         144
        .size:           4
        .value_kind:     hidden_block_count_x
      - .offset:         148
        .size:           4
        .value_kind:     hidden_block_count_y
      - .offset:         152
        .size:           4
        .value_kind:     hidden_block_count_z
      - .offset:         156
        .size:           2
        .value_kind:     hidden_group_size_x
      - .offset:         158
        .size:           2
        .value_kind:     hidden_group_size_y
      - .offset:         160
        .size:           2
        .value_kind:     hidden_group_size_z
      - .offset:         162
        .size:           2
        .value_kind:     hidden_remainder_x
      - .offset:         164
        .size:           2
        .value_kind:     hidden_remainder_y
      - .offset:         166
        .size:           2
        .value_kind:     hidden_remainder_z
      - .offset:         184
        .size:           8
        .value_kind:     hidden_global_offset_x
      - .offset:         192
        .size:           8
        .value_kind:     hidden_global_offset_y
      - .offset:         200
        .size:           8
        .value_kind:     hidden_global_offset_z
      - .offset:         208
        .size:           2
        .value_kind:     hidden_grid_dims
    .group_segment_fixed_size: 4096
    .kernarg_segment_align: 8
    .kernarg_segment_size: 400
    .language:       OpenCL C
    .language_version:
      - 2
      - 0
    .max_flat_workgroup_size: 256
    .name:           _ZL20rocblas_gemvn_kernelILi64ELi4EiPKDF16_fKPfEviiT3_lPKT2_lT1_lS7_lS8_lS4_lPT4_lS8_li
    .private_segment_fixed_size: 0
    .sgpr_count:     47
    .sgpr_spill_count: 0
    .symbol:         _ZL20rocblas_gemvn_kernelILi64ELi4EiPKDF16_fKPfEviiT3_lPKT2_lT1_lS7_lS8_lS4_lPT4_lS8_li.kd
    .uniform_work_group_size: 1
    .uses_dynamic_stack: false
    .vgpr_count:     63
    .vgpr_spill_count: 0
    .wavefront_size: 32
    .workgroup_processor_mode: 1
  - .args:
      - .offset:         0
        .size:           4
        .value_kind:     by_value
      - .offset:         4
        .size:           4
        .value_kind:     by_value
      - .offset:         8
        .size:           4
        .value_kind:     by_value
      - .offset:         16
        .size:           8
        .value_kind:     by_value
      - .address_space:  global
        .offset:         24
        .size:           8
        .value_kind:     global_buffer
      - .offset:         32
        .size:           8
        .value_kind:     by_value
      - .offset:         40
        .size:           8
        .value_kind:     by_value
      - .offset:         48
        .size:           8
        .value_kind:     by_value
      - .address_space:  global
        .offset:         56
        .size:           8
        .value_kind:     global_buffer
      - .offset:         64
        .size:           8
        .value_kind:     by_value
      - .offset:         72
        .size:           8
        .value_kind:     by_value
      - .offset:         80
        .size:           8
        .value_kind:     by_value
      - .offset:         88
        .size:           4
        .value_kind:     by_value
      - .offset:         96
        .size:           8
        .value_kind:     by_value
      - .address_space:  global
        .offset:         104
        .size:           8
        .value_kind:     global_buffer
      - .offset:         112
        .size:           8
        .value_kind:     by_value
      - .offset:         120
        .size:           8
        .value_kind:     by_value
      - .offset:         128
        .size:           8
        .value_kind:     by_value
      - .offset:         136
        .size:           4
        .value_kind:     by_value
      - .offset:         144
        .size:           4
        .value_kind:     hidden_block_count_x
      - .offset:         148
        .size:           4
        .value_kind:     hidden_block_count_y
      - .offset:         152
        .size:           4
        .value_kind:     hidden_block_count_z
      - .offset:         156
        .size:           2
        .value_kind:     hidden_group_size_x
      - .offset:         158
        .size:           2
        .value_kind:     hidden_group_size_y
      - .offset:         160
        .size:           2
        .value_kind:     hidden_group_size_z
      - .offset:         162
        .size:           2
        .value_kind:     hidden_remainder_x
      - .offset:         164
        .size:           2
        .value_kind:     hidden_remainder_y
      - .offset:         166
        .size:           2
        .value_kind:     hidden_remainder_z
      - .offset:         184
        .size:           8
        .value_kind:     hidden_global_offset_x
      - .offset:         192
        .size:           8
        .value_kind:     hidden_global_offset_y
      - .offset:         200
        .size:           8
        .value_kind:     hidden_global_offset_z
      - .offset:         208
        .size:           2
        .value_kind:     hidden_grid_dims
    .group_segment_fixed_size: 4096
    .kernarg_segment_align: 8
    .kernarg_segment_size: 400
    .language:       OpenCL C
    .language_version:
      - 2
      - 0
    .max_flat_workgroup_size: 256
    .name:           _ZL20rocblas_gemvn_kernelILi64ELi4ElPKDF16_fKPfEviiT3_lPKT2_lT1_lS7_lS8_lS4_lPT4_lS8_li
    .private_segment_fixed_size: 0
    .sgpr_count:     49
    .sgpr_spill_count: 0
    .symbol:         _ZL20rocblas_gemvn_kernelILi64ELi4ElPKDF16_fKPfEviiT3_lPKT2_lT1_lS7_lS8_lS4_lPT4_lS8_li.kd
    .uniform_work_group_size: 1
    .uses_dynamic_stack: false
    .vgpr_count:     78
    .vgpr_spill_count: 0
    .wavefront_size: 32
    .workgroup_processor_mode: 1
  - .args:
      - .offset:         0
        .size:           4
        .value_kind:     by_value
      - .offset:         4
        .size:           4
        .value_kind:     by_value
      - .address_space:  global
        .offset:         8
        .size:           8
        .value_kind:     global_buffer
      - .offset:         16
        .size:           8
        .value_kind:     by_value
      - .address_space:  global
        .offset:         24
        .size:           8
        .value_kind:     global_buffer
      - .offset:         32
        .size:           8
        .value_kind:     by_value
      - .offset:         40
        .size:           4
        .value_kind:     by_value
      - .offset:         48
        .size:           8
        .value_kind:     by_value
      - .address_space:  global
        .offset:         56
        .size:           8
        .value_kind:     global_buffer
      - .offset:         64
        .size:           8
        .value_kind:     by_value
      - .offset:         72
        .size:           4
        .value_kind:     by_value
      - .offset:         80
        .size:           8
        .value_kind:     by_value
      - .address_space:  global
        .offset:         88
        .size:           8
        .value_kind:     global_buffer
      - .offset:         96
        .size:           8
        .value_kind:     by_value
      - .address_space:  global
        .offset:         104
        .size:           8
        .value_kind:     global_buffer
      - .offset:         112
        .size:           8
        .value_kind:     by_value
      - .offset:         120
        .size:           4
        .value_kind:     by_value
      - .offset:         128
        .size:           8
        .value_kind:     by_value
      - .offset:         136
        .size:           4
        .value_kind:     by_value
      - .offset:         144
        .size:           4
        .value_kind:     hidden_block_count_x
      - .offset:         148
        .size:           4
        .value_kind:     hidden_block_count_y
      - .offset:         152
        .size:           4
        .value_kind:     hidden_block_count_z
      - .offset:         156
        .size:           2
        .value_kind:     hidden_group_size_x
      - .offset:         158
        .size:           2
        .value_kind:     hidden_group_size_y
      - .offset:         160
        .size:           2
        .value_kind:     hidden_group_size_z
      - .offset:         162
        .size:           2
        .value_kind:     hidden_remainder_x
      - .offset:         164
        .size:           2
        .value_kind:     hidden_remainder_y
      - .offset:         166
        .size:           2
        .value_kind:     hidden_remainder_z
      - .offset:         184
        .size:           8
        .value_kind:     hidden_global_offset_x
      - .offset:         192
        .size:           8
        .value_kind:     hidden_global_offset_y
      - .offset:         200
        .size:           8
        .value_kind:     hidden_global_offset_z
      - .offset:         208
        .size:           2
        .value_kind:     hidden_grid_dims
    .group_segment_fixed_size: 8192
    .kernarg_segment_align: 8
    .kernarg_segment_size: 400
    .language:       OpenCL C
    .language_version:
      - 2
      - 0
    .max_flat_workgroup_size: 512
    .name:           _ZL20rocblas_gemvn_kernelILi32ELi16EiPKDF16_PKfKPfEviiT3_lPKT2_lT1_lS9_lSA_lS6_lPT4_lSA_li
    .private_segment_fixed_size: 0
    .sgpr_count:     51
    .sgpr_spill_count: 0
    .symbol:         _ZL20rocblas_gemvn_kernelILi32ELi16EiPKDF16_PKfKPfEviiT3_lPKT2_lT1_lS9_lSA_lS6_lPT4_lSA_li.kd
    .uniform_work_group_size: 1
    .uses_dynamic_stack: false
    .vgpr_count:     65
    .vgpr_spill_count: 0
    .wavefront_size: 32
    .workgroup_processor_mode: 1
  - .args:
      - .offset:         0
        .size:           4
        .value_kind:     by_value
      - .offset:         4
        .size:           4
        .value_kind:     by_value
      - .address_space:  global
        .offset:         8
        .size:           8
        .value_kind:     global_buffer
      - .offset:         16
        .size:           8
        .value_kind:     by_value
      - .address_space:  global
        .offset:         24
        .size:           8
        .value_kind:     global_buffer
      - .offset:         32
        .size:           8
        .value_kind:     by_value
      - .offset:         40
        .size:           8
        .value_kind:     by_value
      - .offset:         48
        .size:           8
        .value_kind:     by_value
      - .address_space:  global
        .offset:         56
        .size:           8
        .value_kind:     global_buffer
      - .offset:         64
        .size:           8
        .value_kind:     by_value
      - .offset:         72
        .size:           8
        .value_kind:     by_value
      - .offset:         80
        .size:           8
        .value_kind:     by_value
      - .address_space:  global
        .offset:         88
        .size:           8
        .value_kind:     global_buffer
      - .offset:         96
        .size:           8
        .value_kind:     by_value
      - .address_space:  global
        .offset:         104
        .size:           8
        .value_kind:     global_buffer
      - .offset:         112
        .size:           8
        .value_kind:     by_value
      - .offset:         120
        .size:           8
        .value_kind:     by_value
      - .offset:         128
        .size:           8
        .value_kind:     by_value
      - .offset:         136
        .size:           4
        .value_kind:     by_value
      - .offset:         144
        .size:           4
        .value_kind:     hidden_block_count_x
      - .offset:         148
        .size:           4
        .value_kind:     hidden_block_count_y
      - .offset:         152
        .size:           4
        .value_kind:     hidden_block_count_z
      - .offset:         156
        .size:           2
        .value_kind:     hidden_group_size_x
      - .offset:         158
        .size:           2
        .value_kind:     hidden_group_size_y
      - .offset:         160
        .size:           2
        .value_kind:     hidden_group_size_z
      - .offset:         162
        .size:           2
        .value_kind:     hidden_remainder_x
      - .offset:         164
        .size:           2
        .value_kind:     hidden_remainder_y
      - .offset:         166
        .size:           2
        .value_kind:     hidden_remainder_z
      - .offset:         184
        .size:           8
        .value_kind:     hidden_global_offset_x
      - .offset:         192
        .size:           8
        .value_kind:     hidden_global_offset_y
      - .offset:         200
        .size:           8
        .value_kind:     hidden_global_offset_z
      - .offset:         208
        .size:           2
        .value_kind:     hidden_grid_dims
    .group_segment_fixed_size: 8192
    .kernarg_segment_align: 8
    .kernarg_segment_size: 400
    .language:       OpenCL C
    .language_version:
      - 2
      - 0
    .max_flat_workgroup_size: 512
    .name:           _ZL20rocblas_gemvn_kernelILi32ELi16ElPKDF16_PKfKPfEviiT3_lPKT2_lT1_lS9_lSA_lS6_lPT4_lSA_li
    .private_segment_fixed_size: 0
    .sgpr_count:     53
    .sgpr_spill_count: 0
    .symbol:         _ZL20rocblas_gemvn_kernelILi32ELi16ElPKDF16_PKfKPfEviiT3_lPKT2_lT1_lS9_lSA_lS6_lPT4_lSA_li.kd
    .uniform_work_group_size: 1
    .uses_dynamic_stack: false
    .vgpr_count:     78
    .vgpr_spill_count: 0
    .wavefront_size: 32
    .workgroup_processor_mode: 1
  - .args:
      - .offset:         0
        .size:           4
        .value_kind:     by_value
      - .offset:         4
        .size:           4
        .value_kind:     by_value
      - .offset:         8
        .size:           4
        .value_kind:     by_value
      - .offset:         16
        .size:           8
        .value_kind:     by_value
      - .address_space:  global
        .offset:         24
        .size:           8
        .value_kind:     global_buffer
      - .offset:         32
        .size:           8
        .value_kind:     by_value
      - .offset:         40
        .size:           4
        .value_kind:     by_value
      - .offset:         48
        .size:           8
        .value_kind:     by_value
      - .address_space:  global
        .offset:         56
        .size:           8
        .value_kind:     global_buffer
      - .offset:         64
        .size:           8
        .value_kind:     by_value
      - .offset:         72
        .size:           4
        .value_kind:     by_value
      - .offset:         80
        .size:           8
        .value_kind:     by_value
      - .offset:         88
        .size:           4
        .value_kind:     by_value
      - .offset:         96
        .size:           8
        .value_kind:     by_value
      - .address_space:  global
        .offset:         104
        .size:           8
        .value_kind:     global_buffer
      - .offset:         112
        .size:           8
        .value_kind:     by_value
      - .offset:         120
        .size:           4
        .value_kind:     by_value
      - .offset:         128
        .size:           8
        .value_kind:     by_value
      - .offset:         136
        .size:           4
        .value_kind:     by_value
      - .offset:         144
        .size:           4
        .value_kind:     hidden_block_count_x
      - .offset:         148
        .size:           4
        .value_kind:     hidden_block_count_y
      - .offset:         152
        .size:           4
        .value_kind:     hidden_block_count_z
      - .offset:         156
        .size:           2
        .value_kind:     hidden_group_size_x
      - .offset:         158
        .size:           2
        .value_kind:     hidden_group_size_y
      - .offset:         160
        .size:           2
        .value_kind:     hidden_group_size_z
      - .offset:         162
        .size:           2
        .value_kind:     hidden_remainder_x
      - .offset:         164
        .size:           2
        .value_kind:     hidden_remainder_y
      - .offset:         166
        .size:           2
        .value_kind:     hidden_remainder_z
      - .offset:         184
        .size:           8
        .value_kind:     hidden_global_offset_x
      - .offset:         192
        .size:           8
        .value_kind:     hidden_global_offset_y
      - .offset:         200
        .size:           8
        .value_kind:     hidden_global_offset_z
      - .offset:         208
        .size:           2
        .value_kind:     hidden_grid_dims
    .group_segment_fixed_size: 8192
    .kernarg_segment_align: 8
    .kernarg_segment_size: 400
    .language:       OpenCL C
    .language_version:
      - 2
      - 0
    .max_flat_workgroup_size: 512
    .name:           _ZL20rocblas_gemvn_kernelILi32ELi16EiPKDF16_fKPfEviiT3_lPKT2_lT1_lS7_lS8_lS4_lPT4_lS8_li
    .private_segment_fixed_size: 0
    .sgpr_count:     47
    .sgpr_spill_count: 0
    .symbol:         _ZL20rocblas_gemvn_kernelILi32ELi16EiPKDF16_fKPfEviiT3_lPKT2_lT1_lS7_lS8_lS4_lPT4_lS8_li.kd
    .uniform_work_group_size: 1
    .uses_dynamic_stack: false
    .vgpr_count:     65
    .vgpr_spill_count: 0
    .wavefront_size: 32
    .workgroup_processor_mode: 1
  - .args:
      - .offset:         0
        .size:           4
        .value_kind:     by_value
      - .offset:         4
        .size:           4
        .value_kind:     by_value
      - .offset:         8
        .size:           4
        .value_kind:     by_value
      - .offset:         16
        .size:           8
        .value_kind:     by_value
      - .address_space:  global
        .offset:         24
        .size:           8
        .value_kind:     global_buffer
      - .offset:         32
        .size:           8
        .value_kind:     by_value
      - .offset:         40
        .size:           8
        .value_kind:     by_value
      - .offset:         48
        .size:           8
        .value_kind:     by_value
      - .address_space:  global
        .offset:         56
        .size:           8
        .value_kind:     global_buffer
      - .offset:         64
        .size:           8
        .value_kind:     by_value
      - .offset:         72
        .size:           8
        .value_kind:     by_value
      - .offset:         80
        .size:           8
        .value_kind:     by_value
      - .offset:         88
        .size:           4
        .value_kind:     by_value
      - .offset:         96
        .size:           8
        .value_kind:     by_value
      - .address_space:  global
        .offset:         104
        .size:           8
        .value_kind:     global_buffer
      - .offset:         112
        .size:           8
        .value_kind:     by_value
      - .offset:         120
        .size:           8
        .value_kind:     by_value
      - .offset:         128
        .size:           8
        .value_kind:     by_value
      - .offset:         136
        .size:           4
        .value_kind:     by_value
      - .offset:         144
        .size:           4
        .value_kind:     hidden_block_count_x
      - .offset:         148
        .size:           4
        .value_kind:     hidden_block_count_y
      - .offset:         152
        .size:           4
        .value_kind:     hidden_block_count_z
      - .offset:         156
        .size:           2
        .value_kind:     hidden_group_size_x
      - .offset:         158
        .size:           2
        .value_kind:     hidden_group_size_y
      - .offset:         160
        .size:           2
        .value_kind:     hidden_group_size_z
      - .offset:         162
        .size:           2
        .value_kind:     hidden_remainder_x
      - .offset:         164
        .size:           2
        .value_kind:     hidden_remainder_y
      - .offset:         166
        .size:           2
        .value_kind:     hidden_remainder_z
      - .offset:         184
        .size:           8
        .value_kind:     hidden_global_offset_x
      - .offset:         192
        .size:           8
        .value_kind:     hidden_global_offset_y
      - .offset:         200
        .size:           8
        .value_kind:     hidden_global_offset_z
      - .offset:         208
        .size:           2
        .value_kind:     hidden_grid_dims
    .group_segment_fixed_size: 8192
    .kernarg_segment_align: 8
    .kernarg_segment_size: 400
    .language:       OpenCL C
    .language_version:
      - 2
      - 0
    .max_flat_workgroup_size: 512
    .name:           _ZL20rocblas_gemvn_kernelILi32ELi16ElPKDF16_fKPfEviiT3_lPKT2_lT1_lS7_lS8_lS4_lPT4_lS8_li
    .private_segment_fixed_size: 0
    .sgpr_count:     49
    .sgpr_spill_count: 0
    .symbol:         _ZL20rocblas_gemvn_kernelILi32ELi16ElPKDF16_fKPfEviiT3_lPKT2_lT1_lS7_lS8_lS4_lPT4_lS8_li.kd
    .uniform_work_group_size: 1
    .uses_dynamic_stack: false
    .vgpr_count:     78
    .vgpr_spill_count: 0
    .wavefront_size: 32
    .workgroup_processor_mode: 1
  - .args:
      - .offset:         0
        .size:           4
        .value_kind:     by_value
      - .offset:         4
        .size:           4
        .value_kind:     by_value
      - .address_space:  global
        .offset:         8
        .size:           8
        .value_kind:     global_buffer
      - .offset:         16
        .size:           8
        .value_kind:     by_value
      - .address_space:  global
        .offset:         24
        .size:           8
        .value_kind:     global_buffer
      - .offset:         32
        .size:           8
        .value_kind:     by_value
      - .offset:         40
        .size:           4
        .value_kind:     by_value
      - .offset:         48
        .size:           8
        .value_kind:     by_value
      - .address_space:  global
        .offset:         56
        .size:           8
        .value_kind:     global_buffer
      - .offset:         64
        .size:           8
        .value_kind:     by_value
      - .offset:         72
        .size:           4
        .value_kind:     by_value
      - .offset:         80
        .size:           8
        .value_kind:     by_value
      - .address_space:  global
        .offset:         88
        .size:           8
        .value_kind:     global_buffer
      - .offset:         96
        .size:           8
        .value_kind:     by_value
      - .address_space:  global
        .offset:         104
        .size:           8
        .value_kind:     global_buffer
      - .offset:         112
        .size:           8
        .value_kind:     by_value
      - .offset:         120
        .size:           4
        .value_kind:     by_value
      - .offset:         128
        .size:           8
        .value_kind:     by_value
      - .offset:         136
        .size:           4
        .value_kind:     by_value
      - .offset:         144
        .size:           4
        .value_kind:     hidden_block_count_x
      - .offset:         148
        .size:           4
        .value_kind:     hidden_block_count_y
      - .offset:         152
        .size:           4
        .value_kind:     hidden_block_count_z
      - .offset:         156
        .size:           2
        .value_kind:     hidden_group_size_x
      - .offset:         158
        .size:           2
        .value_kind:     hidden_group_size_y
      - .offset:         160
        .size:           2
        .value_kind:     hidden_group_size_z
      - .offset:         162
        .size:           2
        .value_kind:     hidden_remainder_x
      - .offset:         164
        .size:           2
        .value_kind:     hidden_remainder_y
      - .offset:         166
        .size:           2
        .value_kind:     hidden_remainder_z
      - .offset:         184
        .size:           8
        .value_kind:     hidden_global_offset_x
      - .offset:         192
        .size:           8
        .value_kind:     hidden_global_offset_y
      - .offset:         200
        .size:           8
        .value_kind:     hidden_global_offset_z
      - .offset:         208
        .size:           2
        .value_kind:     hidden_grid_dims
    .group_segment_fixed_size: 16384
    .kernarg_segment_align: 8
    .kernarg_segment_size: 400
    .language:       OpenCL C
    .language_version:
      - 2
      - 0
    .max_flat_workgroup_size: 1024
    .name:           _ZL20rocblas_gemvn_kernelILi64ELi16EiPKDF16_PKfKPfEviiT3_lPKT2_lT1_lS9_lSA_lS6_lPT4_lSA_li
    .private_segment_fixed_size: 0
    .sgpr_count:     51
    .sgpr_spill_count: 0
    .symbol:         _ZL20rocblas_gemvn_kernelILi64ELi16EiPKDF16_PKfKPfEviiT3_lPKT2_lT1_lS9_lSA_lS6_lPT4_lSA_li.kd
    .uniform_work_group_size: 1
    .uses_dynamic_stack: false
    .vgpr_count:     63
    .vgpr_spill_count: 0
    .wavefront_size: 32
    .workgroup_processor_mode: 1
  - .args:
      - .offset:         0
        .size:           4
        .value_kind:     by_value
      - .offset:         4
        .size:           4
        .value_kind:     by_value
      - .address_space:  global
        .offset:         8
        .size:           8
        .value_kind:     global_buffer
      - .offset:         16
        .size:           8
        .value_kind:     by_value
      - .address_space:  global
        .offset:         24
        .size:           8
        .value_kind:     global_buffer
      - .offset:         32
        .size:           8
        .value_kind:     by_value
      - .offset:         40
        .size:           8
        .value_kind:     by_value
      - .offset:         48
        .size:           8
        .value_kind:     by_value
      - .address_space:  global
        .offset:         56
        .size:           8
        .value_kind:     global_buffer
      - .offset:         64
        .size:           8
        .value_kind:     by_value
      - .offset:         72
        .size:           8
        .value_kind:     by_value
      - .offset:         80
        .size:           8
        .value_kind:     by_value
      - .address_space:  global
        .offset:         88
        .size:           8
        .value_kind:     global_buffer
      - .offset:         96
        .size:           8
        .value_kind:     by_value
      - .address_space:  global
        .offset:         104
        .size:           8
        .value_kind:     global_buffer
      - .offset:         112
        .size:           8
        .value_kind:     by_value
      - .offset:         120
        .size:           8
        .value_kind:     by_value
      - .offset:         128
        .size:           8
        .value_kind:     by_value
      - .offset:         136
        .size:           4
        .value_kind:     by_value
      - .offset:         144
        .size:           4
        .value_kind:     hidden_block_count_x
      - .offset:         148
        .size:           4
        .value_kind:     hidden_block_count_y
      - .offset:         152
        .size:           4
        .value_kind:     hidden_block_count_z
      - .offset:         156
        .size:           2
        .value_kind:     hidden_group_size_x
      - .offset:         158
        .size:           2
        .value_kind:     hidden_group_size_y
      - .offset:         160
        .size:           2
        .value_kind:     hidden_group_size_z
      - .offset:         162
        .size:           2
        .value_kind:     hidden_remainder_x
      - .offset:         164
        .size:           2
        .value_kind:     hidden_remainder_y
      - .offset:         166
        .size:           2
        .value_kind:     hidden_remainder_z
      - .offset:         184
        .size:           8
        .value_kind:     hidden_global_offset_x
      - .offset:         192
        .size:           8
        .value_kind:     hidden_global_offset_y
      - .offset:         200
        .size:           8
        .value_kind:     hidden_global_offset_z
      - .offset:         208
        .size:           2
        .value_kind:     hidden_grid_dims
    .group_segment_fixed_size: 16384
    .kernarg_segment_align: 8
    .kernarg_segment_size: 400
    .language:       OpenCL C
    .language_version:
      - 2
      - 0
    .max_flat_workgroup_size: 1024
    .name:           _ZL20rocblas_gemvn_kernelILi64ELi16ElPKDF16_PKfKPfEviiT3_lPKT2_lT1_lS9_lSA_lS6_lPT4_lSA_li
    .private_segment_fixed_size: 0
    .sgpr_count:     53
    .sgpr_spill_count: 0
    .symbol:         _ZL20rocblas_gemvn_kernelILi64ELi16ElPKDF16_PKfKPfEviiT3_lPKT2_lT1_lS9_lSA_lS6_lPT4_lSA_li.kd
    .uniform_work_group_size: 1
    .uses_dynamic_stack: false
    .vgpr_count:     78
    .vgpr_spill_count: 0
    .wavefront_size: 32
    .workgroup_processor_mode: 1
  - .args:
      - .offset:         0
        .size:           4
        .value_kind:     by_value
      - .offset:         4
        .size:           4
        .value_kind:     by_value
      - .offset:         8
        .size:           4
        .value_kind:     by_value
      - .offset:         16
        .size:           8
        .value_kind:     by_value
      - .address_space:  global
        .offset:         24
        .size:           8
        .value_kind:     global_buffer
      - .offset:         32
        .size:           8
        .value_kind:     by_value
      - .offset:         40
        .size:           4
        .value_kind:     by_value
      - .offset:         48
        .size:           8
        .value_kind:     by_value
      - .address_space:  global
        .offset:         56
        .size:           8
        .value_kind:     global_buffer
      - .offset:         64
        .size:           8
        .value_kind:     by_value
      - .offset:         72
        .size:           4
        .value_kind:     by_value
      - .offset:         80
        .size:           8
        .value_kind:     by_value
      - .offset:         88
        .size:           4
        .value_kind:     by_value
      - .offset:         96
        .size:           8
        .value_kind:     by_value
      - .address_space:  global
        .offset:         104
        .size:           8
        .value_kind:     global_buffer
      - .offset:         112
        .size:           8
        .value_kind:     by_value
      - .offset:         120
        .size:           4
        .value_kind:     by_value
      - .offset:         128
        .size:           8
        .value_kind:     by_value
      - .offset:         136
        .size:           4
        .value_kind:     by_value
      - .offset:         144
        .size:           4
        .value_kind:     hidden_block_count_x
      - .offset:         148
        .size:           4
        .value_kind:     hidden_block_count_y
      - .offset:         152
        .size:           4
        .value_kind:     hidden_block_count_z
      - .offset:         156
        .size:           2
        .value_kind:     hidden_group_size_x
      - .offset:         158
        .size:           2
        .value_kind:     hidden_group_size_y
      - .offset:         160
        .size:           2
        .value_kind:     hidden_group_size_z
      - .offset:         162
        .size:           2
        .value_kind:     hidden_remainder_x
      - .offset:         164
        .size:           2
        .value_kind:     hidden_remainder_y
      - .offset:         166
        .size:           2
        .value_kind:     hidden_remainder_z
      - .offset:         184
        .size:           8
        .value_kind:     hidden_global_offset_x
      - .offset:         192
        .size:           8
        .value_kind:     hidden_global_offset_y
      - .offset:         200
        .size:           8
        .value_kind:     hidden_global_offset_z
      - .offset:         208
        .size:           2
        .value_kind:     hidden_grid_dims
    .group_segment_fixed_size: 16384
    .kernarg_segment_align: 8
    .kernarg_segment_size: 400
    .language:       OpenCL C
    .language_version:
      - 2
      - 0
    .max_flat_workgroup_size: 1024
    .name:           _ZL20rocblas_gemvn_kernelILi64ELi16EiPKDF16_fKPfEviiT3_lPKT2_lT1_lS7_lS8_lS4_lPT4_lS8_li
    .private_segment_fixed_size: 0
    .sgpr_count:     47
    .sgpr_spill_count: 0
    .symbol:         _ZL20rocblas_gemvn_kernelILi64ELi16EiPKDF16_fKPfEviiT3_lPKT2_lT1_lS7_lS8_lS4_lPT4_lS8_li.kd
    .uniform_work_group_size: 1
    .uses_dynamic_stack: false
    .vgpr_count:     63
    .vgpr_spill_count: 0
    .wavefront_size: 32
    .workgroup_processor_mode: 1
  - .args:
      - .offset:         0
        .size:           4
        .value_kind:     by_value
      - .offset:         4
        .size:           4
        .value_kind:     by_value
      - .offset:         8
        .size:           4
        .value_kind:     by_value
      - .offset:         16
        .size:           8
        .value_kind:     by_value
      - .address_space:  global
        .offset:         24
        .size:           8
        .value_kind:     global_buffer
      - .offset:         32
        .size:           8
        .value_kind:     by_value
      - .offset:         40
        .size:           8
        .value_kind:     by_value
      - .offset:         48
        .size:           8
        .value_kind:     by_value
      - .address_space:  global
        .offset:         56
        .size:           8
        .value_kind:     global_buffer
      - .offset:         64
        .size:           8
        .value_kind:     by_value
      - .offset:         72
        .size:           8
        .value_kind:     by_value
      - .offset:         80
        .size:           8
        .value_kind:     by_value
      - .offset:         88
        .size:           4
        .value_kind:     by_value
      - .offset:         96
        .size:           8
        .value_kind:     by_value
      - .address_space:  global
        .offset:         104
        .size:           8
        .value_kind:     global_buffer
      - .offset:         112
        .size:           8
        .value_kind:     by_value
      - .offset:         120
        .size:           8
        .value_kind:     by_value
      - .offset:         128
        .size:           8
        .value_kind:     by_value
      - .offset:         136
        .size:           4
        .value_kind:     by_value
      - .offset:         144
        .size:           4
        .value_kind:     hidden_block_count_x
      - .offset:         148
        .size:           4
        .value_kind:     hidden_block_count_y
      - .offset:         152
        .size:           4
        .value_kind:     hidden_block_count_z
      - .offset:         156
        .size:           2
        .value_kind:     hidden_group_size_x
      - .offset:         158
        .size:           2
        .value_kind:     hidden_group_size_y
      - .offset:         160
        .size:           2
        .value_kind:     hidden_group_size_z
      - .offset:         162
        .size:           2
        .value_kind:     hidden_remainder_x
      - .offset:         164
        .size:           2
        .value_kind:     hidden_remainder_y
      - .offset:         166
        .size:           2
        .value_kind:     hidden_remainder_z
      - .offset:         184
        .size:           8
        .value_kind:     hidden_global_offset_x
      - .offset:         192
        .size:           8
        .value_kind:     hidden_global_offset_y
      - .offset:         200
        .size:           8
        .value_kind:     hidden_global_offset_z
      - .offset:         208
        .size:           2
        .value_kind:     hidden_grid_dims
    .group_segment_fixed_size: 16384
    .kernarg_segment_align: 8
    .kernarg_segment_size: 400
    .language:       OpenCL C
    .language_version:
      - 2
      - 0
    .max_flat_workgroup_size: 1024
    .name:           _ZL20rocblas_gemvn_kernelILi64ELi16ElPKDF16_fKPfEviiT3_lPKT2_lT1_lS7_lS8_lS4_lPT4_lS8_li
    .private_segment_fixed_size: 0
    .sgpr_count:     49
    .sgpr_spill_count: 0
    .symbol:         _ZL20rocblas_gemvn_kernelILi64ELi16ElPKDF16_fKPfEviiT3_lPKT2_lT1_lS7_lS8_lS4_lPT4_lS8_li.kd
    .uniform_work_group_size: 1
    .uses_dynamic_stack: false
    .vgpr_count:     78
    .vgpr_spill_count: 0
    .wavefront_size: 32
    .workgroup_processor_mode: 1
  - .args:
      - .offset:         0
        .size:           4
        .value_kind:     by_value
      - .offset:         4
        .size:           4
        .value_kind:     by_value
      - .address_space:  global
        .offset:         8
        .size:           8
        .value_kind:     global_buffer
      - .offset:         16
        .size:           8
        .value_kind:     by_value
      - .address_space:  global
        .offset:         24
        .size:           8
        .value_kind:     global_buffer
      - .offset:         32
        .size:           8
        .value_kind:     by_value
      - .offset:         40
        .size:           4
        .value_kind:     by_value
      - .offset:         48
        .size:           8
        .value_kind:     by_value
      - .address_space:  global
        .offset:         56
        .size:           8
        .value_kind:     global_buffer
      - .offset:         64
        .size:           8
        .value_kind:     by_value
      - .offset:         72
        .size:           4
        .value_kind:     by_value
      - .offset:         80
        .size:           8
        .value_kind:     by_value
      - .address_space:  global
        .offset:         88
        .size:           8
        .value_kind:     global_buffer
      - .offset:         96
        .size:           8
        .value_kind:     by_value
      - .address_space:  global
        .offset:         104
        .size:           8
        .value_kind:     global_buffer
      - .offset:         112
        .size:           8
        .value_kind:     by_value
      - .offset:         120
        .size:           4
        .value_kind:     by_value
      - .offset:         128
        .size:           8
        .value_kind:     by_value
    .group_segment_fixed_size: 256
    .kernarg_segment_align: 8
    .kernarg_segment_size: 136
    .language:       OpenCL C
    .language_version:
      - 2
      - 0
    .max_flat_workgroup_size: 256
    .name:           _ZL22rocblas_gemvtsm_kernelILb0ELi256EPKDF16_PKfKPfEviiT2_lPKT1_lilS9_lilS6_lPT3_lil
    .private_segment_fixed_size: 0
    .sgpr_count:     24
    .sgpr_spill_count: 0
    .symbol:         _ZL22rocblas_gemvtsm_kernelILb0ELi256EPKDF16_PKfKPfEviiT2_lPKT1_lilS9_lilS6_lPT3_lil.kd
    .uniform_work_group_size: 1
    .uses_dynamic_stack: false
    .vgpr_count:     22
    .vgpr_spill_count: 0
    .wavefront_size: 32
    .workgroup_processor_mode: 1
  - .args:
      - .offset:         0
        .size:           4
        .value_kind:     by_value
      - .offset:         4
        .size:           4
        .value_kind:     by_value
      - .offset:         8
        .size:           4
        .value_kind:     by_value
      - .offset:         16
        .size:           8
        .value_kind:     by_value
      - .address_space:  global
        .offset:         24
        .size:           8
        .value_kind:     global_buffer
      - .offset:         32
        .size:           8
        .value_kind:     by_value
      - .offset:         40
        .size:           4
        .value_kind:     by_value
      - .offset:         48
        .size:           8
        .value_kind:     by_value
      - .address_space:  global
        .offset:         56
        .size:           8
        .value_kind:     global_buffer
      - .offset:         64
        .size:           8
        .value_kind:     by_value
      - .offset:         72
        .size:           4
        .value_kind:     by_value
      - .offset:         80
        .size:           8
        .value_kind:     by_value
      - .offset:         88
        .size:           4
        .value_kind:     by_value
      - .offset:         96
        .size:           8
        .value_kind:     by_value
      - .address_space:  global
        .offset:         104
        .size:           8
        .value_kind:     global_buffer
      - .offset:         112
        .size:           8
        .value_kind:     by_value
      - .offset:         120
        .size:           4
        .value_kind:     by_value
      - .offset:         128
        .size:           8
        .value_kind:     by_value
    .group_segment_fixed_size: 256
    .kernarg_segment_align: 8
    .kernarg_segment_size: 136
    .language:       OpenCL C
    .language_version:
      - 2
      - 0
    .max_flat_workgroup_size: 256
    .name:           _ZL22rocblas_gemvtsm_kernelILb0ELi256EPKDF16_fKPfEviiT2_lPKT1_lilS7_lilS4_lPT3_lil
    .private_segment_fixed_size: 0
    .sgpr_count:     26
    .sgpr_spill_count: 0
    .symbol:         _ZL22rocblas_gemvtsm_kernelILb0ELi256EPKDF16_fKPfEviiT2_lPKT1_lilS7_lilS4_lPT3_lil.kd
    .uniform_work_group_size: 1
    .uses_dynamic_stack: false
    .vgpr_count:     22
    .vgpr_spill_count: 0
    .wavefront_size: 32
    .workgroup_processor_mode: 1
  - .args:
      - .offset:         0
        .size:           4
        .value_kind:     by_value
      - .address_space:  global
        .offset:         8
        .size:           8
        .value_kind:     global_buffer
      - .offset:         16
        .size:           8
        .value_kind:     by_value
      - .address_space:  global
        .offset:         24
        .size:           8
        .value_kind:     global_buffer
      - .offset:         32
        .size:           8
        .value_kind:     by_value
      - .offset:         40
        .size:           4
        .value_kind:     by_value
      - .offset:         48
        .size:           8
        .value_kind:     by_value
      - .actual_access:  read_only
        .address_space:  global
        .offset:         56
        .size:           8
        .value_kind:     global_buffer
      - .offset:         64
        .size:           4
        .value_kind:     by_value
      - .offset:         72
        .size:           4
        .value_kind:     hidden_block_count_x
      - .offset:         76
        .size:           4
        .value_kind:     hidden_block_count_y
      - .offset:         80
        .size:           4
        .value_kind:     hidden_block_count_z
      - .offset:         84
        .size:           2
        .value_kind:     hidden_group_size_x
      - .offset:         86
        .size:           2
        .value_kind:     hidden_group_size_y
      - .offset:         88
        .size:           2
        .value_kind:     hidden_group_size_z
      - .offset:         90
        .size:           2
        .value_kind:     hidden_remainder_x
      - .offset:         92
        .size:           2
        .value_kind:     hidden_remainder_y
      - .offset:         94
        .size:           2
        .value_kind:     hidden_remainder_z
      - .offset:         112
        .size:           8
        .value_kind:     hidden_global_offset_x
      - .offset:         120
        .size:           8
        .value_kind:     hidden_global_offset_y
      - .offset:         128
        .size:           8
        .value_kind:     hidden_global_offset_z
      - .offset:         136
        .size:           2
        .value_kind:     hidden_grid_dims
    .group_segment_fixed_size: 128
    .kernarg_segment_align: 8
    .kernarg_segment_size: 328
    .language:       OpenCL C
    .language_version:
      - 2
      - 0
    .max_flat_workgroup_size: 256
    .name:           _ZL23rocblas_gemvt_sn_reduceILi256ELi8EfPKfKPfEviT2_lPT3_lilPT1_i
    .private_segment_fixed_size: 0
    .sgpr_count:     40
    .sgpr_spill_count: 0
    .symbol:         _ZL23rocblas_gemvt_sn_reduceILi256ELi8EfPKfKPfEviT2_lPT3_lilPT1_i.kd
    .uniform_work_group_size: 1
    .uses_dynamic_stack: false
    .vgpr_count:     28
    .vgpr_spill_count: 0
    .wavefront_size: 32
    .workgroup_processor_mode: 1
  - .args:
      - .offset:         0
        .size:           4
        .value_kind:     by_value
      - .offset:         4
        .size:           4
        .value_kind:     by_value
      - .offset:         8
        .size:           8
        .value_kind:     by_value
      - .address_space:  global
        .offset:         16
        .size:           8
        .value_kind:     global_buffer
      - .offset:         24
        .size:           8
        .value_kind:     by_value
      - .offset:         32
        .size:           4
        .value_kind:     by_value
      - .offset:         40
        .size:           8
        .value_kind:     by_value
      - .actual_access:  read_only
        .address_space:  global
        .offset:         48
        .size:           8
        .value_kind:     global_buffer
      - .offset:         56
        .size:           4
        .value_kind:     by_value
      - .offset:         64
        .size:           4
        .value_kind:     hidden_block_count_x
      - .offset:         68
        .size:           4
        .value_kind:     hidden_block_count_y
      - .offset:         72
        .size:           4
        .value_kind:     hidden_block_count_z
      - .offset:         76
        .size:           2
        .value_kind:     hidden_group_size_x
      - .offset:         78
        .size:           2
        .value_kind:     hidden_group_size_y
      - .offset:         80
        .size:           2
        .value_kind:     hidden_group_size_z
      - .offset:         82
        .size:           2
        .value_kind:     hidden_remainder_x
      - .offset:         84
        .size:           2
        .value_kind:     hidden_remainder_y
      - .offset:         86
        .size:           2
        .value_kind:     hidden_remainder_z
      - .offset:         104
        .size:           8
        .value_kind:     hidden_global_offset_x
      - .offset:         112
        .size:           8
        .value_kind:     hidden_global_offset_y
      - .offset:         120
        .size:           8
        .value_kind:     hidden_global_offset_z
      - .offset:         128
        .size:           2
        .value_kind:     hidden_grid_dims
    .group_segment_fixed_size: 128
    .kernarg_segment_align: 8
    .kernarg_segment_size: 320
    .language:       OpenCL C
    .language_version:
      - 2
      - 0
    .max_flat_workgroup_size: 256
    .name:           _ZL23rocblas_gemvt_sn_reduceILi256ELi8EffKPfEviT2_lPT3_lilPT1_i
    .private_segment_fixed_size: 0
    .sgpr_count:     38
    .sgpr_spill_count: 0
    .symbol:         _ZL23rocblas_gemvt_sn_reduceILi256ELi8EffKPfEviT2_lPT3_lilPT1_i.kd
    .uniform_work_group_size: 1
    .uses_dynamic_stack: false
    .vgpr_count:     27
    .vgpr_spill_count: 0
    .wavefront_size: 32
    .workgroup_processor_mode: 1
  - .args:
      - .offset:         0
        .size:           4
        .value_kind:     by_value
      - .offset:         4
        .size:           4
        .value_kind:     by_value
      - .address_space:  global
        .offset:         8
        .size:           8
        .value_kind:     global_buffer
      - .offset:         16
        .size:           8
        .value_kind:     by_value
      - .address_space:  global
        .offset:         24
        .size:           8
        .value_kind:     global_buffer
      - .offset:         32
        .size:           8
        .value_kind:     by_value
      - .offset:         40
        .size:           4
        .value_kind:     by_value
      - .offset:         48
        .size:           8
        .value_kind:     by_value
      - .address_space:  global
        .offset:         56
        .size:           8
        .value_kind:     global_buffer
      - .offset:         64
        .size:           8
        .value_kind:     by_value
      - .offset:         72
        .size:           4
        .value_kind:     by_value
      - .offset:         80
        .size:           8
        .value_kind:     by_value
      - .address_space:  global
        .offset:         88
        .size:           8
        .value_kind:     global_buffer
      - .offset:         96
        .size:           8
        .value_kind:     by_value
      - .address_space:  global
        .offset:         104
        .size:           8
        .value_kind:     global_buffer
      - .offset:         112
        .size:           8
        .value_kind:     by_value
      - .offset:         120
        .size:           4
        .value_kind:     by_value
      - .offset:         128
        .size:           8
        .value_kind:     by_value
      - .offset:         136
        .size:           4
        .value_kind:     by_value
    .group_segment_fixed_size: 128
    .kernarg_segment_align: 8
    .kernarg_segment_size: 140
    .language:       OpenCL C
    .language_version:
      - 2
      - 0
    .max_flat_workgroup_size: 256
    .name:           _ZL32rocblas_gemvt_warp_reduce_kernelILb0ELi256EiPKDF16_PKfKPfEviiT3_lPKT2_lT1_lS9_lSA_lS6_lPT4_lSA_li
    .private_segment_fixed_size: 0
    .sgpr_count:     46
    .sgpr_spill_count: 0
    .symbol:         _ZL32rocblas_gemvt_warp_reduce_kernelILb0ELi256EiPKDF16_PKfKPfEviiT3_lPKT2_lT1_lS9_lSA_lS6_lPT4_lSA_li.kd
    .uniform_work_group_size: 1
    .uses_dynamic_stack: false
    .vgpr_count:     25
    .vgpr_spill_count: 0
    .wavefront_size: 32
    .workgroup_processor_mode: 1
  - .args:
      - .offset:         0
        .size:           4
        .value_kind:     by_value
      - .offset:         4
        .size:           4
        .value_kind:     by_value
      - .address_space:  global
        .offset:         8
        .size:           8
        .value_kind:     global_buffer
      - .offset:         16
        .size:           8
        .value_kind:     by_value
      - .address_space:  global
        .offset:         24
        .size:           8
        .value_kind:     global_buffer
      - .offset:         32
        .size:           8
        .value_kind:     by_value
      - .offset:         40
        .size:           8
        .value_kind:     by_value
      - .offset:         48
        .size:           8
        .value_kind:     by_value
      - .address_space:  global
        .offset:         56
        .size:           8
        .value_kind:     global_buffer
      - .offset:         64
        .size:           8
        .value_kind:     by_value
      - .offset:         72
        .size:           8
        .value_kind:     by_value
      - .offset:         80
        .size:           8
        .value_kind:     by_value
      - .address_space:  global
        .offset:         88
        .size:           8
        .value_kind:     global_buffer
      - .offset:         96
        .size:           8
        .value_kind:     by_value
      - .address_space:  global
        .offset:         104
        .size:           8
        .value_kind:     global_buffer
      - .offset:         112
        .size:           8
        .value_kind:     by_value
      - .offset:         120
        .size:           8
        .value_kind:     by_value
      - .offset:         128
        .size:           8
        .value_kind:     by_value
      - .offset:         136
        .size:           4
        .value_kind:     by_value
    .group_segment_fixed_size: 128
    .kernarg_segment_align: 8
    .kernarg_segment_size: 140
    .language:       OpenCL C
    .language_version:
      - 2
      - 0
    .max_flat_workgroup_size: 256
    .name:           _ZL32rocblas_gemvt_warp_reduce_kernelILb0ELi256ElPKDF16_PKfKPfEviiT3_lPKT2_lT1_lS9_lSA_lS6_lPT4_lSA_li
    .private_segment_fixed_size: 0
    .sgpr_count:     46
    .sgpr_spill_count: 0
    .symbol:         _ZL32rocblas_gemvt_warp_reduce_kernelILb0ELi256ElPKDF16_PKfKPfEviiT3_lPKT2_lT1_lS9_lSA_lS6_lPT4_lSA_li.kd
    .uniform_work_group_size: 1
    .uses_dynamic_stack: false
    .vgpr_count:     26
    .vgpr_spill_count: 0
    .wavefront_size: 32
    .workgroup_processor_mode: 1
  - .args:
      - .offset:         0
        .size:           4
        .value_kind:     by_value
      - .offset:         4
        .size:           4
        .value_kind:     by_value
      - .offset:         8
        .size:           4
        .value_kind:     by_value
      - .offset:         16
        .size:           8
        .value_kind:     by_value
      - .address_space:  global
        .offset:         24
        .size:           8
        .value_kind:     global_buffer
      - .offset:         32
        .size:           8
        .value_kind:     by_value
      - .offset:         40
        .size:           4
        .value_kind:     by_value
      - .offset:         48
        .size:           8
        .value_kind:     by_value
      - .address_space:  global
        .offset:         56
        .size:           8
        .value_kind:     global_buffer
      - .offset:         64
        .size:           8
        .value_kind:     by_value
      - .offset:         72
        .size:           4
        .value_kind:     by_value
      - .offset:         80
        .size:           8
        .value_kind:     by_value
      - .offset:         88
        .size:           4
        .value_kind:     by_value
      - .offset:         96
        .size:           8
        .value_kind:     by_value
      - .address_space:  global
        .offset:         104
        .size:           8
        .value_kind:     global_buffer
      - .offset:         112
        .size:           8
        .value_kind:     by_value
      - .offset:         120
        .size:           4
        .value_kind:     by_value
      - .offset:         128
        .size:           8
        .value_kind:     by_value
      - .offset:         136
        .size:           4
        .value_kind:     by_value
    .group_segment_fixed_size: 128
    .kernarg_segment_align: 8
    .kernarg_segment_size: 140
    .language:       OpenCL C
    .language_version:
      - 2
      - 0
    .max_flat_workgroup_size: 256
    .name:           _ZL32rocblas_gemvt_warp_reduce_kernelILb0ELi256EiPKDF16_fKPfEviiT3_lPKT2_lT1_lS7_lS8_lS4_lPT4_lS8_li
    .private_segment_fixed_size: 0
    .sgpr_count:     42
    .sgpr_spill_count: 0
    .symbol:         _ZL32rocblas_gemvt_warp_reduce_kernelILb0ELi256EiPKDF16_fKPfEviiT3_lPKT2_lT1_lS7_lS8_lS4_lPT4_lS8_li.kd
    .uniform_work_group_size: 1
    .uses_dynamic_stack: false
    .vgpr_count:     25
    .vgpr_spill_count: 0
    .wavefront_size: 32
    .workgroup_processor_mode: 1
  - .args:
      - .offset:         0
        .size:           4
        .value_kind:     by_value
      - .offset:         4
        .size:           4
        .value_kind:     by_value
      - .offset:         8
        .size:           4
        .value_kind:     by_value
      - .offset:         16
        .size:           8
        .value_kind:     by_value
      - .address_space:  global
        .offset:         24
        .size:           8
        .value_kind:     global_buffer
      - .offset:         32
        .size:           8
        .value_kind:     by_value
      - .offset:         40
        .size:           8
        .value_kind:     by_value
      - .offset:         48
        .size:           8
        .value_kind:     by_value
      - .address_space:  global
        .offset:         56
        .size:           8
        .value_kind:     global_buffer
      - .offset:         64
        .size:           8
        .value_kind:     by_value
      - .offset:         72
        .size:           8
        .value_kind:     by_value
      - .offset:         80
        .size:           8
        .value_kind:     by_value
      - .offset:         88
        .size:           4
        .value_kind:     by_value
      - .offset:         96
        .size:           8
        .value_kind:     by_value
      - .address_space:  global
        .offset:         104
        .size:           8
        .value_kind:     global_buffer
      - .offset:         112
        .size:           8
        .value_kind:     by_value
      - .offset:         120
        .size:           8
        .value_kind:     by_value
      - .offset:         128
        .size:           8
        .value_kind:     by_value
      - .offset:         136
        .size:           4
        .value_kind:     by_value
    .group_segment_fixed_size: 128
    .kernarg_segment_align: 8
    .kernarg_segment_size: 140
    .language:       OpenCL C
    .language_version:
      - 2
      - 0
    .max_flat_workgroup_size: 256
    .name:           _ZL32rocblas_gemvt_warp_reduce_kernelILb0ELi256ElPKDF16_fKPfEviiT3_lPKT2_lT1_lS7_lS8_lS4_lPT4_lS8_li
    .private_segment_fixed_size: 0
    .sgpr_count:     42
    .sgpr_spill_count: 0
    .symbol:         _ZL32rocblas_gemvt_warp_reduce_kernelILb0ELi256ElPKDF16_fKPfEviiT3_lPKT2_lT1_lS7_lS8_lS4_lPT4_lS8_li.kd
    .uniform_work_group_size: 1
    .uses_dynamic_stack: false
    .vgpr_count:     26
    .vgpr_spill_count: 0
    .wavefront_size: 32
    .workgroup_processor_mode: 1
  - .args:
      - .offset:         0
        .size:           4
        .value_kind:     by_value
      - .offset:         4
        .size:           4
        .value_kind:     by_value
      - .address_space:  global
        .offset:         8
        .size:           8
        .value_kind:     global_buffer
      - .offset:         16
        .size:           8
        .value_kind:     by_value
      - .address_space:  global
        .offset:         24
        .size:           8
        .value_kind:     global_buffer
      - .offset:         32
        .size:           8
        .value_kind:     by_value
      - .offset:         40
        .size:           4
        .value_kind:     by_value
      - .offset:         48
        .size:           8
        .value_kind:     by_value
      - .address_space:  global
        .offset:         56
        .size:           8
        .value_kind:     global_buffer
      - .offset:         64
        .size:           8
        .value_kind:     by_value
      - .offset:         72
        .size:           4
        .value_kind:     by_value
      - .offset:         80
        .size:           8
        .value_kind:     by_value
      - .address_space:  global
        .offset:         88
        .size:           8
        .value_kind:     global_buffer
      - .offset:         96
        .size:           8
        .value_kind:     by_value
      - .address_space:  global
        .offset:         104
        .size:           8
        .value_kind:     global_buffer
      - .offset:         112
        .size:           8
        .value_kind:     by_value
      - .offset:         120
        .size:           4
        .value_kind:     by_value
      - .offset:         128
        .size:           8
        .value_kind:     by_value
      - .offset:         136
        .size:           4
        .value_kind:     by_value
    .group_segment_fixed_size: 1024
    .kernarg_segment_align: 8
    .kernarg_segment_size: 140
    .language:       OpenCL C
    .language_version:
      - 2
      - 0
    .max_flat_workgroup_size: 256
    .name:           _ZL20rocblas_gemvt_kernelILb0ELi256EPKDF16_PKfKPfEviiT2_lPKT1_lilS9_lilS6_lPT3_lili
    .private_segment_fixed_size: 0
    .sgpr_count:     52
    .sgpr_spill_count: 0
    .symbol:         _ZL20rocblas_gemvt_kernelILb0ELi256EPKDF16_PKfKPfEviiT2_lPKT1_lilS9_lilS6_lPT3_lili.kd
    .uniform_work_group_size: 1
    .uses_dynamic_stack: false
    .vgpr_count:     21
    .vgpr_spill_count: 0
    .wavefront_size: 32
    .workgroup_processor_mode: 1
  - .args:
      - .offset:         0
        .size:           4
        .value_kind:     by_value
      - .offset:         4
        .size:           4
        .value_kind:     by_value
      - .offset:         8
        .size:           4
        .value_kind:     by_value
      - .offset:         16
        .size:           8
        .value_kind:     by_value
      - .address_space:  global
        .offset:         24
        .size:           8
        .value_kind:     global_buffer
      - .offset:         32
        .size:           8
        .value_kind:     by_value
      - .offset:         40
        .size:           4
        .value_kind:     by_value
      - .offset:         48
        .size:           8
        .value_kind:     by_value
      - .address_space:  global
        .offset:         56
        .size:           8
        .value_kind:     global_buffer
      - .offset:         64
        .size:           8
        .value_kind:     by_value
      - .offset:         72
        .size:           4
        .value_kind:     by_value
      - .offset:         80
        .size:           8
        .value_kind:     by_value
      - .offset:         88
        .size:           4
        .value_kind:     by_value
      - .offset:         96
        .size:           8
        .value_kind:     by_value
      - .address_space:  global
        .offset:         104
        .size:           8
        .value_kind:     global_buffer
      - .offset:         112
        .size:           8
        .value_kind:     by_value
      - .offset:         120
        .size:           4
        .value_kind:     by_value
      - .offset:         128
        .size:           8
        .value_kind:     by_value
      - .offset:         136
        .size:           4
        .value_kind:     by_value
    .group_segment_fixed_size: 1024
    .kernarg_segment_align: 8
    .kernarg_segment_size: 140
    .language:       OpenCL C
    .language_version:
      - 2
      - 0
    .max_flat_workgroup_size: 256
    .name:           _ZL20rocblas_gemvt_kernelILb0ELi256EPKDF16_fKPfEviiT2_lPKT1_lilS7_lilS4_lPT3_lili
    .private_segment_fixed_size: 0
    .sgpr_count:     46
    .sgpr_spill_count: 0
    .symbol:         _ZL20rocblas_gemvt_kernelILb0ELi256EPKDF16_fKPfEviiT2_lPKT1_lilS7_lilS4_lPT3_lili.kd
    .uniform_work_group_size: 1
    .uses_dynamic_stack: false
    .vgpr_count:     21
    .vgpr_spill_count: 0
    .wavefront_size: 32
    .workgroup_processor_mode: 1
  - .args:
      - .offset:         0
        .size:           4
        .value_kind:     by_value
      - .offset:         4
        .size:           4
        .value_kind:     by_value
      - .address_space:  global
        .offset:         8
        .size:           8
        .value_kind:     global_buffer
      - .offset:         16
        .size:           8
        .value_kind:     by_value
      - .address_space:  global
        .offset:         24
        .size:           8
        .value_kind:     global_buffer
      - .offset:         32
        .size:           8
        .value_kind:     by_value
      - .offset:         40
        .size:           4
        .value_kind:     by_value
      - .offset:         48
        .size:           8
        .value_kind:     by_value
      - .address_space:  global
        .offset:         56
        .size:           8
        .value_kind:     global_buffer
      - .offset:         64
        .size:           8
        .value_kind:     by_value
      - .offset:         72
        .size:           4
        .value_kind:     by_value
      - .offset:         80
        .size:           8
        .value_kind:     by_value
      - .address_space:  global
        .offset:         88
        .size:           8
        .value_kind:     global_buffer
      - .offset:         96
        .size:           8
        .value_kind:     by_value
      - .address_space:  global
        .offset:         104
        .size:           8
        .value_kind:     global_buffer
      - .offset:         112
        .size:           8
        .value_kind:     by_value
      - .offset:         120
        .size:           4
        .value_kind:     by_value
      - .offset:         128
        .size:           8
        .value_kind:     by_value
      - .offset:         136
        .size:           4
        .value_kind:     by_value
    .group_segment_fixed_size: 128
    .kernarg_segment_align: 8
    .kernarg_segment_size: 140
    .language:       OpenCL C
    .language_version:
      - 2
      - 0
    .max_flat_workgroup_size: 1024
    .name:           _ZL32rocblas_gemvt_warp_reduce_kernelILb0ELi1024EiPKDF16_PKfKPfEviiT3_lPKT2_lT1_lS9_lSA_lS6_lPT4_lSA_li
    .private_segment_fixed_size: 0
    .sgpr_count:     46
    .sgpr_spill_count: 0
    .symbol:         _ZL32rocblas_gemvt_warp_reduce_kernelILb0ELi1024EiPKDF16_PKfKPfEviiT3_lPKT2_lT1_lS9_lSA_lS6_lPT4_lSA_li.kd
    .uniform_work_group_size: 1
    .uses_dynamic_stack: false
    .vgpr_count:     25
    .vgpr_spill_count: 0
    .wavefront_size: 32
    .workgroup_processor_mode: 1
  - .args:
      - .offset:         0
        .size:           4
        .value_kind:     by_value
      - .offset:         4
        .size:           4
        .value_kind:     by_value
      - .address_space:  global
        .offset:         8
        .size:           8
        .value_kind:     global_buffer
      - .offset:         16
        .size:           8
        .value_kind:     by_value
      - .address_space:  global
        .offset:         24
        .size:           8
        .value_kind:     global_buffer
      - .offset:         32
        .size:           8
        .value_kind:     by_value
      - .offset:         40
        .size:           8
        .value_kind:     by_value
      - .offset:         48
        .size:           8
        .value_kind:     by_value
      - .address_space:  global
        .offset:         56
        .size:           8
        .value_kind:     global_buffer
      - .offset:         64
        .size:           8
        .value_kind:     by_value
      - .offset:         72
        .size:           8
        .value_kind:     by_value
      - .offset:         80
        .size:           8
        .value_kind:     by_value
      - .address_space:  global
        .offset:         88
        .size:           8
        .value_kind:     global_buffer
      - .offset:         96
        .size:           8
        .value_kind:     by_value
      - .address_space:  global
        .offset:         104
        .size:           8
        .value_kind:     global_buffer
      - .offset:         112
        .size:           8
        .value_kind:     by_value
      - .offset:         120
        .size:           8
        .value_kind:     by_value
      - .offset:         128
        .size:           8
        .value_kind:     by_value
      - .offset:         136
        .size:           4
        .value_kind:     by_value
    .group_segment_fixed_size: 128
    .kernarg_segment_align: 8
    .kernarg_segment_size: 140
    .language:       OpenCL C
    .language_version:
      - 2
      - 0
    .max_flat_workgroup_size: 1024
    .name:           _ZL32rocblas_gemvt_warp_reduce_kernelILb0ELi1024ElPKDF16_PKfKPfEviiT3_lPKT2_lT1_lS9_lSA_lS6_lPT4_lSA_li
    .private_segment_fixed_size: 0
    .sgpr_count:     48
    .sgpr_spill_count: 0
    .symbol:         _ZL32rocblas_gemvt_warp_reduce_kernelILb0ELi1024ElPKDF16_PKfKPfEviiT3_lPKT2_lT1_lS9_lSA_lS6_lPT4_lSA_li.kd
    .uniform_work_group_size: 1
    .uses_dynamic_stack: false
    .vgpr_count:     26
    .vgpr_spill_count: 0
    .wavefront_size: 32
    .workgroup_processor_mode: 1
  - .args:
      - .offset:         0
        .size:           4
        .value_kind:     by_value
      - .offset:         4
        .size:           4
        .value_kind:     by_value
      - .offset:         8
        .size:           4
        .value_kind:     by_value
      - .offset:         16
        .size:           8
        .value_kind:     by_value
      - .address_space:  global
        .offset:         24
        .size:           8
        .value_kind:     global_buffer
      - .offset:         32
        .size:           8
        .value_kind:     by_value
      - .offset:         40
        .size:           4
        .value_kind:     by_value
      - .offset:         48
        .size:           8
        .value_kind:     by_value
      - .address_space:  global
        .offset:         56
        .size:           8
        .value_kind:     global_buffer
      - .offset:         64
        .size:           8
        .value_kind:     by_value
      - .offset:         72
        .size:           4
        .value_kind:     by_value
      - .offset:         80
        .size:           8
        .value_kind:     by_value
      - .offset:         88
        .size:           4
        .value_kind:     by_value
      - .offset:         96
        .size:           8
        .value_kind:     by_value
      - .address_space:  global
        .offset:         104
        .size:           8
        .value_kind:     global_buffer
      - .offset:         112
        .size:           8
        .value_kind:     by_value
      - .offset:         120
        .size:           4
        .value_kind:     by_value
      - .offset:         128
        .size:           8
        .value_kind:     by_value
      - .offset:         136
        .size:           4
        .value_kind:     by_value
    .group_segment_fixed_size: 128
    .kernarg_segment_align: 8
    .kernarg_segment_size: 140
    .language:       OpenCL C
    .language_version:
      - 2
      - 0
    .max_flat_workgroup_size: 1024
    .name:           _ZL32rocblas_gemvt_warp_reduce_kernelILb0ELi1024EiPKDF16_fKPfEviiT3_lPKT2_lT1_lS7_lS8_lS4_lPT4_lS8_li
    .private_segment_fixed_size: 0
    .sgpr_count:     40
    .sgpr_spill_count: 0
    .symbol:         _ZL32rocblas_gemvt_warp_reduce_kernelILb0ELi1024EiPKDF16_fKPfEviiT3_lPKT2_lT1_lS7_lS8_lS4_lPT4_lS8_li.kd
    .uniform_work_group_size: 1
    .uses_dynamic_stack: false
    .vgpr_count:     25
    .vgpr_spill_count: 0
    .wavefront_size: 32
    .workgroup_processor_mode: 1
  - .args:
      - .offset:         0
        .size:           4
        .value_kind:     by_value
      - .offset:         4
        .size:           4
        .value_kind:     by_value
      - .offset:         8
        .size:           4
        .value_kind:     by_value
      - .offset:         16
        .size:           8
        .value_kind:     by_value
      - .address_space:  global
        .offset:         24
        .size:           8
        .value_kind:     global_buffer
      - .offset:         32
        .size:           8
        .value_kind:     by_value
      - .offset:         40
        .size:           8
        .value_kind:     by_value
      - .offset:         48
        .size:           8
        .value_kind:     by_value
      - .address_space:  global
        .offset:         56
        .size:           8
        .value_kind:     global_buffer
      - .offset:         64
        .size:           8
        .value_kind:     by_value
      - .offset:         72
        .size:           8
        .value_kind:     by_value
      - .offset:         80
        .size:           8
        .value_kind:     by_value
      - .offset:         88
        .size:           4
        .value_kind:     by_value
      - .offset:         96
        .size:           8
        .value_kind:     by_value
      - .address_space:  global
        .offset:         104
        .size:           8
        .value_kind:     global_buffer
      - .offset:         112
        .size:           8
        .value_kind:     by_value
      - .offset:         120
        .size:           8
        .value_kind:     by_value
      - .offset:         128
        .size:           8
        .value_kind:     by_value
      - .offset:         136
        .size:           4
        .value_kind:     by_value
    .group_segment_fixed_size: 128
    .kernarg_segment_align: 8
    .kernarg_segment_size: 140
    .language:       OpenCL C
    .language_version:
      - 2
      - 0
    .max_flat_workgroup_size: 1024
    .name:           _ZL32rocblas_gemvt_warp_reduce_kernelILb0ELi1024ElPKDF16_fKPfEviiT3_lPKT2_lT1_lS7_lS8_lS4_lPT4_lS8_li
    .private_segment_fixed_size: 0
    .sgpr_count:     42
    .sgpr_spill_count: 0
    .symbol:         _ZL32rocblas_gemvt_warp_reduce_kernelILb0ELi1024ElPKDF16_fKPfEviiT3_lPKT2_lT1_lS7_lS8_lS4_lPT4_lS8_li.kd
    .uniform_work_group_size: 1
    .uses_dynamic_stack: false
    .vgpr_count:     26
    .vgpr_spill_count: 0
    .wavefront_size: 32
    .workgroup_processor_mode: 1
  - .args:
      - .offset:         0
        .size:           4
        .value_kind:     by_value
      - .offset:         4
        .size:           4
        .value_kind:     by_value
      - .address_space:  global
        .offset:         8
        .size:           8
        .value_kind:     global_buffer
      - .offset:         16
        .size:           8
        .value_kind:     by_value
      - .address_space:  global
        .offset:         24
        .size:           8
        .value_kind:     global_buffer
      - .offset:         32
        .size:           8
        .value_kind:     by_value
      - .offset:         40
        .size:           4
        .value_kind:     by_value
      - .offset:         48
        .size:           8
        .value_kind:     by_value
      - .address_space:  global
        .offset:         56
        .size:           8
        .value_kind:     global_buffer
      - .offset:         64
        .size:           8
        .value_kind:     by_value
      - .offset:         72
        .size:           4
        .value_kind:     by_value
      - .offset:         80
        .size:           8
        .value_kind:     by_value
      - .address_space:  global
        .offset:         88
        .size:           8
        .value_kind:     global_buffer
      - .offset:         96
        .size:           8
        .value_kind:     by_value
      - .address_space:  global
        .offset:         104
        .size:           8
        .value_kind:     global_buffer
      - .offset:         112
        .size:           8
        .value_kind:     by_value
      - .offset:         120
        .size:           4
        .value_kind:     by_value
      - .offset:         128
        .size:           8
        .value_kind:     by_value
    .group_segment_fixed_size: 256
    .kernarg_segment_align: 8
    .kernarg_segment_size: 136
    .language:       OpenCL C
    .language_version:
      - 2
      - 0
    .max_flat_workgroup_size: 256
    .name:           _ZL22rocblas_gemvtsm_kernelILb1ELi256EPKDF16_PKfKPfEviiT2_lPKT1_lilS9_lilS6_lPT3_lil
    .private_segment_fixed_size: 0
    .sgpr_count:     24
    .sgpr_spill_count: 0
    .symbol:         _ZL22rocblas_gemvtsm_kernelILb1ELi256EPKDF16_PKfKPfEviiT2_lPKT1_lilS9_lilS6_lPT3_lil.kd
    .uniform_work_group_size: 1
    .uses_dynamic_stack: false
    .vgpr_count:     22
    .vgpr_spill_count: 0
    .wavefront_size: 32
    .workgroup_processor_mode: 1
  - .args:
      - .offset:         0
        .size:           4
        .value_kind:     by_value
      - .offset:         4
        .size:           4
        .value_kind:     by_value
      - .offset:         8
        .size:           4
        .value_kind:     by_value
      - .offset:         16
        .size:           8
        .value_kind:     by_value
      - .address_space:  global
        .offset:         24
        .size:           8
        .value_kind:     global_buffer
      - .offset:         32
        .size:           8
        .value_kind:     by_value
      - .offset:         40
        .size:           4
        .value_kind:     by_value
      - .offset:         48
        .size:           8
        .value_kind:     by_value
      - .address_space:  global
        .offset:         56
        .size:           8
        .value_kind:     global_buffer
      - .offset:         64
        .size:           8
        .value_kind:     by_value
      - .offset:         72
        .size:           4
        .value_kind:     by_value
      - .offset:         80
        .size:           8
        .value_kind:     by_value
      - .offset:         88
        .size:           4
        .value_kind:     by_value
      - .offset:         96
        .size:           8
        .value_kind:     by_value
      - .address_space:  global
        .offset:         104
        .size:           8
        .value_kind:     global_buffer
      - .offset:         112
        .size:           8
        .value_kind:     by_value
      - .offset:         120
        .size:           4
        .value_kind:     by_value
      - .offset:         128
        .size:           8
        .value_kind:     by_value
    .group_segment_fixed_size: 256
    .kernarg_segment_align: 8
    .kernarg_segment_size: 136
    .language:       OpenCL C
    .language_version:
      - 2
      - 0
    .max_flat_workgroup_size: 256
    .name:           _ZL22rocblas_gemvtsm_kernelILb1ELi256EPKDF16_fKPfEviiT2_lPKT1_lilS7_lilS4_lPT3_lil
    .private_segment_fixed_size: 0
    .sgpr_count:     26
    .sgpr_spill_count: 0
    .symbol:         _ZL22rocblas_gemvtsm_kernelILb1ELi256EPKDF16_fKPfEviiT2_lPKT1_lilS7_lilS4_lPT3_lil.kd
    .uniform_work_group_size: 1
    .uses_dynamic_stack: false
    .vgpr_count:     22
    .vgpr_spill_count: 0
    .wavefront_size: 32
    .workgroup_processor_mode: 1
  - .args:
      - .offset:         0
        .size:           4
        .value_kind:     by_value
      - .offset:         4
        .size:           4
        .value_kind:     by_value
      - .address_space:  global
        .offset:         8
        .size:           8
        .value_kind:     global_buffer
      - .offset:         16
        .size:           8
        .value_kind:     by_value
      - .address_space:  global
        .offset:         24
        .size:           8
        .value_kind:     global_buffer
      - .offset:         32
        .size:           8
        .value_kind:     by_value
      - .offset:         40
        .size:           4
        .value_kind:     by_value
      - .offset:         48
        .size:           8
        .value_kind:     by_value
      - .address_space:  global
        .offset:         56
        .size:           8
        .value_kind:     global_buffer
      - .offset:         64
        .size:           8
        .value_kind:     by_value
      - .offset:         72
        .size:           4
        .value_kind:     by_value
      - .offset:         80
        .size:           8
        .value_kind:     by_value
      - .address_space:  global
        .offset:         88
        .size:           8
        .value_kind:     global_buffer
      - .offset:         96
        .size:           8
        .value_kind:     by_value
      - .address_space:  global
        .offset:         104
        .size:           8
        .value_kind:     global_buffer
      - .offset:         112
        .size:           8
        .value_kind:     by_value
      - .offset:         120
        .size:           4
        .value_kind:     by_value
      - .offset:         128
        .size:           8
        .value_kind:     by_value
      - .offset:         136
        .size:           4
        .value_kind:     by_value
    .group_segment_fixed_size: 1024
    .kernarg_segment_align: 8
    .kernarg_segment_size: 140
    .language:       OpenCL C
    .language_version:
      - 2
      - 0
    .max_flat_workgroup_size: 256
    .name:           _ZL20rocblas_gemvt_kernelILb1ELi256EPKDF16_PKfKPfEviiT2_lPKT1_lilS9_lilS6_lPT3_lili
    .private_segment_fixed_size: 0
    .sgpr_count:     52
    .sgpr_spill_count: 0
    .symbol:         _ZL20rocblas_gemvt_kernelILb1ELi256EPKDF16_PKfKPfEviiT2_lPKT1_lilS9_lilS6_lPT3_lili.kd
    .uniform_work_group_size: 1
    .uses_dynamic_stack: false
    .vgpr_count:     21
    .vgpr_spill_count: 0
    .wavefront_size: 32
    .workgroup_processor_mode: 1
  - .args:
      - .offset:         0
        .size:           4
        .value_kind:     by_value
      - .offset:         4
        .size:           4
        .value_kind:     by_value
      - .offset:         8
        .size:           4
        .value_kind:     by_value
      - .offset:         16
        .size:           8
        .value_kind:     by_value
      - .address_space:  global
        .offset:         24
        .size:           8
        .value_kind:     global_buffer
      - .offset:         32
        .size:           8
        .value_kind:     by_value
      - .offset:         40
        .size:           4
        .value_kind:     by_value
      - .offset:         48
        .size:           8
        .value_kind:     by_value
      - .address_space:  global
        .offset:         56
        .size:           8
        .value_kind:     global_buffer
      - .offset:         64
        .size:           8
        .value_kind:     by_value
      - .offset:         72
        .size:           4
        .value_kind:     by_value
      - .offset:         80
        .size:           8
        .value_kind:     by_value
      - .offset:         88
        .size:           4
        .value_kind:     by_value
      - .offset:         96
        .size:           8
        .value_kind:     by_value
      - .address_space:  global
        .offset:         104
        .size:           8
        .value_kind:     global_buffer
      - .offset:         112
        .size:           8
        .value_kind:     by_value
      - .offset:         120
        .size:           4
        .value_kind:     by_value
      - .offset:         128
        .size:           8
        .value_kind:     by_value
      - .offset:         136
        .size:           4
        .value_kind:     by_value
    .group_segment_fixed_size: 1024
    .kernarg_segment_align: 8
    .kernarg_segment_size: 140
    .language:       OpenCL C
    .language_version:
      - 2
      - 0
    .max_flat_workgroup_size: 256
    .name:           _ZL20rocblas_gemvt_kernelILb1ELi256EPKDF16_fKPfEviiT2_lPKT1_lilS7_lilS4_lPT3_lili
    .private_segment_fixed_size: 0
    .sgpr_count:     46
    .sgpr_spill_count: 0
    .symbol:         _ZL20rocblas_gemvt_kernelILb1ELi256EPKDF16_fKPfEviiT2_lPKT1_lilS7_lilS4_lPT3_lili.kd
    .uniform_work_group_size: 1
    .uses_dynamic_stack: false
    .vgpr_count:     21
    .vgpr_spill_count: 0
    .wavefront_size: 32
    .workgroup_processor_mode: 1
  - .args:
      - .offset:         0
        .size:           4
        .value_kind:     by_value
      - .offset:         4
        .size:           4
        .value_kind:     by_value
      - .address_space:  global
        .offset:         8
        .size:           8
        .value_kind:     global_buffer
      - .offset:         16
        .size:           8
        .value_kind:     by_value
      - .address_space:  global
        .offset:         24
        .size:           8
        .value_kind:     global_buffer
      - .offset:         32
        .size:           8
        .value_kind:     by_value
      - .offset:         40
        .size:           4
        .value_kind:     by_value
      - .offset:         48
        .size:           8
        .value_kind:     by_value
      - .address_space:  global
        .offset:         56
        .size:           8
        .value_kind:     global_buffer
      - .offset:         64
        .size:           8
        .value_kind:     by_value
      - .offset:         72
        .size:           4
        .value_kind:     by_value
      - .offset:         80
        .size:           8
        .value_kind:     by_value
      - .address_space:  global
        .offset:         88
        .size:           8
        .value_kind:     global_buffer
      - .offset:         96
        .size:           8
        .value_kind:     by_value
      - .address_space:  global
        .offset:         104
        .size:           8
        .value_kind:     global_buffer
      - .offset:         112
        .size:           8
        .value_kind:     by_value
      - .offset:         120
        .size:           4
        .value_kind:     by_value
      - .offset:         128
        .size:           8
        .value_kind:     by_value
      - .offset:         136
        .size:           4
        .value_kind:     by_value
    .group_segment_fixed_size: 128
    .kernarg_segment_align: 8
    .kernarg_segment_size: 140
    .language:       OpenCL C
    .language_version:
      - 2
      - 0
    .max_flat_workgroup_size: 1024
    .name:           _ZL32rocblas_gemvt_warp_reduce_kernelILb1ELi1024EiPKDF16_PKfKPfEviiT3_lPKT2_lT1_lS9_lSA_lS6_lPT4_lSA_li
    .private_segment_fixed_size: 0
    .sgpr_count:     46
    .sgpr_spill_count: 0
    .symbol:         _ZL32rocblas_gemvt_warp_reduce_kernelILb1ELi1024EiPKDF16_PKfKPfEviiT3_lPKT2_lT1_lS9_lSA_lS6_lPT4_lSA_li.kd
    .uniform_work_group_size: 1
    .uses_dynamic_stack: false
    .vgpr_count:     25
    .vgpr_spill_count: 0
    .wavefront_size: 32
    .workgroup_processor_mode: 1
  - .args:
      - .offset:         0
        .size:           4
        .value_kind:     by_value
      - .offset:         4
        .size:           4
        .value_kind:     by_value
      - .address_space:  global
        .offset:         8
        .size:           8
        .value_kind:     global_buffer
      - .offset:         16
        .size:           8
        .value_kind:     by_value
      - .address_space:  global
        .offset:         24
        .size:           8
        .value_kind:     global_buffer
      - .offset:         32
        .size:           8
        .value_kind:     by_value
      - .offset:         40
        .size:           8
        .value_kind:     by_value
      - .offset:         48
        .size:           8
        .value_kind:     by_value
      - .address_space:  global
        .offset:         56
        .size:           8
        .value_kind:     global_buffer
      - .offset:         64
        .size:           8
        .value_kind:     by_value
      - .offset:         72
        .size:           8
        .value_kind:     by_value
      - .offset:         80
        .size:           8
        .value_kind:     by_value
      - .address_space:  global
        .offset:         88
        .size:           8
        .value_kind:     global_buffer
      - .offset:         96
        .size:           8
        .value_kind:     by_value
      - .address_space:  global
        .offset:         104
        .size:           8
        .value_kind:     global_buffer
      - .offset:         112
        .size:           8
        .value_kind:     by_value
      - .offset:         120
        .size:           8
        .value_kind:     by_value
      - .offset:         128
        .size:           8
        .value_kind:     by_value
      - .offset:         136
        .size:           4
        .value_kind:     by_value
    .group_segment_fixed_size: 128
    .kernarg_segment_align: 8
    .kernarg_segment_size: 140
    .language:       OpenCL C
    .language_version:
      - 2
      - 0
    .max_flat_workgroup_size: 1024
    .name:           _ZL32rocblas_gemvt_warp_reduce_kernelILb1ELi1024ElPKDF16_PKfKPfEviiT3_lPKT2_lT1_lS9_lSA_lS6_lPT4_lSA_li
    .private_segment_fixed_size: 0
    .sgpr_count:     48
    .sgpr_spill_count: 0
    .symbol:         _ZL32rocblas_gemvt_warp_reduce_kernelILb1ELi1024ElPKDF16_PKfKPfEviiT3_lPKT2_lT1_lS9_lSA_lS6_lPT4_lSA_li.kd
    .uniform_work_group_size: 1
    .uses_dynamic_stack: false
    .vgpr_count:     26
    .vgpr_spill_count: 0
    .wavefront_size: 32
    .workgroup_processor_mode: 1
  - .args:
      - .offset:         0
        .size:           4
        .value_kind:     by_value
      - .offset:         4
        .size:           4
        .value_kind:     by_value
      - .offset:         8
        .size:           4
        .value_kind:     by_value
      - .offset:         16
        .size:           8
        .value_kind:     by_value
      - .address_space:  global
        .offset:         24
        .size:           8
        .value_kind:     global_buffer
      - .offset:         32
        .size:           8
        .value_kind:     by_value
      - .offset:         40
        .size:           4
        .value_kind:     by_value
      - .offset:         48
        .size:           8
        .value_kind:     by_value
      - .address_space:  global
        .offset:         56
        .size:           8
        .value_kind:     global_buffer
      - .offset:         64
        .size:           8
        .value_kind:     by_value
      - .offset:         72
        .size:           4
        .value_kind:     by_value
      - .offset:         80
        .size:           8
        .value_kind:     by_value
      - .offset:         88
        .size:           4
        .value_kind:     by_value
      - .offset:         96
        .size:           8
        .value_kind:     by_value
      - .address_space:  global
        .offset:         104
        .size:           8
        .value_kind:     global_buffer
      - .offset:         112
        .size:           8
        .value_kind:     by_value
      - .offset:         120
        .size:           4
        .value_kind:     by_value
      - .offset:         128
        .size:           8
        .value_kind:     by_value
      - .offset:         136
        .size:           4
        .value_kind:     by_value
    .group_segment_fixed_size: 128
    .kernarg_segment_align: 8
    .kernarg_segment_size: 140
    .language:       OpenCL C
    .language_version:
      - 2
      - 0
    .max_flat_workgroup_size: 1024
    .name:           _ZL32rocblas_gemvt_warp_reduce_kernelILb1ELi1024EiPKDF16_fKPfEviiT3_lPKT2_lT1_lS7_lS8_lS4_lPT4_lS8_li
    .private_segment_fixed_size: 0
    .sgpr_count:     40
    .sgpr_spill_count: 0
    .symbol:         _ZL32rocblas_gemvt_warp_reduce_kernelILb1ELi1024EiPKDF16_fKPfEviiT3_lPKT2_lT1_lS7_lS8_lS4_lPT4_lS8_li.kd
    .uniform_work_group_size: 1
    .uses_dynamic_stack: false
    .vgpr_count:     25
    .vgpr_spill_count: 0
    .wavefront_size: 32
    .workgroup_processor_mode: 1
  - .args:
      - .offset:         0
        .size:           4
        .value_kind:     by_value
      - .offset:         4
        .size:           4
        .value_kind:     by_value
      - .offset:         8
        .size:           4
        .value_kind:     by_value
      - .offset:         16
        .size:           8
        .value_kind:     by_value
      - .address_space:  global
        .offset:         24
        .size:           8
        .value_kind:     global_buffer
      - .offset:         32
        .size:           8
        .value_kind:     by_value
      - .offset:         40
        .size:           8
        .value_kind:     by_value
      - .offset:         48
        .size:           8
        .value_kind:     by_value
      - .address_space:  global
        .offset:         56
        .size:           8
        .value_kind:     global_buffer
      - .offset:         64
        .size:           8
        .value_kind:     by_value
      - .offset:         72
        .size:           8
        .value_kind:     by_value
      - .offset:         80
        .size:           8
        .value_kind:     by_value
      - .offset:         88
        .size:           4
        .value_kind:     by_value
      - .offset:         96
        .size:           8
        .value_kind:     by_value
      - .address_space:  global
        .offset:         104
        .size:           8
        .value_kind:     global_buffer
      - .offset:         112
        .size:           8
        .value_kind:     by_value
      - .offset:         120
        .size:           8
        .value_kind:     by_value
      - .offset:         128
        .size:           8
        .value_kind:     by_value
      - .offset:         136
        .size:           4
        .value_kind:     by_value
    .group_segment_fixed_size: 128
    .kernarg_segment_align: 8
    .kernarg_segment_size: 140
    .language:       OpenCL C
    .language_version:
      - 2
      - 0
    .max_flat_workgroup_size: 1024
    .name:           _ZL32rocblas_gemvt_warp_reduce_kernelILb1ELi1024ElPKDF16_fKPfEviiT3_lPKT2_lT1_lS7_lS8_lS4_lPT4_lS8_li
    .private_segment_fixed_size: 0
    .sgpr_count:     42
    .sgpr_spill_count: 0
    .symbol:         _ZL32rocblas_gemvt_warp_reduce_kernelILb1ELi1024ElPKDF16_fKPfEviiT3_lPKT2_lT1_lS7_lS8_lS4_lPT4_lS8_li.kd
    .uniform_work_group_size: 1
    .uses_dynamic_stack: false
    .vgpr_count:     26
    .vgpr_spill_count: 0
    .wavefront_size: 32
    .workgroup_processor_mode: 1
  - .args:
      - .offset:         0
        .size:           4
        .value_kind:     by_value
      - .offset:         4
        .size:           4
        .value_kind:     by_value
      - .address_space:  global
        .offset:         8
        .size:           8
        .value_kind:     global_buffer
      - .offset:         16
        .size:           8
        .value_kind:     by_value
      - .address_space:  global
        .offset:         24
        .size:           8
        .value_kind:     global_buffer
      - .offset:         32
        .size:           8
        .value_kind:     by_value
      - .offset:         40
        .size:           4
        .value_kind:     by_value
      - .offset:         48
        .size:           8
        .value_kind:     by_value
      - .address_space:  global
        .offset:         56
        .size:           8
        .value_kind:     global_buffer
      - .offset:         64
        .size:           8
        .value_kind:     by_value
      - .offset:         72
        .size:           4
        .value_kind:     by_value
      - .offset:         80
        .size:           8
        .value_kind:     by_value
      - .address_space:  global
        .offset:         88
        .size:           8
        .value_kind:     global_buffer
      - .offset:         96
        .size:           8
        .value_kind:     by_value
      - .address_space:  global
        .offset:         104
        .size:           8
        .value_kind:     global_buffer
      - .offset:         112
        .size:           8
        .value_kind:     by_value
      - .offset:         120
        .size:           4
        .value_kind:     by_value
      - .offset:         128
        .size:           8
        .value_kind:     by_value
      - .offset:         136
        .size:           4
        .value_kind:     by_value
    .group_segment_fixed_size: 0
    .kernarg_segment_align: 8
    .kernarg_segment_size: 140
    .language:       OpenCL C
    .language_version:
      - 2
      - 0
    .max_flat_workgroup_size: 768
    .name:           _ZL34rocblas_gemvn_sm_mn_batched_kernelILi32ELi24E16rocblas_bfloat16PKfS0_EviiT2_lPKT1_lilS6_lilS3_lPT3_lili
    .private_segment_fixed_size: 0
    .sgpr_count:     0
    .sgpr_spill_count: 0
    .symbol:         _ZL34rocblas_gemvn_sm_mn_batched_kernelILi32ELi24E16rocblas_bfloat16PKfS0_EviiT2_lPKT1_lilS6_lilS3_lPT3_lili.kd
    .uniform_work_group_size: 1
    .uses_dynamic_stack: false
    .vgpr_count:     0
    .vgpr_spill_count: 0
    .wavefront_size: 32
    .workgroup_processor_mode: 1
  - .args:
      - .offset:         0
        .size:           4
        .value_kind:     by_value
      - .offset:         4
        .size:           4
        .value_kind:     by_value
      - .offset:         8
        .size:           4
        .value_kind:     by_value
      - .offset:         16
        .size:           8
        .value_kind:     by_value
      - .address_space:  global
        .offset:         24
        .size:           8
        .value_kind:     global_buffer
      - .offset:         32
        .size:           8
        .value_kind:     by_value
      - .offset:         40
        .size:           4
        .value_kind:     by_value
      - .offset:         48
        .size:           8
        .value_kind:     by_value
      - .address_space:  global
        .offset:         56
        .size:           8
        .value_kind:     global_buffer
      - .offset:         64
        .size:           8
        .value_kind:     by_value
      - .offset:         72
        .size:           4
        .value_kind:     by_value
      - .offset:         80
        .size:           8
        .value_kind:     by_value
      - .offset:         88
        .size:           4
        .value_kind:     by_value
      - .offset:         96
        .size:           8
        .value_kind:     by_value
      - .address_space:  global
        .offset:         104
        .size:           8
        .value_kind:     global_buffer
      - .offset:         112
        .size:           8
        .value_kind:     by_value
      - .offset:         120
        .size:           4
        .value_kind:     by_value
      - .offset:         128
        .size:           8
        .value_kind:     by_value
      - .offset:         136
        .size:           4
        .value_kind:     by_value
    .group_segment_fixed_size: 0
    .kernarg_segment_align: 8
    .kernarg_segment_size: 140
    .language:       OpenCL C
    .language_version:
      - 2
      - 0
    .max_flat_workgroup_size: 768
    .name:           _ZL34rocblas_gemvn_sm_mn_batched_kernelILi32ELi24E16rocblas_bfloat16fS0_EviiT2_lPKT1_lilS4_lilS1_lPT3_lili
    .private_segment_fixed_size: 0
    .sgpr_count:     0
    .sgpr_spill_count: 0
    .symbol:         _ZL34rocblas_gemvn_sm_mn_batched_kernelILi32ELi24E16rocblas_bfloat16fS0_EviiT2_lPKT1_lilS4_lilS1_lPT3_lili.kd
    .uniform_work_group_size: 1
    .uses_dynamic_stack: false
    .vgpr_count:     0
    .vgpr_spill_count: 0
    .wavefront_size: 32
    .workgroup_processor_mode: 1
  - .args:
      - .offset:         0
        .size:           4
        .value_kind:     by_value
      - .offset:         4
        .size:           4
        .value_kind:     by_value
      - .address_space:  global
        .offset:         8
        .size:           8
        .value_kind:     global_buffer
      - .offset:         16
        .size:           8
        .value_kind:     by_value
      - .address_space:  global
        .offset:         24
        .size:           8
        .value_kind:     global_buffer
      - .offset:         32
        .size:           8
        .value_kind:     by_value
      - .offset:         40
        .size:           4
        .value_kind:     by_value
      - .offset:         48
        .size:           8
        .value_kind:     by_value
      - .address_space:  global
        .offset:         56
        .size:           8
        .value_kind:     global_buffer
      - .offset:         64
        .size:           8
        .value_kind:     by_value
      - .offset:         72
        .size:           4
        .value_kind:     by_value
      - .offset:         80
        .size:           8
        .value_kind:     by_value
      - .address_space:  global
        .offset:         88
        .size:           8
        .value_kind:     global_buffer
      - .offset:         96
        .size:           8
        .value_kind:     by_value
      - .address_space:  global
        .offset:         104
        .size:           8
        .value_kind:     global_buffer
      - .offset:         112
        .size:           8
        .value_kind:     by_value
      - .offset:         120
        .size:           4
        .value_kind:     by_value
      - .offset:         128
        .size:           8
        .value_kind:     by_value
      - .offset:         136
        .size:           4
        .value_kind:     by_value
      - .offset:         144
        .size:           4
        .value_kind:     hidden_block_count_x
      - .offset:         148
        .size:           4
        .value_kind:     hidden_block_count_y
      - .offset:         152
        .size:           4
        .value_kind:     hidden_block_count_z
      - .offset:         156
        .size:           2
        .value_kind:     hidden_group_size_x
      - .offset:         158
        .size:           2
        .value_kind:     hidden_group_size_y
      - .offset:         160
        .size:           2
        .value_kind:     hidden_group_size_z
      - .offset:         162
        .size:           2
        .value_kind:     hidden_remainder_x
      - .offset:         164
        .size:           2
        .value_kind:     hidden_remainder_y
      - .offset:         166
        .size:           2
        .value_kind:     hidden_remainder_z
      - .offset:         184
        .size:           8
        .value_kind:     hidden_global_offset_x
      - .offset:         192
        .size:           8
        .value_kind:     hidden_global_offset_y
      - .offset:         200
        .size:           8
        .value_kind:     hidden_global_offset_z
      - .offset:         208
        .size:           2
        .value_kind:     hidden_grid_dims
    .group_segment_fixed_size: 4096
    .kernarg_segment_align: 8
    .kernarg_segment_size: 400
    .language:       OpenCL C
    .language_version:
      - 2
      - 0
    .max_flat_workgroup_size: 256
    .name:           _ZL20rocblas_gemvn_kernelILi64ELi4Ei16rocblas_bfloat16PKfS0_EviiT3_lPKT2_lT1_lS6_lS7_lS3_lPT4_lS7_li
    .private_segment_fixed_size: 0
    .sgpr_count:     57
    .sgpr_spill_count: 0
    .symbol:         _ZL20rocblas_gemvn_kernelILi64ELi4Ei16rocblas_bfloat16PKfS0_EviiT3_lPKT2_lT1_lS6_lS7_lS3_lPT4_lS7_li.kd
    .uniform_work_group_size: 1
    .uses_dynamic_stack: false
    .vgpr_count:     53
    .vgpr_spill_count: 0
    .wavefront_size: 32
    .workgroup_processor_mode: 1
  - .args:
      - .offset:         0
        .size:           4
        .value_kind:     by_value
      - .offset:         4
        .size:           4
        .value_kind:     by_value
      - .address_space:  global
        .offset:         8
        .size:           8
        .value_kind:     global_buffer
      - .offset:         16
        .size:           8
        .value_kind:     by_value
      - .address_space:  global
        .offset:         24
        .size:           8
        .value_kind:     global_buffer
      - .offset:         32
        .size:           8
        .value_kind:     by_value
      - .offset:         40
        .size:           8
        .value_kind:     by_value
      - .offset:         48
        .size:           8
        .value_kind:     by_value
      - .address_space:  global
        .offset:         56
        .size:           8
        .value_kind:     global_buffer
      - .offset:         64
        .size:           8
        .value_kind:     by_value
      - .offset:         72
        .size:           8
        .value_kind:     by_value
      - .offset:         80
        .size:           8
        .value_kind:     by_value
      - .address_space:  global
        .offset:         88
        .size:           8
        .value_kind:     global_buffer
      - .offset:         96
        .size:           8
        .value_kind:     by_value
      - .address_space:  global
        .offset:         104
        .size:           8
        .value_kind:     global_buffer
      - .offset:         112
        .size:           8
        .value_kind:     by_value
      - .offset:         120
        .size:           8
        .value_kind:     by_value
      - .offset:         128
        .size:           8
        .value_kind:     by_value
      - .offset:         136
        .size:           4
        .value_kind:     by_value
      - .offset:         144
        .size:           4
        .value_kind:     hidden_block_count_x
      - .offset:         148
        .size:           4
        .value_kind:     hidden_block_count_y
      - .offset:         152
        .size:           4
        .value_kind:     hidden_block_count_z
      - .offset:         156
        .size:           2
        .value_kind:     hidden_group_size_x
      - .offset:         158
        .size:           2
        .value_kind:     hidden_group_size_y
      - .offset:         160
        .size:           2
        .value_kind:     hidden_group_size_z
      - .offset:         162
        .size:           2
        .value_kind:     hidden_remainder_x
      - .offset:         164
        .size:           2
        .value_kind:     hidden_remainder_y
      - .offset:         166
        .size:           2
        .value_kind:     hidden_remainder_z
      - .offset:         184
        .size:           8
        .value_kind:     hidden_global_offset_x
      - .offset:         192
        .size:           8
        .value_kind:     hidden_global_offset_y
      - .offset:         200
        .size:           8
        .value_kind:     hidden_global_offset_z
      - .offset:         208
        .size:           2
        .value_kind:     hidden_grid_dims
    .group_segment_fixed_size: 4096
    .kernarg_segment_align: 8
    .kernarg_segment_size: 400
    .language:       OpenCL C
    .language_version:
      - 2
      - 0
    .max_flat_workgroup_size: 256
    .name:           _ZL20rocblas_gemvn_kernelILi64ELi4El16rocblas_bfloat16PKfS0_EviiT3_lPKT2_lT1_lS6_lS7_lS3_lPT4_lS7_li
    .private_segment_fixed_size: 0
    .sgpr_count:     62
    .sgpr_spill_count: 0
    .symbol:         _ZL20rocblas_gemvn_kernelILi64ELi4El16rocblas_bfloat16PKfS0_EviiT3_lPKT2_lT1_lS6_lS7_lS3_lPT4_lS7_li.kd
    .uniform_work_group_size: 1
    .uses_dynamic_stack: false
    .vgpr_count:     74
    .vgpr_spill_count: 0
    .wavefront_size: 32
    .workgroup_processor_mode: 1
  - .args:
      - .offset:         0
        .size:           4
        .value_kind:     by_value
      - .offset:         4
        .size:           4
        .value_kind:     by_value
      - .offset:         8
        .size:           4
        .value_kind:     by_value
      - .offset:         16
        .size:           8
        .value_kind:     by_value
      - .address_space:  global
        .offset:         24
        .size:           8
        .value_kind:     global_buffer
      - .offset:         32
        .size:           8
        .value_kind:     by_value
      - .offset:         40
        .size:           4
        .value_kind:     by_value
      - .offset:         48
        .size:           8
        .value_kind:     by_value
      - .address_space:  global
        .offset:         56
        .size:           8
        .value_kind:     global_buffer
      - .offset:         64
        .size:           8
        .value_kind:     by_value
      - .offset:         72
        .size:           4
        .value_kind:     by_value
      - .offset:         80
        .size:           8
        .value_kind:     by_value
      - .offset:         88
        .size:           4
        .value_kind:     by_value
      - .offset:         96
        .size:           8
        .value_kind:     by_value
      - .address_space:  global
        .offset:         104
        .size:           8
        .value_kind:     global_buffer
      - .offset:         112
        .size:           8
        .value_kind:     by_value
      - .offset:         120
        .size:           4
        .value_kind:     by_value
      - .offset:         128
        .size:           8
        .value_kind:     by_value
      - .offset:         136
        .size:           4
        .value_kind:     by_value
      - .offset:         144
        .size:           4
        .value_kind:     hidden_block_count_x
      - .offset:         148
        .size:           4
        .value_kind:     hidden_block_count_y
      - .offset:         152
        .size:           4
        .value_kind:     hidden_block_count_z
      - .offset:         156
        .size:           2
        .value_kind:     hidden_group_size_x
      - .offset:         158
        .size:           2
        .value_kind:     hidden_group_size_y
      - .offset:         160
        .size:           2
        .value_kind:     hidden_group_size_z
      - .offset:         162
        .size:           2
        .value_kind:     hidden_remainder_x
      - .offset:         164
        .size:           2
        .value_kind:     hidden_remainder_y
      - .offset:         166
        .size:           2
        .value_kind:     hidden_remainder_z
      - .offset:         184
        .size:           8
        .value_kind:     hidden_global_offset_x
      - .offset:         192
        .size:           8
        .value_kind:     hidden_global_offset_y
      - .offset:         200
        .size:           8
        .value_kind:     hidden_global_offset_z
      - .offset:         208
        .size:           2
        .value_kind:     hidden_grid_dims
    .group_segment_fixed_size: 4096
    .kernarg_segment_align: 8
    .kernarg_segment_size: 400
    .language:       OpenCL C
    .language_version:
      - 2
      - 0
    .max_flat_workgroup_size: 256
    .name:           _ZL20rocblas_gemvn_kernelILi64ELi4Ei16rocblas_bfloat16fS0_EviiT3_lPKT2_lT1_lS4_lS5_lS1_lPT4_lS5_li
    .private_segment_fixed_size: 0
    .sgpr_count:     54
    .sgpr_spill_count: 0
    .symbol:         _ZL20rocblas_gemvn_kernelILi64ELi4Ei16rocblas_bfloat16fS0_EviiT3_lPKT2_lT1_lS4_lS5_lS1_lPT4_lS5_li.kd
    .uniform_work_group_size: 1
    .uses_dynamic_stack: false
    .vgpr_count:     51
    .vgpr_spill_count: 0
    .wavefront_size: 32
    .workgroup_processor_mode: 1
  - .args:
      - .offset:         0
        .size:           4
        .value_kind:     by_value
      - .offset:         4
        .size:           4
        .value_kind:     by_value
      - .offset:         8
        .size:           4
        .value_kind:     by_value
      - .offset:         16
        .size:           8
        .value_kind:     by_value
      - .address_space:  global
        .offset:         24
        .size:           8
        .value_kind:     global_buffer
      - .offset:         32
        .size:           8
        .value_kind:     by_value
      - .offset:         40
        .size:           8
        .value_kind:     by_value
      - .offset:         48
        .size:           8
        .value_kind:     by_value
      - .address_space:  global
        .offset:         56
        .size:           8
        .value_kind:     global_buffer
      - .offset:         64
        .size:           8
        .value_kind:     by_value
      - .offset:         72
        .size:           8
        .value_kind:     by_value
      - .offset:         80
        .size:           8
        .value_kind:     by_value
      - .offset:         88
        .size:           4
        .value_kind:     by_value
      - .offset:         96
        .size:           8
        .value_kind:     by_value
      - .address_space:  global
        .offset:         104
        .size:           8
        .value_kind:     global_buffer
      - .offset:         112
        .size:           8
        .value_kind:     by_value
      - .offset:         120
        .size:           8
        .value_kind:     by_value
      - .offset:         128
        .size:           8
        .value_kind:     by_value
      - .offset:         136
        .size:           4
        .value_kind:     by_value
      - .offset:         144
        .size:           4
        .value_kind:     hidden_block_count_x
      - .offset:         148
        .size:           4
        .value_kind:     hidden_block_count_y
      - .offset:         152
        .size:           4
        .value_kind:     hidden_block_count_z
      - .offset:         156
        .size:           2
        .value_kind:     hidden_group_size_x
      - .offset:         158
        .size:           2
        .value_kind:     hidden_group_size_y
      - .offset:         160
        .size:           2
        .value_kind:     hidden_group_size_z
      - .offset:         162
        .size:           2
        .value_kind:     hidden_remainder_x
      - .offset:         164
        .size:           2
        .value_kind:     hidden_remainder_y
      - .offset:         166
        .size:           2
        .value_kind:     hidden_remainder_z
      - .offset:         184
        .size:           8
        .value_kind:     hidden_global_offset_x
      - .offset:         192
        .size:           8
        .value_kind:     hidden_global_offset_y
      - .offset:         200
        .size:           8
        .value_kind:     hidden_global_offset_z
      - .offset:         208
        .size:           2
        .value_kind:     hidden_grid_dims
    .group_segment_fixed_size: 4096
    .kernarg_segment_align: 8
    .kernarg_segment_size: 400
    .language:       OpenCL C
    .language_version:
      - 2
      - 0
    .max_flat_workgroup_size: 256
    .name:           _ZL20rocblas_gemvn_kernelILi64ELi4El16rocblas_bfloat16fS0_EviiT3_lPKT2_lT1_lS4_lS5_lS1_lPT4_lS5_li
    .private_segment_fixed_size: 0
    .sgpr_count:     60
    .sgpr_spill_count: 0
    .symbol:         _ZL20rocblas_gemvn_kernelILi64ELi4El16rocblas_bfloat16fS0_EviiT3_lPKT2_lT1_lS4_lS5_lS1_lPT4_lS5_li.kd
    .uniform_work_group_size: 1
    .uses_dynamic_stack: false
    .vgpr_count:     72
    .vgpr_spill_count: 0
    .wavefront_size: 32
    .workgroup_processor_mode: 1
  - .args:
      - .offset:         0
        .size:           4
        .value_kind:     by_value
      - .offset:         4
        .size:           4
        .value_kind:     by_value
      - .address_space:  global
        .offset:         8
        .size:           8
        .value_kind:     global_buffer
      - .offset:         16
        .size:           8
        .value_kind:     by_value
      - .address_space:  global
        .offset:         24
        .size:           8
        .value_kind:     global_buffer
      - .offset:         32
        .size:           8
        .value_kind:     by_value
      - .offset:         40
        .size:           4
        .value_kind:     by_value
      - .offset:         48
        .size:           8
        .value_kind:     by_value
      - .address_space:  global
        .offset:         56
        .size:           8
        .value_kind:     global_buffer
      - .offset:         64
        .size:           8
        .value_kind:     by_value
      - .offset:         72
        .size:           4
        .value_kind:     by_value
      - .offset:         80
        .size:           8
        .value_kind:     by_value
      - .address_space:  global
        .offset:         88
        .size:           8
        .value_kind:     global_buffer
      - .offset:         96
        .size:           8
        .value_kind:     by_value
      - .address_space:  global
        .offset:         104
        .size:           8
        .value_kind:     global_buffer
      - .offset:         112
        .size:           8
        .value_kind:     by_value
      - .offset:         120
        .size:           4
        .value_kind:     by_value
      - .offset:         128
        .size:           8
        .value_kind:     by_value
      - .offset:         136
        .size:           4
        .value_kind:     by_value
      - .offset:         144
        .size:           4
        .value_kind:     hidden_block_count_x
      - .offset:         148
        .size:           4
        .value_kind:     hidden_block_count_y
      - .offset:         152
        .size:           4
        .value_kind:     hidden_block_count_z
      - .offset:         156
        .size:           2
        .value_kind:     hidden_group_size_x
      - .offset:         158
        .size:           2
        .value_kind:     hidden_group_size_y
      - .offset:         160
        .size:           2
        .value_kind:     hidden_group_size_z
      - .offset:         162
        .size:           2
        .value_kind:     hidden_remainder_x
      - .offset:         164
        .size:           2
        .value_kind:     hidden_remainder_y
      - .offset:         166
        .size:           2
        .value_kind:     hidden_remainder_z
      - .offset:         184
        .size:           8
        .value_kind:     hidden_global_offset_x
      - .offset:         192
        .size:           8
        .value_kind:     hidden_global_offset_y
      - .offset:         200
        .size:           8
        .value_kind:     hidden_global_offset_z
      - .offset:         208
        .size:           2
        .value_kind:     hidden_grid_dims
    .group_segment_fixed_size: 8192
    .kernarg_segment_align: 8
    .kernarg_segment_size: 400
    .language:       OpenCL C
    .language_version:
      - 2
      - 0
    .max_flat_workgroup_size: 512
    .name:           _ZL20rocblas_gemvn_kernelILi32ELi16Ei16rocblas_bfloat16PKfS0_EviiT3_lPKT2_lT1_lS6_lS7_lS3_lPT4_lS7_li
    .private_segment_fixed_size: 0
    .sgpr_count:     57
    .sgpr_spill_count: 0
    .symbol:         _ZL20rocblas_gemvn_kernelILi32ELi16Ei16rocblas_bfloat16PKfS0_EviiT3_lPKT2_lT1_lS6_lS7_lS3_lPT4_lS7_li.kd
    .uniform_work_group_size: 1
    .uses_dynamic_stack: false
    .vgpr_count:     55
    .vgpr_spill_count: 0
    .wavefront_size: 32
    .workgroup_processor_mode: 1
  - .args:
      - .offset:         0
        .size:           4
        .value_kind:     by_value
      - .offset:         4
        .size:           4
        .value_kind:     by_value
      - .address_space:  global
        .offset:         8
        .size:           8
        .value_kind:     global_buffer
      - .offset:         16
        .size:           8
        .value_kind:     by_value
      - .address_space:  global
        .offset:         24
        .size:           8
        .value_kind:     global_buffer
      - .offset:         32
        .size:           8
        .value_kind:     by_value
      - .offset:         40
        .size:           8
        .value_kind:     by_value
      - .offset:         48
        .size:           8
        .value_kind:     by_value
      - .address_space:  global
        .offset:         56
        .size:           8
        .value_kind:     global_buffer
      - .offset:         64
        .size:           8
        .value_kind:     by_value
      - .offset:         72
        .size:           8
        .value_kind:     by_value
      - .offset:         80
        .size:           8
        .value_kind:     by_value
      - .address_space:  global
        .offset:         88
        .size:           8
        .value_kind:     global_buffer
      - .offset:         96
        .size:           8
        .value_kind:     by_value
      - .address_space:  global
        .offset:         104
        .size:           8
        .value_kind:     global_buffer
      - .offset:         112
        .size:           8
        .value_kind:     by_value
      - .offset:         120
        .size:           8
        .value_kind:     by_value
      - .offset:         128
        .size:           8
        .value_kind:     by_value
      - .offset:         136
        .size:           4
        .value_kind:     by_value
      - .offset:         144
        .size:           4
        .value_kind:     hidden_block_count_x
      - .offset:         148
        .size:           4
        .value_kind:     hidden_block_count_y
      - .offset:         152
        .size:           4
        .value_kind:     hidden_block_count_z
      - .offset:         156
        .size:           2
        .value_kind:     hidden_group_size_x
      - .offset:         158
        .size:           2
        .value_kind:     hidden_group_size_y
      - .offset:         160
        .size:           2
        .value_kind:     hidden_group_size_z
      - .offset:         162
        .size:           2
        .value_kind:     hidden_remainder_x
      - .offset:         164
        .size:           2
        .value_kind:     hidden_remainder_y
      - .offset:         166
        .size:           2
        .value_kind:     hidden_remainder_z
      - .offset:         184
        .size:           8
        .value_kind:     hidden_global_offset_x
      - .offset:         192
        .size:           8
        .value_kind:     hidden_global_offset_y
      - .offset:         200
        .size:           8
        .value_kind:     hidden_global_offset_z
      - .offset:         208
        .size:           2
        .value_kind:     hidden_grid_dims
    .group_segment_fixed_size: 8192
    .kernarg_segment_align: 8
    .kernarg_segment_size: 400
    .language:       OpenCL C
    .language_version:
      - 2
      - 0
    .max_flat_workgroup_size: 512
    .name:           _ZL20rocblas_gemvn_kernelILi32ELi16El16rocblas_bfloat16PKfS0_EviiT3_lPKT2_lT1_lS6_lS7_lS3_lPT4_lS7_li
    .private_segment_fixed_size: 0
    .sgpr_count:     62
    .sgpr_spill_count: 0
    .symbol:         _ZL20rocblas_gemvn_kernelILi32ELi16El16rocblas_bfloat16PKfS0_EviiT3_lPKT2_lT1_lS6_lS7_lS3_lPT4_lS7_li.kd
    .uniform_work_group_size: 1
    .uses_dynamic_stack: false
    .vgpr_count:     74
    .vgpr_spill_count: 0
    .wavefront_size: 32
    .workgroup_processor_mode: 1
  - .args:
      - .offset:         0
        .size:           4
        .value_kind:     by_value
      - .offset:         4
        .size:           4
        .value_kind:     by_value
      - .offset:         8
        .size:           4
        .value_kind:     by_value
      - .offset:         16
        .size:           8
        .value_kind:     by_value
      - .address_space:  global
        .offset:         24
        .size:           8
        .value_kind:     global_buffer
      - .offset:         32
        .size:           8
        .value_kind:     by_value
      - .offset:         40
        .size:           4
        .value_kind:     by_value
      - .offset:         48
        .size:           8
        .value_kind:     by_value
      - .address_space:  global
        .offset:         56
        .size:           8
        .value_kind:     global_buffer
      - .offset:         64
        .size:           8
        .value_kind:     by_value
      - .offset:         72
        .size:           4
        .value_kind:     by_value
      - .offset:         80
        .size:           8
        .value_kind:     by_value
      - .offset:         88
        .size:           4
        .value_kind:     by_value
      - .offset:         96
        .size:           8
        .value_kind:     by_value
      - .address_space:  global
        .offset:         104
        .size:           8
        .value_kind:     global_buffer
      - .offset:         112
        .size:           8
        .value_kind:     by_value
      - .offset:         120
        .size:           4
        .value_kind:     by_value
      - .offset:         128
        .size:           8
        .value_kind:     by_value
      - .offset:         136
        .size:           4
        .value_kind:     by_value
      - .offset:         144
        .size:           4
        .value_kind:     hidden_block_count_x
      - .offset:         148
        .size:           4
        .value_kind:     hidden_block_count_y
      - .offset:         152
        .size:           4
        .value_kind:     hidden_block_count_z
      - .offset:         156
        .size:           2
        .value_kind:     hidden_group_size_x
      - .offset:         158
        .size:           2
        .value_kind:     hidden_group_size_y
      - .offset:         160
        .size:           2
        .value_kind:     hidden_group_size_z
      - .offset:         162
        .size:           2
        .value_kind:     hidden_remainder_x
      - .offset:         164
        .size:           2
        .value_kind:     hidden_remainder_y
      - .offset:         166
        .size:           2
        .value_kind:     hidden_remainder_z
      - .offset:         184
        .size:           8
        .value_kind:     hidden_global_offset_x
      - .offset:         192
        .size:           8
        .value_kind:     hidden_global_offset_y
      - .offset:         200
        .size:           8
        .value_kind:     hidden_global_offset_z
      - .offset:         208
        .size:           2
        .value_kind:     hidden_grid_dims
    .group_segment_fixed_size: 8192
    .kernarg_segment_align: 8
    .kernarg_segment_size: 400
    .language:       OpenCL C
    .language_version:
      - 2
      - 0
    .max_flat_workgroup_size: 512
    .name:           _ZL20rocblas_gemvn_kernelILi32ELi16Ei16rocblas_bfloat16fS0_EviiT3_lPKT2_lT1_lS4_lS5_lS1_lPT4_lS5_li
    .private_segment_fixed_size: 0
    .sgpr_count:     54
    .sgpr_spill_count: 0
    .symbol:         _ZL20rocblas_gemvn_kernelILi32ELi16Ei16rocblas_bfloat16fS0_EviiT3_lPKT2_lT1_lS4_lS5_lS1_lPT4_lS5_li.kd
    .uniform_work_group_size: 1
    .uses_dynamic_stack: false
    .vgpr_count:     53
    .vgpr_spill_count: 0
    .wavefront_size: 32
    .workgroup_processor_mode: 1
  - .args:
      - .offset:         0
        .size:           4
        .value_kind:     by_value
      - .offset:         4
        .size:           4
        .value_kind:     by_value
      - .offset:         8
        .size:           4
        .value_kind:     by_value
      - .offset:         16
        .size:           8
        .value_kind:     by_value
      - .address_space:  global
        .offset:         24
        .size:           8
        .value_kind:     global_buffer
      - .offset:         32
        .size:           8
        .value_kind:     by_value
      - .offset:         40
        .size:           8
        .value_kind:     by_value
      - .offset:         48
        .size:           8
        .value_kind:     by_value
      - .address_space:  global
        .offset:         56
        .size:           8
        .value_kind:     global_buffer
      - .offset:         64
        .size:           8
        .value_kind:     by_value
      - .offset:         72
        .size:           8
        .value_kind:     by_value
      - .offset:         80
        .size:           8
        .value_kind:     by_value
      - .offset:         88
        .size:           4
        .value_kind:     by_value
      - .offset:         96
        .size:           8
        .value_kind:     by_value
      - .address_space:  global
        .offset:         104
        .size:           8
        .value_kind:     global_buffer
      - .offset:         112
        .size:           8
        .value_kind:     by_value
      - .offset:         120
        .size:           8
        .value_kind:     by_value
      - .offset:         128
        .size:           8
        .value_kind:     by_value
      - .offset:         136
        .size:           4
        .value_kind:     by_value
      - .offset:         144
        .size:           4
        .value_kind:     hidden_block_count_x
      - .offset:         148
        .size:           4
        .value_kind:     hidden_block_count_y
      - .offset:         152
        .size:           4
        .value_kind:     hidden_block_count_z
      - .offset:         156
        .size:           2
        .value_kind:     hidden_group_size_x
      - .offset:         158
        .size:           2
        .value_kind:     hidden_group_size_y
      - .offset:         160
        .size:           2
        .value_kind:     hidden_group_size_z
      - .offset:         162
        .size:           2
        .value_kind:     hidden_remainder_x
      - .offset:         164
        .size:           2
        .value_kind:     hidden_remainder_y
      - .offset:         166
        .size:           2
        .value_kind:     hidden_remainder_z
      - .offset:         184
        .size:           8
        .value_kind:     hidden_global_offset_x
      - .offset:         192
        .size:           8
        .value_kind:     hidden_global_offset_y
      - .offset:         200
        .size:           8
        .value_kind:     hidden_global_offset_z
      - .offset:         208
        .size:           2
        .value_kind:     hidden_grid_dims
    .group_segment_fixed_size: 8192
    .kernarg_segment_align: 8
    .kernarg_segment_size: 400
    .language:       OpenCL C
    .language_version:
      - 2
      - 0
    .max_flat_workgroup_size: 512
    .name:           _ZL20rocblas_gemvn_kernelILi32ELi16El16rocblas_bfloat16fS0_EviiT3_lPKT2_lT1_lS4_lS5_lS1_lPT4_lS5_li
    .private_segment_fixed_size: 0
    .sgpr_count:     60
    .sgpr_spill_count: 0
    .symbol:         _ZL20rocblas_gemvn_kernelILi32ELi16El16rocblas_bfloat16fS0_EviiT3_lPKT2_lT1_lS4_lS5_lS1_lPT4_lS5_li.kd
    .uniform_work_group_size: 1
    .uses_dynamic_stack: false
    .vgpr_count:     72
    .vgpr_spill_count: 0
    .wavefront_size: 32
    .workgroup_processor_mode: 1
  - .args:
      - .offset:         0
        .size:           4
        .value_kind:     by_value
      - .offset:         4
        .size:           4
        .value_kind:     by_value
      - .address_space:  global
        .offset:         8
        .size:           8
        .value_kind:     global_buffer
      - .offset:         16
        .size:           8
        .value_kind:     by_value
      - .address_space:  global
        .offset:         24
        .size:           8
        .value_kind:     global_buffer
      - .offset:         32
        .size:           8
        .value_kind:     by_value
      - .offset:         40
        .size:           4
        .value_kind:     by_value
      - .offset:         48
        .size:           8
        .value_kind:     by_value
      - .address_space:  global
        .offset:         56
        .size:           8
        .value_kind:     global_buffer
      - .offset:         64
        .size:           8
        .value_kind:     by_value
      - .offset:         72
        .size:           4
        .value_kind:     by_value
      - .offset:         80
        .size:           8
        .value_kind:     by_value
      - .address_space:  global
        .offset:         88
        .size:           8
        .value_kind:     global_buffer
      - .offset:         96
        .size:           8
        .value_kind:     by_value
      - .address_space:  global
        .offset:         104
        .size:           8
        .value_kind:     global_buffer
      - .offset:         112
        .size:           8
        .value_kind:     by_value
      - .offset:         120
        .size:           4
        .value_kind:     by_value
      - .offset:         128
        .size:           8
        .value_kind:     by_value
      - .offset:         136
        .size:           4
        .value_kind:     by_value
      - .offset:         144
        .size:           4
        .value_kind:     hidden_block_count_x
      - .offset:         148
        .size:           4
        .value_kind:     hidden_block_count_y
      - .offset:         152
        .size:           4
        .value_kind:     hidden_block_count_z
      - .offset:         156
        .size:           2
        .value_kind:     hidden_group_size_x
      - .offset:         158
        .size:           2
        .value_kind:     hidden_group_size_y
      - .offset:         160
        .size:           2
        .value_kind:     hidden_group_size_z
      - .offset:         162
        .size:           2
        .value_kind:     hidden_remainder_x
      - .offset:         164
        .size:           2
        .value_kind:     hidden_remainder_y
      - .offset:         166
        .size:           2
        .value_kind:     hidden_remainder_z
      - .offset:         184
        .size:           8
        .value_kind:     hidden_global_offset_x
      - .offset:         192
        .size:           8
        .value_kind:     hidden_global_offset_y
      - .offset:         200
        .size:           8
        .value_kind:     hidden_global_offset_z
      - .offset:         208
        .size:           2
        .value_kind:     hidden_grid_dims
    .group_segment_fixed_size: 16384
    .kernarg_segment_align: 8
    .kernarg_segment_size: 400
    .language:       OpenCL C
    .language_version:
      - 2
      - 0
    .max_flat_workgroup_size: 1024
    .name:           _ZL20rocblas_gemvn_kernelILi64ELi16Ei16rocblas_bfloat16PKfS0_EviiT3_lPKT2_lT1_lS6_lS7_lS3_lPT4_lS7_li
    .private_segment_fixed_size: 0
    .sgpr_count:     57
    .sgpr_spill_count: 0
    .symbol:         _ZL20rocblas_gemvn_kernelILi64ELi16Ei16rocblas_bfloat16PKfS0_EviiT3_lPKT2_lT1_lS6_lS7_lS3_lPT4_lS7_li.kd
    .uniform_work_group_size: 1
    .uses_dynamic_stack: false
    .vgpr_count:     53
    .vgpr_spill_count: 0
    .wavefront_size: 32
    .workgroup_processor_mode: 1
  - .args:
      - .offset:         0
        .size:           4
        .value_kind:     by_value
      - .offset:         4
        .size:           4
        .value_kind:     by_value
      - .address_space:  global
        .offset:         8
        .size:           8
        .value_kind:     global_buffer
      - .offset:         16
        .size:           8
        .value_kind:     by_value
      - .address_space:  global
        .offset:         24
        .size:           8
        .value_kind:     global_buffer
      - .offset:         32
        .size:           8
        .value_kind:     by_value
      - .offset:         40
        .size:           8
        .value_kind:     by_value
      - .offset:         48
        .size:           8
        .value_kind:     by_value
      - .address_space:  global
        .offset:         56
        .size:           8
        .value_kind:     global_buffer
      - .offset:         64
        .size:           8
        .value_kind:     by_value
      - .offset:         72
        .size:           8
        .value_kind:     by_value
      - .offset:         80
        .size:           8
        .value_kind:     by_value
      - .address_space:  global
        .offset:         88
        .size:           8
        .value_kind:     global_buffer
      - .offset:         96
        .size:           8
        .value_kind:     by_value
      - .address_space:  global
        .offset:         104
        .size:           8
        .value_kind:     global_buffer
      - .offset:         112
        .size:           8
        .value_kind:     by_value
      - .offset:         120
        .size:           8
        .value_kind:     by_value
      - .offset:         128
        .size:           8
        .value_kind:     by_value
      - .offset:         136
        .size:           4
        .value_kind:     by_value
      - .offset:         144
        .size:           4
        .value_kind:     hidden_block_count_x
      - .offset:         148
        .size:           4
        .value_kind:     hidden_block_count_y
      - .offset:         152
        .size:           4
        .value_kind:     hidden_block_count_z
      - .offset:         156
        .size:           2
        .value_kind:     hidden_group_size_x
      - .offset:         158
        .size:           2
        .value_kind:     hidden_group_size_y
      - .offset:         160
        .size:           2
        .value_kind:     hidden_group_size_z
      - .offset:         162
        .size:           2
        .value_kind:     hidden_remainder_x
      - .offset:         164
        .size:           2
        .value_kind:     hidden_remainder_y
      - .offset:         166
        .size:           2
        .value_kind:     hidden_remainder_z
      - .offset:         184
        .size:           8
        .value_kind:     hidden_global_offset_x
      - .offset:         192
        .size:           8
        .value_kind:     hidden_global_offset_y
      - .offset:         200
        .size:           8
        .value_kind:     hidden_global_offset_z
      - .offset:         208
        .size:           2
        .value_kind:     hidden_grid_dims
    .group_segment_fixed_size: 16384
    .kernarg_segment_align: 8
    .kernarg_segment_size: 400
    .language:       OpenCL C
    .language_version:
      - 2
      - 0
    .max_flat_workgroup_size: 1024
    .name:           _ZL20rocblas_gemvn_kernelILi64ELi16El16rocblas_bfloat16PKfS0_EviiT3_lPKT2_lT1_lS6_lS7_lS3_lPT4_lS7_li
    .private_segment_fixed_size: 0
    .sgpr_count:     62
    .sgpr_spill_count: 0
    .symbol:         _ZL20rocblas_gemvn_kernelILi64ELi16El16rocblas_bfloat16PKfS0_EviiT3_lPKT2_lT1_lS6_lS7_lS3_lPT4_lS7_li.kd
    .uniform_work_group_size: 1
    .uses_dynamic_stack: false
    .vgpr_count:     74
    .vgpr_spill_count: 0
    .wavefront_size: 32
    .workgroup_processor_mode: 1
  - .args:
      - .offset:         0
        .size:           4
        .value_kind:     by_value
      - .offset:         4
        .size:           4
        .value_kind:     by_value
      - .offset:         8
        .size:           4
        .value_kind:     by_value
      - .offset:         16
        .size:           8
        .value_kind:     by_value
      - .address_space:  global
        .offset:         24
        .size:           8
        .value_kind:     global_buffer
      - .offset:         32
        .size:           8
        .value_kind:     by_value
      - .offset:         40
        .size:           4
        .value_kind:     by_value
      - .offset:         48
        .size:           8
        .value_kind:     by_value
      - .address_space:  global
        .offset:         56
        .size:           8
        .value_kind:     global_buffer
      - .offset:         64
        .size:           8
        .value_kind:     by_value
      - .offset:         72
        .size:           4
        .value_kind:     by_value
      - .offset:         80
        .size:           8
        .value_kind:     by_value
      - .offset:         88
        .size:           4
        .value_kind:     by_value
      - .offset:         96
        .size:           8
        .value_kind:     by_value
      - .address_space:  global
        .offset:         104
        .size:           8
        .value_kind:     global_buffer
      - .offset:         112
        .size:           8
        .value_kind:     by_value
      - .offset:         120
        .size:           4
        .value_kind:     by_value
      - .offset:         128
        .size:           8
        .value_kind:     by_value
      - .offset:         136
        .size:           4
        .value_kind:     by_value
      - .offset:         144
        .size:           4
        .value_kind:     hidden_block_count_x
      - .offset:         148
        .size:           4
        .value_kind:     hidden_block_count_y
      - .offset:         152
        .size:           4
        .value_kind:     hidden_block_count_z
      - .offset:         156
        .size:           2
        .value_kind:     hidden_group_size_x
      - .offset:         158
        .size:           2
        .value_kind:     hidden_group_size_y
      - .offset:         160
        .size:           2
        .value_kind:     hidden_group_size_z
      - .offset:         162
        .size:           2
        .value_kind:     hidden_remainder_x
      - .offset:         164
        .size:           2
        .value_kind:     hidden_remainder_y
      - .offset:         166
        .size:           2
        .value_kind:     hidden_remainder_z
      - .offset:         184
        .size:           8
        .value_kind:     hidden_global_offset_x
      - .offset:         192
        .size:           8
        .value_kind:     hidden_global_offset_y
      - .offset:         200
        .size:           8
        .value_kind:     hidden_global_offset_z
      - .offset:         208
        .size:           2
        .value_kind:     hidden_grid_dims
    .group_segment_fixed_size: 16384
    .kernarg_segment_align: 8
    .kernarg_segment_size: 400
    .language:       OpenCL C
    .language_version:
      - 2
      - 0
    .max_flat_workgroup_size: 1024
    .name:           _ZL20rocblas_gemvn_kernelILi64ELi16Ei16rocblas_bfloat16fS0_EviiT3_lPKT2_lT1_lS4_lS5_lS1_lPT4_lS5_li
    .private_segment_fixed_size: 0
    .sgpr_count:     54
    .sgpr_spill_count: 0
    .symbol:         _ZL20rocblas_gemvn_kernelILi64ELi16Ei16rocblas_bfloat16fS0_EviiT3_lPKT2_lT1_lS4_lS5_lS1_lPT4_lS5_li.kd
    .uniform_work_group_size: 1
    .uses_dynamic_stack: false
    .vgpr_count:     51
    .vgpr_spill_count: 0
    .wavefront_size: 32
    .workgroup_processor_mode: 1
  - .args:
      - .offset:         0
        .size:           4
        .value_kind:     by_value
      - .offset:         4
        .size:           4
        .value_kind:     by_value
      - .offset:         8
        .size:           4
        .value_kind:     by_value
      - .offset:         16
        .size:           8
        .value_kind:     by_value
      - .address_space:  global
        .offset:         24
        .size:           8
        .value_kind:     global_buffer
      - .offset:         32
        .size:           8
        .value_kind:     by_value
      - .offset:         40
        .size:           8
        .value_kind:     by_value
      - .offset:         48
        .size:           8
        .value_kind:     by_value
      - .address_space:  global
        .offset:         56
        .size:           8
        .value_kind:     global_buffer
      - .offset:         64
        .size:           8
        .value_kind:     by_value
      - .offset:         72
        .size:           8
        .value_kind:     by_value
      - .offset:         80
        .size:           8
        .value_kind:     by_value
      - .offset:         88
        .size:           4
        .value_kind:     by_value
      - .offset:         96
        .size:           8
        .value_kind:     by_value
      - .address_space:  global
        .offset:         104
        .size:           8
        .value_kind:     global_buffer
      - .offset:         112
        .size:           8
        .value_kind:     by_value
      - .offset:         120
        .size:           8
        .value_kind:     by_value
      - .offset:         128
        .size:           8
        .value_kind:     by_value
      - .offset:         136
        .size:           4
        .value_kind:     by_value
      - .offset:         144
        .size:           4
        .value_kind:     hidden_block_count_x
      - .offset:         148
        .size:           4
        .value_kind:     hidden_block_count_y
      - .offset:         152
        .size:           4
        .value_kind:     hidden_block_count_z
      - .offset:         156
        .size:           2
        .value_kind:     hidden_group_size_x
      - .offset:         158
        .size:           2
        .value_kind:     hidden_group_size_y
      - .offset:         160
        .size:           2
        .value_kind:     hidden_group_size_z
      - .offset:         162
        .size:           2
        .value_kind:     hidden_remainder_x
      - .offset:         164
        .size:           2
        .value_kind:     hidden_remainder_y
      - .offset:         166
        .size:           2
        .value_kind:     hidden_remainder_z
      - .offset:         184
        .size:           8
        .value_kind:     hidden_global_offset_x
      - .offset:         192
        .size:           8
        .value_kind:     hidden_global_offset_y
      - .offset:         200
        .size:           8
        .value_kind:     hidden_global_offset_z
      - .offset:         208
        .size:           2
        .value_kind:     hidden_grid_dims
    .group_segment_fixed_size: 16384
    .kernarg_segment_align: 8
    .kernarg_segment_size: 400
    .language:       OpenCL C
    .language_version:
      - 2
      - 0
    .max_flat_workgroup_size: 1024
    .name:           _ZL20rocblas_gemvn_kernelILi64ELi16El16rocblas_bfloat16fS0_EviiT3_lPKT2_lT1_lS4_lS5_lS1_lPT4_lS5_li
    .private_segment_fixed_size: 0
    .sgpr_count:     60
    .sgpr_spill_count: 0
    .symbol:         _ZL20rocblas_gemvn_kernelILi64ELi16El16rocblas_bfloat16fS0_EviiT3_lPKT2_lT1_lS4_lS5_lS1_lPT4_lS5_li.kd
    .uniform_work_group_size: 1
    .uses_dynamic_stack: false
    .vgpr_count:     72
    .vgpr_spill_count: 0
    .wavefront_size: 32
    .workgroup_processor_mode: 1
  - .args:
      - .offset:         0
        .size:           4
        .value_kind:     by_value
      - .offset:         4
        .size:           4
        .value_kind:     by_value
      - .address_space:  global
        .offset:         8
        .size:           8
        .value_kind:     global_buffer
      - .offset:         16
        .size:           8
        .value_kind:     by_value
      - .address_space:  global
        .offset:         24
        .size:           8
        .value_kind:     global_buffer
      - .offset:         32
        .size:           8
        .value_kind:     by_value
      - .offset:         40
        .size:           4
        .value_kind:     by_value
      - .offset:         48
        .size:           8
        .value_kind:     by_value
      - .address_space:  global
        .offset:         56
        .size:           8
        .value_kind:     global_buffer
      - .offset:         64
        .size:           8
        .value_kind:     by_value
      - .offset:         72
        .size:           4
        .value_kind:     by_value
      - .offset:         80
        .size:           8
        .value_kind:     by_value
      - .address_space:  global
        .offset:         88
        .size:           8
        .value_kind:     global_buffer
      - .offset:         96
        .size:           8
        .value_kind:     by_value
      - .address_space:  global
        .offset:         104
        .size:           8
        .value_kind:     global_buffer
      - .offset:         112
        .size:           8
        .value_kind:     by_value
      - .offset:         120
        .size:           4
        .value_kind:     by_value
      - .offset:         128
        .size:           8
        .value_kind:     by_value
    .group_segment_fixed_size: 256
    .kernarg_segment_align: 8
    .kernarg_segment_size: 136
    .language:       OpenCL C
    .language_version:
      - 2
      - 0
    .max_flat_workgroup_size: 256
    .name:           _ZL22rocblas_gemvtsm_kernelILb0ELi256E16rocblas_bfloat16PKfS0_EviiT2_lPKT1_lilS6_lilS3_lPT3_lil
    .private_segment_fixed_size: 0
    .sgpr_count:     32
    .sgpr_spill_count: 0
    .symbol:         _ZL22rocblas_gemvtsm_kernelILb0ELi256E16rocblas_bfloat16PKfS0_EviiT2_lPKT1_lilS6_lilS3_lPT3_lil.kd
    .uniform_work_group_size: 1
    .uses_dynamic_stack: false
    .vgpr_count:     16
    .vgpr_spill_count: 0
    .wavefront_size: 32
    .workgroup_processor_mode: 1
  - .args:
      - .offset:         0
        .size:           4
        .value_kind:     by_value
      - .offset:         4
        .size:           4
        .value_kind:     by_value
      - .offset:         8
        .size:           4
        .value_kind:     by_value
      - .offset:         16
        .size:           8
        .value_kind:     by_value
      - .address_space:  global
        .offset:         24
        .size:           8
        .value_kind:     global_buffer
      - .offset:         32
        .size:           8
        .value_kind:     by_value
      - .offset:         40
        .size:           4
        .value_kind:     by_value
      - .offset:         48
        .size:           8
        .value_kind:     by_value
      - .address_space:  global
        .offset:         56
        .size:           8
        .value_kind:     global_buffer
      - .offset:         64
        .size:           8
        .value_kind:     by_value
      - .offset:         72
        .size:           4
        .value_kind:     by_value
      - .offset:         80
        .size:           8
        .value_kind:     by_value
      - .offset:         88
        .size:           4
        .value_kind:     by_value
      - .offset:         96
        .size:           8
        .value_kind:     by_value
      - .address_space:  global
        .offset:         104
        .size:           8
        .value_kind:     global_buffer
      - .offset:         112
        .size:           8
        .value_kind:     by_value
      - .offset:         120
        .size:           4
        .value_kind:     by_value
      - .offset:         128
        .size:           8
        .value_kind:     by_value
    .group_segment_fixed_size: 256
    .kernarg_segment_align: 8
    .kernarg_segment_size: 136
    .language:       OpenCL C
    .language_version:
      - 2
      - 0
    .max_flat_workgroup_size: 256
    .name:           _ZL22rocblas_gemvtsm_kernelILb0ELi256E16rocblas_bfloat16fS0_EviiT2_lPKT1_lilS4_lilS1_lPT3_lil
    .private_segment_fixed_size: 0
    .sgpr_count:     28
    .sgpr_spill_count: 0
    .symbol:         _ZL22rocblas_gemvtsm_kernelILb0ELi256E16rocblas_bfloat16fS0_EviiT2_lPKT1_lilS4_lilS1_lPT3_lil.kd
    .uniform_work_group_size: 1
    .uses_dynamic_stack: false
    .vgpr_count:     16
    .vgpr_spill_count: 0
    .wavefront_size: 32
    .workgroup_processor_mode: 1
  - .args:
      - .offset:         0
        .size:           4
        .value_kind:     by_value
      - .offset:         4
        .size:           4
        .value_kind:     by_value
      - .address_space:  global
        .offset:         8
        .size:           8
        .value_kind:     global_buffer
      - .offset:         16
        .size:           8
        .value_kind:     by_value
      - .address_space:  global
        .offset:         24
        .size:           8
        .value_kind:     global_buffer
      - .offset:         32
        .size:           8
        .value_kind:     by_value
      - .offset:         40
        .size:           4
        .value_kind:     by_value
      - .offset:         48
        .size:           8
        .value_kind:     by_value
      - .address_space:  global
        .offset:         56
        .size:           8
        .value_kind:     global_buffer
      - .offset:         64
        .size:           8
        .value_kind:     by_value
      - .offset:         72
        .size:           4
        .value_kind:     by_value
      - .offset:         80
        .size:           8
        .value_kind:     by_value
      - .address_space:  global
        .offset:         88
        .size:           8
        .value_kind:     global_buffer
      - .offset:         96
        .size:           4
        .value_kind:     by_value
      - .offset:         104
        .size:           4
        .value_kind:     hidden_block_count_x
      - .offset:         108
        .size:           4
        .value_kind:     hidden_block_count_y
      - .offset:         112
        .size:           4
        .value_kind:     hidden_block_count_z
      - .offset:         116
        .size:           2
        .value_kind:     hidden_group_size_x
      - .offset:         118
        .size:           2
        .value_kind:     hidden_group_size_y
      - .offset:         120
        .size:           2
        .value_kind:     hidden_group_size_z
      - .offset:         122
        .size:           2
        .value_kind:     hidden_remainder_x
      - .offset:         124
        .size:           2
        .value_kind:     hidden_remainder_y
      - .offset:         126
        .size:           2
        .value_kind:     hidden_remainder_z
      - .offset:         144
        .size:           8
        .value_kind:     hidden_global_offset_x
      - .offset:         152
        .size:           8
        .value_kind:     hidden_global_offset_y
      - .offset:         160
        .size:           8
        .value_kind:     hidden_global_offset_z
      - .offset:         168
        .size:           2
        .value_kind:     hidden_grid_dims
    .group_segment_fixed_size: 128
    .kernarg_segment_align: 8
    .kernarg_segment_size: 360
    .language:       OpenCL C
    .language_version:
      - 2
      - 0
    .max_flat_workgroup_size: 256
    .name:           _ZL23rocblas_gemvt_sn_kernelILb0ELi256ELi4Ei16rocblas_bfloat16PKffEviiT4_lPKT3_lilS6_lilPT5_i
    .private_segment_fixed_size: 0
    .sgpr_count:     80
    .sgpr_spill_count: 0
    .symbol:         _ZL23rocblas_gemvt_sn_kernelILb0ELi256ELi4Ei16rocblas_bfloat16PKffEviiT4_lPKT3_lilS6_lilPT5_i.kd
    .uniform_work_group_size: 1
    .uses_dynamic_stack: false
    .vgpr_count:     55
    .vgpr_spill_count: 0
    .wavefront_size: 32
    .workgroup_processor_mode: 1
  - .args:
      - .offset:         0
        .size:           4
        .value_kind:     by_value
      - .offset:         4
        .size:           4
        .value_kind:     by_value
      - .address_space:  global
        .offset:         8
        .size:           8
        .value_kind:     global_buffer
      - .offset:         16
        .size:           8
        .value_kind:     by_value
      - .address_space:  global
        .offset:         24
        .size:           8
        .value_kind:     global_buffer
      - .offset:         32
        .size:           8
        .value_kind:     by_value
      - .offset:         40
        .size:           4
        .value_kind:     by_value
      - .offset:         48
        .size:           8
        .value_kind:     by_value
      - .address_space:  global
        .offset:         56
        .size:           8
        .value_kind:     global_buffer
      - .offset:         64
        .size:           8
        .value_kind:     by_value
      - .offset:         72
        .size:           4
        .value_kind:     by_value
      - .offset:         80
        .size:           8
        .value_kind:     by_value
      - .address_space:  global
        .offset:         88
        .size:           8
        .value_kind:     global_buffer
      - .offset:         96
        .size:           4
        .value_kind:     by_value
      - .offset:         104
        .size:           4
        .value_kind:     hidden_block_count_x
      - .offset:         108
        .size:           4
        .value_kind:     hidden_block_count_y
      - .offset:         112
        .size:           4
        .value_kind:     hidden_block_count_z
      - .offset:         116
        .size:           2
        .value_kind:     hidden_group_size_x
      - .offset:         118
        .size:           2
        .value_kind:     hidden_group_size_y
      - .offset:         120
        .size:           2
        .value_kind:     hidden_group_size_z
      - .offset:         122
        .size:           2
        .value_kind:     hidden_remainder_x
      - .offset:         124
        .size:           2
        .value_kind:     hidden_remainder_y
      - .offset:         126
        .size:           2
        .value_kind:     hidden_remainder_z
      - .offset:         144
        .size:           8
        .value_kind:     hidden_global_offset_x
      - .offset:         152
        .size:           8
        .value_kind:     hidden_global_offset_y
      - .offset:         160
        .size:           8
        .value_kind:     hidden_global_offset_z
      - .offset:         168
        .size:           2
        .value_kind:     hidden_grid_dims
    .group_segment_fixed_size: 128
    .kernarg_segment_align: 8
    .kernarg_segment_size: 360
    .language:       OpenCL C
    .language_version:
      - 2
      - 0
    .max_flat_workgroup_size: 256
    .name:           _ZL23rocblas_gemvt_sn_kernelILb0ELi256ELi4El16rocblas_bfloat16PKffEviiT4_lPKT3_lilS6_lilPT5_i
    .private_segment_fixed_size: 0
    .sgpr_count:     74
    .sgpr_spill_count: 0
    .symbol:         _ZL23rocblas_gemvt_sn_kernelILb0ELi256ELi4El16rocblas_bfloat16PKffEviiT4_lPKT3_lilS6_lilPT5_i.kd
    .uniform_work_group_size: 1
    .uses_dynamic_stack: false
    .vgpr_count:     57
    .vgpr_spill_count: 0
    .wavefront_size: 32
    .workgroup_processor_mode: 1
  - .args:
      - .offset:         0
        .size:           4
        .value_kind:     by_value
      - .address_space:  global
        .offset:         8
        .size:           8
        .value_kind:     global_buffer
      - .offset:         16
        .size:           8
        .value_kind:     by_value
      - .address_space:  global
        .offset:         24
        .size:           8
        .value_kind:     global_buffer
      - .offset:         32
        .size:           8
        .value_kind:     by_value
      - .offset:         40
        .size:           4
        .value_kind:     by_value
      - .offset:         48
        .size:           8
        .value_kind:     by_value
      - .actual_access:  read_only
        .address_space:  global
        .offset:         56
        .size:           8
        .value_kind:     global_buffer
      - .offset:         64
        .size:           4
        .value_kind:     by_value
      - .offset:         72
        .size:           4
        .value_kind:     hidden_block_count_x
      - .offset:         76
        .size:           4
        .value_kind:     hidden_block_count_y
      - .offset:         80
        .size:           4
        .value_kind:     hidden_block_count_z
      - .offset:         84
        .size:           2
        .value_kind:     hidden_group_size_x
      - .offset:         86
        .size:           2
        .value_kind:     hidden_group_size_y
      - .offset:         88
        .size:           2
        .value_kind:     hidden_group_size_z
      - .offset:         90
        .size:           2
        .value_kind:     hidden_remainder_x
      - .offset:         92
        .size:           2
        .value_kind:     hidden_remainder_y
      - .offset:         94
        .size:           2
        .value_kind:     hidden_remainder_z
      - .offset:         112
        .size:           8
        .value_kind:     hidden_global_offset_x
      - .offset:         120
        .size:           8
        .value_kind:     hidden_global_offset_y
      - .offset:         128
        .size:           8
        .value_kind:     hidden_global_offset_z
      - .offset:         136
        .size:           2
        .value_kind:     hidden_grid_dims
    .group_segment_fixed_size: 128
    .kernarg_segment_align: 8
    .kernarg_segment_size: 328
    .language:       OpenCL C
    .language_version:
      - 2
      - 0
    .max_flat_workgroup_size: 256
    .name:           _ZL23rocblas_gemvt_sn_reduceILi256ELi8EfPKf16rocblas_bfloat16EviT2_lPT3_lilPT1_i
    .private_segment_fixed_size: 0
    .sgpr_count:     40
    .sgpr_spill_count: 0
    .symbol:         _ZL23rocblas_gemvt_sn_reduceILi256ELi8EfPKf16rocblas_bfloat16EviT2_lPT3_lilPT1_i.kd
    .uniform_work_group_size: 1
    .uses_dynamic_stack: false
    .vgpr_count:     26
    .vgpr_spill_count: 0
    .wavefront_size: 32
    .workgroup_processor_mode: 1
  - .args:
      - .offset:         0
        .size:           4
        .value_kind:     by_value
      - .offset:         4
        .size:           4
        .value_kind:     by_value
      - .offset:         8
        .size:           4
        .value_kind:     by_value
      - .offset:         16
        .size:           8
        .value_kind:     by_value
      - .address_space:  global
        .offset:         24
        .size:           8
        .value_kind:     global_buffer
      - .offset:         32
        .size:           8
        .value_kind:     by_value
      - .offset:         40
        .size:           4
        .value_kind:     by_value
      - .offset:         48
        .size:           8
        .value_kind:     by_value
      - .address_space:  global
        .offset:         56
        .size:           8
        .value_kind:     global_buffer
      - .offset:         64
        .size:           8
        .value_kind:     by_value
      - .offset:         72
        .size:           4
        .value_kind:     by_value
      - .offset:         80
        .size:           8
        .value_kind:     by_value
      - .address_space:  global
        .offset:         88
        .size:           8
        .value_kind:     global_buffer
      - .offset:         96
        .size:           4
        .value_kind:     by_value
      - .offset:         104
        .size:           4
        .value_kind:     hidden_block_count_x
      - .offset:         108
        .size:           4
        .value_kind:     hidden_block_count_y
      - .offset:         112
        .size:           4
        .value_kind:     hidden_block_count_z
      - .offset:         116
        .size:           2
        .value_kind:     hidden_group_size_x
      - .offset:         118
        .size:           2
        .value_kind:     hidden_group_size_y
      - .offset:         120
        .size:           2
        .value_kind:     hidden_group_size_z
      - .offset:         122
        .size:           2
        .value_kind:     hidden_remainder_x
      - .offset:         124
        .size:           2
        .value_kind:     hidden_remainder_y
      - .offset:         126
        .size:           2
        .value_kind:     hidden_remainder_z
      - .offset:         144
        .size:           8
        .value_kind:     hidden_global_offset_x
      - .offset:         152
        .size:           8
        .value_kind:     hidden_global_offset_y
      - .offset:         160
        .size:           8
        .value_kind:     hidden_global_offset_z
      - .offset:         168
        .size:           2
        .value_kind:     hidden_grid_dims
    .group_segment_fixed_size: 128
    .kernarg_segment_align: 8
    .kernarg_segment_size: 360
    .language:       OpenCL C
    .language_version:
      - 2
      - 0
    .max_flat_workgroup_size: 256
    .name:           _ZL23rocblas_gemvt_sn_kernelILb0ELi256ELi4Ei16rocblas_bfloat16ffEviiT4_lPKT3_lilS4_lilPT5_i
    .private_segment_fixed_size: 0
    .sgpr_count:     78
    .sgpr_spill_count: 0
    .symbol:         _ZL23rocblas_gemvt_sn_kernelILb0ELi256ELi4Ei16rocblas_bfloat16ffEviiT4_lPKT3_lilS4_lilPT5_i.kd
    .uniform_work_group_size: 1
    .uses_dynamic_stack: false
    .vgpr_count:     54
    .vgpr_spill_count: 0
    .wavefront_size: 32
    .workgroup_processor_mode: 1
  - .args:
      - .offset:         0
        .size:           4
        .value_kind:     by_value
      - .offset:         4
        .size:           4
        .value_kind:     by_value
      - .offset:         8
        .size:           4
        .value_kind:     by_value
      - .offset:         16
        .size:           8
        .value_kind:     by_value
      - .address_space:  global
        .offset:         24
        .size:           8
        .value_kind:     global_buffer
      - .offset:         32
        .size:           8
        .value_kind:     by_value
      - .offset:         40
        .size:           4
        .value_kind:     by_value
      - .offset:         48
        .size:           8
        .value_kind:     by_value
      - .address_space:  global
        .offset:         56
        .size:           8
        .value_kind:     global_buffer
      - .offset:         64
        .size:           8
        .value_kind:     by_value
      - .offset:         72
        .size:           4
        .value_kind:     by_value
      - .offset:         80
        .size:           8
        .value_kind:     by_value
      - .address_space:  global
        .offset:         88
        .size:           8
        .value_kind:     global_buffer
      - .offset:         96
        .size:           4
        .value_kind:     by_value
      - .offset:         104
        .size:           4
        .value_kind:     hidden_block_count_x
      - .offset:         108
        .size:           4
        .value_kind:     hidden_block_count_y
      - .offset:         112
        .size:           4
        .value_kind:     hidden_block_count_z
      - .offset:         116
        .size:           2
        .value_kind:     hidden_group_size_x
      - .offset:         118
        .size:           2
        .value_kind:     hidden_group_size_y
      - .offset:         120
        .size:           2
        .value_kind:     hidden_group_size_z
      - .offset:         122
        .size:           2
        .value_kind:     hidden_remainder_x
      - .offset:         124
        .size:           2
        .value_kind:     hidden_remainder_y
      - .offset:         126
        .size:           2
        .value_kind:     hidden_remainder_z
      - .offset:         144
        .size:           8
        .value_kind:     hidden_global_offset_x
      - .offset:         152
        .size:           8
        .value_kind:     hidden_global_offset_y
      - .offset:         160
        .size:           8
        .value_kind:     hidden_global_offset_z
      - .offset:         168
        .size:           2
        .value_kind:     hidden_grid_dims
    .group_segment_fixed_size: 128
    .kernarg_segment_align: 8
    .kernarg_segment_size: 360
    .language:       OpenCL C
    .language_version:
      - 2
      - 0
    .max_flat_workgroup_size: 256
    .name:           _ZL23rocblas_gemvt_sn_kernelILb0ELi256ELi4El16rocblas_bfloat16ffEviiT4_lPKT3_lilS4_lilPT5_i
    .private_segment_fixed_size: 0
    .sgpr_count:     72
    .sgpr_spill_count: 0
    .symbol:         _ZL23rocblas_gemvt_sn_kernelILb0ELi256ELi4El16rocblas_bfloat16ffEviiT4_lPKT3_lilS4_lilPT5_i.kd
    .uniform_work_group_size: 1
    .uses_dynamic_stack: false
    .vgpr_count:     56
    .vgpr_spill_count: 0
    .wavefront_size: 32
    .workgroup_processor_mode: 1
  - .args:
      - .offset:         0
        .size:           4
        .value_kind:     by_value
      - .offset:         4
        .size:           4
        .value_kind:     by_value
      - .offset:         8
        .size:           8
        .value_kind:     by_value
      - .address_space:  global
        .offset:         16
        .size:           8
        .value_kind:     global_buffer
      - .offset:         24
        .size:           8
        .value_kind:     by_value
      - .offset:         32
        .size:           4
        .value_kind:     by_value
      - .offset:         40
        .size:           8
        .value_kind:     by_value
      - .actual_access:  read_only
        .address_space:  global
        .offset:         48
        .size:           8
        .value_kind:     global_buffer
      - .offset:         56
        .size:           4
        .value_kind:     by_value
      - .offset:         64
        .size:           4
        .value_kind:     hidden_block_count_x
      - .offset:         68
        .size:           4
        .value_kind:     hidden_block_count_y
      - .offset:         72
        .size:           4
        .value_kind:     hidden_block_count_z
      - .offset:         76
        .size:           2
        .value_kind:     hidden_group_size_x
      - .offset:         78
        .size:           2
        .value_kind:     hidden_group_size_y
      - .offset:         80
        .size:           2
        .value_kind:     hidden_group_size_z
      - .offset:         82
        .size:           2
        .value_kind:     hidden_remainder_x
      - .offset:         84
        .size:           2
        .value_kind:     hidden_remainder_y
      - .offset:         86
        .size:           2
        .value_kind:     hidden_remainder_z
      - .offset:         104
        .size:           8
        .value_kind:     hidden_global_offset_x
      - .offset:         112
        .size:           8
        .value_kind:     hidden_global_offset_y
      - .offset:         120
        .size:           8
        .value_kind:     hidden_global_offset_z
      - .offset:         128
        .size:           2
        .value_kind:     hidden_grid_dims
    .group_segment_fixed_size: 128
    .kernarg_segment_align: 8
    .kernarg_segment_size: 320
    .language:       OpenCL C
    .language_version:
      - 2
      - 0
    .max_flat_workgroup_size: 256
    .name:           _ZL23rocblas_gemvt_sn_reduceILi256ELi8Eff16rocblas_bfloat16EviT2_lPT3_lilPT1_i
    .private_segment_fixed_size: 0
    .sgpr_count:     38
    .sgpr_spill_count: 0
    .symbol:         _ZL23rocblas_gemvt_sn_reduceILi256ELi8Eff16rocblas_bfloat16EviT2_lPT3_lilPT1_i.kd
    .uniform_work_group_size: 1
    .uses_dynamic_stack: false
    .vgpr_count:     25
    .vgpr_spill_count: 0
    .wavefront_size: 32
    .workgroup_processor_mode: 1
  - .args:
      - .offset:         0
        .size:           4
        .value_kind:     by_value
      - .offset:         4
        .size:           4
        .value_kind:     by_value
      - .address_space:  global
        .offset:         8
        .size:           8
        .value_kind:     global_buffer
      - .offset:         16
        .size:           8
        .value_kind:     by_value
      - .address_space:  global
        .offset:         24
        .size:           8
        .value_kind:     global_buffer
      - .offset:         32
        .size:           8
        .value_kind:     by_value
      - .offset:         40
        .size:           4
        .value_kind:     by_value
      - .offset:         48
        .size:           8
        .value_kind:     by_value
      - .address_space:  global
        .offset:         56
        .size:           8
        .value_kind:     global_buffer
      - .offset:         64
        .size:           8
        .value_kind:     by_value
      - .offset:         72
        .size:           4
        .value_kind:     by_value
      - .offset:         80
        .size:           8
        .value_kind:     by_value
      - .address_space:  global
        .offset:         88
        .size:           8
        .value_kind:     global_buffer
      - .offset:         96
        .size:           8
        .value_kind:     by_value
      - .address_space:  global
        .offset:         104
        .size:           8
        .value_kind:     global_buffer
      - .offset:         112
        .size:           8
        .value_kind:     by_value
      - .offset:         120
        .size:           4
        .value_kind:     by_value
      - .offset:         128
        .size:           8
        .value_kind:     by_value
      - .offset:         136
        .size:           4
        .value_kind:     by_value
    .group_segment_fixed_size: 128
    .kernarg_segment_align: 8
    .kernarg_segment_size: 140
    .language:       OpenCL C
    .language_version:
      - 2
      - 0
    .max_flat_workgroup_size: 256
    .name:           _ZL32rocblas_gemvt_warp_reduce_kernelILb0ELi256Ei16rocblas_bfloat16PKfS0_EviiT3_lPKT2_lT1_lS6_lS7_lS3_lPT4_lS7_li
    .private_segment_fixed_size: 0
    .sgpr_count:     48
    .sgpr_spill_count: 0
    .symbol:         _ZL32rocblas_gemvt_warp_reduce_kernelILb0ELi256Ei16rocblas_bfloat16PKfS0_EviiT3_lPKT2_lT1_lS6_lS7_lS3_lPT4_lS7_li.kd
    .uniform_work_group_size: 1
    .uses_dynamic_stack: false
    .vgpr_count:     22
    .vgpr_spill_count: 0
    .wavefront_size: 32
    .workgroup_processor_mode: 1
  - .args:
      - .offset:         0
        .size:           4
        .value_kind:     by_value
      - .offset:         4
        .size:           4
        .value_kind:     by_value
      - .address_space:  global
        .offset:         8
        .size:           8
        .value_kind:     global_buffer
      - .offset:         16
        .size:           8
        .value_kind:     by_value
      - .address_space:  global
        .offset:         24
        .size:           8
        .value_kind:     global_buffer
      - .offset:         32
        .size:           8
        .value_kind:     by_value
      - .offset:         40
        .size:           8
        .value_kind:     by_value
      - .offset:         48
        .size:           8
        .value_kind:     by_value
      - .address_space:  global
        .offset:         56
        .size:           8
        .value_kind:     global_buffer
      - .offset:         64
        .size:           8
        .value_kind:     by_value
      - .offset:         72
        .size:           8
        .value_kind:     by_value
      - .offset:         80
        .size:           8
        .value_kind:     by_value
      - .address_space:  global
        .offset:         88
        .size:           8
        .value_kind:     global_buffer
      - .offset:         96
        .size:           8
        .value_kind:     by_value
      - .address_space:  global
        .offset:         104
        .size:           8
        .value_kind:     global_buffer
      - .offset:         112
        .size:           8
        .value_kind:     by_value
      - .offset:         120
        .size:           8
        .value_kind:     by_value
      - .offset:         128
        .size:           8
        .value_kind:     by_value
      - .offset:         136
        .size:           4
        .value_kind:     by_value
    .group_segment_fixed_size: 128
    .kernarg_segment_align: 8
    .kernarg_segment_size: 140
    .language:       OpenCL C
    .language_version:
      - 2
      - 0
    .max_flat_workgroup_size: 256
    .name:           _ZL32rocblas_gemvt_warp_reduce_kernelILb0ELi256El16rocblas_bfloat16PKfS0_EviiT3_lPKT2_lT1_lS6_lS7_lS3_lPT4_lS7_li
    .private_segment_fixed_size: 0
    .sgpr_count:     54
    .sgpr_spill_count: 0
    .symbol:         _ZL32rocblas_gemvt_warp_reduce_kernelILb0ELi256El16rocblas_bfloat16PKfS0_EviiT3_lPKT2_lT1_lS6_lS7_lS3_lPT4_lS7_li.kd
    .uniform_work_group_size: 1
    .uses_dynamic_stack: false
    .vgpr_count:     24
    .vgpr_spill_count: 0
    .wavefront_size: 32
    .workgroup_processor_mode: 1
  - .args:
      - .offset:         0
        .size:           4
        .value_kind:     by_value
      - .offset:         4
        .size:           4
        .value_kind:     by_value
      - .offset:         8
        .size:           4
        .value_kind:     by_value
      - .offset:         16
        .size:           8
        .value_kind:     by_value
      - .address_space:  global
        .offset:         24
        .size:           8
        .value_kind:     global_buffer
      - .offset:         32
        .size:           8
        .value_kind:     by_value
      - .offset:         40
        .size:           4
        .value_kind:     by_value
      - .offset:         48
        .size:           8
        .value_kind:     by_value
      - .address_space:  global
        .offset:         56
        .size:           8
        .value_kind:     global_buffer
      - .offset:         64
        .size:           8
        .value_kind:     by_value
      - .offset:         72
        .size:           4
        .value_kind:     by_value
      - .offset:         80
        .size:           8
        .value_kind:     by_value
      - .offset:         88
        .size:           4
        .value_kind:     by_value
      - .offset:         96
        .size:           8
        .value_kind:     by_value
      - .address_space:  global
        .offset:         104
        .size:           8
        .value_kind:     global_buffer
      - .offset:         112
        .size:           8
        .value_kind:     by_value
      - .offset:         120
        .size:           4
        .value_kind:     by_value
      - .offset:         128
        .size:           8
        .value_kind:     by_value
      - .offset:         136
        .size:           4
        .value_kind:     by_value
    .group_segment_fixed_size: 128
    .kernarg_segment_align: 8
    .kernarg_segment_size: 140
    .language:       OpenCL C
    .language_version:
      - 2
      - 0
    .max_flat_workgroup_size: 256
    .name:           _ZL32rocblas_gemvt_warp_reduce_kernelILb0ELi256Ei16rocblas_bfloat16fS0_EviiT3_lPKT2_lT1_lS4_lS5_lS1_lPT4_lS5_li
    .private_segment_fixed_size: 0
    .sgpr_count:     44
    .sgpr_spill_count: 0
    .symbol:         _ZL32rocblas_gemvt_warp_reduce_kernelILb0ELi256Ei16rocblas_bfloat16fS0_EviiT3_lPKT2_lT1_lS4_lS5_lS1_lPT4_lS5_li.kd
    .uniform_work_group_size: 1
    .uses_dynamic_stack: false
    .vgpr_count:     21
    .vgpr_spill_count: 0
    .wavefront_size: 32
    .workgroup_processor_mode: 1
  - .args:
      - .offset:         0
        .size:           4
        .value_kind:     by_value
      - .offset:         4
        .size:           4
        .value_kind:     by_value
      - .offset:         8
        .size:           4
        .value_kind:     by_value
      - .offset:         16
        .size:           8
        .value_kind:     by_value
      - .address_space:  global
        .offset:         24
        .size:           8
        .value_kind:     global_buffer
      - .offset:         32
        .size:           8
        .value_kind:     by_value
      - .offset:         40
        .size:           8
        .value_kind:     by_value
      - .offset:         48
        .size:           8
        .value_kind:     by_value
      - .address_space:  global
        .offset:         56
        .size:           8
        .value_kind:     global_buffer
      - .offset:         64
        .size:           8
        .value_kind:     by_value
      - .offset:         72
        .size:           8
        .value_kind:     by_value
      - .offset:         80
        .size:           8
        .value_kind:     by_value
      - .offset:         88
        .size:           4
        .value_kind:     by_value
      - .offset:         96
        .size:           8
        .value_kind:     by_value
      - .address_space:  global
        .offset:         104
        .size:           8
        .value_kind:     global_buffer
      - .offset:         112
        .size:           8
        .value_kind:     by_value
      - .offset:         120
        .size:           8
        .value_kind:     by_value
      - .offset:         128
        .size:           8
        .value_kind:     by_value
      - .offset:         136
        .size:           4
        .value_kind:     by_value
    .group_segment_fixed_size: 128
    .kernarg_segment_align: 8
    .kernarg_segment_size: 140
    .language:       OpenCL C
    .language_version:
      - 2
      - 0
    .max_flat_workgroup_size: 256
    .name:           _ZL32rocblas_gemvt_warp_reduce_kernelILb0ELi256El16rocblas_bfloat16fS0_EviiT3_lPKT2_lT1_lS4_lS5_lS1_lPT4_lS5_li
    .private_segment_fixed_size: 0
    .sgpr_count:     48
    .sgpr_spill_count: 0
    .symbol:         _ZL32rocblas_gemvt_warp_reduce_kernelILb0ELi256El16rocblas_bfloat16fS0_EviiT3_lPKT2_lT1_lS4_lS5_lS1_lPT4_lS5_li.kd
    .uniform_work_group_size: 1
    .uses_dynamic_stack: false
    .vgpr_count:     23
    .vgpr_spill_count: 0
    .wavefront_size: 32
    .workgroup_processor_mode: 1
  - .args:
      - .offset:         0
        .size:           4
        .value_kind:     by_value
      - .offset:         4
        .size:           4
        .value_kind:     by_value
      - .address_space:  global
        .offset:         8
        .size:           8
        .value_kind:     global_buffer
      - .offset:         16
        .size:           8
        .value_kind:     by_value
      - .address_space:  global
        .offset:         24
        .size:           8
        .value_kind:     global_buffer
      - .offset:         32
        .size:           8
        .value_kind:     by_value
      - .offset:         40
        .size:           4
        .value_kind:     by_value
      - .offset:         48
        .size:           8
        .value_kind:     by_value
      - .address_space:  global
        .offset:         56
        .size:           8
        .value_kind:     global_buffer
      - .offset:         64
        .size:           8
        .value_kind:     by_value
      - .offset:         72
        .size:           4
        .value_kind:     by_value
      - .offset:         80
        .size:           8
        .value_kind:     by_value
      - .address_space:  global
        .offset:         88
        .size:           8
        .value_kind:     global_buffer
      - .offset:         96
        .size:           8
        .value_kind:     by_value
      - .address_space:  global
        .offset:         104
        .size:           8
        .value_kind:     global_buffer
      - .offset:         112
        .size:           8
        .value_kind:     by_value
      - .offset:         120
        .size:           4
        .value_kind:     by_value
      - .offset:         128
        .size:           8
        .value_kind:     by_value
      - .offset:         136
        .size:           4
        .value_kind:     by_value
    .group_segment_fixed_size: 1024
    .kernarg_segment_align: 8
    .kernarg_segment_size: 140
    .language:       OpenCL C
    .language_version:
      - 2
      - 0
    .max_flat_workgroup_size: 256
    .name:           _ZL20rocblas_gemvt_kernelILb0ELi256E16rocblas_bfloat16PKfS0_EviiT2_lPKT1_lilS6_lilS3_lPT3_lili
    .private_segment_fixed_size: 0
    .sgpr_count:     54
    .sgpr_spill_count: 0
    .symbol:         _ZL20rocblas_gemvt_kernelILb0ELi256E16rocblas_bfloat16PKfS0_EviiT2_lPKT1_lilS6_lilS3_lPT3_lili.kd
    .uniform_work_group_size: 1
    .uses_dynamic_stack: false
    .vgpr_count:     18
    .vgpr_spill_count: 0
    .wavefront_size: 32
    .workgroup_processor_mode: 1
  - .args:
      - .offset:         0
        .size:           4
        .value_kind:     by_value
      - .offset:         4
        .size:           4
        .value_kind:     by_value
      - .offset:         8
        .size:           4
        .value_kind:     by_value
      - .offset:         16
        .size:           8
        .value_kind:     by_value
      - .address_space:  global
        .offset:         24
        .size:           8
        .value_kind:     global_buffer
      - .offset:         32
        .size:           8
        .value_kind:     by_value
      - .offset:         40
        .size:           4
        .value_kind:     by_value
      - .offset:         48
        .size:           8
        .value_kind:     by_value
      - .address_space:  global
        .offset:         56
        .size:           8
        .value_kind:     global_buffer
      - .offset:         64
        .size:           8
        .value_kind:     by_value
      - .offset:         72
        .size:           4
        .value_kind:     by_value
      - .offset:         80
        .size:           8
        .value_kind:     by_value
      - .offset:         88
        .size:           4
        .value_kind:     by_value
      - .offset:         96
        .size:           8
        .value_kind:     by_value
      - .address_space:  global
        .offset:         104
        .size:           8
        .value_kind:     global_buffer
      - .offset:         112
        .size:           8
        .value_kind:     by_value
      - .offset:         120
        .size:           4
        .value_kind:     by_value
      - .offset:         128
        .size:           8
        .value_kind:     by_value
      - .offset:         136
        .size:           4
        .value_kind:     by_value
    .group_segment_fixed_size: 1024
    .kernarg_segment_align: 8
    .kernarg_segment_size: 140
    .language:       OpenCL C
    .language_version:
      - 2
      - 0
    .max_flat_workgroup_size: 256
    .name:           _ZL20rocblas_gemvt_kernelILb0ELi256E16rocblas_bfloat16fS0_EviiT2_lPKT1_lilS4_lilS1_lPT3_lili
    .private_segment_fixed_size: 0
    .sgpr_count:     52
    .sgpr_spill_count: 0
    .symbol:         _ZL20rocblas_gemvt_kernelILb0ELi256E16rocblas_bfloat16fS0_EviiT2_lPKT1_lilS4_lilS1_lPT3_lili.kd
    .uniform_work_group_size: 1
    .uses_dynamic_stack: false
    .vgpr_count:     18
    .vgpr_spill_count: 0
    .wavefront_size: 32
    .workgroup_processor_mode: 1
  - .args:
      - .offset:         0
        .size:           4
        .value_kind:     by_value
      - .offset:         4
        .size:           4
        .value_kind:     by_value
      - .address_space:  global
        .offset:         8
        .size:           8
        .value_kind:     global_buffer
      - .offset:         16
        .size:           8
        .value_kind:     by_value
      - .address_space:  global
        .offset:         24
        .size:           8
        .value_kind:     global_buffer
      - .offset:         32
        .size:           8
        .value_kind:     by_value
      - .offset:         40
        .size:           4
        .value_kind:     by_value
      - .offset:         48
        .size:           8
        .value_kind:     by_value
      - .address_space:  global
        .offset:         56
        .size:           8
        .value_kind:     global_buffer
      - .offset:         64
        .size:           8
        .value_kind:     by_value
      - .offset:         72
        .size:           4
        .value_kind:     by_value
      - .offset:         80
        .size:           8
        .value_kind:     by_value
      - .address_space:  global
        .offset:         88
        .size:           8
        .value_kind:     global_buffer
      - .offset:         96
        .size:           8
        .value_kind:     by_value
      - .address_space:  global
        .offset:         104
        .size:           8
        .value_kind:     global_buffer
      - .offset:         112
        .size:           8
        .value_kind:     by_value
      - .offset:         120
        .size:           4
        .value_kind:     by_value
      - .offset:         128
        .size:           8
        .value_kind:     by_value
      - .offset:         136
        .size:           4
        .value_kind:     by_value
    .group_segment_fixed_size: 128
    .kernarg_segment_align: 8
    .kernarg_segment_size: 140
    .language:       OpenCL C
    .language_version:
      - 2
      - 0
    .max_flat_workgroup_size: 1024
    .name:           _ZL32rocblas_gemvt_warp_reduce_kernelILb0ELi1024Ei16rocblas_bfloat16PKfS0_EviiT3_lPKT2_lT1_lS6_lS7_lS3_lPT4_lS7_li
    .private_segment_fixed_size: 0
    .sgpr_count:     46
    .sgpr_spill_count: 0
    .symbol:         _ZL32rocblas_gemvt_warp_reduce_kernelILb0ELi1024Ei16rocblas_bfloat16PKfS0_EviiT3_lPKT2_lT1_lS6_lS7_lS3_lPT4_lS7_li.kd
    .uniform_work_group_size: 1
    .uses_dynamic_stack: false
    .vgpr_count:     22
    .vgpr_spill_count: 0
    .wavefront_size: 32
    .workgroup_processor_mode: 1
  - .args:
      - .offset:         0
        .size:           4
        .value_kind:     by_value
      - .offset:         4
        .size:           4
        .value_kind:     by_value
      - .address_space:  global
        .offset:         8
        .size:           8
        .value_kind:     global_buffer
      - .offset:         16
        .size:           8
        .value_kind:     by_value
      - .address_space:  global
        .offset:         24
        .size:           8
        .value_kind:     global_buffer
      - .offset:         32
        .size:           8
        .value_kind:     by_value
      - .offset:         40
        .size:           8
        .value_kind:     by_value
      - .offset:         48
        .size:           8
        .value_kind:     by_value
      - .address_space:  global
        .offset:         56
        .size:           8
        .value_kind:     global_buffer
      - .offset:         64
        .size:           8
        .value_kind:     by_value
      - .offset:         72
        .size:           8
        .value_kind:     by_value
      - .offset:         80
        .size:           8
        .value_kind:     by_value
      - .address_space:  global
        .offset:         88
        .size:           8
        .value_kind:     global_buffer
      - .offset:         96
        .size:           8
        .value_kind:     by_value
      - .address_space:  global
        .offset:         104
        .size:           8
        .value_kind:     global_buffer
      - .offset:         112
        .size:           8
        .value_kind:     by_value
      - .offset:         120
        .size:           8
        .value_kind:     by_value
      - .offset:         128
        .size:           8
        .value_kind:     by_value
      - .offset:         136
        .size:           4
        .value_kind:     by_value
    .group_segment_fixed_size: 128
    .kernarg_segment_align: 8
    .kernarg_segment_size: 140
    .language:       OpenCL C
    .language_version:
      - 2
      - 0
    .max_flat_workgroup_size: 1024
    .name:           _ZL32rocblas_gemvt_warp_reduce_kernelILb0ELi1024El16rocblas_bfloat16PKfS0_EviiT3_lPKT2_lT1_lS6_lS7_lS3_lPT4_lS7_li
    .private_segment_fixed_size: 0
    .sgpr_count:     54
    .sgpr_spill_count: 0
    .symbol:         _ZL32rocblas_gemvt_warp_reduce_kernelILb0ELi1024El16rocblas_bfloat16PKfS0_EviiT3_lPKT2_lT1_lS6_lS7_lS3_lPT4_lS7_li.kd
    .uniform_work_group_size: 1
    .uses_dynamic_stack: false
    .vgpr_count:     24
    .vgpr_spill_count: 0
    .wavefront_size: 32
    .workgroup_processor_mode: 1
  - .args:
      - .offset:         0
        .size:           4
        .value_kind:     by_value
      - .offset:         4
        .size:           4
        .value_kind:     by_value
      - .offset:         8
        .size:           4
        .value_kind:     by_value
      - .offset:         16
        .size:           8
        .value_kind:     by_value
      - .address_space:  global
        .offset:         24
        .size:           8
        .value_kind:     global_buffer
      - .offset:         32
        .size:           8
        .value_kind:     by_value
      - .offset:         40
        .size:           4
        .value_kind:     by_value
      - .offset:         48
        .size:           8
        .value_kind:     by_value
      - .address_space:  global
        .offset:         56
        .size:           8
        .value_kind:     global_buffer
      - .offset:         64
        .size:           8
        .value_kind:     by_value
      - .offset:         72
        .size:           4
        .value_kind:     by_value
      - .offset:         80
        .size:           8
        .value_kind:     by_value
      - .offset:         88
        .size:           4
        .value_kind:     by_value
      - .offset:         96
        .size:           8
        .value_kind:     by_value
      - .address_space:  global
        .offset:         104
        .size:           8
        .value_kind:     global_buffer
      - .offset:         112
        .size:           8
        .value_kind:     by_value
      - .offset:         120
        .size:           4
        .value_kind:     by_value
      - .offset:         128
        .size:           8
        .value_kind:     by_value
      - .offset:         136
        .size:           4
        .value_kind:     by_value
    .group_segment_fixed_size: 128
    .kernarg_segment_align: 8
    .kernarg_segment_size: 140
    .language:       OpenCL C
    .language_version:
      - 2
      - 0
    .max_flat_workgroup_size: 1024
    .name:           _ZL32rocblas_gemvt_warp_reduce_kernelILb0ELi1024Ei16rocblas_bfloat16fS0_EviiT3_lPKT2_lT1_lS4_lS5_lS1_lPT4_lS5_li
    .private_segment_fixed_size: 0
    .sgpr_count:     44
    .sgpr_spill_count: 0
    .symbol:         _ZL32rocblas_gemvt_warp_reduce_kernelILb0ELi1024Ei16rocblas_bfloat16fS0_EviiT3_lPKT2_lT1_lS4_lS5_lS1_lPT4_lS5_li.kd
    .uniform_work_group_size: 1
    .uses_dynamic_stack: false
    .vgpr_count:     21
    .vgpr_spill_count: 0
    .wavefront_size: 32
    .workgroup_processor_mode: 1
  - .args:
      - .offset:         0
        .size:           4
        .value_kind:     by_value
      - .offset:         4
        .size:           4
        .value_kind:     by_value
      - .offset:         8
        .size:           4
        .value_kind:     by_value
      - .offset:         16
        .size:           8
        .value_kind:     by_value
      - .address_space:  global
        .offset:         24
        .size:           8
        .value_kind:     global_buffer
      - .offset:         32
        .size:           8
        .value_kind:     by_value
      - .offset:         40
        .size:           8
        .value_kind:     by_value
      - .offset:         48
        .size:           8
        .value_kind:     by_value
      - .address_space:  global
        .offset:         56
        .size:           8
        .value_kind:     global_buffer
      - .offset:         64
        .size:           8
        .value_kind:     by_value
      - .offset:         72
        .size:           8
        .value_kind:     by_value
      - .offset:         80
        .size:           8
        .value_kind:     by_value
      - .offset:         88
        .size:           4
        .value_kind:     by_value
      - .offset:         96
        .size:           8
        .value_kind:     by_value
      - .address_space:  global
        .offset:         104
        .size:           8
        .value_kind:     global_buffer
      - .offset:         112
        .size:           8
        .value_kind:     by_value
      - .offset:         120
        .size:           8
        .value_kind:     by_value
      - .offset:         128
        .size:           8
        .value_kind:     by_value
      - .offset:         136
        .size:           4
        .value_kind:     by_value
    .group_segment_fixed_size: 128
    .kernarg_segment_align: 8
    .kernarg_segment_size: 140
    .language:       OpenCL C
    .language_version:
      - 2
      - 0
    .max_flat_workgroup_size: 1024
    .name:           _ZL32rocblas_gemvt_warp_reduce_kernelILb0ELi1024El16rocblas_bfloat16fS0_EviiT3_lPKT2_lT1_lS4_lS5_lS1_lPT4_lS5_li
    .private_segment_fixed_size: 0
    .sgpr_count:     46
    .sgpr_spill_count: 0
    .symbol:         _ZL32rocblas_gemvt_warp_reduce_kernelILb0ELi1024El16rocblas_bfloat16fS0_EviiT3_lPKT2_lT1_lS4_lS5_lS1_lPT4_lS5_li.kd
    .uniform_work_group_size: 1
    .uses_dynamic_stack: false
    .vgpr_count:     23
    .vgpr_spill_count: 0
    .wavefront_size: 32
    .workgroup_processor_mode: 1
  - .args:
      - .offset:         0
        .size:           4
        .value_kind:     by_value
      - .offset:         4
        .size:           4
        .value_kind:     by_value
      - .address_space:  global
        .offset:         8
        .size:           8
        .value_kind:     global_buffer
      - .offset:         16
        .size:           8
        .value_kind:     by_value
      - .address_space:  global
        .offset:         24
        .size:           8
        .value_kind:     global_buffer
      - .offset:         32
        .size:           8
        .value_kind:     by_value
      - .offset:         40
        .size:           4
        .value_kind:     by_value
      - .offset:         48
        .size:           8
        .value_kind:     by_value
      - .address_space:  global
        .offset:         56
        .size:           8
        .value_kind:     global_buffer
      - .offset:         64
        .size:           8
        .value_kind:     by_value
      - .offset:         72
        .size:           4
        .value_kind:     by_value
      - .offset:         80
        .size:           8
        .value_kind:     by_value
      - .address_space:  global
        .offset:         88
        .size:           8
        .value_kind:     global_buffer
      - .offset:         96
        .size:           8
        .value_kind:     by_value
      - .address_space:  global
        .offset:         104
        .size:           8
        .value_kind:     global_buffer
      - .offset:         112
        .size:           8
        .value_kind:     by_value
      - .offset:         120
        .size:           4
        .value_kind:     by_value
      - .offset:         128
        .size:           8
        .value_kind:     by_value
    .group_segment_fixed_size: 256
    .kernarg_segment_align: 8
    .kernarg_segment_size: 136
    .language:       OpenCL C
    .language_version:
      - 2
      - 0
    .max_flat_workgroup_size: 256
    .name:           _ZL22rocblas_gemvtsm_kernelILb1ELi256E16rocblas_bfloat16PKfS0_EviiT2_lPKT1_lilS6_lilS3_lPT3_lil
    .private_segment_fixed_size: 0
    .sgpr_count:     32
    .sgpr_spill_count: 0
    .symbol:         _ZL22rocblas_gemvtsm_kernelILb1ELi256E16rocblas_bfloat16PKfS0_EviiT2_lPKT1_lilS6_lilS3_lPT3_lil.kd
    .uniform_work_group_size: 1
    .uses_dynamic_stack: false
    .vgpr_count:     16
    .vgpr_spill_count: 0
    .wavefront_size: 32
    .workgroup_processor_mode: 1
  - .args:
      - .offset:         0
        .size:           4
        .value_kind:     by_value
      - .offset:         4
        .size:           4
        .value_kind:     by_value
      - .offset:         8
        .size:           4
        .value_kind:     by_value
      - .offset:         16
        .size:           8
        .value_kind:     by_value
      - .address_space:  global
        .offset:         24
        .size:           8
        .value_kind:     global_buffer
      - .offset:         32
        .size:           8
        .value_kind:     by_value
      - .offset:         40
        .size:           4
        .value_kind:     by_value
      - .offset:         48
        .size:           8
        .value_kind:     by_value
      - .address_space:  global
        .offset:         56
        .size:           8
        .value_kind:     global_buffer
      - .offset:         64
        .size:           8
        .value_kind:     by_value
      - .offset:         72
        .size:           4
        .value_kind:     by_value
      - .offset:         80
        .size:           8
        .value_kind:     by_value
      - .offset:         88
        .size:           4
        .value_kind:     by_value
      - .offset:         96
        .size:           8
        .value_kind:     by_value
      - .address_space:  global
        .offset:         104
        .size:           8
        .value_kind:     global_buffer
      - .offset:         112
        .size:           8
        .value_kind:     by_value
      - .offset:         120
        .size:           4
        .value_kind:     by_value
      - .offset:         128
        .size:           8
        .value_kind:     by_value
    .group_segment_fixed_size: 256
    .kernarg_segment_align: 8
    .kernarg_segment_size: 136
    .language:       OpenCL C
    .language_version:
      - 2
      - 0
    .max_flat_workgroup_size: 256
    .name:           _ZL22rocblas_gemvtsm_kernelILb1ELi256E16rocblas_bfloat16fS0_EviiT2_lPKT1_lilS4_lilS1_lPT3_lil
    .private_segment_fixed_size: 0
    .sgpr_count:     28
    .sgpr_spill_count: 0
    .symbol:         _ZL22rocblas_gemvtsm_kernelILb1ELi256E16rocblas_bfloat16fS0_EviiT2_lPKT1_lilS4_lilS1_lPT3_lil.kd
    .uniform_work_group_size: 1
    .uses_dynamic_stack: false
    .vgpr_count:     16
    .vgpr_spill_count: 0
    .wavefront_size: 32
    .workgroup_processor_mode: 1
  - .args:
      - .offset:         0
        .size:           4
        .value_kind:     by_value
      - .offset:         4
        .size:           4
        .value_kind:     by_value
      - .address_space:  global
        .offset:         8
        .size:           8
        .value_kind:     global_buffer
      - .offset:         16
        .size:           8
        .value_kind:     by_value
      - .address_space:  global
        .offset:         24
        .size:           8
        .value_kind:     global_buffer
      - .offset:         32
        .size:           8
        .value_kind:     by_value
      - .offset:         40
        .size:           4
        .value_kind:     by_value
      - .offset:         48
        .size:           8
        .value_kind:     by_value
      - .address_space:  global
        .offset:         56
        .size:           8
        .value_kind:     global_buffer
      - .offset:         64
        .size:           8
        .value_kind:     by_value
      - .offset:         72
        .size:           4
        .value_kind:     by_value
      - .offset:         80
        .size:           8
        .value_kind:     by_value
      - .address_space:  global
        .offset:         88
        .size:           8
        .value_kind:     global_buffer
      - .offset:         96
        .size:           4
        .value_kind:     by_value
      - .offset:         104
        .size:           4
        .value_kind:     hidden_block_count_x
      - .offset:         108
        .size:           4
        .value_kind:     hidden_block_count_y
      - .offset:         112
        .size:           4
        .value_kind:     hidden_block_count_z
      - .offset:         116
        .size:           2
        .value_kind:     hidden_group_size_x
      - .offset:         118
        .size:           2
        .value_kind:     hidden_group_size_y
      - .offset:         120
        .size:           2
        .value_kind:     hidden_group_size_z
      - .offset:         122
        .size:           2
        .value_kind:     hidden_remainder_x
      - .offset:         124
        .size:           2
        .value_kind:     hidden_remainder_y
      - .offset:         126
        .size:           2
        .value_kind:     hidden_remainder_z
      - .offset:         144
        .size:           8
        .value_kind:     hidden_global_offset_x
      - .offset:         152
        .size:           8
        .value_kind:     hidden_global_offset_y
      - .offset:         160
        .size:           8
        .value_kind:     hidden_global_offset_z
      - .offset:         168
        .size:           2
        .value_kind:     hidden_grid_dims
    .group_segment_fixed_size: 128
    .kernarg_segment_align: 8
    .kernarg_segment_size: 360
    .language:       OpenCL C
    .language_version:
      - 2
      - 0
    .max_flat_workgroup_size: 256
    .name:           _ZL23rocblas_gemvt_sn_kernelILb1ELi256ELi4Ei16rocblas_bfloat16PKffEviiT4_lPKT3_lilS6_lilPT5_i
    .private_segment_fixed_size: 0
    .sgpr_count:     80
    .sgpr_spill_count: 0
    .symbol:         _ZL23rocblas_gemvt_sn_kernelILb1ELi256ELi4Ei16rocblas_bfloat16PKffEviiT4_lPKT3_lilS6_lilPT5_i.kd
    .uniform_work_group_size: 1
    .uses_dynamic_stack: false
    .vgpr_count:     55
    .vgpr_spill_count: 0
    .wavefront_size: 32
    .workgroup_processor_mode: 1
  - .args:
      - .offset:         0
        .size:           4
        .value_kind:     by_value
      - .offset:         4
        .size:           4
        .value_kind:     by_value
      - .address_space:  global
        .offset:         8
        .size:           8
        .value_kind:     global_buffer
      - .offset:         16
        .size:           8
        .value_kind:     by_value
      - .address_space:  global
        .offset:         24
        .size:           8
        .value_kind:     global_buffer
      - .offset:         32
        .size:           8
        .value_kind:     by_value
      - .offset:         40
        .size:           4
        .value_kind:     by_value
      - .offset:         48
        .size:           8
        .value_kind:     by_value
      - .address_space:  global
        .offset:         56
        .size:           8
        .value_kind:     global_buffer
      - .offset:         64
        .size:           8
        .value_kind:     by_value
      - .offset:         72
        .size:           4
        .value_kind:     by_value
      - .offset:         80
        .size:           8
        .value_kind:     by_value
      - .address_space:  global
        .offset:         88
        .size:           8
        .value_kind:     global_buffer
      - .offset:         96
        .size:           4
        .value_kind:     by_value
      - .offset:         104
        .size:           4
        .value_kind:     hidden_block_count_x
      - .offset:         108
        .size:           4
        .value_kind:     hidden_block_count_y
      - .offset:         112
        .size:           4
        .value_kind:     hidden_block_count_z
      - .offset:         116
        .size:           2
        .value_kind:     hidden_group_size_x
      - .offset:         118
        .size:           2
        .value_kind:     hidden_group_size_y
      - .offset:         120
        .size:           2
        .value_kind:     hidden_group_size_z
      - .offset:         122
        .size:           2
        .value_kind:     hidden_remainder_x
      - .offset:         124
        .size:           2
        .value_kind:     hidden_remainder_y
      - .offset:         126
        .size:           2
        .value_kind:     hidden_remainder_z
      - .offset:         144
        .size:           8
        .value_kind:     hidden_global_offset_x
      - .offset:         152
        .size:           8
        .value_kind:     hidden_global_offset_y
      - .offset:         160
        .size:           8
        .value_kind:     hidden_global_offset_z
      - .offset:         168
        .size:           2
        .value_kind:     hidden_grid_dims
    .group_segment_fixed_size: 128
    .kernarg_segment_align: 8
    .kernarg_segment_size: 360
    .language:       OpenCL C
    .language_version:
      - 2
      - 0
    .max_flat_workgroup_size: 256
    .name:           _ZL23rocblas_gemvt_sn_kernelILb1ELi256ELi4El16rocblas_bfloat16PKffEviiT4_lPKT3_lilS6_lilPT5_i
    .private_segment_fixed_size: 0
    .sgpr_count:     74
    .sgpr_spill_count: 0
    .symbol:         _ZL23rocblas_gemvt_sn_kernelILb1ELi256ELi4El16rocblas_bfloat16PKffEviiT4_lPKT3_lilS6_lilPT5_i.kd
    .uniform_work_group_size: 1
    .uses_dynamic_stack: false
    .vgpr_count:     57
    .vgpr_spill_count: 0
    .wavefront_size: 32
    .workgroup_processor_mode: 1
  - .args:
      - .offset:         0
        .size:           4
        .value_kind:     by_value
      - .offset:         4
        .size:           4
        .value_kind:     by_value
      - .offset:         8
        .size:           4
        .value_kind:     by_value
      - .offset:         16
        .size:           8
        .value_kind:     by_value
      - .address_space:  global
        .offset:         24
        .size:           8
        .value_kind:     global_buffer
      - .offset:         32
        .size:           8
        .value_kind:     by_value
      - .offset:         40
        .size:           4
        .value_kind:     by_value
      - .offset:         48
        .size:           8
        .value_kind:     by_value
      - .address_space:  global
        .offset:         56
        .size:           8
        .value_kind:     global_buffer
      - .offset:         64
        .size:           8
        .value_kind:     by_value
      - .offset:         72
        .size:           4
        .value_kind:     by_value
      - .offset:         80
        .size:           8
        .value_kind:     by_value
      - .address_space:  global
        .offset:         88
        .size:           8
        .value_kind:     global_buffer
      - .offset:         96
        .size:           4
        .value_kind:     by_value
      - .offset:         104
        .size:           4
        .value_kind:     hidden_block_count_x
      - .offset:         108
        .size:           4
        .value_kind:     hidden_block_count_y
      - .offset:         112
        .size:           4
        .value_kind:     hidden_block_count_z
      - .offset:         116
        .size:           2
        .value_kind:     hidden_group_size_x
      - .offset:         118
        .size:           2
        .value_kind:     hidden_group_size_y
      - .offset:         120
        .size:           2
        .value_kind:     hidden_group_size_z
      - .offset:         122
        .size:           2
        .value_kind:     hidden_remainder_x
      - .offset:         124
        .size:           2
        .value_kind:     hidden_remainder_y
      - .offset:         126
        .size:           2
        .value_kind:     hidden_remainder_z
      - .offset:         144
        .size:           8
        .value_kind:     hidden_global_offset_x
      - .offset:         152
        .size:           8
        .value_kind:     hidden_global_offset_y
      - .offset:         160
        .size:           8
        .value_kind:     hidden_global_offset_z
      - .offset:         168
        .size:           2
        .value_kind:     hidden_grid_dims
    .group_segment_fixed_size: 128
    .kernarg_segment_align: 8
    .kernarg_segment_size: 360
    .language:       OpenCL C
    .language_version:
      - 2
      - 0
    .max_flat_workgroup_size: 256
    .name:           _ZL23rocblas_gemvt_sn_kernelILb1ELi256ELi4Ei16rocblas_bfloat16ffEviiT4_lPKT3_lilS4_lilPT5_i
    .private_segment_fixed_size: 0
    .sgpr_count:     78
    .sgpr_spill_count: 0
    .symbol:         _ZL23rocblas_gemvt_sn_kernelILb1ELi256ELi4Ei16rocblas_bfloat16ffEviiT4_lPKT3_lilS4_lilPT5_i.kd
    .uniform_work_group_size: 1
    .uses_dynamic_stack: false
    .vgpr_count:     54
    .vgpr_spill_count: 0
    .wavefront_size: 32
    .workgroup_processor_mode: 1
  - .args:
      - .offset:         0
        .size:           4
        .value_kind:     by_value
      - .offset:         4
        .size:           4
        .value_kind:     by_value
      - .offset:         8
        .size:           4
        .value_kind:     by_value
      - .offset:         16
        .size:           8
        .value_kind:     by_value
      - .address_space:  global
        .offset:         24
        .size:           8
        .value_kind:     global_buffer
      - .offset:         32
        .size:           8
        .value_kind:     by_value
      - .offset:         40
        .size:           4
        .value_kind:     by_value
      - .offset:         48
        .size:           8
        .value_kind:     by_value
      - .address_space:  global
        .offset:         56
        .size:           8
        .value_kind:     global_buffer
      - .offset:         64
        .size:           8
        .value_kind:     by_value
      - .offset:         72
        .size:           4
        .value_kind:     by_value
      - .offset:         80
        .size:           8
        .value_kind:     by_value
      - .address_space:  global
        .offset:         88
        .size:           8
        .value_kind:     global_buffer
      - .offset:         96
        .size:           4
        .value_kind:     by_value
      - .offset:         104
        .size:           4
        .value_kind:     hidden_block_count_x
      - .offset:         108
        .size:           4
        .value_kind:     hidden_block_count_y
      - .offset:         112
        .size:           4
        .value_kind:     hidden_block_count_z
      - .offset:         116
        .size:           2
        .value_kind:     hidden_group_size_x
      - .offset:         118
        .size:           2
        .value_kind:     hidden_group_size_y
      - .offset:         120
        .size:           2
        .value_kind:     hidden_group_size_z
      - .offset:         122
        .size:           2
        .value_kind:     hidden_remainder_x
      - .offset:         124
        .size:           2
        .value_kind:     hidden_remainder_y
      - .offset:         126
        .size:           2
        .value_kind:     hidden_remainder_z
      - .offset:         144
        .size:           8
        .value_kind:     hidden_global_offset_x
      - .offset:         152
        .size:           8
        .value_kind:     hidden_global_offset_y
      - .offset:         160
        .size:           8
        .value_kind:     hidden_global_offset_z
      - .offset:         168
        .size:           2
        .value_kind:     hidden_grid_dims
    .group_segment_fixed_size: 128
    .kernarg_segment_align: 8
    .kernarg_segment_size: 360
    .language:       OpenCL C
    .language_version:
      - 2
      - 0
    .max_flat_workgroup_size: 256
    .name:           _ZL23rocblas_gemvt_sn_kernelILb1ELi256ELi4El16rocblas_bfloat16ffEviiT4_lPKT3_lilS4_lilPT5_i
    .private_segment_fixed_size: 0
    .sgpr_count:     72
    .sgpr_spill_count: 0
    .symbol:         _ZL23rocblas_gemvt_sn_kernelILb1ELi256ELi4El16rocblas_bfloat16ffEviiT4_lPKT3_lilS4_lilPT5_i.kd
    .uniform_work_group_size: 1
    .uses_dynamic_stack: false
    .vgpr_count:     56
    .vgpr_spill_count: 0
    .wavefront_size: 32
    .workgroup_processor_mode: 1
  - .args:
      - .offset:         0
        .size:           4
        .value_kind:     by_value
      - .offset:         4
        .size:           4
        .value_kind:     by_value
      - .address_space:  global
        .offset:         8
        .size:           8
        .value_kind:     global_buffer
      - .offset:         16
        .size:           8
        .value_kind:     by_value
      - .address_space:  global
        .offset:         24
        .size:           8
        .value_kind:     global_buffer
      - .offset:         32
        .size:           8
        .value_kind:     by_value
      - .offset:         40
        .size:           4
        .value_kind:     by_value
      - .offset:         48
        .size:           8
        .value_kind:     by_value
      - .address_space:  global
        .offset:         56
        .size:           8
        .value_kind:     global_buffer
      - .offset:         64
        .size:           8
        .value_kind:     by_value
      - .offset:         72
        .size:           4
        .value_kind:     by_value
      - .offset:         80
        .size:           8
        .value_kind:     by_value
      - .address_space:  global
        .offset:         88
        .size:           8
        .value_kind:     global_buffer
      - .offset:         96
        .size:           8
        .value_kind:     by_value
      - .address_space:  global
        .offset:         104
        .size:           8
        .value_kind:     global_buffer
      - .offset:         112
        .size:           8
        .value_kind:     by_value
      - .offset:         120
        .size:           4
        .value_kind:     by_value
      - .offset:         128
        .size:           8
        .value_kind:     by_value
      - .offset:         136
        .size:           4
        .value_kind:     by_value
    .group_segment_fixed_size: 1024
    .kernarg_segment_align: 8
    .kernarg_segment_size: 140
    .language:       OpenCL C
    .language_version:
      - 2
      - 0
    .max_flat_workgroup_size: 256
    .name:           _ZL20rocblas_gemvt_kernelILb1ELi256E16rocblas_bfloat16PKfS0_EviiT2_lPKT1_lilS6_lilS3_lPT3_lili
    .private_segment_fixed_size: 0
    .sgpr_count:     54
    .sgpr_spill_count: 0
    .symbol:         _ZL20rocblas_gemvt_kernelILb1ELi256E16rocblas_bfloat16PKfS0_EviiT2_lPKT1_lilS6_lilS3_lPT3_lili.kd
    .uniform_work_group_size: 1
    .uses_dynamic_stack: false
    .vgpr_count:     18
    .vgpr_spill_count: 0
    .wavefront_size: 32
    .workgroup_processor_mode: 1
  - .args:
      - .offset:         0
        .size:           4
        .value_kind:     by_value
      - .offset:         4
        .size:           4
        .value_kind:     by_value
      - .offset:         8
        .size:           4
        .value_kind:     by_value
      - .offset:         16
        .size:           8
        .value_kind:     by_value
      - .address_space:  global
        .offset:         24
        .size:           8
        .value_kind:     global_buffer
      - .offset:         32
        .size:           8
        .value_kind:     by_value
      - .offset:         40
        .size:           4
        .value_kind:     by_value
      - .offset:         48
        .size:           8
        .value_kind:     by_value
      - .address_space:  global
        .offset:         56
        .size:           8
        .value_kind:     global_buffer
      - .offset:         64
        .size:           8
        .value_kind:     by_value
      - .offset:         72
        .size:           4
        .value_kind:     by_value
      - .offset:         80
        .size:           8
        .value_kind:     by_value
      - .offset:         88
        .size:           4
        .value_kind:     by_value
      - .offset:         96
        .size:           8
        .value_kind:     by_value
      - .address_space:  global
        .offset:         104
        .size:           8
        .value_kind:     global_buffer
      - .offset:         112
        .size:           8
        .value_kind:     by_value
      - .offset:         120
        .size:           4
        .value_kind:     by_value
      - .offset:         128
        .size:           8
        .value_kind:     by_value
      - .offset:         136
        .size:           4
        .value_kind:     by_value
    .group_segment_fixed_size: 1024
    .kernarg_segment_align: 8
    .kernarg_segment_size: 140
    .language:       OpenCL C
    .language_version:
      - 2
      - 0
    .max_flat_workgroup_size: 256
    .name:           _ZL20rocblas_gemvt_kernelILb1ELi256E16rocblas_bfloat16fS0_EviiT2_lPKT1_lilS4_lilS1_lPT3_lili
    .private_segment_fixed_size: 0
    .sgpr_count:     52
    .sgpr_spill_count: 0
    .symbol:         _ZL20rocblas_gemvt_kernelILb1ELi256E16rocblas_bfloat16fS0_EviiT2_lPKT1_lilS4_lilS1_lPT3_lili.kd
    .uniform_work_group_size: 1
    .uses_dynamic_stack: false
    .vgpr_count:     18
    .vgpr_spill_count: 0
    .wavefront_size: 32
    .workgroup_processor_mode: 1
  - .args:
      - .offset:         0
        .size:           4
        .value_kind:     by_value
      - .offset:         4
        .size:           4
        .value_kind:     by_value
      - .address_space:  global
        .offset:         8
        .size:           8
        .value_kind:     global_buffer
      - .offset:         16
        .size:           8
        .value_kind:     by_value
      - .address_space:  global
        .offset:         24
        .size:           8
        .value_kind:     global_buffer
      - .offset:         32
        .size:           8
        .value_kind:     by_value
      - .offset:         40
        .size:           4
        .value_kind:     by_value
      - .offset:         48
        .size:           8
        .value_kind:     by_value
      - .address_space:  global
        .offset:         56
        .size:           8
        .value_kind:     global_buffer
      - .offset:         64
        .size:           8
        .value_kind:     by_value
      - .offset:         72
        .size:           4
        .value_kind:     by_value
      - .offset:         80
        .size:           8
        .value_kind:     by_value
      - .address_space:  global
        .offset:         88
        .size:           8
        .value_kind:     global_buffer
      - .offset:         96
        .size:           8
        .value_kind:     by_value
      - .address_space:  global
        .offset:         104
        .size:           8
        .value_kind:     global_buffer
      - .offset:         112
        .size:           8
        .value_kind:     by_value
      - .offset:         120
        .size:           4
        .value_kind:     by_value
      - .offset:         128
        .size:           8
        .value_kind:     by_value
      - .offset:         136
        .size:           4
        .value_kind:     by_value
    .group_segment_fixed_size: 128
    .kernarg_segment_align: 8
    .kernarg_segment_size: 140
    .language:       OpenCL C
    .language_version:
      - 2
      - 0
    .max_flat_workgroup_size: 1024
    .name:           _ZL32rocblas_gemvt_warp_reduce_kernelILb1ELi1024Ei16rocblas_bfloat16PKfS0_EviiT3_lPKT2_lT1_lS6_lS7_lS3_lPT4_lS7_li
    .private_segment_fixed_size: 0
    .sgpr_count:     46
    .sgpr_spill_count: 0
    .symbol:         _ZL32rocblas_gemvt_warp_reduce_kernelILb1ELi1024Ei16rocblas_bfloat16PKfS0_EviiT3_lPKT2_lT1_lS6_lS7_lS3_lPT4_lS7_li.kd
    .uniform_work_group_size: 1
    .uses_dynamic_stack: false
    .vgpr_count:     22
    .vgpr_spill_count: 0
    .wavefront_size: 32
    .workgroup_processor_mode: 1
  - .args:
      - .offset:         0
        .size:           4
        .value_kind:     by_value
      - .offset:         4
        .size:           4
        .value_kind:     by_value
      - .address_space:  global
        .offset:         8
        .size:           8
        .value_kind:     global_buffer
      - .offset:         16
        .size:           8
        .value_kind:     by_value
      - .address_space:  global
        .offset:         24
        .size:           8
        .value_kind:     global_buffer
      - .offset:         32
        .size:           8
        .value_kind:     by_value
      - .offset:         40
        .size:           8
        .value_kind:     by_value
      - .offset:         48
        .size:           8
        .value_kind:     by_value
      - .address_space:  global
        .offset:         56
        .size:           8
        .value_kind:     global_buffer
      - .offset:         64
        .size:           8
        .value_kind:     by_value
      - .offset:         72
        .size:           8
        .value_kind:     by_value
      - .offset:         80
        .size:           8
        .value_kind:     by_value
      - .address_space:  global
        .offset:         88
        .size:           8
        .value_kind:     global_buffer
      - .offset:         96
        .size:           8
        .value_kind:     by_value
      - .address_space:  global
        .offset:         104
        .size:           8
        .value_kind:     global_buffer
      - .offset:         112
        .size:           8
        .value_kind:     by_value
      - .offset:         120
        .size:           8
        .value_kind:     by_value
      - .offset:         128
        .size:           8
        .value_kind:     by_value
      - .offset:         136
        .size:           4
        .value_kind:     by_value
    .group_segment_fixed_size: 128
    .kernarg_segment_align: 8
    .kernarg_segment_size: 140
    .language:       OpenCL C
    .language_version:
      - 2
      - 0
    .max_flat_workgroup_size: 1024
    .name:           _ZL32rocblas_gemvt_warp_reduce_kernelILb1ELi1024El16rocblas_bfloat16PKfS0_EviiT3_lPKT2_lT1_lS6_lS7_lS3_lPT4_lS7_li
    .private_segment_fixed_size: 0
    .sgpr_count:     54
    .sgpr_spill_count: 0
    .symbol:         _ZL32rocblas_gemvt_warp_reduce_kernelILb1ELi1024El16rocblas_bfloat16PKfS0_EviiT3_lPKT2_lT1_lS6_lS7_lS3_lPT4_lS7_li.kd
    .uniform_work_group_size: 1
    .uses_dynamic_stack: false
    .vgpr_count:     24
    .vgpr_spill_count: 0
    .wavefront_size: 32
    .workgroup_processor_mode: 1
  - .args:
      - .offset:         0
        .size:           4
        .value_kind:     by_value
      - .offset:         4
        .size:           4
        .value_kind:     by_value
      - .offset:         8
        .size:           4
        .value_kind:     by_value
      - .offset:         16
        .size:           8
        .value_kind:     by_value
      - .address_space:  global
        .offset:         24
        .size:           8
        .value_kind:     global_buffer
      - .offset:         32
        .size:           8
        .value_kind:     by_value
      - .offset:         40
        .size:           4
        .value_kind:     by_value
      - .offset:         48
        .size:           8
        .value_kind:     by_value
      - .address_space:  global
        .offset:         56
        .size:           8
        .value_kind:     global_buffer
      - .offset:         64
        .size:           8
        .value_kind:     by_value
      - .offset:         72
        .size:           4
        .value_kind:     by_value
      - .offset:         80
        .size:           8
        .value_kind:     by_value
      - .offset:         88
        .size:           4
        .value_kind:     by_value
      - .offset:         96
        .size:           8
        .value_kind:     by_value
      - .address_space:  global
        .offset:         104
        .size:           8
        .value_kind:     global_buffer
      - .offset:         112
        .size:           8
        .value_kind:     by_value
      - .offset:         120
        .size:           4
        .value_kind:     by_value
      - .offset:         128
        .size:           8
        .value_kind:     by_value
      - .offset:         136
        .size:           4
        .value_kind:     by_value
    .group_segment_fixed_size: 128
    .kernarg_segment_align: 8
    .kernarg_segment_size: 140
    .language:       OpenCL C
    .language_version:
      - 2
      - 0
    .max_flat_workgroup_size: 1024
    .name:           _ZL32rocblas_gemvt_warp_reduce_kernelILb1ELi1024Ei16rocblas_bfloat16fS0_EviiT3_lPKT2_lT1_lS4_lS5_lS1_lPT4_lS5_li
    .private_segment_fixed_size: 0
    .sgpr_count:     44
    .sgpr_spill_count: 0
    .symbol:         _ZL32rocblas_gemvt_warp_reduce_kernelILb1ELi1024Ei16rocblas_bfloat16fS0_EviiT3_lPKT2_lT1_lS4_lS5_lS1_lPT4_lS5_li.kd
    .uniform_work_group_size: 1
    .uses_dynamic_stack: false
    .vgpr_count:     21
    .vgpr_spill_count: 0
    .wavefront_size: 32
    .workgroup_processor_mode: 1
  - .args:
      - .offset:         0
        .size:           4
        .value_kind:     by_value
      - .offset:         4
        .size:           4
        .value_kind:     by_value
      - .offset:         8
        .size:           4
        .value_kind:     by_value
      - .offset:         16
        .size:           8
        .value_kind:     by_value
      - .address_space:  global
        .offset:         24
        .size:           8
        .value_kind:     global_buffer
      - .offset:         32
        .size:           8
        .value_kind:     by_value
      - .offset:         40
        .size:           8
        .value_kind:     by_value
      - .offset:         48
        .size:           8
        .value_kind:     by_value
      - .address_space:  global
        .offset:         56
        .size:           8
        .value_kind:     global_buffer
      - .offset:         64
        .size:           8
        .value_kind:     by_value
      - .offset:         72
        .size:           8
        .value_kind:     by_value
      - .offset:         80
        .size:           8
        .value_kind:     by_value
      - .offset:         88
        .size:           4
        .value_kind:     by_value
      - .offset:         96
        .size:           8
        .value_kind:     by_value
      - .address_space:  global
        .offset:         104
        .size:           8
        .value_kind:     global_buffer
      - .offset:         112
        .size:           8
        .value_kind:     by_value
      - .offset:         120
        .size:           8
        .value_kind:     by_value
      - .offset:         128
        .size:           8
        .value_kind:     by_value
      - .offset:         136
        .size:           4
        .value_kind:     by_value
    .group_segment_fixed_size: 128
    .kernarg_segment_align: 8
    .kernarg_segment_size: 140
    .language:       OpenCL C
    .language_version:
      - 2
      - 0
    .max_flat_workgroup_size: 1024
    .name:           _ZL32rocblas_gemvt_warp_reduce_kernelILb1ELi1024El16rocblas_bfloat16fS0_EviiT3_lPKT2_lT1_lS4_lS5_lS1_lPT4_lS5_li
    .private_segment_fixed_size: 0
    .sgpr_count:     46
    .sgpr_spill_count: 0
    .symbol:         _ZL32rocblas_gemvt_warp_reduce_kernelILb1ELi1024El16rocblas_bfloat16fS0_EviiT3_lPKT2_lT1_lS4_lS5_lS1_lPT4_lS5_li.kd
    .uniform_work_group_size: 1
    .uses_dynamic_stack: false
    .vgpr_count:     23
    .vgpr_spill_count: 0
    .wavefront_size: 32
    .workgroup_processor_mode: 1
  - .args:
      - .offset:         0
        .size:           4
        .value_kind:     by_value
      - .offset:         4
        .size:           4
        .value_kind:     by_value
      - .address_space:  global
        .offset:         8
        .size:           8
        .value_kind:     global_buffer
      - .offset:         16
        .size:           8
        .value_kind:     by_value
      - .address_space:  global
        .offset:         24
        .size:           8
        .value_kind:     global_buffer
      - .offset:         32
        .size:           8
        .value_kind:     by_value
      - .offset:         40
        .size:           4
        .value_kind:     by_value
      - .offset:         48
        .size:           8
        .value_kind:     by_value
      - .address_space:  global
        .offset:         56
        .size:           8
        .value_kind:     global_buffer
      - .offset:         64
        .size:           8
        .value_kind:     by_value
      - .offset:         72
        .size:           4
        .value_kind:     by_value
      - .offset:         80
        .size:           8
        .value_kind:     by_value
      - .address_space:  global
        .offset:         88
        .size:           8
        .value_kind:     global_buffer
      - .offset:         96
        .size:           8
        .value_kind:     by_value
      - .address_space:  global
        .offset:         104
        .size:           8
        .value_kind:     global_buffer
      - .offset:         112
        .size:           8
        .value_kind:     by_value
      - .offset:         120
        .size:           4
        .value_kind:     by_value
      - .offset:         128
        .size:           8
        .value_kind:     by_value
      - .offset:         136
        .size:           4
        .value_kind:     by_value
    .group_segment_fixed_size: 0
    .kernarg_segment_align: 8
    .kernarg_segment_size: 140
    .language:       OpenCL C
    .language_version:
      - 2
      - 0
    .max_flat_workgroup_size: 768
    .name:           _ZL34rocblas_gemvn_sm_mn_batched_kernelILi32ELi24EPK16rocblas_bfloat16PKfKPS0_EviiT2_lPKT1_lilSA_lilS7_lPT3_lili
    .private_segment_fixed_size: 0
    .sgpr_count:     0
    .sgpr_spill_count: 0
    .symbol:         _ZL34rocblas_gemvn_sm_mn_batched_kernelILi32ELi24EPK16rocblas_bfloat16PKfKPS0_EviiT2_lPKT1_lilSA_lilS7_lPT3_lili.kd
    .uniform_work_group_size: 1
    .uses_dynamic_stack: false
    .vgpr_count:     0
    .vgpr_spill_count: 0
    .wavefront_size: 32
    .workgroup_processor_mode: 1
  - .args:
      - .offset:         0
        .size:           4
        .value_kind:     by_value
      - .offset:         4
        .size:           4
        .value_kind:     by_value
      - .offset:         8
        .size:           4
        .value_kind:     by_value
      - .offset:         16
        .size:           8
        .value_kind:     by_value
      - .address_space:  global
        .offset:         24
        .size:           8
        .value_kind:     global_buffer
      - .offset:         32
        .size:           8
        .value_kind:     by_value
      - .offset:         40
        .size:           4
        .value_kind:     by_value
      - .offset:         48
        .size:           8
        .value_kind:     by_value
      - .address_space:  global
        .offset:         56
        .size:           8
        .value_kind:     global_buffer
      - .offset:         64
        .size:           8
        .value_kind:     by_value
      - .offset:         72
        .size:           4
        .value_kind:     by_value
      - .offset:         80
        .size:           8
        .value_kind:     by_value
      - .offset:         88
        .size:           4
        .value_kind:     by_value
      - .offset:         96
        .size:           8
        .value_kind:     by_value
      - .address_space:  global
        .offset:         104
        .size:           8
        .value_kind:     global_buffer
      - .offset:         112
        .size:           8
        .value_kind:     by_value
      - .offset:         120
        .size:           4
        .value_kind:     by_value
      - .offset:         128
        .size:           8
        .value_kind:     by_value
      - .offset:         136
        .size:           4
        .value_kind:     by_value
    .group_segment_fixed_size: 0
    .kernarg_segment_align: 8
    .kernarg_segment_size: 140
    .language:       OpenCL C
    .language_version:
      - 2
      - 0
    .max_flat_workgroup_size: 768
    .name:           _ZL34rocblas_gemvn_sm_mn_batched_kernelILi32ELi24EPK16rocblas_bfloat16fKPS0_EviiT2_lPKT1_lilS8_lilS5_lPT3_lili
    .private_segment_fixed_size: 0
    .sgpr_count:     0
    .sgpr_spill_count: 0
    .symbol:         _ZL34rocblas_gemvn_sm_mn_batched_kernelILi32ELi24EPK16rocblas_bfloat16fKPS0_EviiT2_lPKT1_lilS8_lilS5_lPT3_lili.kd
    .uniform_work_group_size: 1
    .uses_dynamic_stack: false
    .vgpr_count:     0
    .vgpr_spill_count: 0
    .wavefront_size: 32
    .workgroup_processor_mode: 1
  - .args:
      - .offset:         0
        .size:           4
        .value_kind:     by_value
      - .offset:         4
        .size:           4
        .value_kind:     by_value
      - .address_space:  global
        .offset:         8
        .size:           8
        .value_kind:     global_buffer
      - .offset:         16
        .size:           8
        .value_kind:     by_value
      - .address_space:  global
        .offset:         24
        .size:           8
        .value_kind:     global_buffer
      - .offset:         32
        .size:           8
        .value_kind:     by_value
      - .offset:         40
        .size:           4
        .value_kind:     by_value
      - .offset:         48
        .size:           8
        .value_kind:     by_value
      - .address_space:  global
        .offset:         56
        .size:           8
        .value_kind:     global_buffer
      - .offset:         64
        .size:           8
        .value_kind:     by_value
      - .offset:         72
        .size:           4
        .value_kind:     by_value
      - .offset:         80
        .size:           8
        .value_kind:     by_value
      - .address_space:  global
        .offset:         88
        .size:           8
        .value_kind:     global_buffer
      - .offset:         96
        .size:           8
        .value_kind:     by_value
      - .address_space:  global
        .offset:         104
        .size:           8
        .value_kind:     global_buffer
      - .offset:         112
        .size:           8
        .value_kind:     by_value
      - .offset:         120
        .size:           4
        .value_kind:     by_value
      - .offset:         128
        .size:           8
        .value_kind:     by_value
      - .offset:         136
        .size:           4
        .value_kind:     by_value
      - .offset:         144
        .size:           4
        .value_kind:     hidden_block_count_x
      - .offset:         148
        .size:           4
        .value_kind:     hidden_block_count_y
      - .offset:         152
        .size:           4
        .value_kind:     hidden_block_count_z
      - .offset:         156
        .size:           2
        .value_kind:     hidden_group_size_x
      - .offset:         158
        .size:           2
        .value_kind:     hidden_group_size_y
      - .offset:         160
        .size:           2
        .value_kind:     hidden_group_size_z
      - .offset:         162
        .size:           2
        .value_kind:     hidden_remainder_x
      - .offset:         164
        .size:           2
        .value_kind:     hidden_remainder_y
      - .offset:         166
        .size:           2
        .value_kind:     hidden_remainder_z
      - .offset:         184
        .size:           8
        .value_kind:     hidden_global_offset_x
      - .offset:         192
        .size:           8
        .value_kind:     hidden_global_offset_y
      - .offset:         200
        .size:           8
        .value_kind:     hidden_global_offset_z
      - .offset:         208
        .size:           2
        .value_kind:     hidden_grid_dims
    .group_segment_fixed_size: 4096
    .kernarg_segment_align: 8
    .kernarg_segment_size: 400
    .language:       OpenCL C
    .language_version:
      - 2
      - 0
    .max_flat_workgroup_size: 256
    .name:           _ZL20rocblas_gemvn_kernelILi64ELi4EiPK16rocblas_bfloat16PKfKPS0_EviiT3_lPKT2_lT1_lSA_lSB_lS7_lPT4_lSB_li
    .private_segment_fixed_size: 0
    .sgpr_count:     51
    .sgpr_spill_count: 0
    .symbol:         _ZL20rocblas_gemvn_kernelILi64ELi4EiPK16rocblas_bfloat16PKfKPS0_EviiT3_lPKT2_lT1_lSA_lSB_lS7_lPT4_lSB_li.kd
    .uniform_work_group_size: 1
    .uses_dynamic_stack: false
    .vgpr_count:     59
    .vgpr_spill_count: 0
    .wavefront_size: 32
    .workgroup_processor_mode: 1
  - .args:
      - .offset:         0
        .size:           4
        .value_kind:     by_value
      - .offset:         4
        .size:           4
        .value_kind:     by_value
      - .address_space:  global
        .offset:         8
        .size:           8
        .value_kind:     global_buffer
      - .offset:         16
        .size:           8
        .value_kind:     by_value
      - .address_space:  global
        .offset:         24
        .size:           8
        .value_kind:     global_buffer
      - .offset:         32
        .size:           8
        .value_kind:     by_value
      - .offset:         40
        .size:           8
        .value_kind:     by_value
      - .offset:         48
        .size:           8
        .value_kind:     by_value
      - .address_space:  global
        .offset:         56
        .size:           8
        .value_kind:     global_buffer
      - .offset:         64
        .size:           8
        .value_kind:     by_value
      - .offset:         72
        .size:           8
        .value_kind:     by_value
      - .offset:         80
        .size:           8
        .value_kind:     by_value
      - .address_space:  global
        .offset:         88
        .size:           8
        .value_kind:     global_buffer
      - .offset:         96
        .size:           8
        .value_kind:     by_value
      - .address_space:  global
        .offset:         104
        .size:           8
        .value_kind:     global_buffer
      - .offset:         112
        .size:           8
        .value_kind:     by_value
      - .offset:         120
        .size:           8
        .value_kind:     by_value
      - .offset:         128
        .size:           8
        .value_kind:     by_value
      - .offset:         136
        .size:           4
        .value_kind:     by_value
      - .offset:         144
        .size:           4
        .value_kind:     hidden_block_count_x
      - .offset:         148
        .size:           4
        .value_kind:     hidden_block_count_y
      - .offset:         152
        .size:           4
        .value_kind:     hidden_block_count_z
      - .offset:         156
        .size:           2
        .value_kind:     hidden_group_size_x
      - .offset:         158
        .size:           2
        .value_kind:     hidden_group_size_y
      - .offset:         160
        .size:           2
        .value_kind:     hidden_group_size_z
      - .offset:         162
        .size:           2
        .value_kind:     hidden_remainder_x
      - .offset:         164
        .size:           2
        .value_kind:     hidden_remainder_y
      - .offset:         166
        .size:           2
        .value_kind:     hidden_remainder_z
      - .offset:         184
        .size:           8
        .value_kind:     hidden_global_offset_x
      - .offset:         192
        .size:           8
        .value_kind:     hidden_global_offset_y
      - .offset:         200
        .size:           8
        .value_kind:     hidden_global_offset_z
      - .offset:         208
        .size:           2
        .value_kind:     hidden_grid_dims
    .group_segment_fixed_size: 4096
    .kernarg_segment_align: 8
    .kernarg_segment_size: 400
    .language:       OpenCL C
    .language_version:
      - 2
      - 0
    .max_flat_workgroup_size: 256
    .name:           _ZL20rocblas_gemvn_kernelILi64ELi4ElPK16rocblas_bfloat16PKfKPS0_EviiT3_lPKT2_lT1_lSA_lSB_lS7_lPT4_lSB_li
    .private_segment_fixed_size: 0
    .sgpr_count:     53
    .sgpr_spill_count: 0
    .symbol:         _ZL20rocblas_gemvn_kernelILi64ELi4ElPK16rocblas_bfloat16PKfKPS0_EviiT3_lPKT2_lT1_lSA_lSB_lS7_lPT4_lSB_li.kd
    .uniform_work_group_size: 1
    .uses_dynamic_stack: false
    .vgpr_count:     74
    .vgpr_spill_count: 0
    .wavefront_size: 32
    .workgroup_processor_mode: 1
  - .args:
      - .offset:         0
        .size:           4
        .value_kind:     by_value
      - .offset:         4
        .size:           4
        .value_kind:     by_value
      - .offset:         8
        .size:           4
        .value_kind:     by_value
      - .offset:         16
        .size:           8
        .value_kind:     by_value
      - .address_space:  global
        .offset:         24
        .size:           8
        .value_kind:     global_buffer
      - .offset:         32
        .size:           8
        .value_kind:     by_value
      - .offset:         40
        .size:           4
        .value_kind:     by_value
      - .offset:         48
        .size:           8
        .value_kind:     by_value
      - .address_space:  global
        .offset:         56
        .size:           8
        .value_kind:     global_buffer
      - .offset:         64
        .size:           8
        .value_kind:     by_value
      - .offset:         72
        .size:           4
        .value_kind:     by_value
      - .offset:         80
        .size:           8
        .value_kind:     by_value
      - .offset:         88
        .size:           4
        .value_kind:     by_value
      - .offset:         96
        .size:           8
        .value_kind:     by_value
      - .address_space:  global
        .offset:         104
        .size:           8
        .value_kind:     global_buffer
      - .offset:         112
        .size:           8
        .value_kind:     by_value
      - .offset:         120
        .size:           4
        .value_kind:     by_value
      - .offset:         128
        .size:           8
        .value_kind:     by_value
      - .offset:         136
        .size:           4
        .value_kind:     by_value
      - .offset:         144
        .size:           4
        .value_kind:     hidden_block_count_x
      - .offset:         148
        .size:           4
        .value_kind:     hidden_block_count_y
      - .offset:         152
        .size:           4
        .value_kind:     hidden_block_count_z
      - .offset:         156
        .size:           2
        .value_kind:     hidden_group_size_x
      - .offset:         158
        .size:           2
        .value_kind:     hidden_group_size_y
      - .offset:         160
        .size:           2
        .value_kind:     hidden_group_size_z
      - .offset:         162
        .size:           2
        .value_kind:     hidden_remainder_x
      - .offset:         164
        .size:           2
        .value_kind:     hidden_remainder_y
      - .offset:         166
        .size:           2
        .value_kind:     hidden_remainder_z
      - .offset:         184
        .size:           8
        .value_kind:     hidden_global_offset_x
      - .offset:         192
        .size:           8
        .value_kind:     hidden_global_offset_y
      - .offset:         200
        .size:           8
        .value_kind:     hidden_global_offset_z
      - .offset:         208
        .size:           2
        .value_kind:     hidden_grid_dims
    .group_segment_fixed_size: 4096
    .kernarg_segment_align: 8
    .kernarg_segment_size: 400
    .language:       OpenCL C
    .language_version:
      - 2
      - 0
    .max_flat_workgroup_size: 256
    .name:           _ZL20rocblas_gemvn_kernelILi64ELi4EiPK16rocblas_bfloat16fKPS0_EviiT3_lPKT2_lT1_lS8_lS9_lS5_lPT4_lS9_li
    .private_segment_fixed_size: 0
    .sgpr_count:     48
    .sgpr_spill_count: 0
    .symbol:         _ZL20rocblas_gemvn_kernelILi64ELi4EiPK16rocblas_bfloat16fKPS0_EviiT3_lPKT2_lT1_lS8_lS9_lS5_lPT4_lS9_li.kd
    .uniform_work_group_size: 1
    .uses_dynamic_stack: false
    .vgpr_count:     59
    .vgpr_spill_count: 0
    .wavefront_size: 32
    .workgroup_processor_mode: 1
  - .args:
      - .offset:         0
        .size:           4
        .value_kind:     by_value
      - .offset:         4
        .size:           4
        .value_kind:     by_value
      - .offset:         8
        .size:           4
        .value_kind:     by_value
      - .offset:         16
        .size:           8
        .value_kind:     by_value
      - .address_space:  global
        .offset:         24
        .size:           8
        .value_kind:     global_buffer
      - .offset:         32
        .size:           8
        .value_kind:     by_value
      - .offset:         40
        .size:           8
        .value_kind:     by_value
      - .offset:         48
        .size:           8
        .value_kind:     by_value
      - .address_space:  global
        .offset:         56
        .size:           8
        .value_kind:     global_buffer
      - .offset:         64
        .size:           8
        .value_kind:     by_value
      - .offset:         72
        .size:           8
        .value_kind:     by_value
      - .offset:         80
        .size:           8
        .value_kind:     by_value
      - .offset:         88
        .size:           4
        .value_kind:     by_value
      - .offset:         96
        .size:           8
        .value_kind:     by_value
      - .address_space:  global
        .offset:         104
        .size:           8
        .value_kind:     global_buffer
      - .offset:         112
        .size:           8
        .value_kind:     by_value
      - .offset:         120
        .size:           8
        .value_kind:     by_value
      - .offset:         128
        .size:           8
        .value_kind:     by_value
      - .offset:         136
        .size:           4
        .value_kind:     by_value
      - .offset:         144
        .size:           4
        .value_kind:     hidden_block_count_x
      - .offset:         148
        .size:           4
        .value_kind:     hidden_block_count_y
      - .offset:         152
        .size:           4
        .value_kind:     hidden_block_count_z
      - .offset:         156
        .size:           2
        .value_kind:     hidden_group_size_x
      - .offset:         158
        .size:           2
        .value_kind:     hidden_group_size_y
      - .offset:         160
        .size:           2
        .value_kind:     hidden_group_size_z
      - .offset:         162
        .size:           2
        .value_kind:     hidden_remainder_x
      - .offset:         164
        .size:           2
        .value_kind:     hidden_remainder_y
      - .offset:         166
        .size:           2
        .value_kind:     hidden_remainder_z
      - .offset:         184
        .size:           8
        .value_kind:     hidden_global_offset_x
      - .offset:         192
        .size:           8
        .value_kind:     hidden_global_offset_y
      - .offset:         200
        .size:           8
        .value_kind:     hidden_global_offset_z
      - .offset:         208
        .size:           2
        .value_kind:     hidden_grid_dims
    .group_segment_fixed_size: 4096
    .kernarg_segment_align: 8
    .kernarg_segment_size: 400
    .language:       OpenCL C
    .language_version:
      - 2
      - 0
    .max_flat_workgroup_size: 256
    .name:           _ZL20rocblas_gemvn_kernelILi64ELi4ElPK16rocblas_bfloat16fKPS0_EviiT3_lPKT2_lT1_lS8_lS9_lS5_lPT4_lS9_li
    .private_segment_fixed_size: 0
    .sgpr_count:     50
    .sgpr_spill_count: 0
    .symbol:         _ZL20rocblas_gemvn_kernelILi64ELi4ElPK16rocblas_bfloat16fKPS0_EviiT3_lPKT2_lT1_lS8_lS9_lS5_lPT4_lS9_li.kd
    .uniform_work_group_size: 1
    .uses_dynamic_stack: false
    .vgpr_count:     74
    .vgpr_spill_count: 0
    .wavefront_size: 32
    .workgroup_processor_mode: 1
  - .args:
      - .offset:         0
        .size:           4
        .value_kind:     by_value
      - .offset:         4
        .size:           4
        .value_kind:     by_value
      - .address_space:  global
        .offset:         8
        .size:           8
        .value_kind:     global_buffer
      - .offset:         16
        .size:           8
        .value_kind:     by_value
      - .address_space:  global
        .offset:         24
        .size:           8
        .value_kind:     global_buffer
      - .offset:         32
        .size:           8
        .value_kind:     by_value
      - .offset:         40
        .size:           4
        .value_kind:     by_value
      - .offset:         48
        .size:           8
        .value_kind:     by_value
      - .address_space:  global
        .offset:         56
        .size:           8
        .value_kind:     global_buffer
      - .offset:         64
        .size:           8
        .value_kind:     by_value
      - .offset:         72
        .size:           4
        .value_kind:     by_value
      - .offset:         80
        .size:           8
        .value_kind:     by_value
      - .address_space:  global
        .offset:         88
        .size:           8
        .value_kind:     global_buffer
      - .offset:         96
        .size:           8
        .value_kind:     by_value
      - .address_space:  global
        .offset:         104
        .size:           8
        .value_kind:     global_buffer
      - .offset:         112
        .size:           8
        .value_kind:     by_value
      - .offset:         120
        .size:           4
        .value_kind:     by_value
      - .offset:         128
        .size:           8
        .value_kind:     by_value
      - .offset:         136
        .size:           4
        .value_kind:     by_value
      - .offset:         144
        .size:           4
        .value_kind:     hidden_block_count_x
      - .offset:         148
        .size:           4
        .value_kind:     hidden_block_count_y
      - .offset:         152
        .size:           4
        .value_kind:     hidden_block_count_z
      - .offset:         156
        .size:           2
        .value_kind:     hidden_group_size_x
      - .offset:         158
        .size:           2
        .value_kind:     hidden_group_size_y
      - .offset:         160
        .size:           2
        .value_kind:     hidden_group_size_z
      - .offset:         162
        .size:           2
        .value_kind:     hidden_remainder_x
      - .offset:         164
        .size:           2
        .value_kind:     hidden_remainder_y
      - .offset:         166
        .size:           2
        .value_kind:     hidden_remainder_z
      - .offset:         184
        .size:           8
        .value_kind:     hidden_global_offset_x
      - .offset:         192
        .size:           8
        .value_kind:     hidden_global_offset_y
      - .offset:         200
        .size:           8
        .value_kind:     hidden_global_offset_z
      - .offset:         208
        .size:           2
        .value_kind:     hidden_grid_dims
    .group_segment_fixed_size: 8192
    .kernarg_segment_align: 8
    .kernarg_segment_size: 400
    .language:       OpenCL C
    .language_version:
      - 2
      - 0
    .max_flat_workgroup_size: 512
    .name:           _ZL20rocblas_gemvn_kernelILi32ELi16EiPK16rocblas_bfloat16PKfKPS0_EviiT3_lPKT2_lT1_lSA_lSB_lS7_lPT4_lSB_li
    .private_segment_fixed_size: 0
    .sgpr_count:     51
    .sgpr_spill_count: 0
    .symbol:         _ZL20rocblas_gemvn_kernelILi32ELi16EiPK16rocblas_bfloat16PKfKPS0_EviiT3_lPKT2_lT1_lSA_lSB_lS7_lPT4_lSB_li.kd
    .uniform_work_group_size: 1
    .uses_dynamic_stack: false
    .vgpr_count:     61
    .vgpr_spill_count: 0
    .wavefront_size: 32
    .workgroup_processor_mode: 1
  - .args:
      - .offset:         0
        .size:           4
        .value_kind:     by_value
      - .offset:         4
        .size:           4
        .value_kind:     by_value
      - .address_space:  global
        .offset:         8
        .size:           8
        .value_kind:     global_buffer
      - .offset:         16
        .size:           8
        .value_kind:     by_value
      - .address_space:  global
        .offset:         24
        .size:           8
        .value_kind:     global_buffer
      - .offset:         32
        .size:           8
        .value_kind:     by_value
      - .offset:         40
        .size:           8
        .value_kind:     by_value
      - .offset:         48
        .size:           8
        .value_kind:     by_value
      - .address_space:  global
        .offset:         56
        .size:           8
        .value_kind:     global_buffer
      - .offset:         64
        .size:           8
        .value_kind:     by_value
      - .offset:         72
        .size:           8
        .value_kind:     by_value
      - .offset:         80
        .size:           8
        .value_kind:     by_value
      - .address_space:  global
        .offset:         88
        .size:           8
        .value_kind:     global_buffer
      - .offset:         96
        .size:           8
        .value_kind:     by_value
      - .address_space:  global
        .offset:         104
        .size:           8
        .value_kind:     global_buffer
      - .offset:         112
        .size:           8
        .value_kind:     by_value
      - .offset:         120
        .size:           8
        .value_kind:     by_value
      - .offset:         128
        .size:           8
        .value_kind:     by_value
      - .offset:         136
        .size:           4
        .value_kind:     by_value
      - .offset:         144
        .size:           4
        .value_kind:     hidden_block_count_x
      - .offset:         148
        .size:           4
        .value_kind:     hidden_block_count_y
      - .offset:         152
        .size:           4
        .value_kind:     hidden_block_count_z
      - .offset:         156
        .size:           2
        .value_kind:     hidden_group_size_x
      - .offset:         158
        .size:           2
        .value_kind:     hidden_group_size_y
      - .offset:         160
        .size:           2
        .value_kind:     hidden_group_size_z
      - .offset:         162
        .size:           2
        .value_kind:     hidden_remainder_x
      - .offset:         164
        .size:           2
        .value_kind:     hidden_remainder_y
      - .offset:         166
        .size:           2
        .value_kind:     hidden_remainder_z
      - .offset:         184
        .size:           8
        .value_kind:     hidden_global_offset_x
      - .offset:         192
        .size:           8
        .value_kind:     hidden_global_offset_y
      - .offset:         200
        .size:           8
        .value_kind:     hidden_global_offset_z
      - .offset:         208
        .size:           2
        .value_kind:     hidden_grid_dims
    .group_segment_fixed_size: 8192
    .kernarg_segment_align: 8
    .kernarg_segment_size: 400
    .language:       OpenCL C
    .language_version:
      - 2
      - 0
    .max_flat_workgroup_size: 512
    .name:           _ZL20rocblas_gemvn_kernelILi32ELi16ElPK16rocblas_bfloat16PKfKPS0_EviiT3_lPKT2_lT1_lSA_lSB_lS7_lPT4_lSB_li
    .private_segment_fixed_size: 0
    .sgpr_count:     53
    .sgpr_spill_count: 0
    .symbol:         _ZL20rocblas_gemvn_kernelILi32ELi16ElPK16rocblas_bfloat16PKfKPS0_EviiT3_lPKT2_lT1_lSA_lSB_lS7_lPT4_lSB_li.kd
    .uniform_work_group_size: 1
    .uses_dynamic_stack: false
    .vgpr_count:     74
    .vgpr_spill_count: 0
    .wavefront_size: 32
    .workgroup_processor_mode: 1
  - .args:
      - .offset:         0
        .size:           4
        .value_kind:     by_value
      - .offset:         4
        .size:           4
        .value_kind:     by_value
      - .offset:         8
        .size:           4
        .value_kind:     by_value
      - .offset:         16
        .size:           8
        .value_kind:     by_value
      - .address_space:  global
        .offset:         24
        .size:           8
        .value_kind:     global_buffer
      - .offset:         32
        .size:           8
        .value_kind:     by_value
      - .offset:         40
        .size:           4
        .value_kind:     by_value
      - .offset:         48
        .size:           8
        .value_kind:     by_value
      - .address_space:  global
        .offset:         56
        .size:           8
        .value_kind:     global_buffer
      - .offset:         64
        .size:           8
        .value_kind:     by_value
      - .offset:         72
        .size:           4
        .value_kind:     by_value
      - .offset:         80
        .size:           8
        .value_kind:     by_value
      - .offset:         88
        .size:           4
        .value_kind:     by_value
      - .offset:         96
        .size:           8
        .value_kind:     by_value
      - .address_space:  global
        .offset:         104
        .size:           8
        .value_kind:     global_buffer
      - .offset:         112
        .size:           8
        .value_kind:     by_value
      - .offset:         120
        .size:           4
        .value_kind:     by_value
      - .offset:         128
        .size:           8
        .value_kind:     by_value
      - .offset:         136
        .size:           4
        .value_kind:     by_value
      - .offset:         144
        .size:           4
        .value_kind:     hidden_block_count_x
      - .offset:         148
        .size:           4
        .value_kind:     hidden_block_count_y
      - .offset:         152
        .size:           4
        .value_kind:     hidden_block_count_z
      - .offset:         156
        .size:           2
        .value_kind:     hidden_group_size_x
      - .offset:         158
        .size:           2
        .value_kind:     hidden_group_size_y
      - .offset:         160
        .size:           2
        .value_kind:     hidden_group_size_z
      - .offset:         162
        .size:           2
        .value_kind:     hidden_remainder_x
      - .offset:         164
        .size:           2
        .value_kind:     hidden_remainder_y
      - .offset:         166
        .size:           2
        .value_kind:     hidden_remainder_z
      - .offset:         184
        .size:           8
        .value_kind:     hidden_global_offset_x
      - .offset:         192
        .size:           8
        .value_kind:     hidden_global_offset_y
      - .offset:         200
        .size:           8
        .value_kind:     hidden_global_offset_z
      - .offset:         208
        .size:           2
        .value_kind:     hidden_grid_dims
    .group_segment_fixed_size: 8192
    .kernarg_segment_align: 8
    .kernarg_segment_size: 400
    .language:       OpenCL C
    .language_version:
      - 2
      - 0
    .max_flat_workgroup_size: 512
    .name:           _ZL20rocblas_gemvn_kernelILi32ELi16EiPK16rocblas_bfloat16fKPS0_EviiT3_lPKT2_lT1_lS8_lS9_lS5_lPT4_lS9_li
    .private_segment_fixed_size: 0
    .sgpr_count:     48
    .sgpr_spill_count: 0
    .symbol:         _ZL20rocblas_gemvn_kernelILi32ELi16EiPK16rocblas_bfloat16fKPS0_EviiT3_lPKT2_lT1_lS8_lS9_lS5_lPT4_lS9_li.kd
    .uniform_work_group_size: 1
    .uses_dynamic_stack: false
    .vgpr_count:     61
    .vgpr_spill_count: 0
    .wavefront_size: 32
    .workgroup_processor_mode: 1
  - .args:
      - .offset:         0
        .size:           4
        .value_kind:     by_value
      - .offset:         4
        .size:           4
        .value_kind:     by_value
      - .offset:         8
        .size:           4
        .value_kind:     by_value
      - .offset:         16
        .size:           8
        .value_kind:     by_value
      - .address_space:  global
        .offset:         24
        .size:           8
        .value_kind:     global_buffer
      - .offset:         32
        .size:           8
        .value_kind:     by_value
      - .offset:         40
        .size:           8
        .value_kind:     by_value
      - .offset:         48
        .size:           8
        .value_kind:     by_value
      - .address_space:  global
        .offset:         56
        .size:           8
        .value_kind:     global_buffer
      - .offset:         64
        .size:           8
        .value_kind:     by_value
      - .offset:         72
        .size:           8
        .value_kind:     by_value
      - .offset:         80
        .size:           8
        .value_kind:     by_value
      - .offset:         88
        .size:           4
        .value_kind:     by_value
      - .offset:         96
        .size:           8
        .value_kind:     by_value
      - .address_space:  global
        .offset:         104
        .size:           8
        .value_kind:     global_buffer
      - .offset:         112
        .size:           8
        .value_kind:     by_value
      - .offset:         120
        .size:           8
        .value_kind:     by_value
      - .offset:         128
        .size:           8
        .value_kind:     by_value
      - .offset:         136
        .size:           4
        .value_kind:     by_value
      - .offset:         144
        .size:           4
        .value_kind:     hidden_block_count_x
      - .offset:         148
        .size:           4
        .value_kind:     hidden_block_count_y
      - .offset:         152
        .size:           4
        .value_kind:     hidden_block_count_z
      - .offset:         156
        .size:           2
        .value_kind:     hidden_group_size_x
      - .offset:         158
        .size:           2
        .value_kind:     hidden_group_size_y
      - .offset:         160
        .size:           2
        .value_kind:     hidden_group_size_z
      - .offset:         162
        .size:           2
        .value_kind:     hidden_remainder_x
      - .offset:         164
        .size:           2
        .value_kind:     hidden_remainder_y
      - .offset:         166
        .size:           2
        .value_kind:     hidden_remainder_z
      - .offset:         184
        .size:           8
        .value_kind:     hidden_global_offset_x
      - .offset:         192
        .size:           8
        .value_kind:     hidden_global_offset_y
      - .offset:         200
        .size:           8
        .value_kind:     hidden_global_offset_z
      - .offset:         208
        .size:           2
        .value_kind:     hidden_grid_dims
    .group_segment_fixed_size: 8192
    .kernarg_segment_align: 8
    .kernarg_segment_size: 400
    .language:       OpenCL C
    .language_version:
      - 2
      - 0
    .max_flat_workgroup_size: 512
    .name:           _ZL20rocblas_gemvn_kernelILi32ELi16ElPK16rocblas_bfloat16fKPS0_EviiT3_lPKT2_lT1_lS8_lS9_lS5_lPT4_lS9_li
    .private_segment_fixed_size: 0
    .sgpr_count:     50
    .sgpr_spill_count: 0
    .symbol:         _ZL20rocblas_gemvn_kernelILi32ELi16ElPK16rocblas_bfloat16fKPS0_EviiT3_lPKT2_lT1_lS8_lS9_lS5_lPT4_lS9_li.kd
    .uniform_work_group_size: 1
    .uses_dynamic_stack: false
    .vgpr_count:     74
    .vgpr_spill_count: 0
    .wavefront_size: 32
    .workgroup_processor_mode: 1
  - .args:
      - .offset:         0
        .size:           4
        .value_kind:     by_value
      - .offset:         4
        .size:           4
        .value_kind:     by_value
      - .address_space:  global
        .offset:         8
        .size:           8
        .value_kind:     global_buffer
      - .offset:         16
        .size:           8
        .value_kind:     by_value
      - .address_space:  global
        .offset:         24
        .size:           8
        .value_kind:     global_buffer
      - .offset:         32
        .size:           8
        .value_kind:     by_value
      - .offset:         40
        .size:           4
        .value_kind:     by_value
      - .offset:         48
        .size:           8
        .value_kind:     by_value
      - .address_space:  global
        .offset:         56
        .size:           8
        .value_kind:     global_buffer
      - .offset:         64
        .size:           8
        .value_kind:     by_value
      - .offset:         72
        .size:           4
        .value_kind:     by_value
      - .offset:         80
        .size:           8
        .value_kind:     by_value
      - .address_space:  global
        .offset:         88
        .size:           8
        .value_kind:     global_buffer
      - .offset:         96
        .size:           8
        .value_kind:     by_value
      - .address_space:  global
        .offset:         104
        .size:           8
        .value_kind:     global_buffer
      - .offset:         112
        .size:           8
        .value_kind:     by_value
      - .offset:         120
        .size:           4
        .value_kind:     by_value
      - .offset:         128
        .size:           8
        .value_kind:     by_value
      - .offset:         136
        .size:           4
        .value_kind:     by_value
      - .offset:         144
        .size:           4
        .value_kind:     hidden_block_count_x
      - .offset:         148
        .size:           4
        .value_kind:     hidden_block_count_y
      - .offset:         152
        .size:           4
        .value_kind:     hidden_block_count_z
      - .offset:         156
        .size:           2
        .value_kind:     hidden_group_size_x
      - .offset:         158
        .size:           2
        .value_kind:     hidden_group_size_y
      - .offset:         160
        .size:           2
        .value_kind:     hidden_group_size_z
      - .offset:         162
        .size:           2
        .value_kind:     hidden_remainder_x
      - .offset:         164
        .size:           2
        .value_kind:     hidden_remainder_y
      - .offset:         166
        .size:           2
        .value_kind:     hidden_remainder_z
      - .offset:         184
        .size:           8
        .value_kind:     hidden_global_offset_x
      - .offset:         192
        .size:           8
        .value_kind:     hidden_global_offset_y
      - .offset:         200
        .size:           8
        .value_kind:     hidden_global_offset_z
      - .offset:         208
        .size:           2
        .value_kind:     hidden_grid_dims
    .group_segment_fixed_size: 16384
    .kernarg_segment_align: 8
    .kernarg_segment_size: 400
    .language:       OpenCL C
    .language_version:
      - 2
      - 0
    .max_flat_workgroup_size: 1024
    .name:           _ZL20rocblas_gemvn_kernelILi64ELi16EiPK16rocblas_bfloat16PKfKPS0_EviiT3_lPKT2_lT1_lSA_lSB_lS7_lPT4_lSB_li
    .private_segment_fixed_size: 0
    .sgpr_count:     51
    .sgpr_spill_count: 0
    .symbol:         _ZL20rocblas_gemvn_kernelILi64ELi16EiPK16rocblas_bfloat16PKfKPS0_EviiT3_lPKT2_lT1_lSA_lSB_lS7_lPT4_lSB_li.kd
    .uniform_work_group_size: 1
    .uses_dynamic_stack: false
    .vgpr_count:     59
    .vgpr_spill_count: 0
    .wavefront_size: 32
    .workgroup_processor_mode: 1
  - .args:
      - .offset:         0
        .size:           4
        .value_kind:     by_value
      - .offset:         4
        .size:           4
        .value_kind:     by_value
      - .address_space:  global
        .offset:         8
        .size:           8
        .value_kind:     global_buffer
      - .offset:         16
        .size:           8
        .value_kind:     by_value
      - .address_space:  global
        .offset:         24
        .size:           8
        .value_kind:     global_buffer
      - .offset:         32
        .size:           8
        .value_kind:     by_value
      - .offset:         40
        .size:           8
        .value_kind:     by_value
      - .offset:         48
        .size:           8
        .value_kind:     by_value
      - .address_space:  global
        .offset:         56
        .size:           8
        .value_kind:     global_buffer
      - .offset:         64
        .size:           8
        .value_kind:     by_value
      - .offset:         72
        .size:           8
        .value_kind:     by_value
      - .offset:         80
        .size:           8
        .value_kind:     by_value
      - .address_space:  global
        .offset:         88
        .size:           8
        .value_kind:     global_buffer
      - .offset:         96
        .size:           8
        .value_kind:     by_value
      - .address_space:  global
        .offset:         104
        .size:           8
        .value_kind:     global_buffer
      - .offset:         112
        .size:           8
        .value_kind:     by_value
      - .offset:         120
        .size:           8
        .value_kind:     by_value
      - .offset:         128
        .size:           8
        .value_kind:     by_value
      - .offset:         136
        .size:           4
        .value_kind:     by_value
      - .offset:         144
        .size:           4
        .value_kind:     hidden_block_count_x
      - .offset:         148
        .size:           4
        .value_kind:     hidden_block_count_y
      - .offset:         152
        .size:           4
        .value_kind:     hidden_block_count_z
      - .offset:         156
        .size:           2
        .value_kind:     hidden_group_size_x
      - .offset:         158
        .size:           2
        .value_kind:     hidden_group_size_y
      - .offset:         160
        .size:           2
        .value_kind:     hidden_group_size_z
      - .offset:         162
        .size:           2
        .value_kind:     hidden_remainder_x
      - .offset:         164
        .size:           2
        .value_kind:     hidden_remainder_y
      - .offset:         166
        .size:           2
        .value_kind:     hidden_remainder_z
      - .offset:         184
        .size:           8
        .value_kind:     hidden_global_offset_x
      - .offset:         192
        .size:           8
        .value_kind:     hidden_global_offset_y
      - .offset:         200
        .size:           8
        .value_kind:     hidden_global_offset_z
      - .offset:         208
        .size:           2
        .value_kind:     hidden_grid_dims
    .group_segment_fixed_size: 16384
    .kernarg_segment_align: 8
    .kernarg_segment_size: 400
    .language:       OpenCL C
    .language_version:
      - 2
      - 0
    .max_flat_workgroup_size: 1024
    .name:           _ZL20rocblas_gemvn_kernelILi64ELi16ElPK16rocblas_bfloat16PKfKPS0_EviiT3_lPKT2_lT1_lSA_lSB_lS7_lPT4_lSB_li
    .private_segment_fixed_size: 0
    .sgpr_count:     53
    .sgpr_spill_count: 0
    .symbol:         _ZL20rocblas_gemvn_kernelILi64ELi16ElPK16rocblas_bfloat16PKfKPS0_EviiT3_lPKT2_lT1_lSA_lSB_lS7_lPT4_lSB_li.kd
    .uniform_work_group_size: 1
    .uses_dynamic_stack: false
    .vgpr_count:     74
    .vgpr_spill_count: 0
    .wavefront_size: 32
    .workgroup_processor_mode: 1
  - .args:
      - .offset:         0
        .size:           4
        .value_kind:     by_value
      - .offset:         4
        .size:           4
        .value_kind:     by_value
      - .offset:         8
        .size:           4
        .value_kind:     by_value
      - .offset:         16
        .size:           8
        .value_kind:     by_value
      - .address_space:  global
        .offset:         24
        .size:           8
        .value_kind:     global_buffer
      - .offset:         32
        .size:           8
        .value_kind:     by_value
      - .offset:         40
        .size:           4
        .value_kind:     by_value
      - .offset:         48
        .size:           8
        .value_kind:     by_value
      - .address_space:  global
        .offset:         56
        .size:           8
        .value_kind:     global_buffer
      - .offset:         64
        .size:           8
        .value_kind:     by_value
      - .offset:         72
        .size:           4
        .value_kind:     by_value
      - .offset:         80
        .size:           8
        .value_kind:     by_value
      - .offset:         88
        .size:           4
        .value_kind:     by_value
      - .offset:         96
        .size:           8
        .value_kind:     by_value
      - .address_space:  global
        .offset:         104
        .size:           8
        .value_kind:     global_buffer
      - .offset:         112
        .size:           8
        .value_kind:     by_value
      - .offset:         120
        .size:           4
        .value_kind:     by_value
      - .offset:         128
        .size:           8
        .value_kind:     by_value
      - .offset:         136
        .size:           4
        .value_kind:     by_value
      - .offset:         144
        .size:           4
        .value_kind:     hidden_block_count_x
      - .offset:         148
        .size:           4
        .value_kind:     hidden_block_count_y
      - .offset:         152
        .size:           4
        .value_kind:     hidden_block_count_z
      - .offset:         156
        .size:           2
        .value_kind:     hidden_group_size_x
      - .offset:         158
        .size:           2
        .value_kind:     hidden_group_size_y
      - .offset:         160
        .size:           2
        .value_kind:     hidden_group_size_z
      - .offset:         162
        .size:           2
        .value_kind:     hidden_remainder_x
      - .offset:         164
        .size:           2
        .value_kind:     hidden_remainder_y
      - .offset:         166
        .size:           2
        .value_kind:     hidden_remainder_z
      - .offset:         184
        .size:           8
        .value_kind:     hidden_global_offset_x
      - .offset:         192
        .size:           8
        .value_kind:     hidden_global_offset_y
      - .offset:         200
        .size:           8
        .value_kind:     hidden_global_offset_z
      - .offset:         208
        .size:           2
        .value_kind:     hidden_grid_dims
    .group_segment_fixed_size: 16384
    .kernarg_segment_align: 8
    .kernarg_segment_size: 400
    .language:       OpenCL C
    .language_version:
      - 2
      - 0
    .max_flat_workgroup_size: 1024
    .name:           _ZL20rocblas_gemvn_kernelILi64ELi16EiPK16rocblas_bfloat16fKPS0_EviiT3_lPKT2_lT1_lS8_lS9_lS5_lPT4_lS9_li
    .private_segment_fixed_size: 0
    .sgpr_count:     48
    .sgpr_spill_count: 0
    .symbol:         _ZL20rocblas_gemvn_kernelILi64ELi16EiPK16rocblas_bfloat16fKPS0_EviiT3_lPKT2_lT1_lS8_lS9_lS5_lPT4_lS9_li.kd
    .uniform_work_group_size: 1
    .uses_dynamic_stack: false
    .vgpr_count:     59
    .vgpr_spill_count: 0
    .wavefront_size: 32
    .workgroup_processor_mode: 1
  - .args:
      - .offset:         0
        .size:           4
        .value_kind:     by_value
      - .offset:         4
        .size:           4
        .value_kind:     by_value
      - .offset:         8
        .size:           4
        .value_kind:     by_value
      - .offset:         16
        .size:           8
        .value_kind:     by_value
      - .address_space:  global
        .offset:         24
        .size:           8
        .value_kind:     global_buffer
      - .offset:         32
        .size:           8
        .value_kind:     by_value
      - .offset:         40
        .size:           8
        .value_kind:     by_value
      - .offset:         48
        .size:           8
        .value_kind:     by_value
      - .address_space:  global
        .offset:         56
        .size:           8
        .value_kind:     global_buffer
      - .offset:         64
        .size:           8
        .value_kind:     by_value
      - .offset:         72
        .size:           8
        .value_kind:     by_value
      - .offset:         80
        .size:           8
        .value_kind:     by_value
      - .offset:         88
        .size:           4
        .value_kind:     by_value
      - .offset:         96
        .size:           8
        .value_kind:     by_value
      - .address_space:  global
        .offset:         104
        .size:           8
        .value_kind:     global_buffer
      - .offset:         112
        .size:           8
        .value_kind:     by_value
      - .offset:         120
        .size:           8
        .value_kind:     by_value
      - .offset:         128
        .size:           8
        .value_kind:     by_value
      - .offset:         136
        .size:           4
        .value_kind:     by_value
      - .offset:         144
        .size:           4
        .value_kind:     hidden_block_count_x
      - .offset:         148
        .size:           4
        .value_kind:     hidden_block_count_y
      - .offset:         152
        .size:           4
        .value_kind:     hidden_block_count_z
      - .offset:         156
        .size:           2
        .value_kind:     hidden_group_size_x
      - .offset:         158
        .size:           2
        .value_kind:     hidden_group_size_y
      - .offset:         160
        .size:           2
        .value_kind:     hidden_group_size_z
      - .offset:         162
        .size:           2
        .value_kind:     hidden_remainder_x
      - .offset:         164
        .size:           2
        .value_kind:     hidden_remainder_y
      - .offset:         166
        .size:           2
        .value_kind:     hidden_remainder_z
      - .offset:         184
        .size:           8
        .value_kind:     hidden_global_offset_x
      - .offset:         192
        .size:           8
        .value_kind:     hidden_global_offset_y
      - .offset:         200
        .size:           8
        .value_kind:     hidden_global_offset_z
      - .offset:         208
        .size:           2
        .value_kind:     hidden_grid_dims
    .group_segment_fixed_size: 16384
    .kernarg_segment_align: 8
    .kernarg_segment_size: 400
    .language:       OpenCL C
    .language_version:
      - 2
      - 0
    .max_flat_workgroup_size: 1024
    .name:           _ZL20rocblas_gemvn_kernelILi64ELi16ElPK16rocblas_bfloat16fKPS0_EviiT3_lPKT2_lT1_lS8_lS9_lS5_lPT4_lS9_li
    .private_segment_fixed_size: 0
    .sgpr_count:     50
    .sgpr_spill_count: 0
    .symbol:         _ZL20rocblas_gemvn_kernelILi64ELi16ElPK16rocblas_bfloat16fKPS0_EviiT3_lPKT2_lT1_lS8_lS9_lS5_lPT4_lS9_li.kd
    .uniform_work_group_size: 1
    .uses_dynamic_stack: false
    .vgpr_count:     74
    .vgpr_spill_count: 0
    .wavefront_size: 32
    .workgroup_processor_mode: 1
  - .args:
      - .offset:         0
        .size:           4
        .value_kind:     by_value
      - .offset:         4
        .size:           4
        .value_kind:     by_value
      - .address_space:  global
        .offset:         8
        .size:           8
        .value_kind:     global_buffer
      - .offset:         16
        .size:           8
        .value_kind:     by_value
      - .address_space:  global
        .offset:         24
        .size:           8
        .value_kind:     global_buffer
      - .offset:         32
        .size:           8
        .value_kind:     by_value
      - .offset:         40
        .size:           4
        .value_kind:     by_value
      - .offset:         48
        .size:           8
        .value_kind:     by_value
      - .address_space:  global
        .offset:         56
        .size:           8
        .value_kind:     global_buffer
      - .offset:         64
        .size:           8
        .value_kind:     by_value
      - .offset:         72
        .size:           4
        .value_kind:     by_value
      - .offset:         80
        .size:           8
        .value_kind:     by_value
      - .address_space:  global
        .offset:         88
        .size:           8
        .value_kind:     global_buffer
      - .offset:         96
        .size:           8
        .value_kind:     by_value
      - .address_space:  global
        .offset:         104
        .size:           8
        .value_kind:     global_buffer
      - .offset:         112
        .size:           8
        .value_kind:     by_value
      - .offset:         120
        .size:           4
        .value_kind:     by_value
      - .offset:         128
        .size:           8
        .value_kind:     by_value
    .group_segment_fixed_size: 256
    .kernarg_segment_align: 8
    .kernarg_segment_size: 136
    .language:       OpenCL C
    .language_version:
      - 2
      - 0
    .max_flat_workgroup_size: 256
    .name:           _ZL22rocblas_gemvtsm_kernelILb0ELi256EPK16rocblas_bfloat16PKfKPS0_EviiT2_lPKT1_lilSA_lilS7_lPT3_lil
    .private_segment_fixed_size: 0
    .sgpr_count:     24
    .sgpr_spill_count: 0
    .symbol:         _ZL22rocblas_gemvtsm_kernelILb0ELi256EPK16rocblas_bfloat16PKfKPS0_EviiT2_lPKT1_lilSA_lilS7_lPT3_lil.kd
    .uniform_work_group_size: 1
    .uses_dynamic_stack: false
    .vgpr_count:     16
    .vgpr_spill_count: 0
    .wavefront_size: 32
    .workgroup_processor_mode: 1
  - .args:
      - .offset:         0
        .size:           4
        .value_kind:     by_value
      - .offset:         4
        .size:           4
        .value_kind:     by_value
      - .offset:         8
        .size:           4
        .value_kind:     by_value
      - .offset:         16
        .size:           8
        .value_kind:     by_value
      - .address_space:  global
        .offset:         24
        .size:           8
        .value_kind:     global_buffer
      - .offset:         32
        .size:           8
        .value_kind:     by_value
      - .offset:         40
        .size:           4
        .value_kind:     by_value
      - .offset:         48
        .size:           8
        .value_kind:     by_value
      - .address_space:  global
        .offset:         56
        .size:           8
        .value_kind:     global_buffer
      - .offset:         64
        .size:           8
        .value_kind:     by_value
      - .offset:         72
        .size:           4
        .value_kind:     by_value
      - .offset:         80
        .size:           8
        .value_kind:     by_value
      - .offset:         88
        .size:           4
        .value_kind:     by_value
      - .offset:         96
        .size:           8
        .value_kind:     by_value
      - .address_space:  global
        .offset:         104
        .size:           8
        .value_kind:     global_buffer
      - .offset:         112
        .size:           8
        .value_kind:     by_value
      - .offset:         120
        .size:           4
        .value_kind:     by_value
      - .offset:         128
        .size:           8
        .value_kind:     by_value
    .group_segment_fixed_size: 256
    .kernarg_segment_align: 8
    .kernarg_segment_size: 136
    .language:       OpenCL C
    .language_version:
      - 2
      - 0
    .max_flat_workgroup_size: 256
    .name:           _ZL22rocblas_gemvtsm_kernelILb0ELi256EPK16rocblas_bfloat16fKPS0_EviiT2_lPKT1_lilS8_lilS5_lPT3_lil
    .private_segment_fixed_size: 0
    .sgpr_count:     26
    .sgpr_spill_count: 0
    .symbol:         _ZL22rocblas_gemvtsm_kernelILb0ELi256EPK16rocblas_bfloat16fKPS0_EviiT2_lPKT1_lilS8_lilS5_lPT3_lil.kd
    .uniform_work_group_size: 1
    .uses_dynamic_stack: false
    .vgpr_count:     16
    .vgpr_spill_count: 0
    .wavefront_size: 32
    .workgroup_processor_mode: 1
  - .args:
      - .offset:         0
        .size:           4
        .value_kind:     by_value
      - .offset:         4
        .size:           4
        .value_kind:     by_value
      - .address_space:  global
        .offset:         8
        .size:           8
        .value_kind:     global_buffer
      - .offset:         16
        .size:           8
        .value_kind:     by_value
      - .address_space:  global
        .offset:         24
        .size:           8
        .value_kind:     global_buffer
      - .offset:         32
        .size:           8
        .value_kind:     by_value
      - .offset:         40
        .size:           4
        .value_kind:     by_value
      - .offset:         48
        .size:           8
        .value_kind:     by_value
      - .address_space:  global
        .offset:         56
        .size:           8
        .value_kind:     global_buffer
      - .offset:         64
        .size:           8
        .value_kind:     by_value
      - .offset:         72
        .size:           4
        .value_kind:     by_value
      - .offset:         80
        .size:           8
        .value_kind:     by_value
      - .address_space:  global
        .offset:         88
        .size:           8
        .value_kind:     global_buffer
      - .offset:         96
        .size:           4
        .value_kind:     by_value
      - .offset:         104
        .size:           4
        .value_kind:     hidden_block_count_x
      - .offset:         108
        .size:           4
        .value_kind:     hidden_block_count_y
      - .offset:         112
        .size:           4
        .value_kind:     hidden_block_count_z
      - .offset:         116
        .size:           2
        .value_kind:     hidden_group_size_x
      - .offset:         118
        .size:           2
        .value_kind:     hidden_group_size_y
      - .offset:         120
        .size:           2
        .value_kind:     hidden_group_size_z
      - .offset:         122
        .size:           2
        .value_kind:     hidden_remainder_x
      - .offset:         124
        .size:           2
        .value_kind:     hidden_remainder_y
      - .offset:         126
        .size:           2
        .value_kind:     hidden_remainder_z
      - .offset:         144
        .size:           8
        .value_kind:     hidden_global_offset_x
      - .offset:         152
        .size:           8
        .value_kind:     hidden_global_offset_y
      - .offset:         160
        .size:           8
        .value_kind:     hidden_global_offset_z
      - .offset:         168
        .size:           2
        .value_kind:     hidden_grid_dims
    .group_segment_fixed_size: 128
    .kernarg_segment_align: 8
    .kernarg_segment_size: 360
    .language:       OpenCL C
    .language_version:
      - 2
      - 0
    .max_flat_workgroup_size: 256
    .name:           _ZL23rocblas_gemvt_sn_kernelILb0ELi256ELi4EiPK16rocblas_bfloat16PKffEviiT4_lPKT3_lilS8_lilPT5_i
    .private_segment_fixed_size: 0
    .sgpr_count:     76
    .sgpr_spill_count: 0
    .symbol:         _ZL23rocblas_gemvt_sn_kernelILb0ELi256ELi4EiPK16rocblas_bfloat16PKffEviiT4_lPKT3_lilS8_lilPT5_i.kd
    .uniform_work_group_size: 1
    .uses_dynamic_stack: false
    .vgpr_count:     55
    .vgpr_spill_count: 0
    .wavefront_size: 32
    .workgroup_processor_mode: 1
  - .args:
      - .offset:         0
        .size:           4
        .value_kind:     by_value
      - .offset:         4
        .size:           4
        .value_kind:     by_value
      - .address_space:  global
        .offset:         8
        .size:           8
        .value_kind:     global_buffer
      - .offset:         16
        .size:           8
        .value_kind:     by_value
      - .address_space:  global
        .offset:         24
        .size:           8
        .value_kind:     global_buffer
      - .offset:         32
        .size:           8
        .value_kind:     by_value
      - .offset:         40
        .size:           4
        .value_kind:     by_value
      - .offset:         48
        .size:           8
        .value_kind:     by_value
      - .address_space:  global
        .offset:         56
        .size:           8
        .value_kind:     global_buffer
      - .offset:         64
        .size:           8
        .value_kind:     by_value
      - .offset:         72
        .size:           4
        .value_kind:     by_value
      - .offset:         80
        .size:           8
        .value_kind:     by_value
      - .address_space:  global
        .offset:         88
        .size:           8
        .value_kind:     global_buffer
      - .offset:         96
        .size:           4
        .value_kind:     by_value
      - .offset:         104
        .size:           4
        .value_kind:     hidden_block_count_x
      - .offset:         108
        .size:           4
        .value_kind:     hidden_block_count_y
      - .offset:         112
        .size:           4
        .value_kind:     hidden_block_count_z
      - .offset:         116
        .size:           2
        .value_kind:     hidden_group_size_x
      - .offset:         118
        .size:           2
        .value_kind:     hidden_group_size_y
      - .offset:         120
        .size:           2
        .value_kind:     hidden_group_size_z
      - .offset:         122
        .size:           2
        .value_kind:     hidden_remainder_x
      - .offset:         124
        .size:           2
        .value_kind:     hidden_remainder_y
      - .offset:         126
        .size:           2
        .value_kind:     hidden_remainder_z
      - .offset:         144
        .size:           8
        .value_kind:     hidden_global_offset_x
      - .offset:         152
        .size:           8
        .value_kind:     hidden_global_offset_y
      - .offset:         160
        .size:           8
        .value_kind:     hidden_global_offset_z
      - .offset:         168
        .size:           2
        .value_kind:     hidden_grid_dims
    .group_segment_fixed_size: 128
    .kernarg_segment_align: 8
    .kernarg_segment_size: 360
    .language:       OpenCL C
    .language_version:
      - 2
      - 0
    .max_flat_workgroup_size: 256
    .name:           _ZL23rocblas_gemvt_sn_kernelILb0ELi256ELi4ElPK16rocblas_bfloat16PKffEviiT4_lPKT3_lilS8_lilPT5_i
    .private_segment_fixed_size: 0
    .sgpr_count:     70
    .sgpr_spill_count: 0
    .symbol:         _ZL23rocblas_gemvt_sn_kernelILb0ELi256ELi4ElPK16rocblas_bfloat16PKffEviiT4_lPKT3_lilS8_lilPT5_i.kd
    .uniform_work_group_size: 1
    .uses_dynamic_stack: false
    .vgpr_count:     55
    .vgpr_spill_count: 0
    .wavefront_size: 32
    .workgroup_processor_mode: 1
  - .args:
      - .offset:         0
        .size:           4
        .value_kind:     by_value
      - .address_space:  global
        .offset:         8
        .size:           8
        .value_kind:     global_buffer
      - .offset:         16
        .size:           8
        .value_kind:     by_value
      - .address_space:  global
        .offset:         24
        .size:           8
        .value_kind:     global_buffer
      - .offset:         32
        .size:           8
        .value_kind:     by_value
      - .offset:         40
        .size:           4
        .value_kind:     by_value
      - .offset:         48
        .size:           8
        .value_kind:     by_value
      - .actual_access:  read_only
        .address_space:  global
        .offset:         56
        .size:           8
        .value_kind:     global_buffer
      - .offset:         64
        .size:           4
        .value_kind:     by_value
      - .offset:         72
        .size:           4
        .value_kind:     hidden_block_count_x
      - .offset:         76
        .size:           4
        .value_kind:     hidden_block_count_y
      - .offset:         80
        .size:           4
        .value_kind:     hidden_block_count_z
      - .offset:         84
        .size:           2
        .value_kind:     hidden_group_size_x
      - .offset:         86
        .size:           2
        .value_kind:     hidden_group_size_y
      - .offset:         88
        .size:           2
        .value_kind:     hidden_group_size_z
      - .offset:         90
        .size:           2
        .value_kind:     hidden_remainder_x
      - .offset:         92
        .size:           2
        .value_kind:     hidden_remainder_y
      - .offset:         94
        .size:           2
        .value_kind:     hidden_remainder_z
      - .offset:         112
        .size:           8
        .value_kind:     hidden_global_offset_x
      - .offset:         120
        .size:           8
        .value_kind:     hidden_global_offset_y
      - .offset:         128
        .size:           8
        .value_kind:     hidden_global_offset_z
      - .offset:         136
        .size:           2
        .value_kind:     hidden_grid_dims
    .group_segment_fixed_size: 128
    .kernarg_segment_align: 8
    .kernarg_segment_size: 328
    .language:       OpenCL C
    .language_version:
      - 2
      - 0
    .max_flat_workgroup_size: 256
    .name:           _ZL23rocblas_gemvt_sn_reduceILi256ELi8EfPKfKP16rocblas_bfloat16EviT2_lPT3_lilPT1_i
    .private_segment_fixed_size: 0
    .sgpr_count:     40
    .sgpr_spill_count: 0
    .symbol:         _ZL23rocblas_gemvt_sn_reduceILi256ELi8EfPKfKP16rocblas_bfloat16EviT2_lPT3_lilPT1_i.kd
    .uniform_work_group_size: 1
    .uses_dynamic_stack: false
    .vgpr_count:     28
    .vgpr_spill_count: 0
    .wavefront_size: 32
    .workgroup_processor_mode: 1
  - .args:
      - .offset:         0
        .size:           4
        .value_kind:     by_value
      - .offset:         4
        .size:           4
        .value_kind:     by_value
      - .offset:         8
        .size:           4
        .value_kind:     by_value
      - .offset:         16
        .size:           8
        .value_kind:     by_value
      - .address_space:  global
        .offset:         24
        .size:           8
        .value_kind:     global_buffer
      - .offset:         32
        .size:           8
        .value_kind:     by_value
      - .offset:         40
        .size:           4
        .value_kind:     by_value
      - .offset:         48
        .size:           8
        .value_kind:     by_value
      - .address_space:  global
        .offset:         56
        .size:           8
        .value_kind:     global_buffer
      - .offset:         64
        .size:           8
        .value_kind:     by_value
      - .offset:         72
        .size:           4
        .value_kind:     by_value
      - .offset:         80
        .size:           8
        .value_kind:     by_value
      - .address_space:  global
        .offset:         88
        .size:           8
        .value_kind:     global_buffer
      - .offset:         96
        .size:           4
        .value_kind:     by_value
      - .offset:         104
        .size:           4
        .value_kind:     hidden_block_count_x
      - .offset:         108
        .size:           4
        .value_kind:     hidden_block_count_y
      - .offset:         112
        .size:           4
        .value_kind:     hidden_block_count_z
      - .offset:         116
        .size:           2
        .value_kind:     hidden_group_size_x
      - .offset:         118
        .size:           2
        .value_kind:     hidden_group_size_y
      - .offset:         120
        .size:           2
        .value_kind:     hidden_group_size_z
      - .offset:         122
        .size:           2
        .value_kind:     hidden_remainder_x
      - .offset:         124
        .size:           2
        .value_kind:     hidden_remainder_y
      - .offset:         126
        .size:           2
        .value_kind:     hidden_remainder_z
      - .offset:         144
        .size:           8
        .value_kind:     hidden_global_offset_x
      - .offset:         152
        .size:           8
        .value_kind:     hidden_global_offset_y
      - .offset:         160
        .size:           8
        .value_kind:     hidden_global_offset_z
      - .offset:         168
        .size:           2
        .value_kind:     hidden_grid_dims
    .group_segment_fixed_size: 128
    .kernarg_segment_align: 8
    .kernarg_segment_size: 360
    .language:       OpenCL C
    .language_version:
      - 2
      - 0
    .max_flat_workgroup_size: 256
    .name:           _ZL23rocblas_gemvt_sn_kernelILb0ELi256ELi4EiPK16rocblas_bfloat16ffEviiT4_lPKT3_lilS6_lilPT5_i
    .private_segment_fixed_size: 0
    .sgpr_count:     72
    .sgpr_spill_count: 0
    .symbol:         _ZL23rocblas_gemvt_sn_kernelILb0ELi256ELi4EiPK16rocblas_bfloat16ffEviiT4_lPKT3_lilS6_lilPT5_i.kd
    .uniform_work_group_size: 1
    .uses_dynamic_stack: false
    .vgpr_count:     54
    .vgpr_spill_count: 0
    .wavefront_size: 32
    .workgroup_processor_mode: 1
  - .args:
      - .offset:         0
        .size:           4
        .value_kind:     by_value
      - .offset:         4
        .size:           4
        .value_kind:     by_value
      - .offset:         8
        .size:           4
        .value_kind:     by_value
      - .offset:         16
        .size:           8
        .value_kind:     by_value
      - .address_space:  global
        .offset:         24
        .size:           8
        .value_kind:     global_buffer
      - .offset:         32
        .size:           8
        .value_kind:     by_value
      - .offset:         40
        .size:           4
        .value_kind:     by_value
      - .offset:         48
        .size:           8
        .value_kind:     by_value
      - .address_space:  global
        .offset:         56
        .size:           8
        .value_kind:     global_buffer
      - .offset:         64
        .size:           8
        .value_kind:     by_value
      - .offset:         72
        .size:           4
        .value_kind:     by_value
      - .offset:         80
        .size:           8
        .value_kind:     by_value
      - .address_space:  global
        .offset:         88
        .size:           8
        .value_kind:     global_buffer
      - .offset:         96
        .size:           4
        .value_kind:     by_value
      - .offset:         104
        .size:           4
        .value_kind:     hidden_block_count_x
      - .offset:         108
        .size:           4
        .value_kind:     hidden_block_count_y
      - .offset:         112
        .size:           4
        .value_kind:     hidden_block_count_z
      - .offset:         116
        .size:           2
        .value_kind:     hidden_group_size_x
      - .offset:         118
        .size:           2
        .value_kind:     hidden_group_size_y
      - .offset:         120
        .size:           2
        .value_kind:     hidden_group_size_z
      - .offset:         122
        .size:           2
        .value_kind:     hidden_remainder_x
      - .offset:         124
        .size:           2
        .value_kind:     hidden_remainder_y
      - .offset:         126
        .size:           2
        .value_kind:     hidden_remainder_z
      - .offset:         144
        .size:           8
        .value_kind:     hidden_global_offset_x
      - .offset:         152
        .size:           8
        .value_kind:     hidden_global_offset_y
      - .offset:         160
        .size:           8
        .value_kind:     hidden_global_offset_z
      - .offset:         168
        .size:           2
        .value_kind:     hidden_grid_dims
    .group_segment_fixed_size: 128
    .kernarg_segment_align: 8
    .kernarg_segment_size: 360
    .language:       OpenCL C
    .language_version:
      - 2
      - 0
    .max_flat_workgroup_size: 256
    .name:           _ZL23rocblas_gemvt_sn_kernelILb0ELi256ELi4ElPK16rocblas_bfloat16ffEviiT4_lPKT3_lilS6_lilPT5_i
    .private_segment_fixed_size: 0
    .sgpr_count:     64
    .sgpr_spill_count: 0
    .symbol:         _ZL23rocblas_gemvt_sn_kernelILb0ELi256ELi4ElPK16rocblas_bfloat16ffEviiT4_lPKT3_lilS6_lilPT5_i.kd
    .uniform_work_group_size: 1
    .uses_dynamic_stack: false
    .vgpr_count:     54
    .vgpr_spill_count: 0
    .wavefront_size: 32
    .workgroup_processor_mode: 1
  - .args:
      - .offset:         0
        .size:           4
        .value_kind:     by_value
      - .offset:         4
        .size:           4
        .value_kind:     by_value
      - .offset:         8
        .size:           8
        .value_kind:     by_value
      - .address_space:  global
        .offset:         16
        .size:           8
        .value_kind:     global_buffer
      - .offset:         24
        .size:           8
        .value_kind:     by_value
      - .offset:         32
        .size:           4
        .value_kind:     by_value
      - .offset:         40
        .size:           8
        .value_kind:     by_value
      - .actual_access:  read_only
        .address_space:  global
        .offset:         48
        .size:           8
        .value_kind:     global_buffer
      - .offset:         56
        .size:           4
        .value_kind:     by_value
      - .offset:         64
        .size:           4
        .value_kind:     hidden_block_count_x
      - .offset:         68
        .size:           4
        .value_kind:     hidden_block_count_y
      - .offset:         72
        .size:           4
        .value_kind:     hidden_block_count_z
      - .offset:         76
        .size:           2
        .value_kind:     hidden_group_size_x
      - .offset:         78
        .size:           2
        .value_kind:     hidden_group_size_y
      - .offset:         80
        .size:           2
        .value_kind:     hidden_group_size_z
      - .offset:         82
        .size:           2
        .value_kind:     hidden_remainder_x
      - .offset:         84
        .size:           2
        .value_kind:     hidden_remainder_y
      - .offset:         86
        .size:           2
        .value_kind:     hidden_remainder_z
      - .offset:         104
        .size:           8
        .value_kind:     hidden_global_offset_x
      - .offset:         112
        .size:           8
        .value_kind:     hidden_global_offset_y
      - .offset:         120
        .size:           8
        .value_kind:     hidden_global_offset_z
      - .offset:         128
        .size:           2
        .value_kind:     hidden_grid_dims
    .group_segment_fixed_size: 128
    .kernarg_segment_align: 8
    .kernarg_segment_size: 320
    .language:       OpenCL C
    .language_version:
      - 2
      - 0
    .max_flat_workgroup_size: 256
    .name:           _ZL23rocblas_gemvt_sn_reduceILi256ELi8EffKP16rocblas_bfloat16EviT2_lPT3_lilPT1_i
    .private_segment_fixed_size: 0
    .sgpr_count:     38
    .sgpr_spill_count: 0
    .symbol:         _ZL23rocblas_gemvt_sn_reduceILi256ELi8EffKP16rocblas_bfloat16EviT2_lPT3_lilPT1_i.kd
    .uniform_work_group_size: 1
    .uses_dynamic_stack: false
    .vgpr_count:     27
    .vgpr_spill_count: 0
    .wavefront_size: 32
    .workgroup_processor_mode: 1
  - .args:
      - .offset:         0
        .size:           4
        .value_kind:     by_value
      - .offset:         4
        .size:           4
        .value_kind:     by_value
      - .address_space:  global
        .offset:         8
        .size:           8
        .value_kind:     global_buffer
      - .offset:         16
        .size:           8
        .value_kind:     by_value
      - .address_space:  global
        .offset:         24
        .size:           8
        .value_kind:     global_buffer
      - .offset:         32
        .size:           8
        .value_kind:     by_value
      - .offset:         40
        .size:           4
        .value_kind:     by_value
      - .offset:         48
        .size:           8
        .value_kind:     by_value
      - .address_space:  global
        .offset:         56
        .size:           8
        .value_kind:     global_buffer
      - .offset:         64
        .size:           8
        .value_kind:     by_value
      - .offset:         72
        .size:           4
        .value_kind:     by_value
      - .offset:         80
        .size:           8
        .value_kind:     by_value
      - .address_space:  global
        .offset:         88
        .size:           8
        .value_kind:     global_buffer
      - .offset:         96
        .size:           8
        .value_kind:     by_value
      - .address_space:  global
        .offset:         104
        .size:           8
        .value_kind:     global_buffer
      - .offset:         112
        .size:           8
        .value_kind:     by_value
      - .offset:         120
        .size:           4
        .value_kind:     by_value
      - .offset:         128
        .size:           8
        .value_kind:     by_value
      - .offset:         136
        .size:           4
        .value_kind:     by_value
    .group_segment_fixed_size: 128
    .kernarg_segment_align: 8
    .kernarg_segment_size: 140
    .language:       OpenCL C
    .language_version:
      - 2
      - 0
    .max_flat_workgroup_size: 256
    .name:           _ZL32rocblas_gemvt_warp_reduce_kernelILb0ELi256EiPK16rocblas_bfloat16PKfKPS0_EviiT3_lPKT2_lT1_lSA_lSB_lS7_lPT4_lSB_li
    .private_segment_fixed_size: 0
    .sgpr_count:     46
    .sgpr_spill_count: 0
    .symbol:         _ZL32rocblas_gemvt_warp_reduce_kernelILb0ELi256EiPK16rocblas_bfloat16PKfKPS0_EviiT3_lPKT2_lT1_lSA_lSB_lS7_lPT4_lSB_li.kd
    .uniform_work_group_size: 1
    .uses_dynamic_stack: false
    .vgpr_count:     25
    .vgpr_spill_count: 0
    .wavefront_size: 32
    .workgroup_processor_mode: 1
  - .args:
      - .offset:         0
        .size:           4
        .value_kind:     by_value
      - .offset:         4
        .size:           4
        .value_kind:     by_value
      - .address_space:  global
        .offset:         8
        .size:           8
        .value_kind:     global_buffer
      - .offset:         16
        .size:           8
        .value_kind:     by_value
      - .address_space:  global
        .offset:         24
        .size:           8
        .value_kind:     global_buffer
      - .offset:         32
        .size:           8
        .value_kind:     by_value
      - .offset:         40
        .size:           8
        .value_kind:     by_value
      - .offset:         48
        .size:           8
        .value_kind:     by_value
      - .address_space:  global
        .offset:         56
        .size:           8
        .value_kind:     global_buffer
      - .offset:         64
        .size:           8
        .value_kind:     by_value
      - .offset:         72
        .size:           8
        .value_kind:     by_value
      - .offset:         80
        .size:           8
        .value_kind:     by_value
      - .address_space:  global
        .offset:         88
        .size:           8
        .value_kind:     global_buffer
      - .offset:         96
        .size:           8
        .value_kind:     by_value
      - .address_space:  global
        .offset:         104
        .size:           8
        .value_kind:     global_buffer
      - .offset:         112
        .size:           8
        .value_kind:     by_value
      - .offset:         120
        .size:           8
        .value_kind:     by_value
      - .offset:         128
        .size:           8
        .value_kind:     by_value
      - .offset:         136
        .size:           4
        .value_kind:     by_value
    .group_segment_fixed_size: 128
    .kernarg_segment_align: 8
    .kernarg_segment_size: 140
    .language:       OpenCL C
    .language_version:
      - 2
      - 0
    .max_flat_workgroup_size: 256
    .name:           _ZL32rocblas_gemvt_warp_reduce_kernelILb0ELi256ElPK16rocblas_bfloat16PKfKPS0_EviiT3_lPKT2_lT1_lSA_lSB_lS7_lPT4_lSB_li
    .private_segment_fixed_size: 0
    .sgpr_count:     46
    .sgpr_spill_count: 0
    .symbol:         _ZL32rocblas_gemvt_warp_reduce_kernelILb0ELi256ElPK16rocblas_bfloat16PKfKPS0_EviiT3_lPKT2_lT1_lSA_lSB_lS7_lPT4_lSB_li.kd
    .uniform_work_group_size: 1
    .uses_dynamic_stack: false
    .vgpr_count:     27
    .vgpr_spill_count: 0
    .wavefront_size: 32
    .workgroup_processor_mode: 1
  - .args:
      - .offset:         0
        .size:           4
        .value_kind:     by_value
      - .offset:         4
        .size:           4
        .value_kind:     by_value
      - .offset:         8
        .size:           4
        .value_kind:     by_value
      - .offset:         16
        .size:           8
        .value_kind:     by_value
      - .address_space:  global
        .offset:         24
        .size:           8
        .value_kind:     global_buffer
      - .offset:         32
        .size:           8
        .value_kind:     by_value
      - .offset:         40
        .size:           4
        .value_kind:     by_value
      - .offset:         48
        .size:           8
        .value_kind:     by_value
      - .address_space:  global
        .offset:         56
        .size:           8
        .value_kind:     global_buffer
      - .offset:         64
        .size:           8
        .value_kind:     by_value
      - .offset:         72
        .size:           4
        .value_kind:     by_value
      - .offset:         80
        .size:           8
        .value_kind:     by_value
      - .offset:         88
        .size:           4
        .value_kind:     by_value
      - .offset:         96
        .size:           8
        .value_kind:     by_value
      - .address_space:  global
        .offset:         104
        .size:           8
        .value_kind:     global_buffer
      - .offset:         112
        .size:           8
        .value_kind:     by_value
      - .offset:         120
        .size:           4
        .value_kind:     by_value
      - .offset:         128
        .size:           8
        .value_kind:     by_value
      - .offset:         136
        .size:           4
        .value_kind:     by_value
    .group_segment_fixed_size: 128
    .kernarg_segment_align: 8
    .kernarg_segment_size: 140
    .language:       OpenCL C
    .language_version:
      - 2
      - 0
    .max_flat_workgroup_size: 256
    .name:           _ZL32rocblas_gemvt_warp_reduce_kernelILb0ELi256EiPK16rocblas_bfloat16fKPS0_EviiT3_lPKT2_lT1_lS8_lS9_lS5_lPT4_lS9_li
    .private_segment_fixed_size: 0
    .sgpr_count:     42
    .sgpr_spill_count: 0
    .symbol:         _ZL32rocblas_gemvt_warp_reduce_kernelILb0ELi256EiPK16rocblas_bfloat16fKPS0_EviiT3_lPKT2_lT1_lS8_lS9_lS5_lPT4_lS9_li.kd
    .uniform_work_group_size: 1
    .uses_dynamic_stack: false
    .vgpr_count:     25
    .vgpr_spill_count: 0
    .wavefront_size: 32
    .workgroup_processor_mode: 1
  - .args:
      - .offset:         0
        .size:           4
        .value_kind:     by_value
      - .offset:         4
        .size:           4
        .value_kind:     by_value
      - .offset:         8
        .size:           4
        .value_kind:     by_value
      - .offset:         16
        .size:           8
        .value_kind:     by_value
      - .address_space:  global
        .offset:         24
        .size:           8
        .value_kind:     global_buffer
      - .offset:         32
        .size:           8
        .value_kind:     by_value
      - .offset:         40
        .size:           8
        .value_kind:     by_value
      - .offset:         48
        .size:           8
        .value_kind:     by_value
      - .address_space:  global
        .offset:         56
        .size:           8
        .value_kind:     global_buffer
      - .offset:         64
        .size:           8
        .value_kind:     by_value
      - .offset:         72
        .size:           8
        .value_kind:     by_value
      - .offset:         80
        .size:           8
        .value_kind:     by_value
      - .offset:         88
        .size:           4
        .value_kind:     by_value
      - .offset:         96
        .size:           8
        .value_kind:     by_value
      - .address_space:  global
        .offset:         104
        .size:           8
        .value_kind:     global_buffer
      - .offset:         112
        .size:           8
        .value_kind:     by_value
      - .offset:         120
        .size:           8
        .value_kind:     by_value
      - .offset:         128
        .size:           8
        .value_kind:     by_value
      - .offset:         136
        .size:           4
        .value_kind:     by_value
    .group_segment_fixed_size: 128
    .kernarg_segment_align: 8
    .kernarg_segment_size: 140
    .language:       OpenCL C
    .language_version:
      - 2
      - 0
    .max_flat_workgroup_size: 256
    .name:           _ZL32rocblas_gemvt_warp_reduce_kernelILb0ELi256ElPK16rocblas_bfloat16fKPS0_EviiT3_lPKT2_lT1_lS8_lS9_lS5_lPT4_lS9_li
    .private_segment_fixed_size: 0
    .sgpr_count:     43
    .sgpr_spill_count: 0
    .symbol:         _ZL32rocblas_gemvt_warp_reduce_kernelILb0ELi256ElPK16rocblas_bfloat16fKPS0_EviiT3_lPKT2_lT1_lS8_lS9_lS5_lPT4_lS9_li.kd
    .uniform_work_group_size: 1
    .uses_dynamic_stack: false
    .vgpr_count:     27
    .vgpr_spill_count: 0
    .wavefront_size: 32
    .workgroup_processor_mode: 1
  - .args:
      - .offset:         0
        .size:           4
        .value_kind:     by_value
      - .offset:         4
        .size:           4
        .value_kind:     by_value
      - .address_space:  global
        .offset:         8
        .size:           8
        .value_kind:     global_buffer
      - .offset:         16
        .size:           8
        .value_kind:     by_value
      - .address_space:  global
        .offset:         24
        .size:           8
        .value_kind:     global_buffer
      - .offset:         32
        .size:           8
        .value_kind:     by_value
      - .offset:         40
        .size:           4
        .value_kind:     by_value
      - .offset:         48
        .size:           8
        .value_kind:     by_value
      - .address_space:  global
        .offset:         56
        .size:           8
        .value_kind:     global_buffer
      - .offset:         64
        .size:           8
        .value_kind:     by_value
      - .offset:         72
        .size:           4
        .value_kind:     by_value
      - .offset:         80
        .size:           8
        .value_kind:     by_value
      - .address_space:  global
        .offset:         88
        .size:           8
        .value_kind:     global_buffer
      - .offset:         96
        .size:           8
        .value_kind:     by_value
      - .address_space:  global
        .offset:         104
        .size:           8
        .value_kind:     global_buffer
      - .offset:         112
        .size:           8
        .value_kind:     by_value
      - .offset:         120
        .size:           4
        .value_kind:     by_value
      - .offset:         128
        .size:           8
        .value_kind:     by_value
      - .offset:         136
        .size:           4
        .value_kind:     by_value
    .group_segment_fixed_size: 1024
    .kernarg_segment_align: 8
    .kernarg_segment_size: 140
    .language:       OpenCL C
    .language_version:
      - 2
      - 0
    .max_flat_workgroup_size: 256
    .name:           _ZL20rocblas_gemvt_kernelILb0ELi256EPK16rocblas_bfloat16PKfKPS0_EviiT2_lPKT1_lilSA_lilS7_lPT3_lili
    .private_segment_fixed_size: 0
    .sgpr_count:     52
    .sgpr_spill_count: 0
    .symbol:         _ZL20rocblas_gemvt_kernelILb0ELi256EPK16rocblas_bfloat16PKfKPS0_EviiT2_lPKT1_lilSA_lilS7_lPT3_lili.kd
    .uniform_work_group_size: 1
    .uses_dynamic_stack: false
    .vgpr_count:     21
    .vgpr_spill_count: 0
    .wavefront_size: 32
    .workgroup_processor_mode: 1
  - .args:
      - .offset:         0
        .size:           4
        .value_kind:     by_value
      - .offset:         4
        .size:           4
        .value_kind:     by_value
      - .offset:         8
        .size:           4
        .value_kind:     by_value
      - .offset:         16
        .size:           8
        .value_kind:     by_value
      - .address_space:  global
        .offset:         24
        .size:           8
        .value_kind:     global_buffer
      - .offset:         32
        .size:           8
        .value_kind:     by_value
      - .offset:         40
        .size:           4
        .value_kind:     by_value
      - .offset:         48
        .size:           8
        .value_kind:     by_value
      - .address_space:  global
        .offset:         56
        .size:           8
        .value_kind:     global_buffer
      - .offset:         64
        .size:           8
        .value_kind:     by_value
      - .offset:         72
        .size:           4
        .value_kind:     by_value
      - .offset:         80
        .size:           8
        .value_kind:     by_value
      - .offset:         88
        .size:           4
        .value_kind:     by_value
      - .offset:         96
        .size:           8
        .value_kind:     by_value
      - .address_space:  global
        .offset:         104
        .size:           8
        .value_kind:     global_buffer
      - .offset:         112
        .size:           8
        .value_kind:     by_value
      - .offset:         120
        .size:           4
        .value_kind:     by_value
      - .offset:         128
        .size:           8
        .value_kind:     by_value
      - .offset:         136
        .size:           4
        .value_kind:     by_value
    .group_segment_fixed_size: 1024
    .kernarg_segment_align: 8
    .kernarg_segment_size: 140
    .language:       OpenCL C
    .language_version:
      - 2
      - 0
    .max_flat_workgroup_size: 256
    .name:           _ZL20rocblas_gemvt_kernelILb0ELi256EPK16rocblas_bfloat16fKPS0_EviiT2_lPKT1_lilS8_lilS5_lPT3_lili
    .private_segment_fixed_size: 0
    .sgpr_count:     48
    .sgpr_spill_count: 0
    .symbol:         _ZL20rocblas_gemvt_kernelILb0ELi256EPK16rocblas_bfloat16fKPS0_EviiT2_lPKT1_lilS8_lilS5_lPT3_lili.kd
    .uniform_work_group_size: 1
    .uses_dynamic_stack: false
    .vgpr_count:     22
    .vgpr_spill_count: 0
    .wavefront_size: 32
    .workgroup_processor_mode: 1
  - .args:
      - .offset:         0
        .size:           4
        .value_kind:     by_value
      - .offset:         4
        .size:           4
        .value_kind:     by_value
      - .address_space:  global
        .offset:         8
        .size:           8
        .value_kind:     global_buffer
      - .offset:         16
        .size:           8
        .value_kind:     by_value
      - .address_space:  global
        .offset:         24
        .size:           8
        .value_kind:     global_buffer
      - .offset:         32
        .size:           8
        .value_kind:     by_value
      - .offset:         40
        .size:           4
        .value_kind:     by_value
      - .offset:         48
        .size:           8
        .value_kind:     by_value
      - .address_space:  global
        .offset:         56
        .size:           8
        .value_kind:     global_buffer
      - .offset:         64
        .size:           8
        .value_kind:     by_value
      - .offset:         72
        .size:           4
        .value_kind:     by_value
      - .offset:         80
        .size:           8
        .value_kind:     by_value
      - .address_space:  global
        .offset:         88
        .size:           8
        .value_kind:     global_buffer
      - .offset:         96
        .size:           8
        .value_kind:     by_value
      - .address_space:  global
        .offset:         104
        .size:           8
        .value_kind:     global_buffer
      - .offset:         112
        .size:           8
        .value_kind:     by_value
      - .offset:         120
        .size:           4
        .value_kind:     by_value
      - .offset:         128
        .size:           8
        .value_kind:     by_value
      - .offset:         136
        .size:           4
        .value_kind:     by_value
    .group_segment_fixed_size: 128
    .kernarg_segment_align: 8
    .kernarg_segment_size: 140
    .language:       OpenCL C
    .language_version:
      - 2
      - 0
    .max_flat_workgroup_size: 1024
    .name:           _ZL32rocblas_gemvt_warp_reduce_kernelILb0ELi1024EiPK16rocblas_bfloat16PKfKPS0_EviiT3_lPKT2_lT1_lSA_lSB_lS7_lPT4_lSB_li
    .private_segment_fixed_size: 0
    .sgpr_count:     46
    .sgpr_spill_count: 0
    .symbol:         _ZL32rocblas_gemvt_warp_reduce_kernelILb0ELi1024EiPK16rocblas_bfloat16PKfKPS0_EviiT3_lPKT2_lT1_lSA_lSB_lS7_lPT4_lSB_li.kd
    .uniform_work_group_size: 1
    .uses_dynamic_stack: false
    .vgpr_count:     25
    .vgpr_spill_count: 0
    .wavefront_size: 32
    .workgroup_processor_mode: 1
  - .args:
      - .offset:         0
        .size:           4
        .value_kind:     by_value
      - .offset:         4
        .size:           4
        .value_kind:     by_value
      - .address_space:  global
        .offset:         8
        .size:           8
        .value_kind:     global_buffer
      - .offset:         16
        .size:           8
        .value_kind:     by_value
      - .address_space:  global
        .offset:         24
        .size:           8
        .value_kind:     global_buffer
      - .offset:         32
        .size:           8
        .value_kind:     by_value
      - .offset:         40
        .size:           8
        .value_kind:     by_value
      - .offset:         48
        .size:           8
        .value_kind:     by_value
      - .address_space:  global
        .offset:         56
        .size:           8
        .value_kind:     global_buffer
      - .offset:         64
        .size:           8
        .value_kind:     by_value
      - .offset:         72
        .size:           8
        .value_kind:     by_value
      - .offset:         80
        .size:           8
        .value_kind:     by_value
      - .address_space:  global
        .offset:         88
        .size:           8
        .value_kind:     global_buffer
      - .offset:         96
        .size:           8
        .value_kind:     by_value
      - .address_space:  global
        .offset:         104
        .size:           8
        .value_kind:     global_buffer
      - .offset:         112
        .size:           8
        .value_kind:     by_value
      - .offset:         120
        .size:           8
        .value_kind:     by_value
      - .offset:         128
        .size:           8
        .value_kind:     by_value
      - .offset:         136
        .size:           4
        .value_kind:     by_value
    .group_segment_fixed_size: 128
    .kernarg_segment_align: 8
    .kernarg_segment_size: 140
    .language:       OpenCL C
    .language_version:
      - 2
      - 0
    .max_flat_workgroup_size: 1024
    .name:           _ZL32rocblas_gemvt_warp_reduce_kernelILb0ELi1024ElPK16rocblas_bfloat16PKfKPS0_EviiT3_lPKT2_lT1_lSA_lSB_lS7_lPT4_lSB_li
    .private_segment_fixed_size: 0
    .sgpr_count:     48
    .sgpr_spill_count: 0
    .symbol:         _ZL32rocblas_gemvt_warp_reduce_kernelILb0ELi1024ElPK16rocblas_bfloat16PKfKPS0_EviiT3_lPKT2_lT1_lSA_lSB_lS7_lPT4_lSB_li.kd
    .uniform_work_group_size: 1
    .uses_dynamic_stack: false
    .vgpr_count:     27
    .vgpr_spill_count: 0
    .wavefront_size: 32
    .workgroup_processor_mode: 1
  - .args:
      - .offset:         0
        .size:           4
        .value_kind:     by_value
      - .offset:         4
        .size:           4
        .value_kind:     by_value
      - .offset:         8
        .size:           4
        .value_kind:     by_value
      - .offset:         16
        .size:           8
        .value_kind:     by_value
      - .address_space:  global
        .offset:         24
        .size:           8
        .value_kind:     global_buffer
      - .offset:         32
        .size:           8
        .value_kind:     by_value
      - .offset:         40
        .size:           4
        .value_kind:     by_value
      - .offset:         48
        .size:           8
        .value_kind:     by_value
      - .address_space:  global
        .offset:         56
        .size:           8
        .value_kind:     global_buffer
      - .offset:         64
        .size:           8
        .value_kind:     by_value
      - .offset:         72
        .size:           4
        .value_kind:     by_value
      - .offset:         80
        .size:           8
        .value_kind:     by_value
      - .offset:         88
        .size:           4
        .value_kind:     by_value
      - .offset:         96
        .size:           8
        .value_kind:     by_value
      - .address_space:  global
        .offset:         104
        .size:           8
        .value_kind:     global_buffer
      - .offset:         112
        .size:           8
        .value_kind:     by_value
      - .offset:         120
        .size:           4
        .value_kind:     by_value
      - .offset:         128
        .size:           8
        .value_kind:     by_value
      - .offset:         136
        .size:           4
        .value_kind:     by_value
    .group_segment_fixed_size: 128
    .kernarg_segment_align: 8
    .kernarg_segment_size: 140
    .language:       OpenCL C
    .language_version:
      - 2
      - 0
    .max_flat_workgroup_size: 1024
    .name:           _ZL32rocblas_gemvt_warp_reduce_kernelILb0ELi1024EiPK16rocblas_bfloat16fKPS0_EviiT3_lPKT2_lT1_lS8_lS9_lS5_lPT4_lS9_li
    .private_segment_fixed_size: 0
    .sgpr_count:     42
    .sgpr_spill_count: 0
    .symbol:         _ZL32rocblas_gemvt_warp_reduce_kernelILb0ELi1024EiPK16rocblas_bfloat16fKPS0_EviiT3_lPKT2_lT1_lS8_lS9_lS5_lPT4_lS9_li.kd
    .uniform_work_group_size: 1
    .uses_dynamic_stack: false
    .vgpr_count:     25
    .vgpr_spill_count: 0
    .wavefront_size: 32
    .workgroup_processor_mode: 1
  - .args:
      - .offset:         0
        .size:           4
        .value_kind:     by_value
      - .offset:         4
        .size:           4
        .value_kind:     by_value
      - .offset:         8
        .size:           4
        .value_kind:     by_value
      - .offset:         16
        .size:           8
        .value_kind:     by_value
      - .address_space:  global
        .offset:         24
        .size:           8
        .value_kind:     global_buffer
      - .offset:         32
        .size:           8
        .value_kind:     by_value
      - .offset:         40
        .size:           8
        .value_kind:     by_value
      - .offset:         48
        .size:           8
        .value_kind:     by_value
      - .address_space:  global
        .offset:         56
        .size:           8
        .value_kind:     global_buffer
      - .offset:         64
        .size:           8
        .value_kind:     by_value
      - .offset:         72
        .size:           8
        .value_kind:     by_value
      - .offset:         80
        .size:           8
        .value_kind:     by_value
      - .offset:         88
        .size:           4
        .value_kind:     by_value
      - .offset:         96
        .size:           8
        .value_kind:     by_value
      - .address_space:  global
        .offset:         104
        .size:           8
        .value_kind:     global_buffer
      - .offset:         112
        .size:           8
        .value_kind:     by_value
      - .offset:         120
        .size:           8
        .value_kind:     by_value
      - .offset:         128
        .size:           8
        .value_kind:     by_value
      - .offset:         136
        .size:           4
        .value_kind:     by_value
    .group_segment_fixed_size: 128
    .kernarg_segment_align: 8
    .kernarg_segment_size: 140
    .language:       OpenCL C
    .language_version:
      - 2
      - 0
    .max_flat_workgroup_size: 1024
    .name:           _ZL32rocblas_gemvt_warp_reduce_kernelILb0ELi1024ElPK16rocblas_bfloat16fKPS0_EviiT3_lPKT2_lT1_lS8_lS9_lS5_lPT4_lS9_li
    .private_segment_fixed_size: 0
    .sgpr_count:     42
    .sgpr_spill_count: 0
    .symbol:         _ZL32rocblas_gemvt_warp_reduce_kernelILb0ELi1024ElPK16rocblas_bfloat16fKPS0_EviiT3_lPKT2_lT1_lS8_lS9_lS5_lPT4_lS9_li.kd
    .uniform_work_group_size: 1
    .uses_dynamic_stack: false
    .vgpr_count:     27
    .vgpr_spill_count: 0
    .wavefront_size: 32
    .workgroup_processor_mode: 1
  - .args:
      - .offset:         0
        .size:           4
        .value_kind:     by_value
      - .offset:         4
        .size:           4
        .value_kind:     by_value
      - .address_space:  global
        .offset:         8
        .size:           8
        .value_kind:     global_buffer
      - .offset:         16
        .size:           8
        .value_kind:     by_value
      - .address_space:  global
        .offset:         24
        .size:           8
        .value_kind:     global_buffer
      - .offset:         32
        .size:           8
        .value_kind:     by_value
      - .offset:         40
        .size:           4
        .value_kind:     by_value
      - .offset:         48
        .size:           8
        .value_kind:     by_value
      - .address_space:  global
        .offset:         56
        .size:           8
        .value_kind:     global_buffer
      - .offset:         64
        .size:           8
        .value_kind:     by_value
      - .offset:         72
        .size:           4
        .value_kind:     by_value
      - .offset:         80
        .size:           8
        .value_kind:     by_value
      - .address_space:  global
        .offset:         88
        .size:           8
        .value_kind:     global_buffer
      - .offset:         96
        .size:           8
        .value_kind:     by_value
      - .address_space:  global
        .offset:         104
        .size:           8
        .value_kind:     global_buffer
      - .offset:         112
        .size:           8
        .value_kind:     by_value
      - .offset:         120
        .size:           4
        .value_kind:     by_value
      - .offset:         128
        .size:           8
        .value_kind:     by_value
    .group_segment_fixed_size: 256
    .kernarg_segment_align: 8
    .kernarg_segment_size: 136
    .language:       OpenCL C
    .language_version:
      - 2
      - 0
    .max_flat_workgroup_size: 256
    .name:           _ZL22rocblas_gemvtsm_kernelILb1ELi256EPK16rocblas_bfloat16PKfKPS0_EviiT2_lPKT1_lilSA_lilS7_lPT3_lil
    .private_segment_fixed_size: 0
    .sgpr_count:     24
    .sgpr_spill_count: 0
    .symbol:         _ZL22rocblas_gemvtsm_kernelILb1ELi256EPK16rocblas_bfloat16PKfKPS0_EviiT2_lPKT1_lilSA_lilS7_lPT3_lil.kd
    .uniform_work_group_size: 1
    .uses_dynamic_stack: false
    .vgpr_count:     16
    .vgpr_spill_count: 0
    .wavefront_size: 32
    .workgroup_processor_mode: 1
  - .args:
      - .offset:         0
        .size:           4
        .value_kind:     by_value
      - .offset:         4
        .size:           4
        .value_kind:     by_value
      - .offset:         8
        .size:           4
        .value_kind:     by_value
      - .offset:         16
        .size:           8
        .value_kind:     by_value
      - .address_space:  global
        .offset:         24
        .size:           8
        .value_kind:     global_buffer
      - .offset:         32
        .size:           8
        .value_kind:     by_value
      - .offset:         40
        .size:           4
        .value_kind:     by_value
      - .offset:         48
        .size:           8
        .value_kind:     by_value
      - .address_space:  global
        .offset:         56
        .size:           8
        .value_kind:     global_buffer
      - .offset:         64
        .size:           8
        .value_kind:     by_value
      - .offset:         72
        .size:           4
        .value_kind:     by_value
      - .offset:         80
        .size:           8
        .value_kind:     by_value
      - .offset:         88
        .size:           4
        .value_kind:     by_value
      - .offset:         96
        .size:           8
        .value_kind:     by_value
      - .address_space:  global
        .offset:         104
        .size:           8
        .value_kind:     global_buffer
      - .offset:         112
        .size:           8
        .value_kind:     by_value
      - .offset:         120
        .size:           4
        .value_kind:     by_value
      - .offset:         128
        .size:           8
        .value_kind:     by_value
    .group_segment_fixed_size: 256
    .kernarg_segment_align: 8
    .kernarg_segment_size: 136
    .language:       OpenCL C
    .language_version:
      - 2
      - 0
    .max_flat_workgroup_size: 256
    .name:           _ZL22rocblas_gemvtsm_kernelILb1ELi256EPK16rocblas_bfloat16fKPS0_EviiT2_lPKT1_lilS8_lilS5_lPT3_lil
    .private_segment_fixed_size: 0
    .sgpr_count:     26
    .sgpr_spill_count: 0
    .symbol:         _ZL22rocblas_gemvtsm_kernelILb1ELi256EPK16rocblas_bfloat16fKPS0_EviiT2_lPKT1_lilS8_lilS5_lPT3_lil.kd
    .uniform_work_group_size: 1
    .uses_dynamic_stack: false
    .vgpr_count:     16
    .vgpr_spill_count: 0
    .wavefront_size: 32
    .workgroup_processor_mode: 1
  - .args:
      - .offset:         0
        .size:           4
        .value_kind:     by_value
      - .offset:         4
        .size:           4
        .value_kind:     by_value
      - .address_space:  global
        .offset:         8
        .size:           8
        .value_kind:     global_buffer
      - .offset:         16
        .size:           8
        .value_kind:     by_value
      - .address_space:  global
        .offset:         24
        .size:           8
        .value_kind:     global_buffer
      - .offset:         32
        .size:           8
        .value_kind:     by_value
      - .offset:         40
        .size:           4
        .value_kind:     by_value
      - .offset:         48
        .size:           8
        .value_kind:     by_value
      - .address_space:  global
        .offset:         56
        .size:           8
        .value_kind:     global_buffer
      - .offset:         64
        .size:           8
        .value_kind:     by_value
      - .offset:         72
        .size:           4
        .value_kind:     by_value
      - .offset:         80
        .size:           8
        .value_kind:     by_value
      - .address_space:  global
        .offset:         88
        .size:           8
        .value_kind:     global_buffer
      - .offset:         96
        .size:           4
        .value_kind:     by_value
      - .offset:         104
        .size:           4
        .value_kind:     hidden_block_count_x
      - .offset:         108
        .size:           4
        .value_kind:     hidden_block_count_y
      - .offset:         112
        .size:           4
        .value_kind:     hidden_block_count_z
      - .offset:         116
        .size:           2
        .value_kind:     hidden_group_size_x
      - .offset:         118
        .size:           2
        .value_kind:     hidden_group_size_y
      - .offset:         120
        .size:           2
        .value_kind:     hidden_group_size_z
      - .offset:         122
        .size:           2
        .value_kind:     hidden_remainder_x
      - .offset:         124
        .size:           2
        .value_kind:     hidden_remainder_y
      - .offset:         126
        .size:           2
        .value_kind:     hidden_remainder_z
      - .offset:         144
        .size:           8
        .value_kind:     hidden_global_offset_x
      - .offset:         152
        .size:           8
        .value_kind:     hidden_global_offset_y
      - .offset:         160
        .size:           8
        .value_kind:     hidden_global_offset_z
      - .offset:         168
        .size:           2
        .value_kind:     hidden_grid_dims
    .group_segment_fixed_size: 128
    .kernarg_segment_align: 8
    .kernarg_segment_size: 360
    .language:       OpenCL C
    .language_version:
      - 2
      - 0
    .max_flat_workgroup_size: 256
    .name:           _ZL23rocblas_gemvt_sn_kernelILb1ELi256ELi4EiPK16rocblas_bfloat16PKffEviiT4_lPKT3_lilS8_lilPT5_i
    .private_segment_fixed_size: 0
    .sgpr_count:     76
    .sgpr_spill_count: 0
    .symbol:         _ZL23rocblas_gemvt_sn_kernelILb1ELi256ELi4EiPK16rocblas_bfloat16PKffEviiT4_lPKT3_lilS8_lilPT5_i.kd
    .uniform_work_group_size: 1
    .uses_dynamic_stack: false
    .vgpr_count:     55
    .vgpr_spill_count: 0
    .wavefront_size: 32
    .workgroup_processor_mode: 1
  - .args:
      - .offset:         0
        .size:           4
        .value_kind:     by_value
      - .offset:         4
        .size:           4
        .value_kind:     by_value
      - .address_space:  global
        .offset:         8
        .size:           8
        .value_kind:     global_buffer
      - .offset:         16
        .size:           8
        .value_kind:     by_value
      - .address_space:  global
        .offset:         24
        .size:           8
        .value_kind:     global_buffer
      - .offset:         32
        .size:           8
        .value_kind:     by_value
      - .offset:         40
        .size:           4
        .value_kind:     by_value
      - .offset:         48
        .size:           8
        .value_kind:     by_value
      - .address_space:  global
        .offset:         56
        .size:           8
        .value_kind:     global_buffer
      - .offset:         64
        .size:           8
        .value_kind:     by_value
      - .offset:         72
        .size:           4
        .value_kind:     by_value
      - .offset:         80
        .size:           8
        .value_kind:     by_value
      - .address_space:  global
        .offset:         88
        .size:           8
        .value_kind:     global_buffer
      - .offset:         96
        .size:           4
        .value_kind:     by_value
      - .offset:         104
        .size:           4
        .value_kind:     hidden_block_count_x
      - .offset:         108
        .size:           4
        .value_kind:     hidden_block_count_y
      - .offset:         112
        .size:           4
        .value_kind:     hidden_block_count_z
      - .offset:         116
        .size:           2
        .value_kind:     hidden_group_size_x
      - .offset:         118
        .size:           2
        .value_kind:     hidden_group_size_y
      - .offset:         120
        .size:           2
        .value_kind:     hidden_group_size_z
      - .offset:         122
        .size:           2
        .value_kind:     hidden_remainder_x
      - .offset:         124
        .size:           2
        .value_kind:     hidden_remainder_y
      - .offset:         126
        .size:           2
        .value_kind:     hidden_remainder_z
      - .offset:         144
        .size:           8
        .value_kind:     hidden_global_offset_x
      - .offset:         152
        .size:           8
        .value_kind:     hidden_global_offset_y
      - .offset:         160
        .size:           8
        .value_kind:     hidden_global_offset_z
      - .offset:         168
        .size:           2
        .value_kind:     hidden_grid_dims
    .group_segment_fixed_size: 128
    .kernarg_segment_align: 8
    .kernarg_segment_size: 360
    .language:       OpenCL C
    .language_version:
      - 2
      - 0
    .max_flat_workgroup_size: 256
    .name:           _ZL23rocblas_gemvt_sn_kernelILb1ELi256ELi4ElPK16rocblas_bfloat16PKffEviiT4_lPKT3_lilS8_lilPT5_i
    .private_segment_fixed_size: 0
    .sgpr_count:     70
    .sgpr_spill_count: 0
    .symbol:         _ZL23rocblas_gemvt_sn_kernelILb1ELi256ELi4ElPK16rocblas_bfloat16PKffEviiT4_lPKT3_lilS8_lilPT5_i.kd
    .uniform_work_group_size: 1
    .uses_dynamic_stack: false
    .vgpr_count:     55
    .vgpr_spill_count: 0
    .wavefront_size: 32
    .workgroup_processor_mode: 1
  - .args:
      - .offset:         0
        .size:           4
        .value_kind:     by_value
      - .offset:         4
        .size:           4
        .value_kind:     by_value
      - .offset:         8
        .size:           4
        .value_kind:     by_value
      - .offset:         16
        .size:           8
        .value_kind:     by_value
      - .address_space:  global
        .offset:         24
        .size:           8
        .value_kind:     global_buffer
      - .offset:         32
        .size:           8
        .value_kind:     by_value
      - .offset:         40
        .size:           4
        .value_kind:     by_value
      - .offset:         48
        .size:           8
        .value_kind:     by_value
      - .address_space:  global
        .offset:         56
        .size:           8
        .value_kind:     global_buffer
      - .offset:         64
        .size:           8
        .value_kind:     by_value
      - .offset:         72
        .size:           4
        .value_kind:     by_value
      - .offset:         80
        .size:           8
        .value_kind:     by_value
      - .address_space:  global
        .offset:         88
        .size:           8
        .value_kind:     global_buffer
      - .offset:         96
        .size:           4
        .value_kind:     by_value
      - .offset:         104
        .size:           4
        .value_kind:     hidden_block_count_x
      - .offset:         108
        .size:           4
        .value_kind:     hidden_block_count_y
      - .offset:         112
        .size:           4
        .value_kind:     hidden_block_count_z
      - .offset:         116
        .size:           2
        .value_kind:     hidden_group_size_x
      - .offset:         118
        .size:           2
        .value_kind:     hidden_group_size_y
      - .offset:         120
        .size:           2
        .value_kind:     hidden_group_size_z
      - .offset:         122
        .size:           2
        .value_kind:     hidden_remainder_x
      - .offset:         124
        .size:           2
        .value_kind:     hidden_remainder_y
      - .offset:         126
        .size:           2
        .value_kind:     hidden_remainder_z
      - .offset:         144
        .size:           8
        .value_kind:     hidden_global_offset_x
      - .offset:         152
        .size:           8
        .value_kind:     hidden_global_offset_y
      - .offset:         160
        .size:           8
        .value_kind:     hidden_global_offset_z
      - .offset:         168
        .size:           2
        .value_kind:     hidden_grid_dims
    .group_segment_fixed_size: 128
    .kernarg_segment_align: 8
    .kernarg_segment_size: 360
    .language:       OpenCL C
    .language_version:
      - 2
      - 0
    .max_flat_workgroup_size: 256
    .name:           _ZL23rocblas_gemvt_sn_kernelILb1ELi256ELi4EiPK16rocblas_bfloat16ffEviiT4_lPKT3_lilS6_lilPT5_i
    .private_segment_fixed_size: 0
    .sgpr_count:     72
    .sgpr_spill_count: 0
    .symbol:         _ZL23rocblas_gemvt_sn_kernelILb1ELi256ELi4EiPK16rocblas_bfloat16ffEviiT4_lPKT3_lilS6_lilPT5_i.kd
    .uniform_work_group_size: 1
    .uses_dynamic_stack: false
    .vgpr_count:     54
    .vgpr_spill_count: 0
    .wavefront_size: 32
    .workgroup_processor_mode: 1
  - .args:
      - .offset:         0
        .size:           4
        .value_kind:     by_value
      - .offset:         4
        .size:           4
        .value_kind:     by_value
      - .offset:         8
        .size:           4
        .value_kind:     by_value
      - .offset:         16
        .size:           8
        .value_kind:     by_value
      - .address_space:  global
        .offset:         24
        .size:           8
        .value_kind:     global_buffer
      - .offset:         32
        .size:           8
        .value_kind:     by_value
      - .offset:         40
        .size:           4
        .value_kind:     by_value
      - .offset:         48
        .size:           8
        .value_kind:     by_value
      - .address_space:  global
        .offset:         56
        .size:           8
        .value_kind:     global_buffer
      - .offset:         64
        .size:           8
        .value_kind:     by_value
      - .offset:         72
        .size:           4
        .value_kind:     by_value
      - .offset:         80
        .size:           8
        .value_kind:     by_value
      - .address_space:  global
        .offset:         88
        .size:           8
        .value_kind:     global_buffer
      - .offset:         96
        .size:           4
        .value_kind:     by_value
      - .offset:         104
        .size:           4
        .value_kind:     hidden_block_count_x
      - .offset:         108
        .size:           4
        .value_kind:     hidden_block_count_y
      - .offset:         112
        .size:           4
        .value_kind:     hidden_block_count_z
      - .offset:         116
        .size:           2
        .value_kind:     hidden_group_size_x
      - .offset:         118
        .size:           2
        .value_kind:     hidden_group_size_y
      - .offset:         120
        .size:           2
        .value_kind:     hidden_group_size_z
      - .offset:         122
        .size:           2
        .value_kind:     hidden_remainder_x
      - .offset:         124
        .size:           2
        .value_kind:     hidden_remainder_y
      - .offset:         126
        .size:           2
        .value_kind:     hidden_remainder_z
      - .offset:         144
        .size:           8
        .value_kind:     hidden_global_offset_x
      - .offset:         152
        .size:           8
        .value_kind:     hidden_global_offset_y
      - .offset:         160
        .size:           8
        .value_kind:     hidden_global_offset_z
      - .offset:         168
        .size:           2
        .value_kind:     hidden_grid_dims
    .group_segment_fixed_size: 128
    .kernarg_segment_align: 8
    .kernarg_segment_size: 360
    .language:       OpenCL C
    .language_version:
      - 2
      - 0
    .max_flat_workgroup_size: 256
    .name:           _ZL23rocblas_gemvt_sn_kernelILb1ELi256ELi4ElPK16rocblas_bfloat16ffEviiT4_lPKT3_lilS6_lilPT5_i
    .private_segment_fixed_size: 0
    .sgpr_count:     64
    .sgpr_spill_count: 0
    .symbol:         _ZL23rocblas_gemvt_sn_kernelILb1ELi256ELi4ElPK16rocblas_bfloat16ffEviiT4_lPKT3_lilS6_lilPT5_i.kd
    .uniform_work_group_size: 1
    .uses_dynamic_stack: false
    .vgpr_count:     54
    .vgpr_spill_count: 0
    .wavefront_size: 32
    .workgroup_processor_mode: 1
  - .args:
      - .offset:         0
        .size:           4
        .value_kind:     by_value
      - .offset:         4
        .size:           4
        .value_kind:     by_value
      - .address_space:  global
        .offset:         8
        .size:           8
        .value_kind:     global_buffer
      - .offset:         16
        .size:           8
        .value_kind:     by_value
      - .address_space:  global
        .offset:         24
        .size:           8
        .value_kind:     global_buffer
      - .offset:         32
        .size:           8
        .value_kind:     by_value
      - .offset:         40
        .size:           4
        .value_kind:     by_value
      - .offset:         48
        .size:           8
        .value_kind:     by_value
      - .address_space:  global
        .offset:         56
        .size:           8
        .value_kind:     global_buffer
      - .offset:         64
        .size:           8
        .value_kind:     by_value
      - .offset:         72
        .size:           4
        .value_kind:     by_value
      - .offset:         80
        .size:           8
        .value_kind:     by_value
      - .address_space:  global
        .offset:         88
        .size:           8
        .value_kind:     global_buffer
      - .offset:         96
        .size:           8
        .value_kind:     by_value
      - .address_space:  global
        .offset:         104
        .size:           8
        .value_kind:     global_buffer
      - .offset:         112
        .size:           8
        .value_kind:     by_value
      - .offset:         120
        .size:           4
        .value_kind:     by_value
      - .offset:         128
        .size:           8
        .value_kind:     by_value
      - .offset:         136
        .size:           4
        .value_kind:     by_value
    .group_segment_fixed_size: 1024
    .kernarg_segment_align: 8
    .kernarg_segment_size: 140
    .language:       OpenCL C
    .language_version:
      - 2
      - 0
    .max_flat_workgroup_size: 256
    .name:           _ZL20rocblas_gemvt_kernelILb1ELi256EPK16rocblas_bfloat16PKfKPS0_EviiT2_lPKT1_lilSA_lilS7_lPT3_lili
    .private_segment_fixed_size: 0
    .sgpr_count:     52
    .sgpr_spill_count: 0
    .symbol:         _ZL20rocblas_gemvt_kernelILb1ELi256EPK16rocblas_bfloat16PKfKPS0_EviiT2_lPKT1_lilSA_lilS7_lPT3_lili.kd
    .uniform_work_group_size: 1
    .uses_dynamic_stack: false
    .vgpr_count:     21
    .vgpr_spill_count: 0
    .wavefront_size: 32
    .workgroup_processor_mode: 1
  - .args:
      - .offset:         0
        .size:           4
        .value_kind:     by_value
      - .offset:         4
        .size:           4
        .value_kind:     by_value
      - .offset:         8
        .size:           4
        .value_kind:     by_value
      - .offset:         16
        .size:           8
        .value_kind:     by_value
      - .address_space:  global
        .offset:         24
        .size:           8
        .value_kind:     global_buffer
      - .offset:         32
        .size:           8
        .value_kind:     by_value
      - .offset:         40
        .size:           4
        .value_kind:     by_value
      - .offset:         48
        .size:           8
        .value_kind:     by_value
      - .address_space:  global
        .offset:         56
        .size:           8
        .value_kind:     global_buffer
      - .offset:         64
        .size:           8
        .value_kind:     by_value
      - .offset:         72
        .size:           4
        .value_kind:     by_value
      - .offset:         80
        .size:           8
        .value_kind:     by_value
      - .offset:         88
        .size:           4
        .value_kind:     by_value
      - .offset:         96
        .size:           8
        .value_kind:     by_value
      - .address_space:  global
        .offset:         104
        .size:           8
        .value_kind:     global_buffer
      - .offset:         112
        .size:           8
        .value_kind:     by_value
      - .offset:         120
        .size:           4
        .value_kind:     by_value
      - .offset:         128
        .size:           8
        .value_kind:     by_value
      - .offset:         136
        .size:           4
        .value_kind:     by_value
    .group_segment_fixed_size: 1024
    .kernarg_segment_align: 8
    .kernarg_segment_size: 140
    .language:       OpenCL C
    .language_version:
      - 2
      - 0
    .max_flat_workgroup_size: 256
    .name:           _ZL20rocblas_gemvt_kernelILb1ELi256EPK16rocblas_bfloat16fKPS0_EviiT2_lPKT1_lilS8_lilS5_lPT3_lili
    .private_segment_fixed_size: 0
    .sgpr_count:     48
    .sgpr_spill_count: 0
    .symbol:         _ZL20rocblas_gemvt_kernelILb1ELi256EPK16rocblas_bfloat16fKPS0_EviiT2_lPKT1_lilS8_lilS5_lPT3_lili.kd
    .uniform_work_group_size: 1
    .uses_dynamic_stack: false
    .vgpr_count:     22
    .vgpr_spill_count: 0
    .wavefront_size: 32
    .workgroup_processor_mode: 1
  - .args:
      - .offset:         0
        .size:           4
        .value_kind:     by_value
      - .offset:         4
        .size:           4
        .value_kind:     by_value
      - .address_space:  global
        .offset:         8
        .size:           8
        .value_kind:     global_buffer
      - .offset:         16
        .size:           8
        .value_kind:     by_value
      - .address_space:  global
        .offset:         24
        .size:           8
        .value_kind:     global_buffer
      - .offset:         32
        .size:           8
        .value_kind:     by_value
      - .offset:         40
        .size:           4
        .value_kind:     by_value
      - .offset:         48
        .size:           8
        .value_kind:     by_value
      - .address_space:  global
        .offset:         56
        .size:           8
        .value_kind:     global_buffer
      - .offset:         64
        .size:           8
        .value_kind:     by_value
      - .offset:         72
        .size:           4
        .value_kind:     by_value
      - .offset:         80
        .size:           8
        .value_kind:     by_value
      - .address_space:  global
        .offset:         88
        .size:           8
        .value_kind:     global_buffer
      - .offset:         96
        .size:           8
        .value_kind:     by_value
      - .address_space:  global
        .offset:         104
        .size:           8
        .value_kind:     global_buffer
      - .offset:         112
        .size:           8
        .value_kind:     by_value
      - .offset:         120
        .size:           4
        .value_kind:     by_value
      - .offset:         128
        .size:           8
        .value_kind:     by_value
      - .offset:         136
        .size:           4
        .value_kind:     by_value
    .group_segment_fixed_size: 128
    .kernarg_segment_align: 8
    .kernarg_segment_size: 140
    .language:       OpenCL C
    .language_version:
      - 2
      - 0
    .max_flat_workgroup_size: 1024
    .name:           _ZL32rocblas_gemvt_warp_reduce_kernelILb1ELi1024EiPK16rocblas_bfloat16PKfKPS0_EviiT3_lPKT2_lT1_lSA_lSB_lS7_lPT4_lSB_li
    .private_segment_fixed_size: 0
    .sgpr_count:     46
    .sgpr_spill_count: 0
    .symbol:         _ZL32rocblas_gemvt_warp_reduce_kernelILb1ELi1024EiPK16rocblas_bfloat16PKfKPS0_EviiT3_lPKT2_lT1_lSA_lSB_lS7_lPT4_lSB_li.kd
    .uniform_work_group_size: 1
    .uses_dynamic_stack: false
    .vgpr_count:     25
    .vgpr_spill_count: 0
    .wavefront_size: 32
    .workgroup_processor_mode: 1
  - .args:
      - .offset:         0
        .size:           4
        .value_kind:     by_value
      - .offset:         4
        .size:           4
        .value_kind:     by_value
      - .address_space:  global
        .offset:         8
        .size:           8
        .value_kind:     global_buffer
      - .offset:         16
        .size:           8
        .value_kind:     by_value
      - .address_space:  global
        .offset:         24
        .size:           8
        .value_kind:     global_buffer
      - .offset:         32
        .size:           8
        .value_kind:     by_value
      - .offset:         40
        .size:           8
        .value_kind:     by_value
      - .offset:         48
        .size:           8
        .value_kind:     by_value
      - .address_space:  global
        .offset:         56
        .size:           8
        .value_kind:     global_buffer
      - .offset:         64
        .size:           8
        .value_kind:     by_value
      - .offset:         72
        .size:           8
        .value_kind:     by_value
      - .offset:         80
        .size:           8
        .value_kind:     by_value
      - .address_space:  global
        .offset:         88
        .size:           8
        .value_kind:     global_buffer
      - .offset:         96
        .size:           8
        .value_kind:     by_value
      - .address_space:  global
        .offset:         104
        .size:           8
        .value_kind:     global_buffer
      - .offset:         112
        .size:           8
        .value_kind:     by_value
      - .offset:         120
        .size:           8
        .value_kind:     by_value
      - .offset:         128
        .size:           8
        .value_kind:     by_value
      - .offset:         136
        .size:           4
        .value_kind:     by_value
    .group_segment_fixed_size: 128
    .kernarg_segment_align: 8
    .kernarg_segment_size: 140
    .language:       OpenCL C
    .language_version:
      - 2
      - 0
    .max_flat_workgroup_size: 1024
    .name:           _ZL32rocblas_gemvt_warp_reduce_kernelILb1ELi1024ElPK16rocblas_bfloat16PKfKPS0_EviiT3_lPKT2_lT1_lSA_lSB_lS7_lPT4_lSB_li
    .private_segment_fixed_size: 0
    .sgpr_count:     48
    .sgpr_spill_count: 0
    .symbol:         _ZL32rocblas_gemvt_warp_reduce_kernelILb1ELi1024ElPK16rocblas_bfloat16PKfKPS0_EviiT3_lPKT2_lT1_lSA_lSB_lS7_lPT4_lSB_li.kd
    .uniform_work_group_size: 1
    .uses_dynamic_stack: false
    .vgpr_count:     27
    .vgpr_spill_count: 0
    .wavefront_size: 32
    .workgroup_processor_mode: 1
  - .args:
      - .offset:         0
        .size:           4
        .value_kind:     by_value
      - .offset:         4
        .size:           4
        .value_kind:     by_value
      - .offset:         8
        .size:           4
        .value_kind:     by_value
      - .offset:         16
        .size:           8
        .value_kind:     by_value
      - .address_space:  global
        .offset:         24
        .size:           8
        .value_kind:     global_buffer
      - .offset:         32
        .size:           8
        .value_kind:     by_value
      - .offset:         40
        .size:           4
        .value_kind:     by_value
      - .offset:         48
        .size:           8
        .value_kind:     by_value
      - .address_space:  global
        .offset:         56
        .size:           8
        .value_kind:     global_buffer
      - .offset:         64
        .size:           8
        .value_kind:     by_value
      - .offset:         72
        .size:           4
        .value_kind:     by_value
      - .offset:         80
        .size:           8
        .value_kind:     by_value
      - .offset:         88
        .size:           4
        .value_kind:     by_value
      - .offset:         96
        .size:           8
        .value_kind:     by_value
      - .address_space:  global
        .offset:         104
        .size:           8
        .value_kind:     global_buffer
      - .offset:         112
        .size:           8
        .value_kind:     by_value
      - .offset:         120
        .size:           4
        .value_kind:     by_value
      - .offset:         128
        .size:           8
        .value_kind:     by_value
      - .offset:         136
        .size:           4
        .value_kind:     by_value
    .group_segment_fixed_size: 128
    .kernarg_segment_align: 8
    .kernarg_segment_size: 140
    .language:       OpenCL C
    .language_version:
      - 2
      - 0
    .max_flat_workgroup_size: 1024
    .name:           _ZL32rocblas_gemvt_warp_reduce_kernelILb1ELi1024EiPK16rocblas_bfloat16fKPS0_EviiT3_lPKT2_lT1_lS8_lS9_lS5_lPT4_lS9_li
    .private_segment_fixed_size: 0
    .sgpr_count:     42
    .sgpr_spill_count: 0
    .symbol:         _ZL32rocblas_gemvt_warp_reduce_kernelILb1ELi1024EiPK16rocblas_bfloat16fKPS0_EviiT3_lPKT2_lT1_lS8_lS9_lS5_lPT4_lS9_li.kd
    .uniform_work_group_size: 1
    .uses_dynamic_stack: false
    .vgpr_count:     25
    .vgpr_spill_count: 0
    .wavefront_size: 32
    .workgroup_processor_mode: 1
  - .args:
      - .offset:         0
        .size:           4
        .value_kind:     by_value
      - .offset:         4
        .size:           4
        .value_kind:     by_value
      - .offset:         8
        .size:           4
        .value_kind:     by_value
      - .offset:         16
        .size:           8
        .value_kind:     by_value
      - .address_space:  global
        .offset:         24
        .size:           8
        .value_kind:     global_buffer
      - .offset:         32
        .size:           8
        .value_kind:     by_value
      - .offset:         40
        .size:           8
        .value_kind:     by_value
      - .offset:         48
        .size:           8
        .value_kind:     by_value
      - .address_space:  global
        .offset:         56
        .size:           8
        .value_kind:     global_buffer
      - .offset:         64
        .size:           8
        .value_kind:     by_value
      - .offset:         72
        .size:           8
        .value_kind:     by_value
      - .offset:         80
        .size:           8
        .value_kind:     by_value
      - .offset:         88
        .size:           4
        .value_kind:     by_value
      - .offset:         96
        .size:           8
        .value_kind:     by_value
      - .address_space:  global
        .offset:         104
        .size:           8
        .value_kind:     global_buffer
      - .offset:         112
        .size:           8
        .value_kind:     by_value
      - .offset:         120
        .size:           8
        .value_kind:     by_value
      - .offset:         128
        .size:           8
        .value_kind:     by_value
      - .offset:         136
        .size:           4
        .value_kind:     by_value
    .group_segment_fixed_size: 128
    .kernarg_segment_align: 8
    .kernarg_segment_size: 140
    .language:       OpenCL C
    .language_version:
      - 2
      - 0
    .max_flat_workgroup_size: 1024
    .name:           _ZL32rocblas_gemvt_warp_reduce_kernelILb1ELi1024ElPK16rocblas_bfloat16fKPS0_EviiT3_lPKT2_lT1_lS8_lS9_lS5_lPT4_lS9_li
    .private_segment_fixed_size: 0
    .sgpr_count:     42
    .sgpr_spill_count: 0
    .symbol:         _ZL32rocblas_gemvt_warp_reduce_kernelILb1ELi1024ElPK16rocblas_bfloat16fKPS0_EviiT3_lPKT2_lT1_lS8_lS9_lS5_lPT4_lS9_li.kd
    .uniform_work_group_size: 1
    .uses_dynamic_stack: false
    .vgpr_count:     27
    .vgpr_spill_count: 0
    .wavefront_size: 32
    .workgroup_processor_mode: 1
  - .args:
      - .offset:         0
        .size:           4
        .value_kind:     by_value
      - .offset:         4
        .size:           4
        .value_kind:     by_value
      - .address_space:  global
        .offset:         8
        .size:           8
        .value_kind:     global_buffer
      - .offset:         16
        .size:           8
        .value_kind:     by_value
      - .address_space:  global
        .offset:         24
        .size:           8
        .value_kind:     global_buffer
      - .offset:         32
        .size:           8
        .value_kind:     by_value
      - .offset:         40
        .size:           4
        .value_kind:     by_value
      - .offset:         48
        .size:           8
        .value_kind:     by_value
      - .address_space:  global
        .offset:         56
        .size:           8
        .value_kind:     global_buffer
      - .offset:         64
        .size:           8
        .value_kind:     by_value
      - .offset:         72
        .size:           4
        .value_kind:     by_value
      - .offset:         80
        .size:           8
        .value_kind:     by_value
      - .address_space:  global
        .offset:         88
        .size:           8
        .value_kind:     global_buffer
      - .offset:         96
        .size:           8
        .value_kind:     by_value
      - .address_space:  global
        .offset:         104
        .size:           8
        .value_kind:     global_buffer
      - .offset:         112
        .size:           8
        .value_kind:     by_value
      - .offset:         120
        .size:           4
        .value_kind:     by_value
      - .offset:         128
        .size:           8
        .value_kind:     by_value
      - .offset:         136
        .size:           4
        .value_kind:     by_value
    .group_segment_fixed_size: 0
    .kernarg_segment_align: 8
    .kernarg_segment_size: 140
    .language:       OpenCL C
    .language_version:
      - 2
      - 0
    .max_flat_workgroup_size: 768
    .name:           _ZL34rocblas_gemvn_sm_mn_batched_kernelILi32ELi24E16rocblas_bfloat16PKffEviiT2_lPKT1_lilS6_lilS3_lPT3_lili
    .private_segment_fixed_size: 0
    .sgpr_count:     0
    .sgpr_spill_count: 0
    .symbol:         _ZL34rocblas_gemvn_sm_mn_batched_kernelILi32ELi24E16rocblas_bfloat16PKffEviiT2_lPKT1_lilS6_lilS3_lPT3_lili.kd
    .uniform_work_group_size: 1
    .uses_dynamic_stack: false
    .vgpr_count:     0
    .vgpr_spill_count: 0
    .wavefront_size: 32
    .workgroup_processor_mode: 1
  - .args:
      - .offset:         0
        .size:           4
        .value_kind:     by_value
      - .offset:         4
        .size:           4
        .value_kind:     by_value
      - .offset:         8
        .size:           4
        .value_kind:     by_value
      - .offset:         16
        .size:           8
        .value_kind:     by_value
      - .address_space:  global
        .offset:         24
        .size:           8
        .value_kind:     global_buffer
      - .offset:         32
        .size:           8
        .value_kind:     by_value
      - .offset:         40
        .size:           4
        .value_kind:     by_value
      - .offset:         48
        .size:           8
        .value_kind:     by_value
      - .address_space:  global
        .offset:         56
        .size:           8
        .value_kind:     global_buffer
      - .offset:         64
        .size:           8
        .value_kind:     by_value
      - .offset:         72
        .size:           4
        .value_kind:     by_value
      - .offset:         80
        .size:           8
        .value_kind:     by_value
      - .offset:         88
        .size:           4
        .value_kind:     by_value
      - .offset:         96
        .size:           8
        .value_kind:     by_value
      - .address_space:  global
        .offset:         104
        .size:           8
        .value_kind:     global_buffer
      - .offset:         112
        .size:           8
        .value_kind:     by_value
      - .offset:         120
        .size:           4
        .value_kind:     by_value
      - .offset:         128
        .size:           8
        .value_kind:     by_value
      - .offset:         136
        .size:           4
        .value_kind:     by_value
    .group_segment_fixed_size: 0
    .kernarg_segment_align: 8
    .kernarg_segment_size: 140
    .language:       OpenCL C
    .language_version:
      - 2
      - 0
    .max_flat_workgroup_size: 768
    .name:           _ZL34rocblas_gemvn_sm_mn_batched_kernelILi32ELi24E16rocblas_bfloat16ffEviiT2_lPKT1_lilS4_lilS1_lPT3_lili
    .private_segment_fixed_size: 0
    .sgpr_count:     0
    .sgpr_spill_count: 0
    .symbol:         _ZL34rocblas_gemvn_sm_mn_batched_kernelILi32ELi24E16rocblas_bfloat16ffEviiT2_lPKT1_lilS4_lilS1_lPT3_lili.kd
    .uniform_work_group_size: 1
    .uses_dynamic_stack: false
    .vgpr_count:     0
    .vgpr_spill_count: 0
    .wavefront_size: 32
    .workgroup_processor_mode: 1
  - .args:
      - .offset:         0
        .size:           4
        .value_kind:     by_value
      - .offset:         4
        .size:           4
        .value_kind:     by_value
      - .address_space:  global
        .offset:         8
        .size:           8
        .value_kind:     global_buffer
      - .offset:         16
        .size:           8
        .value_kind:     by_value
      - .address_space:  global
        .offset:         24
        .size:           8
        .value_kind:     global_buffer
      - .offset:         32
        .size:           8
        .value_kind:     by_value
      - .offset:         40
        .size:           4
        .value_kind:     by_value
      - .offset:         48
        .size:           8
        .value_kind:     by_value
      - .address_space:  global
        .offset:         56
        .size:           8
        .value_kind:     global_buffer
      - .offset:         64
        .size:           8
        .value_kind:     by_value
      - .offset:         72
        .size:           4
        .value_kind:     by_value
      - .offset:         80
        .size:           8
        .value_kind:     by_value
      - .address_space:  global
        .offset:         88
        .size:           8
        .value_kind:     global_buffer
      - .offset:         96
        .size:           8
        .value_kind:     by_value
      - .address_space:  global
        .offset:         104
        .size:           8
        .value_kind:     global_buffer
      - .offset:         112
        .size:           8
        .value_kind:     by_value
      - .offset:         120
        .size:           4
        .value_kind:     by_value
      - .offset:         128
        .size:           8
        .value_kind:     by_value
      - .offset:         136
        .size:           4
        .value_kind:     by_value
      - .offset:         144
        .size:           4
        .value_kind:     hidden_block_count_x
      - .offset:         148
        .size:           4
        .value_kind:     hidden_block_count_y
      - .offset:         152
        .size:           4
        .value_kind:     hidden_block_count_z
      - .offset:         156
        .size:           2
        .value_kind:     hidden_group_size_x
      - .offset:         158
        .size:           2
        .value_kind:     hidden_group_size_y
      - .offset:         160
        .size:           2
        .value_kind:     hidden_group_size_z
      - .offset:         162
        .size:           2
        .value_kind:     hidden_remainder_x
      - .offset:         164
        .size:           2
        .value_kind:     hidden_remainder_y
      - .offset:         166
        .size:           2
        .value_kind:     hidden_remainder_z
      - .offset:         184
        .size:           8
        .value_kind:     hidden_global_offset_x
      - .offset:         192
        .size:           8
        .value_kind:     hidden_global_offset_y
      - .offset:         200
        .size:           8
        .value_kind:     hidden_global_offset_z
      - .offset:         208
        .size:           2
        .value_kind:     hidden_grid_dims
    .group_segment_fixed_size: 4096
    .kernarg_segment_align: 8
    .kernarg_segment_size: 400
    .language:       OpenCL C
    .language_version:
      - 2
      - 0
    .max_flat_workgroup_size: 256
    .name:           _ZL20rocblas_gemvn_kernelILi64ELi4Ei16rocblas_bfloat16PKffEviiT3_lPKT2_lT1_lS6_lS7_lS3_lPT4_lS7_li
    .private_segment_fixed_size: 0
    .sgpr_count:     57
    .sgpr_spill_count: 0
    .symbol:         _ZL20rocblas_gemvn_kernelILi64ELi4Ei16rocblas_bfloat16PKffEviiT3_lPKT2_lT1_lS6_lS7_lS3_lPT4_lS7_li.kd
    .uniform_work_group_size: 1
    .uses_dynamic_stack: false
    .vgpr_count:     53
    .vgpr_spill_count: 0
    .wavefront_size: 32
    .workgroup_processor_mode: 1
  - .args:
      - .offset:         0
        .size:           4
        .value_kind:     by_value
      - .offset:         4
        .size:           4
        .value_kind:     by_value
      - .address_space:  global
        .offset:         8
        .size:           8
        .value_kind:     global_buffer
      - .offset:         16
        .size:           8
        .value_kind:     by_value
      - .address_space:  global
        .offset:         24
        .size:           8
        .value_kind:     global_buffer
      - .offset:         32
        .size:           8
        .value_kind:     by_value
      - .offset:         40
        .size:           8
        .value_kind:     by_value
      - .offset:         48
        .size:           8
        .value_kind:     by_value
      - .address_space:  global
        .offset:         56
        .size:           8
        .value_kind:     global_buffer
      - .offset:         64
        .size:           8
        .value_kind:     by_value
      - .offset:         72
        .size:           8
        .value_kind:     by_value
      - .offset:         80
        .size:           8
        .value_kind:     by_value
      - .address_space:  global
        .offset:         88
        .size:           8
        .value_kind:     global_buffer
      - .offset:         96
        .size:           8
        .value_kind:     by_value
      - .address_space:  global
        .offset:         104
        .size:           8
        .value_kind:     global_buffer
      - .offset:         112
        .size:           8
        .value_kind:     by_value
      - .offset:         120
        .size:           8
        .value_kind:     by_value
      - .offset:         128
        .size:           8
        .value_kind:     by_value
      - .offset:         136
        .size:           4
        .value_kind:     by_value
      - .offset:         144
        .size:           4
        .value_kind:     hidden_block_count_x
      - .offset:         148
        .size:           4
        .value_kind:     hidden_block_count_y
      - .offset:         152
        .size:           4
        .value_kind:     hidden_block_count_z
      - .offset:         156
        .size:           2
        .value_kind:     hidden_group_size_x
      - .offset:         158
        .size:           2
        .value_kind:     hidden_group_size_y
      - .offset:         160
        .size:           2
        .value_kind:     hidden_group_size_z
      - .offset:         162
        .size:           2
        .value_kind:     hidden_remainder_x
      - .offset:         164
        .size:           2
        .value_kind:     hidden_remainder_y
      - .offset:         166
        .size:           2
        .value_kind:     hidden_remainder_z
      - .offset:         184
        .size:           8
        .value_kind:     hidden_global_offset_x
      - .offset:         192
        .size:           8
        .value_kind:     hidden_global_offset_y
      - .offset:         200
        .size:           8
        .value_kind:     hidden_global_offset_z
      - .offset:         208
        .size:           2
        .value_kind:     hidden_grid_dims
    .group_segment_fixed_size: 4096
    .kernarg_segment_align: 8
    .kernarg_segment_size: 400
    .language:       OpenCL C
    .language_version:
      - 2
      - 0
    .max_flat_workgroup_size: 256
    .name:           _ZL20rocblas_gemvn_kernelILi64ELi4El16rocblas_bfloat16PKffEviiT3_lPKT2_lT1_lS6_lS7_lS3_lPT4_lS7_li
    .private_segment_fixed_size: 0
    .sgpr_count:     62
    .sgpr_spill_count: 0
    .symbol:         _ZL20rocblas_gemvn_kernelILi64ELi4El16rocblas_bfloat16PKffEviiT3_lPKT2_lT1_lS6_lS7_lS3_lPT4_lS7_li.kd
    .uniform_work_group_size: 1
    .uses_dynamic_stack: false
    .vgpr_count:     74
    .vgpr_spill_count: 0
    .wavefront_size: 32
    .workgroup_processor_mode: 1
  - .args:
      - .offset:         0
        .size:           4
        .value_kind:     by_value
      - .offset:         4
        .size:           4
        .value_kind:     by_value
      - .offset:         8
        .size:           4
        .value_kind:     by_value
      - .offset:         16
        .size:           8
        .value_kind:     by_value
      - .address_space:  global
        .offset:         24
        .size:           8
        .value_kind:     global_buffer
      - .offset:         32
        .size:           8
        .value_kind:     by_value
      - .offset:         40
        .size:           4
        .value_kind:     by_value
      - .offset:         48
        .size:           8
        .value_kind:     by_value
      - .address_space:  global
        .offset:         56
        .size:           8
        .value_kind:     global_buffer
      - .offset:         64
        .size:           8
        .value_kind:     by_value
      - .offset:         72
        .size:           4
        .value_kind:     by_value
      - .offset:         80
        .size:           8
        .value_kind:     by_value
      - .offset:         88
        .size:           4
        .value_kind:     by_value
      - .offset:         96
        .size:           8
        .value_kind:     by_value
      - .address_space:  global
        .offset:         104
        .size:           8
        .value_kind:     global_buffer
      - .offset:         112
        .size:           8
        .value_kind:     by_value
      - .offset:         120
        .size:           4
        .value_kind:     by_value
      - .offset:         128
        .size:           8
        .value_kind:     by_value
      - .offset:         136
        .size:           4
        .value_kind:     by_value
      - .offset:         144
        .size:           4
        .value_kind:     hidden_block_count_x
      - .offset:         148
        .size:           4
        .value_kind:     hidden_block_count_y
      - .offset:         152
        .size:           4
        .value_kind:     hidden_block_count_z
      - .offset:         156
        .size:           2
        .value_kind:     hidden_group_size_x
      - .offset:         158
        .size:           2
        .value_kind:     hidden_group_size_y
      - .offset:         160
        .size:           2
        .value_kind:     hidden_group_size_z
      - .offset:         162
        .size:           2
        .value_kind:     hidden_remainder_x
      - .offset:         164
        .size:           2
        .value_kind:     hidden_remainder_y
      - .offset:         166
        .size:           2
        .value_kind:     hidden_remainder_z
      - .offset:         184
        .size:           8
        .value_kind:     hidden_global_offset_x
      - .offset:         192
        .size:           8
        .value_kind:     hidden_global_offset_y
      - .offset:         200
        .size:           8
        .value_kind:     hidden_global_offset_z
      - .offset:         208
        .size:           2
        .value_kind:     hidden_grid_dims
    .group_segment_fixed_size: 4096
    .kernarg_segment_align: 8
    .kernarg_segment_size: 400
    .language:       OpenCL C
    .language_version:
      - 2
      - 0
    .max_flat_workgroup_size: 256
    .name:           _ZL20rocblas_gemvn_kernelILi64ELi4Ei16rocblas_bfloat16ffEviiT3_lPKT2_lT1_lS4_lS5_lS1_lPT4_lS5_li
    .private_segment_fixed_size: 0
    .sgpr_count:     53
    .sgpr_spill_count: 0
    .symbol:         _ZL20rocblas_gemvn_kernelILi64ELi4Ei16rocblas_bfloat16ffEviiT3_lPKT2_lT1_lS4_lS5_lS1_lPT4_lS5_li.kd
    .uniform_work_group_size: 1
    .uses_dynamic_stack: false
    .vgpr_count:     51
    .vgpr_spill_count: 0
    .wavefront_size: 32
    .workgroup_processor_mode: 1
  - .args:
      - .offset:         0
        .size:           4
        .value_kind:     by_value
      - .offset:         4
        .size:           4
        .value_kind:     by_value
      - .offset:         8
        .size:           4
        .value_kind:     by_value
      - .offset:         16
        .size:           8
        .value_kind:     by_value
      - .address_space:  global
        .offset:         24
        .size:           8
        .value_kind:     global_buffer
      - .offset:         32
        .size:           8
        .value_kind:     by_value
      - .offset:         40
        .size:           8
        .value_kind:     by_value
      - .offset:         48
        .size:           8
        .value_kind:     by_value
      - .address_space:  global
        .offset:         56
        .size:           8
        .value_kind:     global_buffer
      - .offset:         64
        .size:           8
        .value_kind:     by_value
      - .offset:         72
        .size:           8
        .value_kind:     by_value
      - .offset:         80
        .size:           8
        .value_kind:     by_value
      - .offset:         88
        .size:           4
        .value_kind:     by_value
      - .offset:         96
        .size:           8
        .value_kind:     by_value
      - .address_space:  global
        .offset:         104
        .size:           8
        .value_kind:     global_buffer
      - .offset:         112
        .size:           8
        .value_kind:     by_value
      - .offset:         120
        .size:           8
        .value_kind:     by_value
      - .offset:         128
        .size:           8
        .value_kind:     by_value
      - .offset:         136
        .size:           4
        .value_kind:     by_value
      - .offset:         144
        .size:           4
        .value_kind:     hidden_block_count_x
      - .offset:         148
        .size:           4
        .value_kind:     hidden_block_count_y
      - .offset:         152
        .size:           4
        .value_kind:     hidden_block_count_z
      - .offset:         156
        .size:           2
        .value_kind:     hidden_group_size_x
      - .offset:         158
        .size:           2
        .value_kind:     hidden_group_size_y
      - .offset:         160
        .size:           2
        .value_kind:     hidden_group_size_z
      - .offset:         162
        .size:           2
        .value_kind:     hidden_remainder_x
      - .offset:         164
        .size:           2
        .value_kind:     hidden_remainder_y
      - .offset:         166
        .size:           2
        .value_kind:     hidden_remainder_z
      - .offset:         184
        .size:           8
        .value_kind:     hidden_global_offset_x
      - .offset:         192
        .size:           8
        .value_kind:     hidden_global_offset_y
      - .offset:         200
        .size:           8
        .value_kind:     hidden_global_offset_z
      - .offset:         208
        .size:           2
        .value_kind:     hidden_grid_dims
    .group_segment_fixed_size: 4096
    .kernarg_segment_align: 8
    .kernarg_segment_size: 400
    .language:       OpenCL C
    .language_version:
      - 2
      - 0
    .max_flat_workgroup_size: 256
    .name:           _ZL20rocblas_gemvn_kernelILi64ELi4El16rocblas_bfloat16ffEviiT3_lPKT2_lT1_lS4_lS5_lS1_lPT4_lS5_li
    .private_segment_fixed_size: 0
    .sgpr_count:     58
    .sgpr_spill_count: 0
    .symbol:         _ZL20rocblas_gemvn_kernelILi64ELi4El16rocblas_bfloat16ffEviiT3_lPKT2_lT1_lS4_lS5_lS1_lPT4_lS5_li.kd
    .uniform_work_group_size: 1
    .uses_dynamic_stack: false
    .vgpr_count:     72
    .vgpr_spill_count: 0
    .wavefront_size: 32
    .workgroup_processor_mode: 1
  - .args:
      - .offset:         0
        .size:           4
        .value_kind:     by_value
      - .offset:         4
        .size:           4
        .value_kind:     by_value
      - .address_space:  global
        .offset:         8
        .size:           8
        .value_kind:     global_buffer
      - .offset:         16
        .size:           8
        .value_kind:     by_value
      - .address_space:  global
        .offset:         24
        .size:           8
        .value_kind:     global_buffer
      - .offset:         32
        .size:           8
        .value_kind:     by_value
      - .offset:         40
        .size:           4
        .value_kind:     by_value
      - .offset:         48
        .size:           8
        .value_kind:     by_value
      - .address_space:  global
        .offset:         56
        .size:           8
        .value_kind:     global_buffer
      - .offset:         64
        .size:           8
        .value_kind:     by_value
      - .offset:         72
        .size:           4
        .value_kind:     by_value
      - .offset:         80
        .size:           8
        .value_kind:     by_value
      - .address_space:  global
        .offset:         88
        .size:           8
        .value_kind:     global_buffer
      - .offset:         96
        .size:           8
        .value_kind:     by_value
      - .address_space:  global
        .offset:         104
        .size:           8
        .value_kind:     global_buffer
      - .offset:         112
        .size:           8
        .value_kind:     by_value
      - .offset:         120
        .size:           4
        .value_kind:     by_value
      - .offset:         128
        .size:           8
        .value_kind:     by_value
      - .offset:         136
        .size:           4
        .value_kind:     by_value
      - .offset:         144
        .size:           4
        .value_kind:     hidden_block_count_x
      - .offset:         148
        .size:           4
        .value_kind:     hidden_block_count_y
      - .offset:         152
        .size:           4
        .value_kind:     hidden_block_count_z
      - .offset:         156
        .size:           2
        .value_kind:     hidden_group_size_x
      - .offset:         158
        .size:           2
        .value_kind:     hidden_group_size_y
      - .offset:         160
        .size:           2
        .value_kind:     hidden_group_size_z
      - .offset:         162
        .size:           2
        .value_kind:     hidden_remainder_x
      - .offset:         164
        .size:           2
        .value_kind:     hidden_remainder_y
      - .offset:         166
        .size:           2
        .value_kind:     hidden_remainder_z
      - .offset:         184
        .size:           8
        .value_kind:     hidden_global_offset_x
      - .offset:         192
        .size:           8
        .value_kind:     hidden_global_offset_y
      - .offset:         200
        .size:           8
        .value_kind:     hidden_global_offset_z
      - .offset:         208
        .size:           2
        .value_kind:     hidden_grid_dims
    .group_segment_fixed_size: 8192
    .kernarg_segment_align: 8
    .kernarg_segment_size: 400
    .language:       OpenCL C
    .language_version:
      - 2
      - 0
    .max_flat_workgroup_size: 512
    .name:           _ZL20rocblas_gemvn_kernelILi32ELi16Ei16rocblas_bfloat16PKffEviiT3_lPKT2_lT1_lS6_lS7_lS3_lPT4_lS7_li
    .private_segment_fixed_size: 0
    .sgpr_count:     57
    .sgpr_spill_count: 0
    .symbol:         _ZL20rocblas_gemvn_kernelILi32ELi16Ei16rocblas_bfloat16PKffEviiT3_lPKT2_lT1_lS6_lS7_lS3_lPT4_lS7_li.kd
    .uniform_work_group_size: 1
    .uses_dynamic_stack: false
    .vgpr_count:     55
    .vgpr_spill_count: 0
    .wavefront_size: 32
    .workgroup_processor_mode: 1
  - .args:
      - .offset:         0
        .size:           4
        .value_kind:     by_value
      - .offset:         4
        .size:           4
        .value_kind:     by_value
      - .address_space:  global
        .offset:         8
        .size:           8
        .value_kind:     global_buffer
      - .offset:         16
        .size:           8
        .value_kind:     by_value
      - .address_space:  global
        .offset:         24
        .size:           8
        .value_kind:     global_buffer
      - .offset:         32
        .size:           8
        .value_kind:     by_value
      - .offset:         40
        .size:           8
        .value_kind:     by_value
      - .offset:         48
        .size:           8
        .value_kind:     by_value
      - .address_space:  global
        .offset:         56
        .size:           8
        .value_kind:     global_buffer
      - .offset:         64
        .size:           8
        .value_kind:     by_value
      - .offset:         72
        .size:           8
        .value_kind:     by_value
      - .offset:         80
        .size:           8
        .value_kind:     by_value
      - .address_space:  global
        .offset:         88
        .size:           8
        .value_kind:     global_buffer
      - .offset:         96
        .size:           8
        .value_kind:     by_value
      - .address_space:  global
        .offset:         104
        .size:           8
        .value_kind:     global_buffer
      - .offset:         112
        .size:           8
        .value_kind:     by_value
      - .offset:         120
        .size:           8
        .value_kind:     by_value
      - .offset:         128
        .size:           8
        .value_kind:     by_value
      - .offset:         136
        .size:           4
        .value_kind:     by_value
      - .offset:         144
        .size:           4
        .value_kind:     hidden_block_count_x
      - .offset:         148
        .size:           4
        .value_kind:     hidden_block_count_y
      - .offset:         152
        .size:           4
        .value_kind:     hidden_block_count_z
      - .offset:         156
        .size:           2
        .value_kind:     hidden_group_size_x
      - .offset:         158
        .size:           2
        .value_kind:     hidden_group_size_y
      - .offset:         160
        .size:           2
        .value_kind:     hidden_group_size_z
      - .offset:         162
        .size:           2
        .value_kind:     hidden_remainder_x
      - .offset:         164
        .size:           2
        .value_kind:     hidden_remainder_y
      - .offset:         166
        .size:           2
        .value_kind:     hidden_remainder_z
      - .offset:         184
        .size:           8
        .value_kind:     hidden_global_offset_x
      - .offset:         192
        .size:           8
        .value_kind:     hidden_global_offset_y
      - .offset:         200
        .size:           8
        .value_kind:     hidden_global_offset_z
      - .offset:         208
        .size:           2
        .value_kind:     hidden_grid_dims
    .group_segment_fixed_size: 8192
    .kernarg_segment_align: 8
    .kernarg_segment_size: 400
    .language:       OpenCL C
    .language_version:
      - 2
      - 0
    .max_flat_workgroup_size: 512
    .name:           _ZL20rocblas_gemvn_kernelILi32ELi16El16rocblas_bfloat16PKffEviiT3_lPKT2_lT1_lS6_lS7_lS3_lPT4_lS7_li
    .private_segment_fixed_size: 0
    .sgpr_count:     62
    .sgpr_spill_count: 0
    .symbol:         _ZL20rocblas_gemvn_kernelILi32ELi16El16rocblas_bfloat16PKffEviiT3_lPKT2_lT1_lS6_lS7_lS3_lPT4_lS7_li.kd
    .uniform_work_group_size: 1
    .uses_dynamic_stack: false
    .vgpr_count:     74
    .vgpr_spill_count: 0
    .wavefront_size: 32
    .workgroup_processor_mode: 1
  - .args:
      - .offset:         0
        .size:           4
        .value_kind:     by_value
      - .offset:         4
        .size:           4
        .value_kind:     by_value
      - .offset:         8
        .size:           4
        .value_kind:     by_value
      - .offset:         16
        .size:           8
        .value_kind:     by_value
      - .address_space:  global
        .offset:         24
        .size:           8
        .value_kind:     global_buffer
      - .offset:         32
        .size:           8
        .value_kind:     by_value
      - .offset:         40
        .size:           4
        .value_kind:     by_value
      - .offset:         48
        .size:           8
        .value_kind:     by_value
      - .address_space:  global
        .offset:         56
        .size:           8
        .value_kind:     global_buffer
      - .offset:         64
        .size:           8
        .value_kind:     by_value
      - .offset:         72
        .size:           4
        .value_kind:     by_value
      - .offset:         80
        .size:           8
        .value_kind:     by_value
      - .offset:         88
        .size:           4
        .value_kind:     by_value
      - .offset:         96
        .size:           8
        .value_kind:     by_value
      - .address_space:  global
        .offset:         104
        .size:           8
        .value_kind:     global_buffer
      - .offset:         112
        .size:           8
        .value_kind:     by_value
      - .offset:         120
        .size:           4
        .value_kind:     by_value
      - .offset:         128
        .size:           8
        .value_kind:     by_value
      - .offset:         136
        .size:           4
        .value_kind:     by_value
      - .offset:         144
        .size:           4
        .value_kind:     hidden_block_count_x
      - .offset:         148
        .size:           4
        .value_kind:     hidden_block_count_y
      - .offset:         152
        .size:           4
        .value_kind:     hidden_block_count_z
      - .offset:         156
        .size:           2
        .value_kind:     hidden_group_size_x
      - .offset:         158
        .size:           2
        .value_kind:     hidden_group_size_y
      - .offset:         160
        .size:           2
        .value_kind:     hidden_group_size_z
      - .offset:         162
        .size:           2
        .value_kind:     hidden_remainder_x
      - .offset:         164
        .size:           2
        .value_kind:     hidden_remainder_y
      - .offset:         166
        .size:           2
        .value_kind:     hidden_remainder_z
      - .offset:         184
        .size:           8
        .value_kind:     hidden_global_offset_x
      - .offset:         192
        .size:           8
        .value_kind:     hidden_global_offset_y
      - .offset:         200
        .size:           8
        .value_kind:     hidden_global_offset_z
      - .offset:         208
        .size:           2
        .value_kind:     hidden_grid_dims
    .group_segment_fixed_size: 8192
    .kernarg_segment_align: 8
    .kernarg_segment_size: 400
    .language:       OpenCL C
    .language_version:
      - 2
      - 0
    .max_flat_workgroup_size: 512
    .name:           _ZL20rocblas_gemvn_kernelILi32ELi16Ei16rocblas_bfloat16ffEviiT3_lPKT2_lT1_lS4_lS5_lS1_lPT4_lS5_li
    .private_segment_fixed_size: 0
    .sgpr_count:     53
    .sgpr_spill_count: 0
    .symbol:         _ZL20rocblas_gemvn_kernelILi32ELi16Ei16rocblas_bfloat16ffEviiT3_lPKT2_lT1_lS4_lS5_lS1_lPT4_lS5_li.kd
    .uniform_work_group_size: 1
    .uses_dynamic_stack: false
    .vgpr_count:     53
    .vgpr_spill_count: 0
    .wavefront_size: 32
    .workgroup_processor_mode: 1
  - .args:
      - .offset:         0
        .size:           4
        .value_kind:     by_value
      - .offset:         4
        .size:           4
        .value_kind:     by_value
      - .offset:         8
        .size:           4
        .value_kind:     by_value
      - .offset:         16
        .size:           8
        .value_kind:     by_value
      - .address_space:  global
        .offset:         24
        .size:           8
        .value_kind:     global_buffer
      - .offset:         32
        .size:           8
        .value_kind:     by_value
      - .offset:         40
        .size:           8
        .value_kind:     by_value
      - .offset:         48
        .size:           8
        .value_kind:     by_value
      - .address_space:  global
        .offset:         56
        .size:           8
        .value_kind:     global_buffer
      - .offset:         64
        .size:           8
        .value_kind:     by_value
      - .offset:         72
        .size:           8
        .value_kind:     by_value
      - .offset:         80
        .size:           8
        .value_kind:     by_value
      - .offset:         88
        .size:           4
        .value_kind:     by_value
      - .offset:         96
        .size:           8
        .value_kind:     by_value
      - .address_space:  global
        .offset:         104
        .size:           8
        .value_kind:     global_buffer
      - .offset:         112
        .size:           8
        .value_kind:     by_value
      - .offset:         120
        .size:           8
        .value_kind:     by_value
      - .offset:         128
        .size:           8
        .value_kind:     by_value
      - .offset:         136
        .size:           4
        .value_kind:     by_value
      - .offset:         144
        .size:           4
        .value_kind:     hidden_block_count_x
      - .offset:         148
        .size:           4
        .value_kind:     hidden_block_count_y
      - .offset:         152
        .size:           4
        .value_kind:     hidden_block_count_z
      - .offset:         156
        .size:           2
        .value_kind:     hidden_group_size_x
      - .offset:         158
        .size:           2
        .value_kind:     hidden_group_size_y
      - .offset:         160
        .size:           2
        .value_kind:     hidden_group_size_z
      - .offset:         162
        .size:           2
        .value_kind:     hidden_remainder_x
      - .offset:         164
        .size:           2
        .value_kind:     hidden_remainder_y
      - .offset:         166
        .size:           2
        .value_kind:     hidden_remainder_z
      - .offset:         184
        .size:           8
        .value_kind:     hidden_global_offset_x
      - .offset:         192
        .size:           8
        .value_kind:     hidden_global_offset_y
      - .offset:         200
        .size:           8
        .value_kind:     hidden_global_offset_z
      - .offset:         208
        .size:           2
        .value_kind:     hidden_grid_dims
    .group_segment_fixed_size: 8192
    .kernarg_segment_align: 8
    .kernarg_segment_size: 400
    .language:       OpenCL C
    .language_version:
      - 2
      - 0
    .max_flat_workgroup_size: 512
    .name:           _ZL20rocblas_gemvn_kernelILi32ELi16El16rocblas_bfloat16ffEviiT3_lPKT2_lT1_lS4_lS5_lS1_lPT4_lS5_li
    .private_segment_fixed_size: 0
    .sgpr_count:     58
    .sgpr_spill_count: 0
    .symbol:         _ZL20rocblas_gemvn_kernelILi32ELi16El16rocblas_bfloat16ffEviiT3_lPKT2_lT1_lS4_lS5_lS1_lPT4_lS5_li.kd
    .uniform_work_group_size: 1
    .uses_dynamic_stack: false
    .vgpr_count:     72
    .vgpr_spill_count: 0
    .wavefront_size: 32
    .workgroup_processor_mode: 1
  - .args:
      - .offset:         0
        .size:           4
        .value_kind:     by_value
      - .offset:         4
        .size:           4
        .value_kind:     by_value
      - .address_space:  global
        .offset:         8
        .size:           8
        .value_kind:     global_buffer
      - .offset:         16
        .size:           8
        .value_kind:     by_value
      - .address_space:  global
        .offset:         24
        .size:           8
        .value_kind:     global_buffer
      - .offset:         32
        .size:           8
        .value_kind:     by_value
      - .offset:         40
        .size:           4
        .value_kind:     by_value
      - .offset:         48
        .size:           8
        .value_kind:     by_value
      - .address_space:  global
        .offset:         56
        .size:           8
        .value_kind:     global_buffer
      - .offset:         64
        .size:           8
        .value_kind:     by_value
      - .offset:         72
        .size:           4
        .value_kind:     by_value
      - .offset:         80
        .size:           8
        .value_kind:     by_value
      - .address_space:  global
        .offset:         88
        .size:           8
        .value_kind:     global_buffer
      - .offset:         96
        .size:           8
        .value_kind:     by_value
      - .address_space:  global
        .offset:         104
        .size:           8
        .value_kind:     global_buffer
      - .offset:         112
        .size:           8
        .value_kind:     by_value
      - .offset:         120
        .size:           4
        .value_kind:     by_value
      - .offset:         128
        .size:           8
        .value_kind:     by_value
      - .offset:         136
        .size:           4
        .value_kind:     by_value
      - .offset:         144
        .size:           4
        .value_kind:     hidden_block_count_x
      - .offset:         148
        .size:           4
        .value_kind:     hidden_block_count_y
      - .offset:         152
        .size:           4
        .value_kind:     hidden_block_count_z
      - .offset:         156
        .size:           2
        .value_kind:     hidden_group_size_x
      - .offset:         158
        .size:           2
        .value_kind:     hidden_group_size_y
      - .offset:         160
        .size:           2
        .value_kind:     hidden_group_size_z
      - .offset:         162
        .size:           2
        .value_kind:     hidden_remainder_x
      - .offset:         164
        .size:           2
        .value_kind:     hidden_remainder_y
      - .offset:         166
        .size:           2
        .value_kind:     hidden_remainder_z
      - .offset:         184
        .size:           8
        .value_kind:     hidden_global_offset_x
      - .offset:         192
        .size:           8
        .value_kind:     hidden_global_offset_y
      - .offset:         200
        .size:           8
        .value_kind:     hidden_global_offset_z
      - .offset:         208
        .size:           2
        .value_kind:     hidden_grid_dims
    .group_segment_fixed_size: 16384
    .kernarg_segment_align: 8
    .kernarg_segment_size: 400
    .language:       OpenCL C
    .language_version:
      - 2
      - 0
    .max_flat_workgroup_size: 1024
    .name:           _ZL20rocblas_gemvn_kernelILi64ELi16Ei16rocblas_bfloat16PKffEviiT3_lPKT2_lT1_lS6_lS7_lS3_lPT4_lS7_li
    .private_segment_fixed_size: 0
    .sgpr_count:     57
    .sgpr_spill_count: 0
    .symbol:         _ZL20rocblas_gemvn_kernelILi64ELi16Ei16rocblas_bfloat16PKffEviiT3_lPKT2_lT1_lS6_lS7_lS3_lPT4_lS7_li.kd
    .uniform_work_group_size: 1
    .uses_dynamic_stack: false
    .vgpr_count:     53
    .vgpr_spill_count: 0
    .wavefront_size: 32
    .workgroup_processor_mode: 1
  - .args:
      - .offset:         0
        .size:           4
        .value_kind:     by_value
      - .offset:         4
        .size:           4
        .value_kind:     by_value
      - .address_space:  global
        .offset:         8
        .size:           8
        .value_kind:     global_buffer
      - .offset:         16
        .size:           8
        .value_kind:     by_value
      - .address_space:  global
        .offset:         24
        .size:           8
        .value_kind:     global_buffer
      - .offset:         32
        .size:           8
        .value_kind:     by_value
      - .offset:         40
        .size:           8
        .value_kind:     by_value
      - .offset:         48
        .size:           8
        .value_kind:     by_value
      - .address_space:  global
        .offset:         56
        .size:           8
        .value_kind:     global_buffer
      - .offset:         64
        .size:           8
        .value_kind:     by_value
      - .offset:         72
        .size:           8
        .value_kind:     by_value
      - .offset:         80
        .size:           8
        .value_kind:     by_value
      - .address_space:  global
        .offset:         88
        .size:           8
        .value_kind:     global_buffer
      - .offset:         96
        .size:           8
        .value_kind:     by_value
      - .address_space:  global
        .offset:         104
        .size:           8
        .value_kind:     global_buffer
      - .offset:         112
        .size:           8
        .value_kind:     by_value
      - .offset:         120
        .size:           8
        .value_kind:     by_value
      - .offset:         128
        .size:           8
        .value_kind:     by_value
      - .offset:         136
        .size:           4
        .value_kind:     by_value
      - .offset:         144
        .size:           4
        .value_kind:     hidden_block_count_x
      - .offset:         148
        .size:           4
        .value_kind:     hidden_block_count_y
      - .offset:         152
        .size:           4
        .value_kind:     hidden_block_count_z
      - .offset:         156
        .size:           2
        .value_kind:     hidden_group_size_x
      - .offset:         158
        .size:           2
        .value_kind:     hidden_group_size_y
      - .offset:         160
        .size:           2
        .value_kind:     hidden_group_size_z
      - .offset:         162
        .size:           2
        .value_kind:     hidden_remainder_x
      - .offset:         164
        .size:           2
        .value_kind:     hidden_remainder_y
      - .offset:         166
        .size:           2
        .value_kind:     hidden_remainder_z
      - .offset:         184
        .size:           8
        .value_kind:     hidden_global_offset_x
      - .offset:         192
        .size:           8
        .value_kind:     hidden_global_offset_y
      - .offset:         200
        .size:           8
        .value_kind:     hidden_global_offset_z
      - .offset:         208
        .size:           2
        .value_kind:     hidden_grid_dims
    .group_segment_fixed_size: 16384
    .kernarg_segment_align: 8
    .kernarg_segment_size: 400
    .language:       OpenCL C
    .language_version:
      - 2
      - 0
    .max_flat_workgroup_size: 1024
    .name:           _ZL20rocblas_gemvn_kernelILi64ELi16El16rocblas_bfloat16PKffEviiT3_lPKT2_lT1_lS6_lS7_lS3_lPT4_lS7_li
    .private_segment_fixed_size: 0
    .sgpr_count:     62
    .sgpr_spill_count: 0
    .symbol:         _ZL20rocblas_gemvn_kernelILi64ELi16El16rocblas_bfloat16PKffEviiT3_lPKT2_lT1_lS6_lS7_lS3_lPT4_lS7_li.kd
    .uniform_work_group_size: 1
    .uses_dynamic_stack: false
    .vgpr_count:     74
    .vgpr_spill_count: 0
    .wavefront_size: 32
    .workgroup_processor_mode: 1
  - .args:
      - .offset:         0
        .size:           4
        .value_kind:     by_value
      - .offset:         4
        .size:           4
        .value_kind:     by_value
      - .offset:         8
        .size:           4
        .value_kind:     by_value
      - .offset:         16
        .size:           8
        .value_kind:     by_value
      - .address_space:  global
        .offset:         24
        .size:           8
        .value_kind:     global_buffer
      - .offset:         32
        .size:           8
        .value_kind:     by_value
      - .offset:         40
        .size:           4
        .value_kind:     by_value
      - .offset:         48
        .size:           8
        .value_kind:     by_value
      - .address_space:  global
        .offset:         56
        .size:           8
        .value_kind:     global_buffer
      - .offset:         64
        .size:           8
        .value_kind:     by_value
      - .offset:         72
        .size:           4
        .value_kind:     by_value
      - .offset:         80
        .size:           8
        .value_kind:     by_value
      - .offset:         88
        .size:           4
        .value_kind:     by_value
      - .offset:         96
        .size:           8
        .value_kind:     by_value
      - .address_space:  global
        .offset:         104
        .size:           8
        .value_kind:     global_buffer
      - .offset:         112
        .size:           8
        .value_kind:     by_value
      - .offset:         120
        .size:           4
        .value_kind:     by_value
      - .offset:         128
        .size:           8
        .value_kind:     by_value
      - .offset:         136
        .size:           4
        .value_kind:     by_value
      - .offset:         144
        .size:           4
        .value_kind:     hidden_block_count_x
      - .offset:         148
        .size:           4
        .value_kind:     hidden_block_count_y
      - .offset:         152
        .size:           4
        .value_kind:     hidden_block_count_z
      - .offset:         156
        .size:           2
        .value_kind:     hidden_group_size_x
      - .offset:         158
        .size:           2
        .value_kind:     hidden_group_size_y
      - .offset:         160
        .size:           2
        .value_kind:     hidden_group_size_z
      - .offset:         162
        .size:           2
        .value_kind:     hidden_remainder_x
      - .offset:         164
        .size:           2
        .value_kind:     hidden_remainder_y
      - .offset:         166
        .size:           2
        .value_kind:     hidden_remainder_z
      - .offset:         184
        .size:           8
        .value_kind:     hidden_global_offset_x
      - .offset:         192
        .size:           8
        .value_kind:     hidden_global_offset_y
      - .offset:         200
        .size:           8
        .value_kind:     hidden_global_offset_z
      - .offset:         208
        .size:           2
        .value_kind:     hidden_grid_dims
    .group_segment_fixed_size: 16384
    .kernarg_segment_align: 8
    .kernarg_segment_size: 400
    .language:       OpenCL C
    .language_version:
      - 2
      - 0
    .max_flat_workgroup_size: 1024
    .name:           _ZL20rocblas_gemvn_kernelILi64ELi16Ei16rocblas_bfloat16ffEviiT3_lPKT2_lT1_lS4_lS5_lS1_lPT4_lS5_li
    .private_segment_fixed_size: 0
    .sgpr_count:     53
    .sgpr_spill_count: 0
    .symbol:         _ZL20rocblas_gemvn_kernelILi64ELi16Ei16rocblas_bfloat16ffEviiT3_lPKT2_lT1_lS4_lS5_lS1_lPT4_lS5_li.kd
    .uniform_work_group_size: 1
    .uses_dynamic_stack: false
    .vgpr_count:     51
    .vgpr_spill_count: 0
    .wavefront_size: 32
    .workgroup_processor_mode: 1
  - .args:
      - .offset:         0
        .size:           4
        .value_kind:     by_value
      - .offset:         4
        .size:           4
        .value_kind:     by_value
      - .offset:         8
        .size:           4
        .value_kind:     by_value
      - .offset:         16
        .size:           8
        .value_kind:     by_value
      - .address_space:  global
        .offset:         24
        .size:           8
        .value_kind:     global_buffer
      - .offset:         32
        .size:           8
        .value_kind:     by_value
      - .offset:         40
        .size:           8
        .value_kind:     by_value
      - .offset:         48
        .size:           8
        .value_kind:     by_value
      - .address_space:  global
        .offset:         56
        .size:           8
        .value_kind:     global_buffer
      - .offset:         64
        .size:           8
        .value_kind:     by_value
      - .offset:         72
        .size:           8
        .value_kind:     by_value
      - .offset:         80
        .size:           8
        .value_kind:     by_value
      - .offset:         88
        .size:           4
        .value_kind:     by_value
      - .offset:         96
        .size:           8
        .value_kind:     by_value
      - .address_space:  global
        .offset:         104
        .size:           8
        .value_kind:     global_buffer
      - .offset:         112
        .size:           8
        .value_kind:     by_value
      - .offset:         120
        .size:           8
        .value_kind:     by_value
      - .offset:         128
        .size:           8
        .value_kind:     by_value
      - .offset:         136
        .size:           4
        .value_kind:     by_value
      - .offset:         144
        .size:           4
        .value_kind:     hidden_block_count_x
      - .offset:         148
        .size:           4
        .value_kind:     hidden_block_count_y
      - .offset:         152
        .size:           4
        .value_kind:     hidden_block_count_z
      - .offset:         156
        .size:           2
        .value_kind:     hidden_group_size_x
      - .offset:         158
        .size:           2
        .value_kind:     hidden_group_size_y
      - .offset:         160
        .size:           2
        .value_kind:     hidden_group_size_z
      - .offset:         162
        .size:           2
        .value_kind:     hidden_remainder_x
      - .offset:         164
        .size:           2
        .value_kind:     hidden_remainder_y
      - .offset:         166
        .size:           2
        .value_kind:     hidden_remainder_z
      - .offset:         184
        .size:           8
        .value_kind:     hidden_global_offset_x
      - .offset:         192
        .size:           8
        .value_kind:     hidden_global_offset_y
      - .offset:         200
        .size:           8
        .value_kind:     hidden_global_offset_z
      - .offset:         208
        .size:           2
        .value_kind:     hidden_grid_dims
    .group_segment_fixed_size: 16384
    .kernarg_segment_align: 8
    .kernarg_segment_size: 400
    .language:       OpenCL C
    .language_version:
      - 2
      - 0
    .max_flat_workgroup_size: 1024
    .name:           _ZL20rocblas_gemvn_kernelILi64ELi16El16rocblas_bfloat16ffEviiT3_lPKT2_lT1_lS4_lS5_lS1_lPT4_lS5_li
    .private_segment_fixed_size: 0
    .sgpr_count:     58
    .sgpr_spill_count: 0
    .symbol:         _ZL20rocblas_gemvn_kernelILi64ELi16El16rocblas_bfloat16ffEviiT3_lPKT2_lT1_lS4_lS5_lS1_lPT4_lS5_li.kd
    .uniform_work_group_size: 1
    .uses_dynamic_stack: false
    .vgpr_count:     72
    .vgpr_spill_count: 0
    .wavefront_size: 32
    .workgroup_processor_mode: 1
  - .args:
      - .offset:         0
        .size:           4
        .value_kind:     by_value
      - .offset:         4
        .size:           4
        .value_kind:     by_value
      - .address_space:  global
        .offset:         8
        .size:           8
        .value_kind:     global_buffer
      - .offset:         16
        .size:           8
        .value_kind:     by_value
      - .address_space:  global
        .offset:         24
        .size:           8
        .value_kind:     global_buffer
      - .offset:         32
        .size:           8
        .value_kind:     by_value
      - .offset:         40
        .size:           4
        .value_kind:     by_value
      - .offset:         48
        .size:           8
        .value_kind:     by_value
      - .address_space:  global
        .offset:         56
        .size:           8
        .value_kind:     global_buffer
      - .offset:         64
        .size:           8
        .value_kind:     by_value
      - .offset:         72
        .size:           4
        .value_kind:     by_value
      - .offset:         80
        .size:           8
        .value_kind:     by_value
      - .address_space:  global
        .offset:         88
        .size:           8
        .value_kind:     global_buffer
      - .offset:         96
        .size:           8
        .value_kind:     by_value
      - .address_space:  global
        .offset:         104
        .size:           8
        .value_kind:     global_buffer
      - .offset:         112
        .size:           8
        .value_kind:     by_value
      - .offset:         120
        .size:           4
        .value_kind:     by_value
      - .offset:         128
        .size:           8
        .value_kind:     by_value
    .group_segment_fixed_size: 256
    .kernarg_segment_align: 8
    .kernarg_segment_size: 136
    .language:       OpenCL C
    .language_version:
      - 2
      - 0
    .max_flat_workgroup_size: 256
    .name:           _ZL22rocblas_gemvtsm_kernelILb0ELi256E16rocblas_bfloat16PKffEviiT2_lPKT1_lilS6_lilS3_lPT3_lil
    .private_segment_fixed_size: 0
    .sgpr_count:     32
    .sgpr_spill_count: 0
    .symbol:         _ZL22rocblas_gemvtsm_kernelILb0ELi256E16rocblas_bfloat16PKffEviiT2_lPKT1_lilS6_lilS3_lPT3_lil.kd
    .uniform_work_group_size: 1
    .uses_dynamic_stack: false
    .vgpr_count:     16
    .vgpr_spill_count: 0
    .wavefront_size: 32
    .workgroup_processor_mode: 1
  - .args:
      - .offset:         0
        .size:           4
        .value_kind:     by_value
      - .offset:         4
        .size:           4
        .value_kind:     by_value
      - .offset:         8
        .size:           4
        .value_kind:     by_value
      - .offset:         16
        .size:           8
        .value_kind:     by_value
      - .address_space:  global
        .offset:         24
        .size:           8
        .value_kind:     global_buffer
      - .offset:         32
        .size:           8
        .value_kind:     by_value
      - .offset:         40
        .size:           4
        .value_kind:     by_value
      - .offset:         48
        .size:           8
        .value_kind:     by_value
      - .address_space:  global
        .offset:         56
        .size:           8
        .value_kind:     global_buffer
      - .offset:         64
        .size:           8
        .value_kind:     by_value
      - .offset:         72
        .size:           4
        .value_kind:     by_value
      - .offset:         80
        .size:           8
        .value_kind:     by_value
      - .offset:         88
        .size:           4
        .value_kind:     by_value
      - .offset:         96
        .size:           8
        .value_kind:     by_value
      - .address_space:  global
        .offset:         104
        .size:           8
        .value_kind:     global_buffer
      - .offset:         112
        .size:           8
        .value_kind:     by_value
      - .offset:         120
        .size:           4
        .value_kind:     by_value
      - .offset:         128
        .size:           8
        .value_kind:     by_value
    .group_segment_fixed_size: 256
    .kernarg_segment_align: 8
    .kernarg_segment_size: 136
    .language:       OpenCL C
    .language_version:
      - 2
      - 0
    .max_flat_workgroup_size: 256
    .name:           _ZL22rocblas_gemvtsm_kernelILb0ELi256E16rocblas_bfloat16ffEviiT2_lPKT1_lilS4_lilS1_lPT3_lil
    .private_segment_fixed_size: 0
    .sgpr_count:     28
    .sgpr_spill_count: 0
    .symbol:         _ZL22rocblas_gemvtsm_kernelILb0ELi256E16rocblas_bfloat16ffEviiT2_lPKT1_lilS4_lilS1_lPT3_lil.kd
    .uniform_work_group_size: 1
    .uses_dynamic_stack: false
    .vgpr_count:     16
    .vgpr_spill_count: 0
    .wavefront_size: 32
    .workgroup_processor_mode: 1
  - .args:
      - .offset:         0
        .size:           4
        .value_kind:     by_value
      - .offset:         4
        .size:           4
        .value_kind:     by_value
      - .address_space:  global
        .offset:         8
        .size:           8
        .value_kind:     global_buffer
      - .offset:         16
        .size:           8
        .value_kind:     by_value
      - .address_space:  global
        .offset:         24
        .size:           8
        .value_kind:     global_buffer
      - .offset:         32
        .size:           8
        .value_kind:     by_value
      - .offset:         40
        .size:           4
        .value_kind:     by_value
      - .offset:         48
        .size:           8
        .value_kind:     by_value
      - .address_space:  global
        .offset:         56
        .size:           8
        .value_kind:     global_buffer
      - .offset:         64
        .size:           8
        .value_kind:     by_value
      - .offset:         72
        .size:           4
        .value_kind:     by_value
      - .offset:         80
        .size:           8
        .value_kind:     by_value
      - .address_space:  global
        .offset:         88
        .size:           8
        .value_kind:     global_buffer
      - .offset:         96
        .size:           8
        .value_kind:     by_value
      - .address_space:  global
        .offset:         104
        .size:           8
        .value_kind:     global_buffer
      - .offset:         112
        .size:           8
        .value_kind:     by_value
      - .offset:         120
        .size:           4
        .value_kind:     by_value
      - .offset:         128
        .size:           8
        .value_kind:     by_value
      - .offset:         136
        .size:           4
        .value_kind:     by_value
    .group_segment_fixed_size: 128
    .kernarg_segment_align: 8
    .kernarg_segment_size: 140
    .language:       OpenCL C
    .language_version:
      - 2
      - 0
    .max_flat_workgroup_size: 256
    .name:           _ZL32rocblas_gemvt_warp_reduce_kernelILb0ELi256Ei16rocblas_bfloat16PKffEviiT3_lPKT2_lT1_lS6_lS7_lS3_lPT4_lS7_li
    .private_segment_fixed_size: 0
    .sgpr_count:     48
    .sgpr_spill_count: 0
    .symbol:         _ZL32rocblas_gemvt_warp_reduce_kernelILb0ELi256Ei16rocblas_bfloat16PKffEviiT3_lPKT2_lT1_lS6_lS7_lS3_lPT4_lS7_li.kd
    .uniform_work_group_size: 1
    .uses_dynamic_stack: false
    .vgpr_count:     22
    .vgpr_spill_count: 0
    .wavefront_size: 32
    .workgroup_processor_mode: 1
  - .args:
      - .offset:         0
        .size:           4
        .value_kind:     by_value
      - .offset:         4
        .size:           4
        .value_kind:     by_value
      - .address_space:  global
        .offset:         8
        .size:           8
        .value_kind:     global_buffer
      - .offset:         16
        .size:           8
        .value_kind:     by_value
      - .address_space:  global
        .offset:         24
        .size:           8
        .value_kind:     global_buffer
      - .offset:         32
        .size:           8
        .value_kind:     by_value
      - .offset:         40
        .size:           8
        .value_kind:     by_value
      - .offset:         48
        .size:           8
        .value_kind:     by_value
      - .address_space:  global
        .offset:         56
        .size:           8
        .value_kind:     global_buffer
      - .offset:         64
        .size:           8
        .value_kind:     by_value
      - .offset:         72
        .size:           8
        .value_kind:     by_value
      - .offset:         80
        .size:           8
        .value_kind:     by_value
      - .address_space:  global
        .offset:         88
        .size:           8
        .value_kind:     global_buffer
      - .offset:         96
        .size:           8
        .value_kind:     by_value
      - .address_space:  global
        .offset:         104
        .size:           8
        .value_kind:     global_buffer
      - .offset:         112
        .size:           8
        .value_kind:     by_value
      - .offset:         120
        .size:           8
        .value_kind:     by_value
      - .offset:         128
        .size:           8
        .value_kind:     by_value
      - .offset:         136
        .size:           4
        .value_kind:     by_value
    .group_segment_fixed_size: 128
    .kernarg_segment_align: 8
    .kernarg_segment_size: 140
    .language:       OpenCL C
    .language_version:
      - 2
      - 0
    .max_flat_workgroup_size: 256
    .name:           _ZL32rocblas_gemvt_warp_reduce_kernelILb0ELi256El16rocblas_bfloat16PKffEviiT3_lPKT2_lT1_lS6_lS7_lS3_lPT4_lS7_li
    .private_segment_fixed_size: 0
    .sgpr_count:     54
    .sgpr_spill_count: 0
    .symbol:         _ZL32rocblas_gemvt_warp_reduce_kernelILb0ELi256El16rocblas_bfloat16PKffEviiT3_lPKT2_lT1_lS6_lS7_lS3_lPT4_lS7_li.kd
    .uniform_work_group_size: 1
    .uses_dynamic_stack: false
    .vgpr_count:     24
    .vgpr_spill_count: 0
    .wavefront_size: 32
    .workgroup_processor_mode: 1
  - .args:
      - .offset:         0
        .size:           4
        .value_kind:     by_value
      - .offset:         4
        .size:           4
        .value_kind:     by_value
      - .offset:         8
        .size:           4
        .value_kind:     by_value
      - .offset:         16
        .size:           8
        .value_kind:     by_value
      - .address_space:  global
        .offset:         24
        .size:           8
        .value_kind:     global_buffer
      - .offset:         32
        .size:           8
        .value_kind:     by_value
      - .offset:         40
        .size:           4
        .value_kind:     by_value
      - .offset:         48
        .size:           8
        .value_kind:     by_value
      - .address_space:  global
        .offset:         56
        .size:           8
        .value_kind:     global_buffer
      - .offset:         64
        .size:           8
        .value_kind:     by_value
      - .offset:         72
        .size:           4
        .value_kind:     by_value
      - .offset:         80
        .size:           8
        .value_kind:     by_value
      - .offset:         88
        .size:           4
        .value_kind:     by_value
      - .offset:         96
        .size:           8
        .value_kind:     by_value
      - .address_space:  global
        .offset:         104
        .size:           8
        .value_kind:     global_buffer
      - .offset:         112
        .size:           8
        .value_kind:     by_value
      - .offset:         120
        .size:           4
        .value_kind:     by_value
      - .offset:         128
        .size:           8
        .value_kind:     by_value
      - .offset:         136
        .size:           4
        .value_kind:     by_value
    .group_segment_fixed_size: 128
    .kernarg_segment_align: 8
    .kernarg_segment_size: 140
    .language:       OpenCL C
    .language_version:
      - 2
      - 0
    .max_flat_workgroup_size: 256
    .name:           _ZL32rocblas_gemvt_warp_reduce_kernelILb0ELi256Ei16rocblas_bfloat16ffEviiT3_lPKT2_lT1_lS4_lS5_lS1_lPT4_lS5_li
    .private_segment_fixed_size: 0
    .sgpr_count:     44
    .sgpr_spill_count: 0
    .symbol:         _ZL32rocblas_gemvt_warp_reduce_kernelILb0ELi256Ei16rocblas_bfloat16ffEviiT3_lPKT2_lT1_lS4_lS5_lS1_lPT4_lS5_li.kd
    .uniform_work_group_size: 1
    .uses_dynamic_stack: false
    .vgpr_count:     21
    .vgpr_spill_count: 0
    .wavefront_size: 32
    .workgroup_processor_mode: 1
  - .args:
      - .offset:         0
        .size:           4
        .value_kind:     by_value
      - .offset:         4
        .size:           4
        .value_kind:     by_value
      - .offset:         8
        .size:           4
        .value_kind:     by_value
      - .offset:         16
        .size:           8
        .value_kind:     by_value
      - .address_space:  global
        .offset:         24
        .size:           8
        .value_kind:     global_buffer
      - .offset:         32
        .size:           8
        .value_kind:     by_value
      - .offset:         40
        .size:           8
        .value_kind:     by_value
      - .offset:         48
        .size:           8
        .value_kind:     by_value
      - .address_space:  global
        .offset:         56
        .size:           8
        .value_kind:     global_buffer
      - .offset:         64
        .size:           8
        .value_kind:     by_value
      - .offset:         72
        .size:           8
        .value_kind:     by_value
      - .offset:         80
        .size:           8
        .value_kind:     by_value
      - .offset:         88
        .size:           4
        .value_kind:     by_value
      - .offset:         96
        .size:           8
        .value_kind:     by_value
      - .address_space:  global
        .offset:         104
        .size:           8
        .value_kind:     global_buffer
      - .offset:         112
        .size:           8
        .value_kind:     by_value
      - .offset:         120
        .size:           8
        .value_kind:     by_value
      - .offset:         128
        .size:           8
        .value_kind:     by_value
      - .offset:         136
        .size:           4
        .value_kind:     by_value
    .group_segment_fixed_size: 128
    .kernarg_segment_align: 8
    .kernarg_segment_size: 140
    .language:       OpenCL C
    .language_version:
      - 2
      - 0
    .max_flat_workgroup_size: 256
    .name:           _ZL32rocblas_gemvt_warp_reduce_kernelILb0ELi256El16rocblas_bfloat16ffEviiT3_lPKT2_lT1_lS4_lS5_lS1_lPT4_lS5_li
    .private_segment_fixed_size: 0
    .sgpr_count:     46
    .sgpr_spill_count: 0
    .symbol:         _ZL32rocblas_gemvt_warp_reduce_kernelILb0ELi256El16rocblas_bfloat16ffEviiT3_lPKT2_lT1_lS4_lS5_lS1_lPT4_lS5_li.kd
    .uniform_work_group_size: 1
    .uses_dynamic_stack: false
    .vgpr_count:     23
    .vgpr_spill_count: 0
    .wavefront_size: 32
    .workgroup_processor_mode: 1
  - .args:
      - .offset:         0
        .size:           4
        .value_kind:     by_value
      - .offset:         4
        .size:           4
        .value_kind:     by_value
      - .address_space:  global
        .offset:         8
        .size:           8
        .value_kind:     global_buffer
      - .offset:         16
        .size:           8
        .value_kind:     by_value
      - .address_space:  global
        .offset:         24
        .size:           8
        .value_kind:     global_buffer
      - .offset:         32
        .size:           8
        .value_kind:     by_value
      - .offset:         40
        .size:           4
        .value_kind:     by_value
      - .offset:         48
        .size:           8
        .value_kind:     by_value
      - .address_space:  global
        .offset:         56
        .size:           8
        .value_kind:     global_buffer
      - .offset:         64
        .size:           8
        .value_kind:     by_value
      - .offset:         72
        .size:           4
        .value_kind:     by_value
      - .offset:         80
        .size:           8
        .value_kind:     by_value
      - .address_space:  global
        .offset:         88
        .size:           8
        .value_kind:     global_buffer
      - .offset:         96
        .size:           8
        .value_kind:     by_value
      - .address_space:  global
        .offset:         104
        .size:           8
        .value_kind:     global_buffer
      - .offset:         112
        .size:           8
        .value_kind:     by_value
      - .offset:         120
        .size:           4
        .value_kind:     by_value
      - .offset:         128
        .size:           8
        .value_kind:     by_value
      - .offset:         136
        .size:           4
        .value_kind:     by_value
    .group_segment_fixed_size: 1024
    .kernarg_segment_align: 8
    .kernarg_segment_size: 140
    .language:       OpenCL C
    .language_version:
      - 2
      - 0
    .max_flat_workgroup_size: 256
    .name:           _ZL20rocblas_gemvt_kernelILb0ELi256E16rocblas_bfloat16PKffEviiT2_lPKT1_lilS6_lilS3_lPT3_lili
    .private_segment_fixed_size: 0
    .sgpr_count:     54
    .sgpr_spill_count: 0
    .symbol:         _ZL20rocblas_gemvt_kernelILb0ELi256E16rocblas_bfloat16PKffEviiT2_lPKT1_lilS6_lilS3_lPT3_lili.kd
    .uniform_work_group_size: 1
    .uses_dynamic_stack: false
    .vgpr_count:     20
    .vgpr_spill_count: 0
    .wavefront_size: 32
    .workgroup_processor_mode: 1
  - .args:
      - .offset:         0
        .size:           4
        .value_kind:     by_value
      - .offset:         4
        .size:           4
        .value_kind:     by_value
      - .offset:         8
        .size:           4
        .value_kind:     by_value
      - .offset:         16
        .size:           8
        .value_kind:     by_value
      - .address_space:  global
        .offset:         24
        .size:           8
        .value_kind:     global_buffer
      - .offset:         32
        .size:           8
        .value_kind:     by_value
      - .offset:         40
        .size:           4
        .value_kind:     by_value
      - .offset:         48
        .size:           8
        .value_kind:     by_value
      - .address_space:  global
        .offset:         56
        .size:           8
        .value_kind:     global_buffer
      - .offset:         64
        .size:           8
        .value_kind:     by_value
      - .offset:         72
        .size:           4
        .value_kind:     by_value
      - .offset:         80
        .size:           8
        .value_kind:     by_value
      - .offset:         88
        .size:           4
        .value_kind:     by_value
      - .offset:         96
        .size:           8
        .value_kind:     by_value
      - .address_space:  global
        .offset:         104
        .size:           8
        .value_kind:     global_buffer
      - .offset:         112
        .size:           8
        .value_kind:     by_value
      - .offset:         120
        .size:           4
        .value_kind:     by_value
      - .offset:         128
        .size:           8
        .value_kind:     by_value
      - .offset:         136
        .size:           4
        .value_kind:     by_value
    .group_segment_fixed_size: 1024
    .kernarg_segment_align: 8
    .kernarg_segment_size: 140
    .language:       OpenCL C
    .language_version:
      - 2
      - 0
    .max_flat_workgroup_size: 256
    .name:           _ZL20rocblas_gemvt_kernelILb0ELi256E16rocblas_bfloat16ffEviiT2_lPKT1_lilS4_lilS1_lPT3_lili
    .private_segment_fixed_size: 0
    .sgpr_count:     50
    .sgpr_spill_count: 0
    .symbol:         _ZL20rocblas_gemvt_kernelILb0ELi256E16rocblas_bfloat16ffEviiT2_lPKT1_lilS4_lilS1_lPT3_lili.kd
    .uniform_work_group_size: 1
    .uses_dynamic_stack: false
    .vgpr_count:     18
    .vgpr_spill_count: 0
    .wavefront_size: 32
    .workgroup_processor_mode: 1
  - .args:
      - .offset:         0
        .size:           4
        .value_kind:     by_value
      - .offset:         4
        .size:           4
        .value_kind:     by_value
      - .address_space:  global
        .offset:         8
        .size:           8
        .value_kind:     global_buffer
      - .offset:         16
        .size:           8
        .value_kind:     by_value
      - .address_space:  global
        .offset:         24
        .size:           8
        .value_kind:     global_buffer
      - .offset:         32
        .size:           8
        .value_kind:     by_value
      - .offset:         40
        .size:           4
        .value_kind:     by_value
      - .offset:         48
        .size:           8
        .value_kind:     by_value
      - .address_space:  global
        .offset:         56
        .size:           8
        .value_kind:     global_buffer
      - .offset:         64
        .size:           8
        .value_kind:     by_value
      - .offset:         72
        .size:           4
        .value_kind:     by_value
      - .offset:         80
        .size:           8
        .value_kind:     by_value
      - .address_space:  global
        .offset:         88
        .size:           8
        .value_kind:     global_buffer
      - .offset:         96
        .size:           8
        .value_kind:     by_value
      - .address_space:  global
        .offset:         104
        .size:           8
        .value_kind:     global_buffer
      - .offset:         112
        .size:           8
        .value_kind:     by_value
      - .offset:         120
        .size:           4
        .value_kind:     by_value
      - .offset:         128
        .size:           8
        .value_kind:     by_value
      - .offset:         136
        .size:           4
        .value_kind:     by_value
    .group_segment_fixed_size: 128
    .kernarg_segment_align: 8
    .kernarg_segment_size: 140
    .language:       OpenCL C
    .language_version:
      - 2
      - 0
    .max_flat_workgroup_size: 1024
    .name:           _ZL32rocblas_gemvt_warp_reduce_kernelILb0ELi1024Ei16rocblas_bfloat16PKffEviiT3_lPKT2_lT1_lS6_lS7_lS3_lPT4_lS7_li
    .private_segment_fixed_size: 0
    .sgpr_count:     46
    .sgpr_spill_count: 0
    .symbol:         _ZL32rocblas_gemvt_warp_reduce_kernelILb0ELi1024Ei16rocblas_bfloat16PKffEviiT3_lPKT2_lT1_lS6_lS7_lS3_lPT4_lS7_li.kd
    .uniform_work_group_size: 1
    .uses_dynamic_stack: false
    .vgpr_count:     22
    .vgpr_spill_count: 0
    .wavefront_size: 32
    .workgroup_processor_mode: 1
  - .args:
      - .offset:         0
        .size:           4
        .value_kind:     by_value
      - .offset:         4
        .size:           4
        .value_kind:     by_value
      - .address_space:  global
        .offset:         8
        .size:           8
        .value_kind:     global_buffer
      - .offset:         16
        .size:           8
        .value_kind:     by_value
      - .address_space:  global
        .offset:         24
        .size:           8
        .value_kind:     global_buffer
      - .offset:         32
        .size:           8
        .value_kind:     by_value
      - .offset:         40
        .size:           8
        .value_kind:     by_value
      - .offset:         48
        .size:           8
        .value_kind:     by_value
      - .address_space:  global
        .offset:         56
        .size:           8
        .value_kind:     global_buffer
      - .offset:         64
        .size:           8
        .value_kind:     by_value
      - .offset:         72
        .size:           8
        .value_kind:     by_value
      - .offset:         80
        .size:           8
        .value_kind:     by_value
      - .address_space:  global
        .offset:         88
        .size:           8
        .value_kind:     global_buffer
      - .offset:         96
        .size:           8
        .value_kind:     by_value
      - .address_space:  global
        .offset:         104
        .size:           8
        .value_kind:     global_buffer
      - .offset:         112
        .size:           8
        .value_kind:     by_value
      - .offset:         120
        .size:           8
        .value_kind:     by_value
      - .offset:         128
        .size:           8
        .value_kind:     by_value
      - .offset:         136
        .size:           4
        .value_kind:     by_value
    .group_segment_fixed_size: 128
    .kernarg_segment_align: 8
    .kernarg_segment_size: 140
    .language:       OpenCL C
    .language_version:
      - 2
      - 0
    .max_flat_workgroup_size: 1024
    .name:           _ZL32rocblas_gemvt_warp_reduce_kernelILb0ELi1024El16rocblas_bfloat16PKffEviiT3_lPKT2_lT1_lS6_lS7_lS3_lPT4_lS7_li
    .private_segment_fixed_size: 0
    .sgpr_count:     54
    .sgpr_spill_count: 0
    .symbol:         _ZL32rocblas_gemvt_warp_reduce_kernelILb0ELi1024El16rocblas_bfloat16PKffEviiT3_lPKT2_lT1_lS6_lS7_lS3_lPT4_lS7_li.kd
    .uniform_work_group_size: 1
    .uses_dynamic_stack: false
    .vgpr_count:     24
    .vgpr_spill_count: 0
    .wavefront_size: 32
    .workgroup_processor_mode: 1
  - .args:
      - .offset:         0
        .size:           4
        .value_kind:     by_value
      - .offset:         4
        .size:           4
        .value_kind:     by_value
      - .offset:         8
        .size:           4
        .value_kind:     by_value
      - .offset:         16
        .size:           8
        .value_kind:     by_value
      - .address_space:  global
        .offset:         24
        .size:           8
        .value_kind:     global_buffer
      - .offset:         32
        .size:           8
        .value_kind:     by_value
      - .offset:         40
        .size:           4
        .value_kind:     by_value
      - .offset:         48
        .size:           8
        .value_kind:     by_value
      - .address_space:  global
        .offset:         56
        .size:           8
        .value_kind:     global_buffer
      - .offset:         64
        .size:           8
        .value_kind:     by_value
      - .offset:         72
        .size:           4
        .value_kind:     by_value
      - .offset:         80
        .size:           8
        .value_kind:     by_value
      - .offset:         88
        .size:           4
        .value_kind:     by_value
      - .offset:         96
        .size:           8
        .value_kind:     by_value
      - .address_space:  global
        .offset:         104
        .size:           8
        .value_kind:     global_buffer
      - .offset:         112
        .size:           8
        .value_kind:     by_value
      - .offset:         120
        .size:           4
        .value_kind:     by_value
      - .offset:         128
        .size:           8
        .value_kind:     by_value
      - .offset:         136
        .size:           4
        .value_kind:     by_value
    .group_segment_fixed_size: 128
    .kernarg_segment_align: 8
    .kernarg_segment_size: 140
    .language:       OpenCL C
    .language_version:
      - 2
      - 0
    .max_flat_workgroup_size: 1024
    .name:           _ZL32rocblas_gemvt_warp_reduce_kernelILb0ELi1024Ei16rocblas_bfloat16ffEviiT3_lPKT2_lT1_lS4_lS5_lS1_lPT4_lS5_li
    .private_segment_fixed_size: 0
    .sgpr_count:     44
    .sgpr_spill_count: 0
    .symbol:         _ZL32rocblas_gemvt_warp_reduce_kernelILb0ELi1024Ei16rocblas_bfloat16ffEviiT3_lPKT2_lT1_lS4_lS5_lS1_lPT4_lS5_li.kd
    .uniform_work_group_size: 1
    .uses_dynamic_stack: false
    .vgpr_count:     21
    .vgpr_spill_count: 0
    .wavefront_size: 32
    .workgroup_processor_mode: 1
  - .args:
      - .offset:         0
        .size:           4
        .value_kind:     by_value
      - .offset:         4
        .size:           4
        .value_kind:     by_value
      - .offset:         8
        .size:           4
        .value_kind:     by_value
      - .offset:         16
        .size:           8
        .value_kind:     by_value
      - .address_space:  global
        .offset:         24
        .size:           8
        .value_kind:     global_buffer
      - .offset:         32
        .size:           8
        .value_kind:     by_value
      - .offset:         40
        .size:           8
        .value_kind:     by_value
      - .offset:         48
        .size:           8
        .value_kind:     by_value
      - .address_space:  global
        .offset:         56
        .size:           8
        .value_kind:     global_buffer
      - .offset:         64
        .size:           8
        .value_kind:     by_value
      - .offset:         72
        .size:           8
        .value_kind:     by_value
      - .offset:         80
        .size:           8
        .value_kind:     by_value
      - .offset:         88
        .size:           4
        .value_kind:     by_value
      - .offset:         96
        .size:           8
        .value_kind:     by_value
      - .address_space:  global
        .offset:         104
        .size:           8
        .value_kind:     global_buffer
      - .offset:         112
        .size:           8
        .value_kind:     by_value
      - .offset:         120
        .size:           8
        .value_kind:     by_value
      - .offset:         128
        .size:           8
        .value_kind:     by_value
      - .offset:         136
        .size:           4
        .value_kind:     by_value
    .group_segment_fixed_size: 128
    .kernarg_segment_align: 8
    .kernarg_segment_size: 140
    .language:       OpenCL C
    .language_version:
      - 2
      - 0
    .max_flat_workgroup_size: 1024
    .name:           _ZL32rocblas_gemvt_warp_reduce_kernelILb0ELi1024El16rocblas_bfloat16ffEviiT3_lPKT2_lT1_lS4_lS5_lS1_lPT4_lS5_li
    .private_segment_fixed_size: 0
    .sgpr_count:     46
    .sgpr_spill_count: 0
    .symbol:         _ZL32rocblas_gemvt_warp_reduce_kernelILb0ELi1024El16rocblas_bfloat16ffEviiT3_lPKT2_lT1_lS4_lS5_lS1_lPT4_lS5_li.kd
    .uniform_work_group_size: 1
    .uses_dynamic_stack: false
    .vgpr_count:     23
    .vgpr_spill_count: 0
    .wavefront_size: 32
    .workgroup_processor_mode: 1
  - .args:
      - .offset:         0
        .size:           4
        .value_kind:     by_value
      - .offset:         4
        .size:           4
        .value_kind:     by_value
      - .address_space:  global
        .offset:         8
        .size:           8
        .value_kind:     global_buffer
      - .offset:         16
        .size:           8
        .value_kind:     by_value
      - .address_space:  global
        .offset:         24
        .size:           8
        .value_kind:     global_buffer
      - .offset:         32
        .size:           8
        .value_kind:     by_value
      - .offset:         40
        .size:           4
        .value_kind:     by_value
      - .offset:         48
        .size:           8
        .value_kind:     by_value
      - .address_space:  global
        .offset:         56
        .size:           8
        .value_kind:     global_buffer
      - .offset:         64
        .size:           8
        .value_kind:     by_value
      - .offset:         72
        .size:           4
        .value_kind:     by_value
      - .offset:         80
        .size:           8
        .value_kind:     by_value
      - .address_space:  global
        .offset:         88
        .size:           8
        .value_kind:     global_buffer
      - .offset:         96
        .size:           8
        .value_kind:     by_value
      - .address_space:  global
        .offset:         104
        .size:           8
        .value_kind:     global_buffer
      - .offset:         112
        .size:           8
        .value_kind:     by_value
      - .offset:         120
        .size:           4
        .value_kind:     by_value
      - .offset:         128
        .size:           8
        .value_kind:     by_value
    .group_segment_fixed_size: 256
    .kernarg_segment_align: 8
    .kernarg_segment_size: 136
    .language:       OpenCL C
    .language_version:
      - 2
      - 0
    .max_flat_workgroup_size: 256
    .name:           _ZL22rocblas_gemvtsm_kernelILb1ELi256E16rocblas_bfloat16PKffEviiT2_lPKT1_lilS6_lilS3_lPT3_lil
    .private_segment_fixed_size: 0
    .sgpr_count:     32
    .sgpr_spill_count: 0
    .symbol:         _ZL22rocblas_gemvtsm_kernelILb1ELi256E16rocblas_bfloat16PKffEviiT2_lPKT1_lilS6_lilS3_lPT3_lil.kd
    .uniform_work_group_size: 1
    .uses_dynamic_stack: false
    .vgpr_count:     16
    .vgpr_spill_count: 0
    .wavefront_size: 32
    .workgroup_processor_mode: 1
  - .args:
      - .offset:         0
        .size:           4
        .value_kind:     by_value
      - .offset:         4
        .size:           4
        .value_kind:     by_value
      - .offset:         8
        .size:           4
        .value_kind:     by_value
      - .offset:         16
        .size:           8
        .value_kind:     by_value
      - .address_space:  global
        .offset:         24
        .size:           8
        .value_kind:     global_buffer
      - .offset:         32
        .size:           8
        .value_kind:     by_value
      - .offset:         40
        .size:           4
        .value_kind:     by_value
      - .offset:         48
        .size:           8
        .value_kind:     by_value
      - .address_space:  global
        .offset:         56
        .size:           8
        .value_kind:     global_buffer
      - .offset:         64
        .size:           8
        .value_kind:     by_value
      - .offset:         72
        .size:           4
        .value_kind:     by_value
      - .offset:         80
        .size:           8
        .value_kind:     by_value
      - .offset:         88
        .size:           4
        .value_kind:     by_value
      - .offset:         96
        .size:           8
        .value_kind:     by_value
      - .address_space:  global
        .offset:         104
        .size:           8
        .value_kind:     global_buffer
      - .offset:         112
        .size:           8
        .value_kind:     by_value
      - .offset:         120
        .size:           4
        .value_kind:     by_value
      - .offset:         128
        .size:           8
        .value_kind:     by_value
    .group_segment_fixed_size: 256
    .kernarg_segment_align: 8
    .kernarg_segment_size: 136
    .language:       OpenCL C
    .language_version:
      - 2
      - 0
    .max_flat_workgroup_size: 256
    .name:           _ZL22rocblas_gemvtsm_kernelILb1ELi256E16rocblas_bfloat16ffEviiT2_lPKT1_lilS4_lilS1_lPT3_lil
    .private_segment_fixed_size: 0
    .sgpr_count:     28
    .sgpr_spill_count: 0
    .symbol:         _ZL22rocblas_gemvtsm_kernelILb1ELi256E16rocblas_bfloat16ffEviiT2_lPKT1_lilS4_lilS1_lPT3_lil.kd
    .uniform_work_group_size: 1
    .uses_dynamic_stack: false
    .vgpr_count:     16
    .vgpr_spill_count: 0
    .wavefront_size: 32
    .workgroup_processor_mode: 1
  - .args:
      - .offset:         0
        .size:           4
        .value_kind:     by_value
      - .offset:         4
        .size:           4
        .value_kind:     by_value
      - .address_space:  global
        .offset:         8
        .size:           8
        .value_kind:     global_buffer
      - .offset:         16
        .size:           8
        .value_kind:     by_value
      - .address_space:  global
        .offset:         24
        .size:           8
        .value_kind:     global_buffer
      - .offset:         32
        .size:           8
        .value_kind:     by_value
      - .offset:         40
        .size:           4
        .value_kind:     by_value
      - .offset:         48
        .size:           8
        .value_kind:     by_value
      - .address_space:  global
        .offset:         56
        .size:           8
        .value_kind:     global_buffer
      - .offset:         64
        .size:           8
        .value_kind:     by_value
      - .offset:         72
        .size:           4
        .value_kind:     by_value
      - .offset:         80
        .size:           8
        .value_kind:     by_value
      - .address_space:  global
        .offset:         88
        .size:           8
        .value_kind:     global_buffer
      - .offset:         96
        .size:           8
        .value_kind:     by_value
      - .address_space:  global
        .offset:         104
        .size:           8
        .value_kind:     global_buffer
      - .offset:         112
        .size:           8
        .value_kind:     by_value
      - .offset:         120
        .size:           4
        .value_kind:     by_value
      - .offset:         128
        .size:           8
        .value_kind:     by_value
      - .offset:         136
        .size:           4
        .value_kind:     by_value
    .group_segment_fixed_size: 1024
    .kernarg_segment_align: 8
    .kernarg_segment_size: 140
    .language:       OpenCL C
    .language_version:
      - 2
      - 0
    .max_flat_workgroup_size: 256
    .name:           _ZL20rocblas_gemvt_kernelILb1ELi256E16rocblas_bfloat16PKffEviiT2_lPKT1_lilS6_lilS3_lPT3_lili
    .private_segment_fixed_size: 0
    .sgpr_count:     54
    .sgpr_spill_count: 0
    .symbol:         _ZL20rocblas_gemvt_kernelILb1ELi256E16rocblas_bfloat16PKffEviiT2_lPKT1_lilS6_lilS3_lPT3_lili.kd
    .uniform_work_group_size: 1
    .uses_dynamic_stack: false
    .vgpr_count:     20
    .vgpr_spill_count: 0
    .wavefront_size: 32
    .workgroup_processor_mode: 1
  - .args:
      - .offset:         0
        .size:           4
        .value_kind:     by_value
      - .offset:         4
        .size:           4
        .value_kind:     by_value
      - .offset:         8
        .size:           4
        .value_kind:     by_value
      - .offset:         16
        .size:           8
        .value_kind:     by_value
      - .address_space:  global
        .offset:         24
        .size:           8
        .value_kind:     global_buffer
      - .offset:         32
        .size:           8
        .value_kind:     by_value
      - .offset:         40
        .size:           4
        .value_kind:     by_value
      - .offset:         48
        .size:           8
        .value_kind:     by_value
      - .address_space:  global
        .offset:         56
        .size:           8
        .value_kind:     global_buffer
      - .offset:         64
        .size:           8
        .value_kind:     by_value
      - .offset:         72
        .size:           4
        .value_kind:     by_value
      - .offset:         80
        .size:           8
        .value_kind:     by_value
      - .offset:         88
        .size:           4
        .value_kind:     by_value
      - .offset:         96
        .size:           8
        .value_kind:     by_value
      - .address_space:  global
        .offset:         104
        .size:           8
        .value_kind:     global_buffer
      - .offset:         112
        .size:           8
        .value_kind:     by_value
      - .offset:         120
        .size:           4
        .value_kind:     by_value
      - .offset:         128
        .size:           8
        .value_kind:     by_value
      - .offset:         136
        .size:           4
        .value_kind:     by_value
    .group_segment_fixed_size: 1024
    .kernarg_segment_align: 8
    .kernarg_segment_size: 140
    .language:       OpenCL C
    .language_version:
      - 2
      - 0
    .max_flat_workgroup_size: 256
    .name:           _ZL20rocblas_gemvt_kernelILb1ELi256E16rocblas_bfloat16ffEviiT2_lPKT1_lilS4_lilS1_lPT3_lili
    .private_segment_fixed_size: 0
    .sgpr_count:     50
    .sgpr_spill_count: 0
    .symbol:         _ZL20rocblas_gemvt_kernelILb1ELi256E16rocblas_bfloat16ffEviiT2_lPKT1_lilS4_lilS1_lPT3_lili.kd
    .uniform_work_group_size: 1
    .uses_dynamic_stack: false
    .vgpr_count:     18
    .vgpr_spill_count: 0
    .wavefront_size: 32
    .workgroup_processor_mode: 1
  - .args:
      - .offset:         0
        .size:           4
        .value_kind:     by_value
      - .offset:         4
        .size:           4
        .value_kind:     by_value
      - .address_space:  global
        .offset:         8
        .size:           8
        .value_kind:     global_buffer
      - .offset:         16
        .size:           8
        .value_kind:     by_value
      - .address_space:  global
        .offset:         24
        .size:           8
        .value_kind:     global_buffer
      - .offset:         32
        .size:           8
        .value_kind:     by_value
      - .offset:         40
        .size:           4
        .value_kind:     by_value
      - .offset:         48
        .size:           8
        .value_kind:     by_value
      - .address_space:  global
        .offset:         56
        .size:           8
        .value_kind:     global_buffer
      - .offset:         64
        .size:           8
        .value_kind:     by_value
      - .offset:         72
        .size:           4
        .value_kind:     by_value
      - .offset:         80
        .size:           8
        .value_kind:     by_value
      - .address_space:  global
        .offset:         88
        .size:           8
        .value_kind:     global_buffer
      - .offset:         96
        .size:           8
        .value_kind:     by_value
      - .address_space:  global
        .offset:         104
        .size:           8
        .value_kind:     global_buffer
      - .offset:         112
        .size:           8
        .value_kind:     by_value
      - .offset:         120
        .size:           4
        .value_kind:     by_value
      - .offset:         128
        .size:           8
        .value_kind:     by_value
      - .offset:         136
        .size:           4
        .value_kind:     by_value
    .group_segment_fixed_size: 128
    .kernarg_segment_align: 8
    .kernarg_segment_size: 140
    .language:       OpenCL C
    .language_version:
      - 2
      - 0
    .max_flat_workgroup_size: 1024
    .name:           _ZL32rocblas_gemvt_warp_reduce_kernelILb1ELi1024Ei16rocblas_bfloat16PKffEviiT3_lPKT2_lT1_lS6_lS7_lS3_lPT4_lS7_li
    .private_segment_fixed_size: 0
    .sgpr_count:     46
    .sgpr_spill_count: 0
    .symbol:         _ZL32rocblas_gemvt_warp_reduce_kernelILb1ELi1024Ei16rocblas_bfloat16PKffEviiT3_lPKT2_lT1_lS6_lS7_lS3_lPT4_lS7_li.kd
    .uniform_work_group_size: 1
    .uses_dynamic_stack: false
    .vgpr_count:     22
    .vgpr_spill_count: 0
    .wavefront_size: 32
    .workgroup_processor_mode: 1
  - .args:
      - .offset:         0
        .size:           4
        .value_kind:     by_value
      - .offset:         4
        .size:           4
        .value_kind:     by_value
      - .address_space:  global
        .offset:         8
        .size:           8
        .value_kind:     global_buffer
      - .offset:         16
        .size:           8
        .value_kind:     by_value
      - .address_space:  global
        .offset:         24
        .size:           8
        .value_kind:     global_buffer
      - .offset:         32
        .size:           8
        .value_kind:     by_value
      - .offset:         40
        .size:           8
        .value_kind:     by_value
      - .offset:         48
        .size:           8
        .value_kind:     by_value
      - .address_space:  global
        .offset:         56
        .size:           8
        .value_kind:     global_buffer
      - .offset:         64
        .size:           8
        .value_kind:     by_value
      - .offset:         72
        .size:           8
        .value_kind:     by_value
      - .offset:         80
        .size:           8
        .value_kind:     by_value
      - .address_space:  global
        .offset:         88
        .size:           8
        .value_kind:     global_buffer
      - .offset:         96
        .size:           8
        .value_kind:     by_value
      - .address_space:  global
        .offset:         104
        .size:           8
        .value_kind:     global_buffer
      - .offset:         112
        .size:           8
        .value_kind:     by_value
      - .offset:         120
        .size:           8
        .value_kind:     by_value
      - .offset:         128
        .size:           8
        .value_kind:     by_value
      - .offset:         136
        .size:           4
        .value_kind:     by_value
    .group_segment_fixed_size: 128
    .kernarg_segment_align: 8
    .kernarg_segment_size: 140
    .language:       OpenCL C
    .language_version:
      - 2
      - 0
    .max_flat_workgroup_size: 1024
    .name:           _ZL32rocblas_gemvt_warp_reduce_kernelILb1ELi1024El16rocblas_bfloat16PKffEviiT3_lPKT2_lT1_lS6_lS7_lS3_lPT4_lS7_li
    .private_segment_fixed_size: 0
    .sgpr_count:     54
    .sgpr_spill_count: 0
    .symbol:         _ZL32rocblas_gemvt_warp_reduce_kernelILb1ELi1024El16rocblas_bfloat16PKffEviiT3_lPKT2_lT1_lS6_lS7_lS3_lPT4_lS7_li.kd
    .uniform_work_group_size: 1
    .uses_dynamic_stack: false
    .vgpr_count:     24
    .vgpr_spill_count: 0
    .wavefront_size: 32
    .workgroup_processor_mode: 1
  - .args:
      - .offset:         0
        .size:           4
        .value_kind:     by_value
      - .offset:         4
        .size:           4
        .value_kind:     by_value
      - .offset:         8
        .size:           4
        .value_kind:     by_value
      - .offset:         16
        .size:           8
        .value_kind:     by_value
      - .address_space:  global
        .offset:         24
        .size:           8
        .value_kind:     global_buffer
      - .offset:         32
        .size:           8
        .value_kind:     by_value
      - .offset:         40
        .size:           4
        .value_kind:     by_value
      - .offset:         48
        .size:           8
        .value_kind:     by_value
      - .address_space:  global
        .offset:         56
        .size:           8
        .value_kind:     global_buffer
      - .offset:         64
        .size:           8
        .value_kind:     by_value
      - .offset:         72
        .size:           4
        .value_kind:     by_value
      - .offset:         80
        .size:           8
        .value_kind:     by_value
      - .offset:         88
        .size:           4
        .value_kind:     by_value
      - .offset:         96
        .size:           8
        .value_kind:     by_value
      - .address_space:  global
        .offset:         104
        .size:           8
        .value_kind:     global_buffer
      - .offset:         112
        .size:           8
        .value_kind:     by_value
      - .offset:         120
        .size:           4
        .value_kind:     by_value
      - .offset:         128
        .size:           8
        .value_kind:     by_value
      - .offset:         136
        .size:           4
        .value_kind:     by_value
    .group_segment_fixed_size: 128
    .kernarg_segment_align: 8
    .kernarg_segment_size: 140
    .language:       OpenCL C
    .language_version:
      - 2
      - 0
    .max_flat_workgroup_size: 1024
    .name:           _ZL32rocblas_gemvt_warp_reduce_kernelILb1ELi1024Ei16rocblas_bfloat16ffEviiT3_lPKT2_lT1_lS4_lS5_lS1_lPT4_lS5_li
    .private_segment_fixed_size: 0
    .sgpr_count:     44
    .sgpr_spill_count: 0
    .symbol:         _ZL32rocblas_gemvt_warp_reduce_kernelILb1ELi1024Ei16rocblas_bfloat16ffEviiT3_lPKT2_lT1_lS4_lS5_lS1_lPT4_lS5_li.kd
    .uniform_work_group_size: 1
    .uses_dynamic_stack: false
    .vgpr_count:     21
    .vgpr_spill_count: 0
    .wavefront_size: 32
    .workgroup_processor_mode: 1
  - .args:
      - .offset:         0
        .size:           4
        .value_kind:     by_value
      - .offset:         4
        .size:           4
        .value_kind:     by_value
      - .offset:         8
        .size:           4
        .value_kind:     by_value
      - .offset:         16
        .size:           8
        .value_kind:     by_value
      - .address_space:  global
        .offset:         24
        .size:           8
        .value_kind:     global_buffer
      - .offset:         32
        .size:           8
        .value_kind:     by_value
      - .offset:         40
        .size:           8
        .value_kind:     by_value
      - .offset:         48
        .size:           8
        .value_kind:     by_value
      - .address_space:  global
        .offset:         56
        .size:           8
        .value_kind:     global_buffer
      - .offset:         64
        .size:           8
        .value_kind:     by_value
      - .offset:         72
        .size:           8
        .value_kind:     by_value
      - .offset:         80
        .size:           8
        .value_kind:     by_value
      - .offset:         88
        .size:           4
        .value_kind:     by_value
      - .offset:         96
        .size:           8
        .value_kind:     by_value
      - .address_space:  global
        .offset:         104
        .size:           8
        .value_kind:     global_buffer
      - .offset:         112
        .size:           8
        .value_kind:     by_value
      - .offset:         120
        .size:           8
        .value_kind:     by_value
      - .offset:         128
        .size:           8
        .value_kind:     by_value
      - .offset:         136
        .size:           4
        .value_kind:     by_value
    .group_segment_fixed_size: 128
    .kernarg_segment_align: 8
    .kernarg_segment_size: 140
    .language:       OpenCL C
    .language_version:
      - 2
      - 0
    .max_flat_workgroup_size: 1024
    .name:           _ZL32rocblas_gemvt_warp_reduce_kernelILb1ELi1024El16rocblas_bfloat16ffEviiT3_lPKT2_lT1_lS4_lS5_lS1_lPT4_lS5_li
    .private_segment_fixed_size: 0
    .sgpr_count:     46
    .sgpr_spill_count: 0
    .symbol:         _ZL32rocblas_gemvt_warp_reduce_kernelILb1ELi1024El16rocblas_bfloat16ffEviiT3_lPKT2_lT1_lS4_lS5_lS1_lPT4_lS5_li.kd
    .uniform_work_group_size: 1
    .uses_dynamic_stack: false
    .vgpr_count:     23
    .vgpr_spill_count: 0
    .wavefront_size: 32
    .workgroup_processor_mode: 1
  - .args:
      - .offset:         0
        .size:           4
        .value_kind:     by_value
      - .offset:         4
        .size:           4
        .value_kind:     by_value
      - .address_space:  global
        .offset:         8
        .size:           8
        .value_kind:     global_buffer
      - .offset:         16
        .size:           8
        .value_kind:     by_value
      - .address_space:  global
        .offset:         24
        .size:           8
        .value_kind:     global_buffer
      - .offset:         32
        .size:           8
        .value_kind:     by_value
      - .offset:         40
        .size:           4
        .value_kind:     by_value
      - .offset:         48
        .size:           8
        .value_kind:     by_value
      - .address_space:  global
        .offset:         56
        .size:           8
        .value_kind:     global_buffer
      - .offset:         64
        .size:           8
        .value_kind:     by_value
      - .offset:         72
        .size:           4
        .value_kind:     by_value
      - .offset:         80
        .size:           8
        .value_kind:     by_value
      - .address_space:  global
        .offset:         88
        .size:           8
        .value_kind:     global_buffer
      - .offset:         96
        .size:           8
        .value_kind:     by_value
      - .address_space:  global
        .offset:         104
        .size:           8
        .value_kind:     global_buffer
      - .offset:         112
        .size:           8
        .value_kind:     by_value
      - .offset:         120
        .size:           4
        .value_kind:     by_value
      - .offset:         128
        .size:           8
        .value_kind:     by_value
      - .offset:         136
        .size:           4
        .value_kind:     by_value
    .group_segment_fixed_size: 0
    .kernarg_segment_align: 8
    .kernarg_segment_size: 140
    .language:       OpenCL C
    .language_version:
      - 2
      - 0
    .max_flat_workgroup_size: 768
    .name:           _ZL34rocblas_gemvn_sm_mn_batched_kernelILi32ELi24EPK16rocblas_bfloat16PKfKPfEviiT2_lPKT1_lilSA_lilS7_lPT3_lili
    .private_segment_fixed_size: 0
    .sgpr_count:     0
    .sgpr_spill_count: 0
    .symbol:         _ZL34rocblas_gemvn_sm_mn_batched_kernelILi32ELi24EPK16rocblas_bfloat16PKfKPfEviiT2_lPKT1_lilSA_lilS7_lPT3_lili.kd
    .uniform_work_group_size: 1
    .uses_dynamic_stack: false
    .vgpr_count:     0
    .vgpr_spill_count: 0
    .wavefront_size: 32
    .workgroup_processor_mode: 1
  - .args:
      - .offset:         0
        .size:           4
        .value_kind:     by_value
      - .offset:         4
        .size:           4
        .value_kind:     by_value
      - .offset:         8
        .size:           4
        .value_kind:     by_value
      - .offset:         16
        .size:           8
        .value_kind:     by_value
      - .address_space:  global
        .offset:         24
        .size:           8
        .value_kind:     global_buffer
      - .offset:         32
        .size:           8
        .value_kind:     by_value
      - .offset:         40
        .size:           4
        .value_kind:     by_value
      - .offset:         48
        .size:           8
        .value_kind:     by_value
      - .address_space:  global
        .offset:         56
        .size:           8
        .value_kind:     global_buffer
      - .offset:         64
        .size:           8
        .value_kind:     by_value
      - .offset:         72
        .size:           4
        .value_kind:     by_value
      - .offset:         80
        .size:           8
        .value_kind:     by_value
      - .offset:         88
        .size:           4
        .value_kind:     by_value
      - .offset:         96
        .size:           8
        .value_kind:     by_value
      - .address_space:  global
        .offset:         104
        .size:           8
        .value_kind:     global_buffer
      - .offset:         112
        .size:           8
        .value_kind:     by_value
      - .offset:         120
        .size:           4
        .value_kind:     by_value
      - .offset:         128
        .size:           8
        .value_kind:     by_value
      - .offset:         136
        .size:           4
        .value_kind:     by_value
    .group_segment_fixed_size: 0
    .kernarg_segment_align: 8
    .kernarg_segment_size: 140
    .language:       OpenCL C
    .language_version:
      - 2
      - 0
    .max_flat_workgroup_size: 768
    .name:           _ZL34rocblas_gemvn_sm_mn_batched_kernelILi32ELi24EPK16rocblas_bfloat16fKPfEviiT2_lPKT1_lilS8_lilS5_lPT3_lili
    .private_segment_fixed_size: 0
    .sgpr_count:     0
    .sgpr_spill_count: 0
    .symbol:         _ZL34rocblas_gemvn_sm_mn_batched_kernelILi32ELi24EPK16rocblas_bfloat16fKPfEviiT2_lPKT1_lilS8_lilS5_lPT3_lili.kd
    .uniform_work_group_size: 1
    .uses_dynamic_stack: false
    .vgpr_count:     0
    .vgpr_spill_count: 0
    .wavefront_size: 32
    .workgroup_processor_mode: 1
  - .args:
      - .offset:         0
        .size:           4
        .value_kind:     by_value
      - .offset:         4
        .size:           4
        .value_kind:     by_value
      - .address_space:  global
        .offset:         8
        .size:           8
        .value_kind:     global_buffer
      - .offset:         16
        .size:           8
        .value_kind:     by_value
      - .address_space:  global
        .offset:         24
        .size:           8
        .value_kind:     global_buffer
      - .offset:         32
        .size:           8
        .value_kind:     by_value
      - .offset:         40
        .size:           4
        .value_kind:     by_value
      - .offset:         48
        .size:           8
        .value_kind:     by_value
      - .address_space:  global
        .offset:         56
        .size:           8
        .value_kind:     global_buffer
      - .offset:         64
        .size:           8
        .value_kind:     by_value
      - .offset:         72
        .size:           4
        .value_kind:     by_value
      - .offset:         80
        .size:           8
        .value_kind:     by_value
      - .address_space:  global
        .offset:         88
        .size:           8
        .value_kind:     global_buffer
      - .offset:         96
        .size:           8
        .value_kind:     by_value
      - .address_space:  global
        .offset:         104
        .size:           8
        .value_kind:     global_buffer
      - .offset:         112
        .size:           8
        .value_kind:     by_value
      - .offset:         120
        .size:           4
        .value_kind:     by_value
      - .offset:         128
        .size:           8
        .value_kind:     by_value
      - .offset:         136
        .size:           4
        .value_kind:     by_value
      - .offset:         144
        .size:           4
        .value_kind:     hidden_block_count_x
      - .offset:         148
        .size:           4
        .value_kind:     hidden_block_count_y
      - .offset:         152
        .size:           4
        .value_kind:     hidden_block_count_z
      - .offset:         156
        .size:           2
        .value_kind:     hidden_group_size_x
      - .offset:         158
        .size:           2
        .value_kind:     hidden_group_size_y
      - .offset:         160
        .size:           2
        .value_kind:     hidden_group_size_z
      - .offset:         162
        .size:           2
        .value_kind:     hidden_remainder_x
      - .offset:         164
        .size:           2
        .value_kind:     hidden_remainder_y
      - .offset:         166
        .size:           2
        .value_kind:     hidden_remainder_z
      - .offset:         184
        .size:           8
        .value_kind:     hidden_global_offset_x
      - .offset:         192
        .size:           8
        .value_kind:     hidden_global_offset_y
      - .offset:         200
        .size:           8
        .value_kind:     hidden_global_offset_z
      - .offset:         208
        .size:           2
        .value_kind:     hidden_grid_dims
    .group_segment_fixed_size: 4096
    .kernarg_segment_align: 8
    .kernarg_segment_size: 400
    .language:       OpenCL C
    .language_version:
      - 2
      - 0
    .max_flat_workgroup_size: 256
    .name:           _ZL20rocblas_gemvn_kernelILi64ELi4EiPK16rocblas_bfloat16PKfKPfEviiT3_lPKT2_lT1_lSA_lSB_lS7_lPT4_lSB_li
    .private_segment_fixed_size: 0
    .sgpr_count:     51
    .sgpr_spill_count: 0
    .symbol:         _ZL20rocblas_gemvn_kernelILi64ELi4EiPK16rocblas_bfloat16PKfKPfEviiT3_lPKT2_lT1_lSA_lSB_lS7_lPT4_lSB_li.kd
    .uniform_work_group_size: 1
    .uses_dynamic_stack: false
    .vgpr_count:     59
    .vgpr_spill_count: 0
    .wavefront_size: 32
    .workgroup_processor_mode: 1
  - .args:
      - .offset:         0
        .size:           4
        .value_kind:     by_value
      - .offset:         4
        .size:           4
        .value_kind:     by_value
      - .address_space:  global
        .offset:         8
        .size:           8
        .value_kind:     global_buffer
      - .offset:         16
        .size:           8
        .value_kind:     by_value
      - .address_space:  global
        .offset:         24
        .size:           8
        .value_kind:     global_buffer
      - .offset:         32
        .size:           8
        .value_kind:     by_value
      - .offset:         40
        .size:           8
        .value_kind:     by_value
      - .offset:         48
        .size:           8
        .value_kind:     by_value
      - .address_space:  global
        .offset:         56
        .size:           8
        .value_kind:     global_buffer
      - .offset:         64
        .size:           8
        .value_kind:     by_value
      - .offset:         72
        .size:           8
        .value_kind:     by_value
      - .offset:         80
        .size:           8
        .value_kind:     by_value
      - .address_space:  global
        .offset:         88
        .size:           8
        .value_kind:     global_buffer
      - .offset:         96
        .size:           8
        .value_kind:     by_value
      - .address_space:  global
        .offset:         104
        .size:           8
        .value_kind:     global_buffer
      - .offset:         112
        .size:           8
        .value_kind:     by_value
      - .offset:         120
        .size:           8
        .value_kind:     by_value
      - .offset:         128
        .size:           8
        .value_kind:     by_value
      - .offset:         136
        .size:           4
        .value_kind:     by_value
      - .offset:         144
        .size:           4
        .value_kind:     hidden_block_count_x
      - .offset:         148
        .size:           4
        .value_kind:     hidden_block_count_y
      - .offset:         152
        .size:           4
        .value_kind:     hidden_block_count_z
      - .offset:         156
        .size:           2
        .value_kind:     hidden_group_size_x
      - .offset:         158
        .size:           2
        .value_kind:     hidden_group_size_y
      - .offset:         160
        .size:           2
        .value_kind:     hidden_group_size_z
      - .offset:         162
        .size:           2
        .value_kind:     hidden_remainder_x
      - .offset:         164
        .size:           2
        .value_kind:     hidden_remainder_y
      - .offset:         166
        .size:           2
        .value_kind:     hidden_remainder_z
      - .offset:         184
        .size:           8
        .value_kind:     hidden_global_offset_x
      - .offset:         192
        .size:           8
        .value_kind:     hidden_global_offset_y
      - .offset:         200
        .size:           8
        .value_kind:     hidden_global_offset_z
      - .offset:         208
        .size:           2
        .value_kind:     hidden_grid_dims
    .group_segment_fixed_size: 4096
    .kernarg_segment_align: 8
    .kernarg_segment_size: 400
    .language:       OpenCL C
    .language_version:
      - 2
      - 0
    .max_flat_workgroup_size: 256
    .name:           _ZL20rocblas_gemvn_kernelILi64ELi4ElPK16rocblas_bfloat16PKfKPfEviiT3_lPKT2_lT1_lSA_lSB_lS7_lPT4_lSB_li
    .private_segment_fixed_size: 0
    .sgpr_count:     53
    .sgpr_spill_count: 0
    .symbol:         _ZL20rocblas_gemvn_kernelILi64ELi4ElPK16rocblas_bfloat16PKfKPfEviiT3_lPKT2_lT1_lSA_lSB_lS7_lPT4_lSB_li.kd
    .uniform_work_group_size: 1
    .uses_dynamic_stack: false
    .vgpr_count:     74
    .vgpr_spill_count: 0
    .wavefront_size: 32
    .workgroup_processor_mode: 1
  - .args:
      - .offset:         0
        .size:           4
        .value_kind:     by_value
      - .offset:         4
        .size:           4
        .value_kind:     by_value
      - .offset:         8
        .size:           4
        .value_kind:     by_value
      - .offset:         16
        .size:           8
        .value_kind:     by_value
      - .address_space:  global
        .offset:         24
        .size:           8
        .value_kind:     global_buffer
      - .offset:         32
        .size:           8
        .value_kind:     by_value
      - .offset:         40
        .size:           4
        .value_kind:     by_value
      - .offset:         48
        .size:           8
        .value_kind:     by_value
      - .address_space:  global
        .offset:         56
        .size:           8
        .value_kind:     global_buffer
      - .offset:         64
        .size:           8
        .value_kind:     by_value
      - .offset:         72
        .size:           4
        .value_kind:     by_value
      - .offset:         80
        .size:           8
        .value_kind:     by_value
      - .offset:         88
        .size:           4
        .value_kind:     by_value
      - .offset:         96
        .size:           8
        .value_kind:     by_value
      - .address_space:  global
        .offset:         104
        .size:           8
        .value_kind:     global_buffer
      - .offset:         112
        .size:           8
        .value_kind:     by_value
      - .offset:         120
        .size:           4
        .value_kind:     by_value
      - .offset:         128
        .size:           8
        .value_kind:     by_value
      - .offset:         136
        .size:           4
        .value_kind:     by_value
      - .offset:         144
        .size:           4
        .value_kind:     hidden_block_count_x
      - .offset:         148
        .size:           4
        .value_kind:     hidden_block_count_y
      - .offset:         152
        .size:           4
        .value_kind:     hidden_block_count_z
      - .offset:         156
        .size:           2
        .value_kind:     hidden_group_size_x
      - .offset:         158
        .size:           2
        .value_kind:     hidden_group_size_y
      - .offset:         160
        .size:           2
        .value_kind:     hidden_group_size_z
      - .offset:         162
        .size:           2
        .value_kind:     hidden_remainder_x
      - .offset:         164
        .size:           2
        .value_kind:     hidden_remainder_y
      - .offset:         166
        .size:           2
        .value_kind:     hidden_remainder_z
      - .offset:         184
        .size:           8
        .value_kind:     hidden_global_offset_x
      - .offset:         192
        .size:           8
        .value_kind:     hidden_global_offset_y
      - .offset:         200
        .size:           8
        .value_kind:     hidden_global_offset_z
      - .offset:         208
        .size:           2
        .value_kind:     hidden_grid_dims
    .group_segment_fixed_size: 4096
    .kernarg_segment_align: 8
    .kernarg_segment_size: 400
    .language:       OpenCL C
    .language_version:
      - 2
      - 0
    .max_flat_workgroup_size: 256
    .name:           _ZL20rocblas_gemvn_kernelILi64ELi4EiPK16rocblas_bfloat16fKPfEviiT3_lPKT2_lT1_lS8_lS9_lS5_lPT4_lS9_li
    .private_segment_fixed_size: 0
    .sgpr_count:     47
    .sgpr_spill_count: 0
    .symbol:         _ZL20rocblas_gemvn_kernelILi64ELi4EiPK16rocblas_bfloat16fKPfEviiT3_lPKT2_lT1_lS8_lS9_lS5_lPT4_lS9_li.kd
    .uniform_work_group_size: 1
    .uses_dynamic_stack: false
    .vgpr_count:     59
    .vgpr_spill_count: 0
    .wavefront_size: 32
    .workgroup_processor_mode: 1
  - .args:
      - .offset:         0
        .size:           4
        .value_kind:     by_value
      - .offset:         4
        .size:           4
        .value_kind:     by_value
      - .offset:         8
        .size:           4
        .value_kind:     by_value
      - .offset:         16
        .size:           8
        .value_kind:     by_value
      - .address_space:  global
        .offset:         24
        .size:           8
        .value_kind:     global_buffer
      - .offset:         32
        .size:           8
        .value_kind:     by_value
      - .offset:         40
        .size:           8
        .value_kind:     by_value
      - .offset:         48
        .size:           8
        .value_kind:     by_value
      - .address_space:  global
        .offset:         56
        .size:           8
        .value_kind:     global_buffer
      - .offset:         64
        .size:           8
        .value_kind:     by_value
      - .offset:         72
        .size:           8
        .value_kind:     by_value
      - .offset:         80
        .size:           8
        .value_kind:     by_value
      - .offset:         88
        .size:           4
        .value_kind:     by_value
      - .offset:         96
        .size:           8
        .value_kind:     by_value
      - .address_space:  global
        .offset:         104
        .size:           8
        .value_kind:     global_buffer
      - .offset:         112
        .size:           8
        .value_kind:     by_value
      - .offset:         120
        .size:           8
        .value_kind:     by_value
      - .offset:         128
        .size:           8
        .value_kind:     by_value
      - .offset:         136
        .size:           4
        .value_kind:     by_value
      - .offset:         144
        .size:           4
        .value_kind:     hidden_block_count_x
      - .offset:         148
        .size:           4
        .value_kind:     hidden_block_count_y
      - .offset:         152
        .size:           4
        .value_kind:     hidden_block_count_z
      - .offset:         156
        .size:           2
        .value_kind:     hidden_group_size_x
      - .offset:         158
        .size:           2
        .value_kind:     hidden_group_size_y
      - .offset:         160
        .size:           2
        .value_kind:     hidden_group_size_z
      - .offset:         162
        .size:           2
        .value_kind:     hidden_remainder_x
      - .offset:         164
        .size:           2
        .value_kind:     hidden_remainder_y
      - .offset:         166
        .size:           2
        .value_kind:     hidden_remainder_z
      - .offset:         184
        .size:           8
        .value_kind:     hidden_global_offset_x
      - .offset:         192
        .size:           8
        .value_kind:     hidden_global_offset_y
      - .offset:         200
        .size:           8
        .value_kind:     hidden_global_offset_z
      - .offset:         208
        .size:           2
        .value_kind:     hidden_grid_dims
    .group_segment_fixed_size: 4096
    .kernarg_segment_align: 8
    .kernarg_segment_size: 400
    .language:       OpenCL C
    .language_version:
      - 2
      - 0
    .max_flat_workgroup_size: 256
    .name:           _ZL20rocblas_gemvn_kernelILi64ELi4ElPK16rocblas_bfloat16fKPfEviiT3_lPKT2_lT1_lS8_lS9_lS5_lPT4_lS9_li
    .private_segment_fixed_size: 0
    .sgpr_count:     49
    .sgpr_spill_count: 0
    .symbol:         _ZL20rocblas_gemvn_kernelILi64ELi4ElPK16rocblas_bfloat16fKPfEviiT3_lPKT2_lT1_lS8_lS9_lS5_lPT4_lS9_li.kd
    .uniform_work_group_size: 1
    .uses_dynamic_stack: false
    .vgpr_count:     74
    .vgpr_spill_count: 0
    .wavefront_size: 32
    .workgroup_processor_mode: 1
  - .args:
      - .offset:         0
        .size:           4
        .value_kind:     by_value
      - .offset:         4
        .size:           4
        .value_kind:     by_value
      - .address_space:  global
        .offset:         8
        .size:           8
        .value_kind:     global_buffer
      - .offset:         16
        .size:           8
        .value_kind:     by_value
      - .address_space:  global
        .offset:         24
        .size:           8
        .value_kind:     global_buffer
      - .offset:         32
        .size:           8
        .value_kind:     by_value
      - .offset:         40
        .size:           4
        .value_kind:     by_value
      - .offset:         48
        .size:           8
        .value_kind:     by_value
      - .address_space:  global
        .offset:         56
        .size:           8
        .value_kind:     global_buffer
      - .offset:         64
        .size:           8
        .value_kind:     by_value
      - .offset:         72
        .size:           4
        .value_kind:     by_value
      - .offset:         80
        .size:           8
        .value_kind:     by_value
      - .address_space:  global
        .offset:         88
        .size:           8
        .value_kind:     global_buffer
      - .offset:         96
        .size:           8
        .value_kind:     by_value
      - .address_space:  global
        .offset:         104
        .size:           8
        .value_kind:     global_buffer
      - .offset:         112
        .size:           8
        .value_kind:     by_value
      - .offset:         120
        .size:           4
        .value_kind:     by_value
      - .offset:         128
        .size:           8
        .value_kind:     by_value
      - .offset:         136
        .size:           4
        .value_kind:     by_value
      - .offset:         144
        .size:           4
        .value_kind:     hidden_block_count_x
      - .offset:         148
        .size:           4
        .value_kind:     hidden_block_count_y
      - .offset:         152
        .size:           4
        .value_kind:     hidden_block_count_z
      - .offset:         156
        .size:           2
        .value_kind:     hidden_group_size_x
      - .offset:         158
        .size:           2
        .value_kind:     hidden_group_size_y
      - .offset:         160
        .size:           2
        .value_kind:     hidden_group_size_z
      - .offset:         162
        .size:           2
        .value_kind:     hidden_remainder_x
      - .offset:         164
        .size:           2
        .value_kind:     hidden_remainder_y
      - .offset:         166
        .size:           2
        .value_kind:     hidden_remainder_z
      - .offset:         184
        .size:           8
        .value_kind:     hidden_global_offset_x
      - .offset:         192
        .size:           8
        .value_kind:     hidden_global_offset_y
      - .offset:         200
        .size:           8
        .value_kind:     hidden_global_offset_z
      - .offset:         208
        .size:           2
        .value_kind:     hidden_grid_dims
    .group_segment_fixed_size: 8192
    .kernarg_segment_align: 8
    .kernarg_segment_size: 400
    .language:       OpenCL C
    .language_version:
      - 2
      - 0
    .max_flat_workgroup_size: 512
    .name:           _ZL20rocblas_gemvn_kernelILi32ELi16EiPK16rocblas_bfloat16PKfKPfEviiT3_lPKT2_lT1_lSA_lSB_lS7_lPT4_lSB_li
    .private_segment_fixed_size: 0
    .sgpr_count:     51
    .sgpr_spill_count: 0
    .symbol:         _ZL20rocblas_gemvn_kernelILi32ELi16EiPK16rocblas_bfloat16PKfKPfEviiT3_lPKT2_lT1_lSA_lSB_lS7_lPT4_lSB_li.kd
    .uniform_work_group_size: 1
    .uses_dynamic_stack: false
    .vgpr_count:     61
    .vgpr_spill_count: 0
    .wavefront_size: 32
    .workgroup_processor_mode: 1
  - .args:
      - .offset:         0
        .size:           4
        .value_kind:     by_value
      - .offset:         4
        .size:           4
        .value_kind:     by_value
      - .address_space:  global
        .offset:         8
        .size:           8
        .value_kind:     global_buffer
      - .offset:         16
        .size:           8
        .value_kind:     by_value
      - .address_space:  global
        .offset:         24
        .size:           8
        .value_kind:     global_buffer
      - .offset:         32
        .size:           8
        .value_kind:     by_value
      - .offset:         40
        .size:           8
        .value_kind:     by_value
      - .offset:         48
        .size:           8
        .value_kind:     by_value
      - .address_space:  global
        .offset:         56
        .size:           8
        .value_kind:     global_buffer
      - .offset:         64
        .size:           8
        .value_kind:     by_value
      - .offset:         72
        .size:           8
        .value_kind:     by_value
      - .offset:         80
        .size:           8
        .value_kind:     by_value
      - .address_space:  global
        .offset:         88
        .size:           8
        .value_kind:     global_buffer
      - .offset:         96
        .size:           8
        .value_kind:     by_value
      - .address_space:  global
        .offset:         104
        .size:           8
        .value_kind:     global_buffer
      - .offset:         112
        .size:           8
        .value_kind:     by_value
      - .offset:         120
        .size:           8
        .value_kind:     by_value
      - .offset:         128
        .size:           8
        .value_kind:     by_value
      - .offset:         136
        .size:           4
        .value_kind:     by_value
      - .offset:         144
        .size:           4
        .value_kind:     hidden_block_count_x
      - .offset:         148
        .size:           4
        .value_kind:     hidden_block_count_y
      - .offset:         152
        .size:           4
        .value_kind:     hidden_block_count_z
      - .offset:         156
        .size:           2
        .value_kind:     hidden_group_size_x
      - .offset:         158
        .size:           2
        .value_kind:     hidden_group_size_y
      - .offset:         160
        .size:           2
        .value_kind:     hidden_group_size_z
      - .offset:         162
        .size:           2
        .value_kind:     hidden_remainder_x
      - .offset:         164
        .size:           2
        .value_kind:     hidden_remainder_y
      - .offset:         166
        .size:           2
        .value_kind:     hidden_remainder_z
      - .offset:         184
        .size:           8
        .value_kind:     hidden_global_offset_x
      - .offset:         192
        .size:           8
        .value_kind:     hidden_global_offset_y
      - .offset:         200
        .size:           8
        .value_kind:     hidden_global_offset_z
      - .offset:         208
        .size:           2
        .value_kind:     hidden_grid_dims
    .group_segment_fixed_size: 8192
    .kernarg_segment_align: 8
    .kernarg_segment_size: 400
    .language:       OpenCL C
    .language_version:
      - 2
      - 0
    .max_flat_workgroup_size: 512
    .name:           _ZL20rocblas_gemvn_kernelILi32ELi16ElPK16rocblas_bfloat16PKfKPfEviiT3_lPKT2_lT1_lSA_lSB_lS7_lPT4_lSB_li
    .private_segment_fixed_size: 0
    .sgpr_count:     53
    .sgpr_spill_count: 0
    .symbol:         _ZL20rocblas_gemvn_kernelILi32ELi16ElPK16rocblas_bfloat16PKfKPfEviiT3_lPKT2_lT1_lSA_lSB_lS7_lPT4_lSB_li.kd
    .uniform_work_group_size: 1
    .uses_dynamic_stack: false
    .vgpr_count:     74
    .vgpr_spill_count: 0
    .wavefront_size: 32
    .workgroup_processor_mode: 1
  - .args:
      - .offset:         0
        .size:           4
        .value_kind:     by_value
      - .offset:         4
        .size:           4
        .value_kind:     by_value
      - .offset:         8
        .size:           4
        .value_kind:     by_value
      - .offset:         16
        .size:           8
        .value_kind:     by_value
      - .address_space:  global
        .offset:         24
        .size:           8
        .value_kind:     global_buffer
      - .offset:         32
        .size:           8
        .value_kind:     by_value
      - .offset:         40
        .size:           4
        .value_kind:     by_value
      - .offset:         48
        .size:           8
        .value_kind:     by_value
      - .address_space:  global
        .offset:         56
        .size:           8
        .value_kind:     global_buffer
      - .offset:         64
        .size:           8
        .value_kind:     by_value
      - .offset:         72
        .size:           4
        .value_kind:     by_value
      - .offset:         80
        .size:           8
        .value_kind:     by_value
      - .offset:         88
        .size:           4
        .value_kind:     by_value
      - .offset:         96
        .size:           8
        .value_kind:     by_value
      - .address_space:  global
        .offset:         104
        .size:           8
        .value_kind:     global_buffer
      - .offset:         112
        .size:           8
        .value_kind:     by_value
      - .offset:         120
        .size:           4
        .value_kind:     by_value
      - .offset:         128
        .size:           8
        .value_kind:     by_value
      - .offset:         136
        .size:           4
        .value_kind:     by_value
      - .offset:         144
        .size:           4
        .value_kind:     hidden_block_count_x
      - .offset:         148
        .size:           4
        .value_kind:     hidden_block_count_y
      - .offset:         152
        .size:           4
        .value_kind:     hidden_block_count_z
      - .offset:         156
        .size:           2
        .value_kind:     hidden_group_size_x
      - .offset:         158
        .size:           2
        .value_kind:     hidden_group_size_y
      - .offset:         160
        .size:           2
        .value_kind:     hidden_group_size_z
      - .offset:         162
        .size:           2
        .value_kind:     hidden_remainder_x
      - .offset:         164
        .size:           2
        .value_kind:     hidden_remainder_y
      - .offset:         166
        .size:           2
        .value_kind:     hidden_remainder_z
      - .offset:         184
        .size:           8
        .value_kind:     hidden_global_offset_x
      - .offset:         192
        .size:           8
        .value_kind:     hidden_global_offset_y
      - .offset:         200
        .size:           8
        .value_kind:     hidden_global_offset_z
      - .offset:         208
        .size:           2
        .value_kind:     hidden_grid_dims
    .group_segment_fixed_size: 8192
    .kernarg_segment_align: 8
    .kernarg_segment_size: 400
    .language:       OpenCL C
    .language_version:
      - 2
      - 0
    .max_flat_workgroup_size: 512
    .name:           _ZL20rocblas_gemvn_kernelILi32ELi16EiPK16rocblas_bfloat16fKPfEviiT3_lPKT2_lT1_lS8_lS9_lS5_lPT4_lS9_li
    .private_segment_fixed_size: 0
    .sgpr_count:     47
    .sgpr_spill_count: 0
    .symbol:         _ZL20rocblas_gemvn_kernelILi32ELi16EiPK16rocblas_bfloat16fKPfEviiT3_lPKT2_lT1_lS8_lS9_lS5_lPT4_lS9_li.kd
    .uniform_work_group_size: 1
    .uses_dynamic_stack: false
    .vgpr_count:     61
    .vgpr_spill_count: 0
    .wavefront_size: 32
    .workgroup_processor_mode: 1
  - .args:
      - .offset:         0
        .size:           4
        .value_kind:     by_value
      - .offset:         4
        .size:           4
        .value_kind:     by_value
      - .offset:         8
        .size:           4
        .value_kind:     by_value
      - .offset:         16
        .size:           8
        .value_kind:     by_value
      - .address_space:  global
        .offset:         24
        .size:           8
        .value_kind:     global_buffer
      - .offset:         32
        .size:           8
        .value_kind:     by_value
      - .offset:         40
        .size:           8
        .value_kind:     by_value
      - .offset:         48
        .size:           8
        .value_kind:     by_value
      - .address_space:  global
        .offset:         56
        .size:           8
        .value_kind:     global_buffer
      - .offset:         64
        .size:           8
        .value_kind:     by_value
      - .offset:         72
        .size:           8
        .value_kind:     by_value
      - .offset:         80
        .size:           8
        .value_kind:     by_value
      - .offset:         88
        .size:           4
        .value_kind:     by_value
      - .offset:         96
        .size:           8
        .value_kind:     by_value
      - .address_space:  global
        .offset:         104
        .size:           8
        .value_kind:     global_buffer
      - .offset:         112
        .size:           8
        .value_kind:     by_value
      - .offset:         120
        .size:           8
        .value_kind:     by_value
      - .offset:         128
        .size:           8
        .value_kind:     by_value
      - .offset:         136
        .size:           4
        .value_kind:     by_value
      - .offset:         144
        .size:           4
        .value_kind:     hidden_block_count_x
      - .offset:         148
        .size:           4
        .value_kind:     hidden_block_count_y
      - .offset:         152
        .size:           4
        .value_kind:     hidden_block_count_z
      - .offset:         156
        .size:           2
        .value_kind:     hidden_group_size_x
      - .offset:         158
        .size:           2
        .value_kind:     hidden_group_size_y
      - .offset:         160
        .size:           2
        .value_kind:     hidden_group_size_z
      - .offset:         162
        .size:           2
        .value_kind:     hidden_remainder_x
      - .offset:         164
        .size:           2
        .value_kind:     hidden_remainder_y
      - .offset:         166
        .size:           2
        .value_kind:     hidden_remainder_z
      - .offset:         184
        .size:           8
        .value_kind:     hidden_global_offset_x
      - .offset:         192
        .size:           8
        .value_kind:     hidden_global_offset_y
      - .offset:         200
        .size:           8
        .value_kind:     hidden_global_offset_z
      - .offset:         208
        .size:           2
        .value_kind:     hidden_grid_dims
    .group_segment_fixed_size: 8192
    .kernarg_segment_align: 8
    .kernarg_segment_size: 400
    .language:       OpenCL C
    .language_version:
      - 2
      - 0
    .max_flat_workgroup_size: 512
    .name:           _ZL20rocblas_gemvn_kernelILi32ELi16ElPK16rocblas_bfloat16fKPfEviiT3_lPKT2_lT1_lS8_lS9_lS5_lPT4_lS9_li
    .private_segment_fixed_size: 0
    .sgpr_count:     49
    .sgpr_spill_count: 0
    .symbol:         _ZL20rocblas_gemvn_kernelILi32ELi16ElPK16rocblas_bfloat16fKPfEviiT3_lPKT2_lT1_lS8_lS9_lS5_lPT4_lS9_li.kd
    .uniform_work_group_size: 1
    .uses_dynamic_stack: false
    .vgpr_count:     74
    .vgpr_spill_count: 0
    .wavefront_size: 32
    .workgroup_processor_mode: 1
  - .args:
      - .offset:         0
        .size:           4
        .value_kind:     by_value
      - .offset:         4
        .size:           4
        .value_kind:     by_value
      - .address_space:  global
        .offset:         8
        .size:           8
        .value_kind:     global_buffer
      - .offset:         16
        .size:           8
        .value_kind:     by_value
      - .address_space:  global
        .offset:         24
        .size:           8
        .value_kind:     global_buffer
      - .offset:         32
        .size:           8
        .value_kind:     by_value
      - .offset:         40
        .size:           4
        .value_kind:     by_value
      - .offset:         48
        .size:           8
        .value_kind:     by_value
      - .address_space:  global
        .offset:         56
        .size:           8
        .value_kind:     global_buffer
      - .offset:         64
        .size:           8
        .value_kind:     by_value
      - .offset:         72
        .size:           4
        .value_kind:     by_value
      - .offset:         80
        .size:           8
        .value_kind:     by_value
      - .address_space:  global
        .offset:         88
        .size:           8
        .value_kind:     global_buffer
      - .offset:         96
        .size:           8
        .value_kind:     by_value
      - .address_space:  global
        .offset:         104
        .size:           8
        .value_kind:     global_buffer
      - .offset:         112
        .size:           8
        .value_kind:     by_value
      - .offset:         120
        .size:           4
        .value_kind:     by_value
      - .offset:         128
        .size:           8
        .value_kind:     by_value
      - .offset:         136
        .size:           4
        .value_kind:     by_value
      - .offset:         144
        .size:           4
        .value_kind:     hidden_block_count_x
      - .offset:         148
        .size:           4
        .value_kind:     hidden_block_count_y
      - .offset:         152
        .size:           4
        .value_kind:     hidden_block_count_z
      - .offset:         156
        .size:           2
        .value_kind:     hidden_group_size_x
      - .offset:         158
        .size:           2
        .value_kind:     hidden_group_size_y
      - .offset:         160
        .size:           2
        .value_kind:     hidden_group_size_z
      - .offset:         162
        .size:           2
        .value_kind:     hidden_remainder_x
      - .offset:         164
        .size:           2
        .value_kind:     hidden_remainder_y
      - .offset:         166
        .size:           2
        .value_kind:     hidden_remainder_z
      - .offset:         184
        .size:           8
        .value_kind:     hidden_global_offset_x
      - .offset:         192
        .size:           8
        .value_kind:     hidden_global_offset_y
      - .offset:         200
        .size:           8
        .value_kind:     hidden_global_offset_z
      - .offset:         208
        .size:           2
        .value_kind:     hidden_grid_dims
    .group_segment_fixed_size: 16384
    .kernarg_segment_align: 8
    .kernarg_segment_size: 400
    .language:       OpenCL C
    .language_version:
      - 2
      - 0
    .max_flat_workgroup_size: 1024
    .name:           _ZL20rocblas_gemvn_kernelILi64ELi16EiPK16rocblas_bfloat16PKfKPfEviiT3_lPKT2_lT1_lSA_lSB_lS7_lPT4_lSB_li
    .private_segment_fixed_size: 0
    .sgpr_count:     51
    .sgpr_spill_count: 0
    .symbol:         _ZL20rocblas_gemvn_kernelILi64ELi16EiPK16rocblas_bfloat16PKfKPfEviiT3_lPKT2_lT1_lSA_lSB_lS7_lPT4_lSB_li.kd
    .uniform_work_group_size: 1
    .uses_dynamic_stack: false
    .vgpr_count:     59
    .vgpr_spill_count: 0
    .wavefront_size: 32
    .workgroup_processor_mode: 1
  - .args:
      - .offset:         0
        .size:           4
        .value_kind:     by_value
      - .offset:         4
        .size:           4
        .value_kind:     by_value
      - .address_space:  global
        .offset:         8
        .size:           8
        .value_kind:     global_buffer
      - .offset:         16
        .size:           8
        .value_kind:     by_value
      - .address_space:  global
        .offset:         24
        .size:           8
        .value_kind:     global_buffer
      - .offset:         32
        .size:           8
        .value_kind:     by_value
      - .offset:         40
        .size:           8
        .value_kind:     by_value
      - .offset:         48
        .size:           8
        .value_kind:     by_value
      - .address_space:  global
        .offset:         56
        .size:           8
        .value_kind:     global_buffer
      - .offset:         64
        .size:           8
        .value_kind:     by_value
      - .offset:         72
        .size:           8
        .value_kind:     by_value
      - .offset:         80
        .size:           8
        .value_kind:     by_value
      - .address_space:  global
        .offset:         88
        .size:           8
        .value_kind:     global_buffer
      - .offset:         96
        .size:           8
        .value_kind:     by_value
      - .address_space:  global
        .offset:         104
        .size:           8
        .value_kind:     global_buffer
      - .offset:         112
        .size:           8
        .value_kind:     by_value
      - .offset:         120
        .size:           8
        .value_kind:     by_value
      - .offset:         128
        .size:           8
        .value_kind:     by_value
      - .offset:         136
        .size:           4
        .value_kind:     by_value
      - .offset:         144
        .size:           4
        .value_kind:     hidden_block_count_x
      - .offset:         148
        .size:           4
        .value_kind:     hidden_block_count_y
      - .offset:         152
        .size:           4
        .value_kind:     hidden_block_count_z
      - .offset:         156
        .size:           2
        .value_kind:     hidden_group_size_x
      - .offset:         158
        .size:           2
        .value_kind:     hidden_group_size_y
      - .offset:         160
        .size:           2
        .value_kind:     hidden_group_size_z
      - .offset:         162
        .size:           2
        .value_kind:     hidden_remainder_x
      - .offset:         164
        .size:           2
        .value_kind:     hidden_remainder_y
      - .offset:         166
        .size:           2
        .value_kind:     hidden_remainder_z
      - .offset:         184
        .size:           8
        .value_kind:     hidden_global_offset_x
      - .offset:         192
        .size:           8
        .value_kind:     hidden_global_offset_y
      - .offset:         200
        .size:           8
        .value_kind:     hidden_global_offset_z
      - .offset:         208
        .size:           2
        .value_kind:     hidden_grid_dims
    .group_segment_fixed_size: 16384
    .kernarg_segment_align: 8
    .kernarg_segment_size: 400
    .language:       OpenCL C
    .language_version:
      - 2
      - 0
    .max_flat_workgroup_size: 1024
    .name:           _ZL20rocblas_gemvn_kernelILi64ELi16ElPK16rocblas_bfloat16PKfKPfEviiT3_lPKT2_lT1_lSA_lSB_lS7_lPT4_lSB_li
    .private_segment_fixed_size: 0
    .sgpr_count:     53
    .sgpr_spill_count: 0
    .symbol:         _ZL20rocblas_gemvn_kernelILi64ELi16ElPK16rocblas_bfloat16PKfKPfEviiT3_lPKT2_lT1_lSA_lSB_lS7_lPT4_lSB_li.kd
    .uniform_work_group_size: 1
    .uses_dynamic_stack: false
    .vgpr_count:     74
    .vgpr_spill_count: 0
    .wavefront_size: 32
    .workgroup_processor_mode: 1
  - .args:
      - .offset:         0
        .size:           4
        .value_kind:     by_value
      - .offset:         4
        .size:           4
        .value_kind:     by_value
      - .offset:         8
        .size:           4
        .value_kind:     by_value
      - .offset:         16
        .size:           8
        .value_kind:     by_value
      - .address_space:  global
        .offset:         24
        .size:           8
        .value_kind:     global_buffer
      - .offset:         32
        .size:           8
        .value_kind:     by_value
      - .offset:         40
        .size:           4
        .value_kind:     by_value
      - .offset:         48
        .size:           8
        .value_kind:     by_value
      - .address_space:  global
        .offset:         56
        .size:           8
        .value_kind:     global_buffer
      - .offset:         64
        .size:           8
        .value_kind:     by_value
      - .offset:         72
        .size:           4
        .value_kind:     by_value
      - .offset:         80
        .size:           8
        .value_kind:     by_value
      - .offset:         88
        .size:           4
        .value_kind:     by_value
      - .offset:         96
        .size:           8
        .value_kind:     by_value
      - .address_space:  global
        .offset:         104
        .size:           8
        .value_kind:     global_buffer
      - .offset:         112
        .size:           8
        .value_kind:     by_value
      - .offset:         120
        .size:           4
        .value_kind:     by_value
      - .offset:         128
        .size:           8
        .value_kind:     by_value
      - .offset:         136
        .size:           4
        .value_kind:     by_value
      - .offset:         144
        .size:           4
        .value_kind:     hidden_block_count_x
      - .offset:         148
        .size:           4
        .value_kind:     hidden_block_count_y
      - .offset:         152
        .size:           4
        .value_kind:     hidden_block_count_z
      - .offset:         156
        .size:           2
        .value_kind:     hidden_group_size_x
      - .offset:         158
        .size:           2
        .value_kind:     hidden_group_size_y
      - .offset:         160
        .size:           2
        .value_kind:     hidden_group_size_z
      - .offset:         162
        .size:           2
        .value_kind:     hidden_remainder_x
      - .offset:         164
        .size:           2
        .value_kind:     hidden_remainder_y
      - .offset:         166
        .size:           2
        .value_kind:     hidden_remainder_z
      - .offset:         184
        .size:           8
        .value_kind:     hidden_global_offset_x
      - .offset:         192
        .size:           8
        .value_kind:     hidden_global_offset_y
      - .offset:         200
        .size:           8
        .value_kind:     hidden_global_offset_z
      - .offset:         208
        .size:           2
        .value_kind:     hidden_grid_dims
    .group_segment_fixed_size: 16384
    .kernarg_segment_align: 8
    .kernarg_segment_size: 400
    .language:       OpenCL C
    .language_version:
      - 2
      - 0
    .max_flat_workgroup_size: 1024
    .name:           _ZL20rocblas_gemvn_kernelILi64ELi16EiPK16rocblas_bfloat16fKPfEviiT3_lPKT2_lT1_lS8_lS9_lS5_lPT4_lS9_li
    .private_segment_fixed_size: 0
    .sgpr_count:     47
    .sgpr_spill_count: 0
    .symbol:         _ZL20rocblas_gemvn_kernelILi64ELi16EiPK16rocblas_bfloat16fKPfEviiT3_lPKT2_lT1_lS8_lS9_lS5_lPT4_lS9_li.kd
    .uniform_work_group_size: 1
    .uses_dynamic_stack: false
    .vgpr_count:     59
    .vgpr_spill_count: 0
    .wavefront_size: 32
    .workgroup_processor_mode: 1
  - .args:
      - .offset:         0
        .size:           4
        .value_kind:     by_value
      - .offset:         4
        .size:           4
        .value_kind:     by_value
      - .offset:         8
        .size:           4
        .value_kind:     by_value
      - .offset:         16
        .size:           8
        .value_kind:     by_value
      - .address_space:  global
        .offset:         24
        .size:           8
        .value_kind:     global_buffer
      - .offset:         32
        .size:           8
        .value_kind:     by_value
      - .offset:         40
        .size:           8
        .value_kind:     by_value
      - .offset:         48
        .size:           8
        .value_kind:     by_value
      - .address_space:  global
        .offset:         56
        .size:           8
        .value_kind:     global_buffer
      - .offset:         64
        .size:           8
        .value_kind:     by_value
      - .offset:         72
        .size:           8
        .value_kind:     by_value
      - .offset:         80
        .size:           8
        .value_kind:     by_value
      - .offset:         88
        .size:           4
        .value_kind:     by_value
      - .offset:         96
        .size:           8
        .value_kind:     by_value
      - .address_space:  global
        .offset:         104
        .size:           8
        .value_kind:     global_buffer
      - .offset:         112
        .size:           8
        .value_kind:     by_value
      - .offset:         120
        .size:           8
        .value_kind:     by_value
      - .offset:         128
        .size:           8
        .value_kind:     by_value
      - .offset:         136
        .size:           4
        .value_kind:     by_value
      - .offset:         144
        .size:           4
        .value_kind:     hidden_block_count_x
      - .offset:         148
        .size:           4
        .value_kind:     hidden_block_count_y
      - .offset:         152
        .size:           4
        .value_kind:     hidden_block_count_z
      - .offset:         156
        .size:           2
        .value_kind:     hidden_group_size_x
      - .offset:         158
        .size:           2
        .value_kind:     hidden_group_size_y
      - .offset:         160
        .size:           2
        .value_kind:     hidden_group_size_z
      - .offset:         162
        .size:           2
        .value_kind:     hidden_remainder_x
      - .offset:         164
        .size:           2
        .value_kind:     hidden_remainder_y
      - .offset:         166
        .size:           2
        .value_kind:     hidden_remainder_z
      - .offset:         184
        .size:           8
        .value_kind:     hidden_global_offset_x
      - .offset:         192
        .size:           8
        .value_kind:     hidden_global_offset_y
      - .offset:         200
        .size:           8
        .value_kind:     hidden_global_offset_z
      - .offset:         208
        .size:           2
        .value_kind:     hidden_grid_dims
    .group_segment_fixed_size: 16384
    .kernarg_segment_align: 8
    .kernarg_segment_size: 400
    .language:       OpenCL C
    .language_version:
      - 2
      - 0
    .max_flat_workgroup_size: 1024
    .name:           _ZL20rocblas_gemvn_kernelILi64ELi16ElPK16rocblas_bfloat16fKPfEviiT3_lPKT2_lT1_lS8_lS9_lS5_lPT4_lS9_li
    .private_segment_fixed_size: 0
    .sgpr_count:     49
    .sgpr_spill_count: 0
    .symbol:         _ZL20rocblas_gemvn_kernelILi64ELi16ElPK16rocblas_bfloat16fKPfEviiT3_lPKT2_lT1_lS8_lS9_lS5_lPT4_lS9_li.kd
    .uniform_work_group_size: 1
    .uses_dynamic_stack: false
    .vgpr_count:     74
    .vgpr_spill_count: 0
    .wavefront_size: 32
    .workgroup_processor_mode: 1
  - .args:
      - .offset:         0
        .size:           4
        .value_kind:     by_value
      - .offset:         4
        .size:           4
        .value_kind:     by_value
      - .address_space:  global
        .offset:         8
        .size:           8
        .value_kind:     global_buffer
      - .offset:         16
        .size:           8
        .value_kind:     by_value
      - .address_space:  global
        .offset:         24
        .size:           8
        .value_kind:     global_buffer
      - .offset:         32
        .size:           8
        .value_kind:     by_value
      - .offset:         40
        .size:           4
        .value_kind:     by_value
      - .offset:         48
        .size:           8
        .value_kind:     by_value
      - .address_space:  global
        .offset:         56
        .size:           8
        .value_kind:     global_buffer
      - .offset:         64
        .size:           8
        .value_kind:     by_value
      - .offset:         72
        .size:           4
        .value_kind:     by_value
      - .offset:         80
        .size:           8
        .value_kind:     by_value
      - .address_space:  global
        .offset:         88
        .size:           8
        .value_kind:     global_buffer
      - .offset:         96
        .size:           8
        .value_kind:     by_value
      - .address_space:  global
        .offset:         104
        .size:           8
        .value_kind:     global_buffer
      - .offset:         112
        .size:           8
        .value_kind:     by_value
      - .offset:         120
        .size:           4
        .value_kind:     by_value
      - .offset:         128
        .size:           8
        .value_kind:     by_value
    .group_segment_fixed_size: 256
    .kernarg_segment_align: 8
    .kernarg_segment_size: 136
    .language:       OpenCL C
    .language_version:
      - 2
      - 0
    .max_flat_workgroup_size: 256
    .name:           _ZL22rocblas_gemvtsm_kernelILb0ELi256EPK16rocblas_bfloat16PKfKPfEviiT2_lPKT1_lilSA_lilS7_lPT3_lil
    .private_segment_fixed_size: 0
    .sgpr_count:     24
    .sgpr_spill_count: 0
    .symbol:         _ZL22rocblas_gemvtsm_kernelILb0ELi256EPK16rocblas_bfloat16PKfKPfEviiT2_lPKT1_lilSA_lilS7_lPT3_lil.kd
    .uniform_work_group_size: 1
    .uses_dynamic_stack: false
    .vgpr_count:     16
    .vgpr_spill_count: 0
    .wavefront_size: 32
    .workgroup_processor_mode: 1
  - .args:
      - .offset:         0
        .size:           4
        .value_kind:     by_value
      - .offset:         4
        .size:           4
        .value_kind:     by_value
      - .offset:         8
        .size:           4
        .value_kind:     by_value
      - .offset:         16
        .size:           8
        .value_kind:     by_value
      - .address_space:  global
        .offset:         24
        .size:           8
        .value_kind:     global_buffer
      - .offset:         32
        .size:           8
        .value_kind:     by_value
      - .offset:         40
        .size:           4
        .value_kind:     by_value
      - .offset:         48
        .size:           8
        .value_kind:     by_value
      - .address_space:  global
        .offset:         56
        .size:           8
        .value_kind:     global_buffer
      - .offset:         64
        .size:           8
        .value_kind:     by_value
      - .offset:         72
        .size:           4
        .value_kind:     by_value
      - .offset:         80
        .size:           8
        .value_kind:     by_value
      - .offset:         88
        .size:           4
        .value_kind:     by_value
      - .offset:         96
        .size:           8
        .value_kind:     by_value
      - .address_space:  global
        .offset:         104
        .size:           8
        .value_kind:     global_buffer
      - .offset:         112
        .size:           8
        .value_kind:     by_value
      - .offset:         120
        .size:           4
        .value_kind:     by_value
      - .offset:         128
        .size:           8
        .value_kind:     by_value
    .group_segment_fixed_size: 256
    .kernarg_segment_align: 8
    .kernarg_segment_size: 136
    .language:       OpenCL C
    .language_version:
      - 2
      - 0
    .max_flat_workgroup_size: 256
    .name:           _ZL22rocblas_gemvtsm_kernelILb0ELi256EPK16rocblas_bfloat16fKPfEviiT2_lPKT1_lilS8_lilS5_lPT3_lil
    .private_segment_fixed_size: 0
    .sgpr_count:     26
    .sgpr_spill_count: 0
    .symbol:         _ZL22rocblas_gemvtsm_kernelILb0ELi256EPK16rocblas_bfloat16fKPfEviiT2_lPKT1_lilS8_lilS5_lPT3_lil.kd
    .uniform_work_group_size: 1
    .uses_dynamic_stack: false
    .vgpr_count:     16
    .vgpr_spill_count: 0
    .wavefront_size: 32
    .workgroup_processor_mode: 1
  - .args:
      - .offset:         0
        .size:           4
        .value_kind:     by_value
      - .offset:         4
        .size:           4
        .value_kind:     by_value
      - .address_space:  global
        .offset:         8
        .size:           8
        .value_kind:     global_buffer
      - .offset:         16
        .size:           8
        .value_kind:     by_value
      - .address_space:  global
        .offset:         24
        .size:           8
        .value_kind:     global_buffer
      - .offset:         32
        .size:           8
        .value_kind:     by_value
      - .offset:         40
        .size:           4
        .value_kind:     by_value
      - .offset:         48
        .size:           8
        .value_kind:     by_value
      - .address_space:  global
        .offset:         56
        .size:           8
        .value_kind:     global_buffer
      - .offset:         64
        .size:           8
        .value_kind:     by_value
      - .offset:         72
        .size:           4
        .value_kind:     by_value
      - .offset:         80
        .size:           8
        .value_kind:     by_value
      - .address_space:  global
        .offset:         88
        .size:           8
        .value_kind:     global_buffer
      - .offset:         96
        .size:           8
        .value_kind:     by_value
      - .address_space:  global
        .offset:         104
        .size:           8
        .value_kind:     global_buffer
      - .offset:         112
        .size:           8
        .value_kind:     by_value
      - .offset:         120
        .size:           4
        .value_kind:     by_value
      - .offset:         128
        .size:           8
        .value_kind:     by_value
      - .offset:         136
        .size:           4
        .value_kind:     by_value
    .group_segment_fixed_size: 128
    .kernarg_segment_align: 8
    .kernarg_segment_size: 140
    .language:       OpenCL C
    .language_version:
      - 2
      - 0
    .max_flat_workgroup_size: 256
    .name:           _ZL32rocblas_gemvt_warp_reduce_kernelILb0ELi256EiPK16rocblas_bfloat16PKfKPfEviiT3_lPKT2_lT1_lSA_lSB_lS7_lPT4_lSB_li
    .private_segment_fixed_size: 0
    .sgpr_count:     46
    .sgpr_spill_count: 0
    .symbol:         _ZL32rocblas_gemvt_warp_reduce_kernelILb0ELi256EiPK16rocblas_bfloat16PKfKPfEviiT3_lPKT2_lT1_lSA_lSB_lS7_lPT4_lSB_li.kd
    .uniform_work_group_size: 1
    .uses_dynamic_stack: false
    .vgpr_count:     25
    .vgpr_spill_count: 0
    .wavefront_size: 32
    .workgroup_processor_mode: 1
  - .args:
      - .offset:         0
        .size:           4
        .value_kind:     by_value
      - .offset:         4
        .size:           4
        .value_kind:     by_value
      - .address_space:  global
        .offset:         8
        .size:           8
        .value_kind:     global_buffer
      - .offset:         16
        .size:           8
        .value_kind:     by_value
      - .address_space:  global
        .offset:         24
        .size:           8
        .value_kind:     global_buffer
      - .offset:         32
        .size:           8
        .value_kind:     by_value
      - .offset:         40
        .size:           8
        .value_kind:     by_value
      - .offset:         48
        .size:           8
        .value_kind:     by_value
      - .address_space:  global
        .offset:         56
        .size:           8
        .value_kind:     global_buffer
      - .offset:         64
        .size:           8
        .value_kind:     by_value
      - .offset:         72
        .size:           8
        .value_kind:     by_value
      - .offset:         80
        .size:           8
        .value_kind:     by_value
      - .address_space:  global
        .offset:         88
        .size:           8
        .value_kind:     global_buffer
      - .offset:         96
        .size:           8
        .value_kind:     by_value
      - .address_space:  global
        .offset:         104
        .size:           8
        .value_kind:     global_buffer
      - .offset:         112
        .size:           8
        .value_kind:     by_value
      - .offset:         120
        .size:           8
        .value_kind:     by_value
      - .offset:         128
        .size:           8
        .value_kind:     by_value
      - .offset:         136
        .size:           4
        .value_kind:     by_value
    .group_segment_fixed_size: 128
    .kernarg_segment_align: 8
    .kernarg_segment_size: 140
    .language:       OpenCL C
    .language_version:
      - 2
      - 0
    .max_flat_workgroup_size: 256
    .name:           _ZL32rocblas_gemvt_warp_reduce_kernelILb0ELi256ElPK16rocblas_bfloat16PKfKPfEviiT3_lPKT2_lT1_lSA_lSB_lS7_lPT4_lSB_li
    .private_segment_fixed_size: 0
    .sgpr_count:     46
    .sgpr_spill_count: 0
    .symbol:         _ZL32rocblas_gemvt_warp_reduce_kernelILb0ELi256ElPK16rocblas_bfloat16PKfKPfEviiT3_lPKT2_lT1_lSA_lSB_lS7_lPT4_lSB_li.kd
    .uniform_work_group_size: 1
    .uses_dynamic_stack: false
    .vgpr_count:     27
    .vgpr_spill_count: 0
    .wavefront_size: 32
    .workgroup_processor_mode: 1
  - .args:
      - .offset:         0
        .size:           4
        .value_kind:     by_value
      - .offset:         4
        .size:           4
        .value_kind:     by_value
      - .offset:         8
        .size:           4
        .value_kind:     by_value
      - .offset:         16
        .size:           8
        .value_kind:     by_value
      - .address_space:  global
        .offset:         24
        .size:           8
        .value_kind:     global_buffer
      - .offset:         32
        .size:           8
        .value_kind:     by_value
      - .offset:         40
        .size:           4
        .value_kind:     by_value
      - .offset:         48
        .size:           8
        .value_kind:     by_value
      - .address_space:  global
        .offset:         56
        .size:           8
        .value_kind:     global_buffer
      - .offset:         64
        .size:           8
        .value_kind:     by_value
      - .offset:         72
        .size:           4
        .value_kind:     by_value
      - .offset:         80
        .size:           8
        .value_kind:     by_value
      - .offset:         88
        .size:           4
        .value_kind:     by_value
      - .offset:         96
        .size:           8
        .value_kind:     by_value
      - .address_space:  global
        .offset:         104
        .size:           8
        .value_kind:     global_buffer
      - .offset:         112
        .size:           8
        .value_kind:     by_value
      - .offset:         120
        .size:           4
        .value_kind:     by_value
      - .offset:         128
        .size:           8
        .value_kind:     by_value
      - .offset:         136
        .size:           4
        .value_kind:     by_value
    .group_segment_fixed_size: 128
    .kernarg_segment_align: 8
    .kernarg_segment_size: 140
    .language:       OpenCL C
    .language_version:
      - 2
      - 0
    .max_flat_workgroup_size: 256
    .name:           _ZL32rocblas_gemvt_warp_reduce_kernelILb0ELi256EiPK16rocblas_bfloat16fKPfEviiT3_lPKT2_lT1_lS8_lS9_lS5_lPT4_lS9_li
    .private_segment_fixed_size: 0
    .sgpr_count:     42
    .sgpr_spill_count: 0
    .symbol:         _ZL32rocblas_gemvt_warp_reduce_kernelILb0ELi256EiPK16rocblas_bfloat16fKPfEviiT3_lPKT2_lT1_lS8_lS9_lS5_lPT4_lS9_li.kd
    .uniform_work_group_size: 1
    .uses_dynamic_stack: false
    .vgpr_count:     25
    .vgpr_spill_count: 0
    .wavefront_size: 32
    .workgroup_processor_mode: 1
  - .args:
      - .offset:         0
        .size:           4
        .value_kind:     by_value
      - .offset:         4
        .size:           4
        .value_kind:     by_value
      - .offset:         8
        .size:           4
        .value_kind:     by_value
      - .offset:         16
        .size:           8
        .value_kind:     by_value
      - .address_space:  global
        .offset:         24
        .size:           8
        .value_kind:     global_buffer
      - .offset:         32
        .size:           8
        .value_kind:     by_value
      - .offset:         40
        .size:           8
        .value_kind:     by_value
      - .offset:         48
        .size:           8
        .value_kind:     by_value
      - .address_space:  global
        .offset:         56
        .size:           8
        .value_kind:     global_buffer
      - .offset:         64
        .size:           8
        .value_kind:     by_value
      - .offset:         72
        .size:           8
        .value_kind:     by_value
      - .offset:         80
        .size:           8
        .value_kind:     by_value
      - .offset:         88
        .size:           4
        .value_kind:     by_value
      - .offset:         96
        .size:           8
        .value_kind:     by_value
      - .address_space:  global
        .offset:         104
        .size:           8
        .value_kind:     global_buffer
      - .offset:         112
        .size:           8
        .value_kind:     by_value
      - .offset:         120
        .size:           8
        .value_kind:     by_value
      - .offset:         128
        .size:           8
        .value_kind:     by_value
      - .offset:         136
        .size:           4
        .value_kind:     by_value
    .group_segment_fixed_size: 128
    .kernarg_segment_align: 8
    .kernarg_segment_size: 140
    .language:       OpenCL C
    .language_version:
      - 2
      - 0
    .max_flat_workgroup_size: 256
    .name:           _ZL32rocblas_gemvt_warp_reduce_kernelILb0ELi256ElPK16rocblas_bfloat16fKPfEviiT3_lPKT2_lT1_lS8_lS9_lS5_lPT4_lS9_li
    .private_segment_fixed_size: 0
    .sgpr_count:     42
    .sgpr_spill_count: 0
    .symbol:         _ZL32rocblas_gemvt_warp_reduce_kernelILb0ELi256ElPK16rocblas_bfloat16fKPfEviiT3_lPKT2_lT1_lS8_lS9_lS5_lPT4_lS9_li.kd
    .uniform_work_group_size: 1
    .uses_dynamic_stack: false
    .vgpr_count:     27
    .vgpr_spill_count: 0
    .wavefront_size: 32
    .workgroup_processor_mode: 1
  - .args:
      - .offset:         0
        .size:           4
        .value_kind:     by_value
      - .offset:         4
        .size:           4
        .value_kind:     by_value
      - .address_space:  global
        .offset:         8
        .size:           8
        .value_kind:     global_buffer
      - .offset:         16
        .size:           8
        .value_kind:     by_value
      - .address_space:  global
        .offset:         24
        .size:           8
        .value_kind:     global_buffer
      - .offset:         32
        .size:           8
        .value_kind:     by_value
      - .offset:         40
        .size:           4
        .value_kind:     by_value
      - .offset:         48
        .size:           8
        .value_kind:     by_value
      - .address_space:  global
        .offset:         56
        .size:           8
        .value_kind:     global_buffer
      - .offset:         64
        .size:           8
        .value_kind:     by_value
      - .offset:         72
        .size:           4
        .value_kind:     by_value
      - .offset:         80
        .size:           8
        .value_kind:     by_value
      - .address_space:  global
        .offset:         88
        .size:           8
        .value_kind:     global_buffer
      - .offset:         96
        .size:           8
        .value_kind:     by_value
      - .address_space:  global
        .offset:         104
        .size:           8
        .value_kind:     global_buffer
      - .offset:         112
        .size:           8
        .value_kind:     by_value
      - .offset:         120
        .size:           4
        .value_kind:     by_value
      - .offset:         128
        .size:           8
        .value_kind:     by_value
      - .offset:         136
        .size:           4
        .value_kind:     by_value
    .group_segment_fixed_size: 1024
    .kernarg_segment_align: 8
    .kernarg_segment_size: 140
    .language:       OpenCL C
    .language_version:
      - 2
      - 0
    .max_flat_workgroup_size: 256
    .name:           _ZL20rocblas_gemvt_kernelILb0ELi256EPK16rocblas_bfloat16PKfKPfEviiT2_lPKT1_lilSA_lilS7_lPT3_lili
    .private_segment_fixed_size: 0
    .sgpr_count:     52
    .sgpr_spill_count: 0
    .symbol:         _ZL20rocblas_gemvt_kernelILb0ELi256EPK16rocblas_bfloat16PKfKPfEviiT2_lPKT1_lilSA_lilS7_lPT3_lili.kd
    .uniform_work_group_size: 1
    .uses_dynamic_stack: false
    .vgpr_count:     22
    .vgpr_spill_count: 0
    .wavefront_size: 32
    .workgroup_processor_mode: 1
  - .args:
      - .offset:         0
        .size:           4
        .value_kind:     by_value
      - .offset:         4
        .size:           4
        .value_kind:     by_value
      - .offset:         8
        .size:           4
        .value_kind:     by_value
      - .offset:         16
        .size:           8
        .value_kind:     by_value
      - .address_space:  global
        .offset:         24
        .size:           8
        .value_kind:     global_buffer
      - .offset:         32
        .size:           8
        .value_kind:     by_value
      - .offset:         40
        .size:           4
        .value_kind:     by_value
      - .offset:         48
        .size:           8
        .value_kind:     by_value
      - .address_space:  global
        .offset:         56
        .size:           8
        .value_kind:     global_buffer
      - .offset:         64
        .size:           8
        .value_kind:     by_value
      - .offset:         72
        .size:           4
        .value_kind:     by_value
      - .offset:         80
        .size:           8
        .value_kind:     by_value
      - .offset:         88
        .size:           4
        .value_kind:     by_value
      - .offset:         96
        .size:           8
        .value_kind:     by_value
      - .address_space:  global
        .offset:         104
        .size:           8
        .value_kind:     global_buffer
      - .offset:         112
        .size:           8
        .value_kind:     by_value
      - .offset:         120
        .size:           4
        .value_kind:     by_value
      - .offset:         128
        .size:           8
        .value_kind:     by_value
      - .offset:         136
        .size:           4
        .value_kind:     by_value
    .group_segment_fixed_size: 1024
    .kernarg_segment_align: 8
    .kernarg_segment_size: 140
    .language:       OpenCL C
    .language_version:
      - 2
      - 0
    .max_flat_workgroup_size: 256
    .name:           _ZL20rocblas_gemvt_kernelILb0ELi256EPK16rocblas_bfloat16fKPfEviiT2_lPKT1_lilS8_lilS5_lPT3_lili
    .private_segment_fixed_size: 0
    .sgpr_count:     46
    .sgpr_spill_count: 0
    .symbol:         _ZL20rocblas_gemvt_kernelILb0ELi256EPK16rocblas_bfloat16fKPfEviiT2_lPKT1_lilS8_lilS5_lPT3_lili.kd
    .uniform_work_group_size: 1
    .uses_dynamic_stack: false
    .vgpr_count:     22
    .vgpr_spill_count: 0
    .wavefront_size: 32
    .workgroup_processor_mode: 1
  - .args:
      - .offset:         0
        .size:           4
        .value_kind:     by_value
      - .offset:         4
        .size:           4
        .value_kind:     by_value
      - .address_space:  global
        .offset:         8
        .size:           8
        .value_kind:     global_buffer
      - .offset:         16
        .size:           8
        .value_kind:     by_value
      - .address_space:  global
        .offset:         24
        .size:           8
        .value_kind:     global_buffer
      - .offset:         32
        .size:           8
        .value_kind:     by_value
      - .offset:         40
        .size:           4
        .value_kind:     by_value
      - .offset:         48
        .size:           8
        .value_kind:     by_value
      - .address_space:  global
        .offset:         56
        .size:           8
        .value_kind:     global_buffer
      - .offset:         64
        .size:           8
        .value_kind:     by_value
      - .offset:         72
        .size:           4
        .value_kind:     by_value
      - .offset:         80
        .size:           8
        .value_kind:     by_value
      - .address_space:  global
        .offset:         88
        .size:           8
        .value_kind:     global_buffer
      - .offset:         96
        .size:           8
        .value_kind:     by_value
      - .address_space:  global
        .offset:         104
        .size:           8
        .value_kind:     global_buffer
      - .offset:         112
        .size:           8
        .value_kind:     by_value
      - .offset:         120
        .size:           4
        .value_kind:     by_value
      - .offset:         128
        .size:           8
        .value_kind:     by_value
      - .offset:         136
        .size:           4
        .value_kind:     by_value
    .group_segment_fixed_size: 128
    .kernarg_segment_align: 8
    .kernarg_segment_size: 140
    .language:       OpenCL C
    .language_version:
      - 2
      - 0
    .max_flat_workgroup_size: 1024
    .name:           _ZL32rocblas_gemvt_warp_reduce_kernelILb0ELi1024EiPK16rocblas_bfloat16PKfKPfEviiT3_lPKT2_lT1_lSA_lSB_lS7_lPT4_lSB_li
    .private_segment_fixed_size: 0
    .sgpr_count:     46
    .sgpr_spill_count: 0
    .symbol:         _ZL32rocblas_gemvt_warp_reduce_kernelILb0ELi1024EiPK16rocblas_bfloat16PKfKPfEviiT3_lPKT2_lT1_lSA_lSB_lS7_lPT4_lSB_li.kd
    .uniform_work_group_size: 1
    .uses_dynamic_stack: false
    .vgpr_count:     25
    .vgpr_spill_count: 0
    .wavefront_size: 32
    .workgroup_processor_mode: 1
  - .args:
      - .offset:         0
        .size:           4
        .value_kind:     by_value
      - .offset:         4
        .size:           4
        .value_kind:     by_value
      - .address_space:  global
        .offset:         8
        .size:           8
        .value_kind:     global_buffer
      - .offset:         16
        .size:           8
        .value_kind:     by_value
      - .address_space:  global
        .offset:         24
        .size:           8
        .value_kind:     global_buffer
      - .offset:         32
        .size:           8
        .value_kind:     by_value
      - .offset:         40
        .size:           8
        .value_kind:     by_value
      - .offset:         48
        .size:           8
        .value_kind:     by_value
      - .address_space:  global
        .offset:         56
        .size:           8
        .value_kind:     global_buffer
      - .offset:         64
        .size:           8
        .value_kind:     by_value
      - .offset:         72
        .size:           8
        .value_kind:     by_value
      - .offset:         80
        .size:           8
        .value_kind:     by_value
      - .address_space:  global
        .offset:         88
        .size:           8
        .value_kind:     global_buffer
      - .offset:         96
        .size:           8
        .value_kind:     by_value
      - .address_space:  global
        .offset:         104
        .size:           8
        .value_kind:     global_buffer
      - .offset:         112
        .size:           8
        .value_kind:     by_value
      - .offset:         120
        .size:           8
        .value_kind:     by_value
      - .offset:         128
        .size:           8
        .value_kind:     by_value
      - .offset:         136
        .size:           4
        .value_kind:     by_value
    .group_segment_fixed_size: 128
    .kernarg_segment_align: 8
    .kernarg_segment_size: 140
    .language:       OpenCL C
    .language_version:
      - 2
      - 0
    .max_flat_workgroup_size: 1024
    .name:           _ZL32rocblas_gemvt_warp_reduce_kernelILb0ELi1024ElPK16rocblas_bfloat16PKfKPfEviiT3_lPKT2_lT1_lSA_lSB_lS7_lPT4_lSB_li
    .private_segment_fixed_size: 0
    .sgpr_count:     48
    .sgpr_spill_count: 0
    .symbol:         _ZL32rocblas_gemvt_warp_reduce_kernelILb0ELi1024ElPK16rocblas_bfloat16PKfKPfEviiT3_lPKT2_lT1_lSA_lSB_lS7_lPT4_lSB_li.kd
    .uniform_work_group_size: 1
    .uses_dynamic_stack: false
    .vgpr_count:     27
    .vgpr_spill_count: 0
    .wavefront_size: 32
    .workgroup_processor_mode: 1
  - .args:
      - .offset:         0
        .size:           4
        .value_kind:     by_value
      - .offset:         4
        .size:           4
        .value_kind:     by_value
      - .offset:         8
        .size:           4
        .value_kind:     by_value
      - .offset:         16
        .size:           8
        .value_kind:     by_value
      - .address_space:  global
        .offset:         24
        .size:           8
        .value_kind:     global_buffer
      - .offset:         32
        .size:           8
        .value_kind:     by_value
      - .offset:         40
        .size:           4
        .value_kind:     by_value
      - .offset:         48
        .size:           8
        .value_kind:     by_value
      - .address_space:  global
        .offset:         56
        .size:           8
        .value_kind:     global_buffer
      - .offset:         64
        .size:           8
        .value_kind:     by_value
      - .offset:         72
        .size:           4
        .value_kind:     by_value
      - .offset:         80
        .size:           8
        .value_kind:     by_value
      - .offset:         88
        .size:           4
        .value_kind:     by_value
      - .offset:         96
        .size:           8
        .value_kind:     by_value
      - .address_space:  global
        .offset:         104
        .size:           8
        .value_kind:     global_buffer
      - .offset:         112
        .size:           8
        .value_kind:     by_value
      - .offset:         120
        .size:           4
        .value_kind:     by_value
      - .offset:         128
        .size:           8
        .value_kind:     by_value
      - .offset:         136
        .size:           4
        .value_kind:     by_value
    .group_segment_fixed_size: 128
    .kernarg_segment_align: 8
    .kernarg_segment_size: 140
    .language:       OpenCL C
    .language_version:
      - 2
      - 0
    .max_flat_workgroup_size: 1024
    .name:           _ZL32rocblas_gemvt_warp_reduce_kernelILb0ELi1024EiPK16rocblas_bfloat16fKPfEviiT3_lPKT2_lT1_lS8_lS9_lS5_lPT4_lS9_li
    .private_segment_fixed_size: 0
    .sgpr_count:     40
    .sgpr_spill_count: 0
    .symbol:         _ZL32rocblas_gemvt_warp_reduce_kernelILb0ELi1024EiPK16rocblas_bfloat16fKPfEviiT3_lPKT2_lT1_lS8_lS9_lS5_lPT4_lS9_li.kd
    .uniform_work_group_size: 1
    .uses_dynamic_stack: false
    .vgpr_count:     25
    .vgpr_spill_count: 0
    .wavefront_size: 32
    .workgroup_processor_mode: 1
  - .args:
      - .offset:         0
        .size:           4
        .value_kind:     by_value
      - .offset:         4
        .size:           4
        .value_kind:     by_value
      - .offset:         8
        .size:           4
        .value_kind:     by_value
      - .offset:         16
        .size:           8
        .value_kind:     by_value
      - .address_space:  global
        .offset:         24
        .size:           8
        .value_kind:     global_buffer
      - .offset:         32
        .size:           8
        .value_kind:     by_value
      - .offset:         40
        .size:           8
        .value_kind:     by_value
      - .offset:         48
        .size:           8
        .value_kind:     by_value
      - .address_space:  global
        .offset:         56
        .size:           8
        .value_kind:     global_buffer
      - .offset:         64
        .size:           8
        .value_kind:     by_value
      - .offset:         72
        .size:           8
        .value_kind:     by_value
      - .offset:         80
        .size:           8
        .value_kind:     by_value
      - .offset:         88
        .size:           4
        .value_kind:     by_value
      - .offset:         96
        .size:           8
        .value_kind:     by_value
      - .address_space:  global
        .offset:         104
        .size:           8
        .value_kind:     global_buffer
      - .offset:         112
        .size:           8
        .value_kind:     by_value
      - .offset:         120
        .size:           8
        .value_kind:     by_value
      - .offset:         128
        .size:           8
        .value_kind:     by_value
      - .offset:         136
        .size:           4
        .value_kind:     by_value
    .group_segment_fixed_size: 128
    .kernarg_segment_align: 8
    .kernarg_segment_size: 140
    .language:       OpenCL C
    .language_version:
      - 2
      - 0
    .max_flat_workgroup_size: 1024
    .name:           _ZL32rocblas_gemvt_warp_reduce_kernelILb0ELi1024ElPK16rocblas_bfloat16fKPfEviiT3_lPKT2_lT1_lS8_lS9_lS5_lPT4_lS9_li
    .private_segment_fixed_size: 0
    .sgpr_count:     42
    .sgpr_spill_count: 0
    .symbol:         _ZL32rocblas_gemvt_warp_reduce_kernelILb0ELi1024ElPK16rocblas_bfloat16fKPfEviiT3_lPKT2_lT1_lS8_lS9_lS5_lPT4_lS9_li.kd
    .uniform_work_group_size: 1
    .uses_dynamic_stack: false
    .vgpr_count:     27
    .vgpr_spill_count: 0
    .wavefront_size: 32
    .workgroup_processor_mode: 1
  - .args:
      - .offset:         0
        .size:           4
        .value_kind:     by_value
      - .offset:         4
        .size:           4
        .value_kind:     by_value
      - .address_space:  global
        .offset:         8
        .size:           8
        .value_kind:     global_buffer
      - .offset:         16
        .size:           8
        .value_kind:     by_value
      - .address_space:  global
        .offset:         24
        .size:           8
        .value_kind:     global_buffer
      - .offset:         32
        .size:           8
        .value_kind:     by_value
      - .offset:         40
        .size:           4
        .value_kind:     by_value
      - .offset:         48
        .size:           8
        .value_kind:     by_value
      - .address_space:  global
        .offset:         56
        .size:           8
        .value_kind:     global_buffer
      - .offset:         64
        .size:           8
        .value_kind:     by_value
      - .offset:         72
        .size:           4
        .value_kind:     by_value
      - .offset:         80
        .size:           8
        .value_kind:     by_value
      - .address_space:  global
        .offset:         88
        .size:           8
        .value_kind:     global_buffer
      - .offset:         96
        .size:           8
        .value_kind:     by_value
      - .address_space:  global
        .offset:         104
        .size:           8
        .value_kind:     global_buffer
      - .offset:         112
        .size:           8
        .value_kind:     by_value
      - .offset:         120
        .size:           4
        .value_kind:     by_value
      - .offset:         128
        .size:           8
        .value_kind:     by_value
    .group_segment_fixed_size: 256
    .kernarg_segment_align: 8
    .kernarg_segment_size: 136
    .language:       OpenCL C
    .language_version:
      - 2
      - 0
    .max_flat_workgroup_size: 256
    .name:           _ZL22rocblas_gemvtsm_kernelILb1ELi256EPK16rocblas_bfloat16PKfKPfEviiT2_lPKT1_lilSA_lilS7_lPT3_lil
    .private_segment_fixed_size: 0
    .sgpr_count:     24
    .sgpr_spill_count: 0
    .symbol:         _ZL22rocblas_gemvtsm_kernelILb1ELi256EPK16rocblas_bfloat16PKfKPfEviiT2_lPKT1_lilSA_lilS7_lPT3_lil.kd
    .uniform_work_group_size: 1
    .uses_dynamic_stack: false
    .vgpr_count:     16
    .vgpr_spill_count: 0
    .wavefront_size: 32
    .workgroup_processor_mode: 1
  - .args:
      - .offset:         0
        .size:           4
        .value_kind:     by_value
      - .offset:         4
        .size:           4
        .value_kind:     by_value
      - .offset:         8
        .size:           4
        .value_kind:     by_value
      - .offset:         16
        .size:           8
        .value_kind:     by_value
      - .address_space:  global
        .offset:         24
        .size:           8
        .value_kind:     global_buffer
      - .offset:         32
        .size:           8
        .value_kind:     by_value
      - .offset:         40
        .size:           4
        .value_kind:     by_value
      - .offset:         48
        .size:           8
        .value_kind:     by_value
      - .address_space:  global
        .offset:         56
        .size:           8
        .value_kind:     global_buffer
      - .offset:         64
        .size:           8
        .value_kind:     by_value
      - .offset:         72
        .size:           4
        .value_kind:     by_value
      - .offset:         80
        .size:           8
        .value_kind:     by_value
      - .offset:         88
        .size:           4
        .value_kind:     by_value
      - .offset:         96
        .size:           8
        .value_kind:     by_value
      - .address_space:  global
        .offset:         104
        .size:           8
        .value_kind:     global_buffer
      - .offset:         112
        .size:           8
        .value_kind:     by_value
      - .offset:         120
        .size:           4
        .value_kind:     by_value
      - .offset:         128
        .size:           8
        .value_kind:     by_value
    .group_segment_fixed_size: 256
    .kernarg_segment_align: 8
    .kernarg_segment_size: 136
    .language:       OpenCL C
    .language_version:
      - 2
      - 0
    .max_flat_workgroup_size: 256
    .name:           _ZL22rocblas_gemvtsm_kernelILb1ELi256EPK16rocblas_bfloat16fKPfEviiT2_lPKT1_lilS8_lilS5_lPT3_lil
    .private_segment_fixed_size: 0
    .sgpr_count:     26
    .sgpr_spill_count: 0
    .symbol:         _ZL22rocblas_gemvtsm_kernelILb1ELi256EPK16rocblas_bfloat16fKPfEviiT2_lPKT1_lilS8_lilS5_lPT3_lil.kd
    .uniform_work_group_size: 1
    .uses_dynamic_stack: false
    .vgpr_count:     16
    .vgpr_spill_count: 0
    .wavefront_size: 32
    .workgroup_processor_mode: 1
  - .args:
      - .offset:         0
        .size:           4
        .value_kind:     by_value
      - .offset:         4
        .size:           4
        .value_kind:     by_value
      - .address_space:  global
        .offset:         8
        .size:           8
        .value_kind:     global_buffer
      - .offset:         16
        .size:           8
        .value_kind:     by_value
      - .address_space:  global
        .offset:         24
        .size:           8
        .value_kind:     global_buffer
      - .offset:         32
        .size:           8
        .value_kind:     by_value
      - .offset:         40
        .size:           4
        .value_kind:     by_value
      - .offset:         48
        .size:           8
        .value_kind:     by_value
      - .address_space:  global
        .offset:         56
        .size:           8
        .value_kind:     global_buffer
      - .offset:         64
        .size:           8
        .value_kind:     by_value
      - .offset:         72
        .size:           4
        .value_kind:     by_value
      - .offset:         80
        .size:           8
        .value_kind:     by_value
      - .address_space:  global
        .offset:         88
        .size:           8
        .value_kind:     global_buffer
      - .offset:         96
        .size:           8
        .value_kind:     by_value
      - .address_space:  global
        .offset:         104
        .size:           8
        .value_kind:     global_buffer
      - .offset:         112
        .size:           8
        .value_kind:     by_value
      - .offset:         120
        .size:           4
        .value_kind:     by_value
      - .offset:         128
        .size:           8
        .value_kind:     by_value
      - .offset:         136
        .size:           4
        .value_kind:     by_value
    .group_segment_fixed_size: 1024
    .kernarg_segment_align: 8
    .kernarg_segment_size: 140
    .language:       OpenCL C
    .language_version:
      - 2
      - 0
    .max_flat_workgroup_size: 256
    .name:           _ZL20rocblas_gemvt_kernelILb1ELi256EPK16rocblas_bfloat16PKfKPfEviiT2_lPKT1_lilSA_lilS7_lPT3_lili
    .private_segment_fixed_size: 0
    .sgpr_count:     52
    .sgpr_spill_count: 0
    .symbol:         _ZL20rocblas_gemvt_kernelILb1ELi256EPK16rocblas_bfloat16PKfKPfEviiT2_lPKT1_lilSA_lilS7_lPT3_lili.kd
    .uniform_work_group_size: 1
    .uses_dynamic_stack: false
    .vgpr_count:     22
    .vgpr_spill_count: 0
    .wavefront_size: 32
    .workgroup_processor_mode: 1
  - .args:
      - .offset:         0
        .size:           4
        .value_kind:     by_value
      - .offset:         4
        .size:           4
        .value_kind:     by_value
      - .offset:         8
        .size:           4
        .value_kind:     by_value
      - .offset:         16
        .size:           8
        .value_kind:     by_value
      - .address_space:  global
        .offset:         24
        .size:           8
        .value_kind:     global_buffer
      - .offset:         32
        .size:           8
        .value_kind:     by_value
      - .offset:         40
        .size:           4
        .value_kind:     by_value
      - .offset:         48
        .size:           8
        .value_kind:     by_value
      - .address_space:  global
        .offset:         56
        .size:           8
        .value_kind:     global_buffer
      - .offset:         64
        .size:           8
        .value_kind:     by_value
      - .offset:         72
        .size:           4
        .value_kind:     by_value
      - .offset:         80
        .size:           8
        .value_kind:     by_value
      - .offset:         88
        .size:           4
        .value_kind:     by_value
      - .offset:         96
        .size:           8
        .value_kind:     by_value
      - .address_space:  global
        .offset:         104
        .size:           8
        .value_kind:     global_buffer
      - .offset:         112
        .size:           8
        .value_kind:     by_value
      - .offset:         120
        .size:           4
        .value_kind:     by_value
      - .offset:         128
        .size:           8
        .value_kind:     by_value
      - .offset:         136
        .size:           4
        .value_kind:     by_value
    .group_segment_fixed_size: 1024
    .kernarg_segment_align: 8
    .kernarg_segment_size: 140
    .language:       OpenCL C
    .language_version:
      - 2
      - 0
    .max_flat_workgroup_size: 256
    .name:           _ZL20rocblas_gemvt_kernelILb1ELi256EPK16rocblas_bfloat16fKPfEviiT2_lPKT1_lilS8_lilS5_lPT3_lili
    .private_segment_fixed_size: 0
    .sgpr_count:     46
    .sgpr_spill_count: 0
    .symbol:         _ZL20rocblas_gemvt_kernelILb1ELi256EPK16rocblas_bfloat16fKPfEviiT2_lPKT1_lilS8_lilS5_lPT3_lili.kd
    .uniform_work_group_size: 1
    .uses_dynamic_stack: false
    .vgpr_count:     22
    .vgpr_spill_count: 0
    .wavefront_size: 32
    .workgroup_processor_mode: 1
  - .args:
      - .offset:         0
        .size:           4
        .value_kind:     by_value
      - .offset:         4
        .size:           4
        .value_kind:     by_value
      - .address_space:  global
        .offset:         8
        .size:           8
        .value_kind:     global_buffer
      - .offset:         16
        .size:           8
        .value_kind:     by_value
      - .address_space:  global
        .offset:         24
        .size:           8
        .value_kind:     global_buffer
      - .offset:         32
        .size:           8
        .value_kind:     by_value
      - .offset:         40
        .size:           4
        .value_kind:     by_value
      - .offset:         48
        .size:           8
        .value_kind:     by_value
      - .address_space:  global
        .offset:         56
        .size:           8
        .value_kind:     global_buffer
      - .offset:         64
        .size:           8
        .value_kind:     by_value
      - .offset:         72
        .size:           4
        .value_kind:     by_value
      - .offset:         80
        .size:           8
        .value_kind:     by_value
      - .address_space:  global
        .offset:         88
        .size:           8
        .value_kind:     global_buffer
      - .offset:         96
        .size:           8
        .value_kind:     by_value
      - .address_space:  global
        .offset:         104
        .size:           8
        .value_kind:     global_buffer
      - .offset:         112
        .size:           8
        .value_kind:     by_value
      - .offset:         120
        .size:           4
        .value_kind:     by_value
      - .offset:         128
        .size:           8
        .value_kind:     by_value
      - .offset:         136
        .size:           4
        .value_kind:     by_value
    .group_segment_fixed_size: 128
    .kernarg_segment_align: 8
    .kernarg_segment_size: 140
    .language:       OpenCL C
    .language_version:
      - 2
      - 0
    .max_flat_workgroup_size: 1024
    .name:           _ZL32rocblas_gemvt_warp_reduce_kernelILb1ELi1024EiPK16rocblas_bfloat16PKfKPfEviiT3_lPKT2_lT1_lSA_lSB_lS7_lPT4_lSB_li
    .private_segment_fixed_size: 0
    .sgpr_count:     46
    .sgpr_spill_count: 0
    .symbol:         _ZL32rocblas_gemvt_warp_reduce_kernelILb1ELi1024EiPK16rocblas_bfloat16PKfKPfEviiT3_lPKT2_lT1_lSA_lSB_lS7_lPT4_lSB_li.kd
    .uniform_work_group_size: 1
    .uses_dynamic_stack: false
    .vgpr_count:     25
    .vgpr_spill_count: 0
    .wavefront_size: 32
    .workgroup_processor_mode: 1
  - .args:
      - .offset:         0
        .size:           4
        .value_kind:     by_value
      - .offset:         4
        .size:           4
        .value_kind:     by_value
      - .address_space:  global
        .offset:         8
        .size:           8
        .value_kind:     global_buffer
      - .offset:         16
        .size:           8
        .value_kind:     by_value
      - .address_space:  global
        .offset:         24
        .size:           8
        .value_kind:     global_buffer
      - .offset:         32
        .size:           8
        .value_kind:     by_value
      - .offset:         40
        .size:           8
        .value_kind:     by_value
      - .offset:         48
        .size:           8
        .value_kind:     by_value
      - .address_space:  global
        .offset:         56
        .size:           8
        .value_kind:     global_buffer
      - .offset:         64
        .size:           8
        .value_kind:     by_value
      - .offset:         72
        .size:           8
        .value_kind:     by_value
      - .offset:         80
        .size:           8
        .value_kind:     by_value
      - .address_space:  global
        .offset:         88
        .size:           8
        .value_kind:     global_buffer
      - .offset:         96
        .size:           8
        .value_kind:     by_value
      - .address_space:  global
        .offset:         104
        .size:           8
        .value_kind:     global_buffer
      - .offset:         112
        .size:           8
        .value_kind:     by_value
      - .offset:         120
        .size:           8
        .value_kind:     by_value
      - .offset:         128
        .size:           8
        .value_kind:     by_value
      - .offset:         136
        .size:           4
        .value_kind:     by_value
    .group_segment_fixed_size: 128
    .kernarg_segment_align: 8
    .kernarg_segment_size: 140
    .language:       OpenCL C
    .language_version:
      - 2
      - 0
    .max_flat_workgroup_size: 1024
    .name:           _ZL32rocblas_gemvt_warp_reduce_kernelILb1ELi1024ElPK16rocblas_bfloat16PKfKPfEviiT3_lPKT2_lT1_lSA_lSB_lS7_lPT4_lSB_li
    .private_segment_fixed_size: 0
    .sgpr_count:     48
    .sgpr_spill_count: 0
    .symbol:         _ZL32rocblas_gemvt_warp_reduce_kernelILb1ELi1024ElPK16rocblas_bfloat16PKfKPfEviiT3_lPKT2_lT1_lSA_lSB_lS7_lPT4_lSB_li.kd
    .uniform_work_group_size: 1
    .uses_dynamic_stack: false
    .vgpr_count:     27
    .vgpr_spill_count: 0
    .wavefront_size: 32
    .workgroup_processor_mode: 1
  - .args:
      - .offset:         0
        .size:           4
        .value_kind:     by_value
      - .offset:         4
        .size:           4
        .value_kind:     by_value
      - .offset:         8
        .size:           4
        .value_kind:     by_value
      - .offset:         16
        .size:           8
        .value_kind:     by_value
      - .address_space:  global
        .offset:         24
        .size:           8
        .value_kind:     global_buffer
      - .offset:         32
        .size:           8
        .value_kind:     by_value
      - .offset:         40
        .size:           4
        .value_kind:     by_value
      - .offset:         48
        .size:           8
        .value_kind:     by_value
      - .address_space:  global
        .offset:         56
        .size:           8
        .value_kind:     global_buffer
      - .offset:         64
        .size:           8
        .value_kind:     by_value
      - .offset:         72
        .size:           4
        .value_kind:     by_value
      - .offset:         80
        .size:           8
        .value_kind:     by_value
      - .offset:         88
        .size:           4
        .value_kind:     by_value
      - .offset:         96
        .size:           8
        .value_kind:     by_value
      - .address_space:  global
        .offset:         104
        .size:           8
        .value_kind:     global_buffer
      - .offset:         112
        .size:           8
        .value_kind:     by_value
      - .offset:         120
        .size:           4
        .value_kind:     by_value
      - .offset:         128
        .size:           8
        .value_kind:     by_value
      - .offset:         136
        .size:           4
        .value_kind:     by_value
    .group_segment_fixed_size: 128
    .kernarg_segment_align: 8
    .kernarg_segment_size: 140
    .language:       OpenCL C
    .language_version:
      - 2
      - 0
    .max_flat_workgroup_size: 1024
    .name:           _ZL32rocblas_gemvt_warp_reduce_kernelILb1ELi1024EiPK16rocblas_bfloat16fKPfEviiT3_lPKT2_lT1_lS8_lS9_lS5_lPT4_lS9_li
    .private_segment_fixed_size: 0
    .sgpr_count:     40
    .sgpr_spill_count: 0
    .symbol:         _ZL32rocblas_gemvt_warp_reduce_kernelILb1ELi1024EiPK16rocblas_bfloat16fKPfEviiT3_lPKT2_lT1_lS8_lS9_lS5_lPT4_lS9_li.kd
    .uniform_work_group_size: 1
    .uses_dynamic_stack: false
    .vgpr_count:     25
    .vgpr_spill_count: 0
    .wavefront_size: 32
    .workgroup_processor_mode: 1
  - .args:
      - .offset:         0
        .size:           4
        .value_kind:     by_value
      - .offset:         4
        .size:           4
        .value_kind:     by_value
      - .offset:         8
        .size:           4
        .value_kind:     by_value
      - .offset:         16
        .size:           8
        .value_kind:     by_value
      - .address_space:  global
        .offset:         24
        .size:           8
        .value_kind:     global_buffer
      - .offset:         32
        .size:           8
        .value_kind:     by_value
      - .offset:         40
        .size:           8
        .value_kind:     by_value
      - .offset:         48
        .size:           8
        .value_kind:     by_value
      - .address_space:  global
        .offset:         56
        .size:           8
        .value_kind:     global_buffer
      - .offset:         64
        .size:           8
        .value_kind:     by_value
      - .offset:         72
        .size:           8
        .value_kind:     by_value
      - .offset:         80
        .size:           8
        .value_kind:     by_value
      - .offset:         88
        .size:           4
        .value_kind:     by_value
      - .offset:         96
        .size:           8
        .value_kind:     by_value
      - .address_space:  global
        .offset:         104
        .size:           8
        .value_kind:     global_buffer
      - .offset:         112
        .size:           8
        .value_kind:     by_value
      - .offset:         120
        .size:           8
        .value_kind:     by_value
      - .offset:         128
        .size:           8
        .value_kind:     by_value
      - .offset:         136
        .size:           4
        .value_kind:     by_value
    .group_segment_fixed_size: 128
    .kernarg_segment_align: 8
    .kernarg_segment_size: 140
    .language:       OpenCL C
    .language_version:
      - 2
      - 0
    .max_flat_workgroup_size: 1024
    .name:           _ZL32rocblas_gemvt_warp_reduce_kernelILb1ELi1024ElPK16rocblas_bfloat16fKPfEviiT3_lPKT2_lT1_lS8_lS9_lS5_lPT4_lS9_li
    .private_segment_fixed_size: 0
    .sgpr_count:     42
    .sgpr_spill_count: 0
    .symbol:         _ZL32rocblas_gemvt_warp_reduce_kernelILb1ELi1024ElPK16rocblas_bfloat16fKPfEviiT3_lPKT2_lT1_lS8_lS9_lS5_lPT4_lS9_li.kd
    .uniform_work_group_size: 1
    .uses_dynamic_stack: false
    .vgpr_count:     27
    .vgpr_spill_count: 0
    .wavefront_size: 32
    .workgroup_processor_mode: 1
amdhsa.target:   amdgcn-amd-amdhsa--gfx1201
amdhsa.version:
  - 1
  - 2
...

	.end_amdgpu_metadata
